;; amdgpu-corpus repo=ROCm/vllm kind=compiled arch=gfx1100 opt=O3
	.text
	.amdgcn_target "amdgcn-amd-amdhsa--gfx1100"
	.amdhsa_code_object_version 6
	.section	.text._Z25selective_scan_fwd_kernelI32Selective_Scan_fwd_kernel_traitsILi64ELi4ELi1ELb1ELb1ELb1ELb1ELb1EN3c108BFloat16EfS2_EEv13SSMParamsBase,"axG",@progbits,_Z25selective_scan_fwd_kernelI32Selective_Scan_fwd_kernel_traitsILi64ELi4ELi1ELb1ELb1ELb1ELb1ELb1EN3c108BFloat16EfS2_EEv13SSMParamsBase,comdat
	.protected	_Z25selective_scan_fwd_kernelI32Selective_Scan_fwd_kernel_traitsILi64ELi4ELi1ELb1ELb1ELb1ELb1ELb1EN3c108BFloat16EfS2_EEv13SSMParamsBase ; -- Begin function _Z25selective_scan_fwd_kernelI32Selective_Scan_fwd_kernel_traitsILi64ELi4ELi1ELb1ELb1ELb1ELb1ELb1EN3c108BFloat16EfS2_EEv13SSMParamsBase
	.globl	_Z25selective_scan_fwd_kernelI32Selective_Scan_fwd_kernel_traitsILi64ELi4ELi1ELb1ELb1ELb1ELb1ELb1EN3c108BFloat16EfS2_EEv13SSMParamsBase
	.p2align	8
	.type	_Z25selective_scan_fwd_kernelI32Selective_Scan_fwd_kernel_traitsILi64ELi4ELi1ELb1ELb1ELb1ELb1ELb1EN3c108BFloat16EfS2_EEv13SSMParamsBase,@function
_Z25selective_scan_fwd_kernelI32Selective_Scan_fwd_kernel_traitsILi64ELi4ELi1ELb1ELb1ELb1ELb1ELb1EN3c108BFloat16EfS2_EEv13SSMParamsBase: ; @_Z25selective_scan_fwd_kernelI32Selective_Scan_fwd_kernel_traitsILi64ELi4ELi1ELb1ELb1ELb1ELb1ELb1EN3c108BFloat16EfS2_EEv13SSMParamsBase
; %bb.0:
	s_clause 0x2
	s_load_b32 s11, s[0:1], 0x18
	s_load_b256 s[52:59], s[0:1], 0xc8
	s_load_b128 s[4:7], s[0:1], 0xe8
	s_mov_b32 s12, s15
	s_ashr_i32 s15, s14, 31
	s_mov_b32 s33, 0
	s_lshl_b64 s[8:9], s[14:15], 2
	s_waitcnt lgkmcnt(0)
	s_abs_i32 s10, s11
	s_add_u32 s2, s58, s8
	v_cvt_f32_u32_e32 v1, s10
	s_addc_u32 s3, s59, s9
	s_cmp_eq_u64 s[6:7], 0
	s_delay_alu instid0(VALU_DEP_1) | instskip(SKIP_2) | instid1(VALU_DEP_1)
	v_rcp_iflag_f32_e32 v1, v1
	s_waitcnt_depctr 0xfff
	v_mul_f32_e32 v1, 0x4f7ffffe, v1
	v_cvt_u32_f32_e32 v1, v1
	s_delay_alu instid0(VALU_DEP_1)
	v_readfirstlane_b32 s60, v1
	s_cbranch_scc1 .LBB0_2
; %bb.1:
	v_mov_b32_e32 v1, 0
	s_add_u32 s6, s6, s14
	s_addc_u32 s7, s7, s15
	global_load_u8 v1, v1, s[6:7]
	s_waitcnt vmcnt(0)
	v_and_b32_e32 v1, 1, v1
	s_delay_alu instid0(VALU_DEP_1)
	v_cmp_eq_u32_e64 s33, 1, v1
.LBB0_2:
	s_load_b64 s[6:7], s[0:1], 0x20
	s_cmp_eq_u64 s[4:5], 0
	s_cbranch_scc1 .LBB0_4
; %bb.3:
	s_add_u32 s4, s4, s8
	s_addc_u32 s5, s5, s9
	s_load_b32 s14, s[4:5], 0x0
	s_waitcnt lgkmcnt(0)
	s_ashr_i32 s15, s14, 31
.LBB0_4:
	s_waitcnt lgkmcnt(0)
	s_cmp_eq_u64 s[6:7], s[14:15]
	s_cbranch_scc1 .LBB0_108
; %bb.5:
	s_load_b512 s[16:31], s[0:1], 0x88
	s_load_b64 s[34:35], s[2:3], 0x0
	s_mov_b32 s58, 0
	s_mov_b32 s59, 0
	s_waitcnt lgkmcnt(0)
	s_cmp_eq_u64 s[22:23], 0
	s_cbranch_scc1 .LBB0_7
; %bb.6:
	s_ashr_i32 s13, s12, 31
	s_delay_alu instid0(SALU_CYCLE_1) | instskip(NEXT) | instid1(SALU_CYCLE_1)
	s_lshl_b64 s[2:3], s[12:13], 2
	s_add_u32 s2, s22, s2
	s_addc_u32 s3, s23, s3
	s_load_b32 s59, s[2:3], 0x0
.LBB0_7:
	s_cmp_eq_u64 s[28:29], 0
	s_cbranch_scc1 .LBB0_9
; %bb.8:
	s_ashr_i32 s13, s12, 31
	s_delay_alu instid0(SALU_CYCLE_1) | instskip(NEXT) | instid1(SALU_CYCLE_1)
	s_lshl_b64 s[2:3], s[12:13], 2
	s_add_u32 s2, s28, s2
	s_addc_u32 s3, s29, s3
	s_load_b32 s58, s[2:3], 0x0
.LBB0_9:
	s_sub_i32 s23, s35, s34
	s_delay_alu instid0(SALU_CYCLE_1)
	s_cmp_lt_i32 s23, 1
	s_cbranch_scc1 .LBB0_108
; %bb.10:
	s_sub_i32 s2, 0, s10
	s_load_b256 s[36:43], s[0:1], 0x4c
	s_mul_i32 s2, s2, s60
	s_abs_i32 s3, s12
	s_mul_hi_u32 s2, s60, s2
	s_ashr_i32 s5, s11, 31
	s_add_i32 s60, s60, s2
	s_ashr_i32 s2, s12, 31
	s_mul_hi_u32 s4, s3, s60
	s_xor_b32 s5, s2, s5
	s_mul_i32 s6, s4, s10
	s_load_b256 s[44:51], s[0:1], 0x2c
	s_sub_i32 s2, s3, s6
	s_add_i32 s3, s4, 1
	s_sub_i32 s6, s2, s10
	s_cmp_ge_u32 s2, s10
	s_mov_b32 s29, 0
	s_cselect_b32 s3, s3, s4
	s_cselect_b32 s2, s6, s2
	s_add_i32 s4, s3, 1
	s_cmp_ge_u32 s2, s10
	s_waitcnt lgkmcnt(0)
	s_mul_i32 s28, s34, s38
	s_cselect_b32 s4, s4, s3
	s_lshl_b64 s[2:3], s[28:29], 1
	s_xor_b32 s4, s4, s5
	s_mul_i32 s28, s39, s12
	s_sub_i32 s6, s4, s5
	s_add_u32 s4, s24, s2
	s_addc_u32 s5, s25, s3
	s_lshl_b64 s[2:3], s[28:29], 1
	s_mul_i32 s28, s34, s40
	s_add_u32 s38, s4, s2
	s_addc_u32 s39, s5, s3
	s_lshl_b64 s[2:3], s[28:29], 1
	s_mul_i32 s28, s41, s12
	;; [unrolled: 4-line block ×3, first 2 shown]
	s_add_u32 s40, s4, s2
	s_addc_u32 s41, s5, s3
	s_load_b64 s[4:5], s[0:1], 0x7c
	s_lshl_b64 s[2:3], s[28:29], 2
	v_lshlrev_b32_e32 v8, 2, v0
	s_mul_i32 s28, s34, s46
	s_add_u32 s44, s16, s2
	s_addc_u32 s46, s17, s3
	s_lshl_b64 s[2:3], s[28:29], 1
	s_mul_i32 s28, s6, s49
	s_add_u32 s7, s18, s2
	v_mbcnt_lo_u32_b32 v1, -1, 0
	v_and_b32_e32 v2, 0x80, v8
	v_dual_mov_b32 v12, 0 :: v_dual_and_b32 v3, 32, v0
	s_addc_u32 s8, s19, s3
	s_lshl_b64 s[2:3], s[28:29], 1
	s_mul_i32 s28, s34, s50
	s_add_u32 s47, s7, s2
	s_addc_u32 s49, s8, s3
	s_lshl_b64 s[2:3], s[28:29], 1
	s_mul_i32 s28, s6, s37
	s_clause 0x1
	s_load_b32 s37, s[0:1], 0xc
	s_load_b32 s8, s[0:1], 0x28
	v_or_b32_e32 v9, v1, v2
	v_or_b32_e32 v4, v1, v3
	s_add_u32 s7, s20, s2
	s_load_b128 s[16:19], s[0:1], 0x6c
	s_addc_u32 s6, s21, s3
	v_or_b32_e32 v11, 0x60, v9
	v_lshrrev_b32_e32 v14, 3, v4
	s_lshl_b64 s[2:3], s[28:29], 1
	s_waitcnt lgkmcnt(0)
	s_mul_i32 s28, s14, s4
	s_add_u32 s51, s7, s2
	s_load_b32 s50, s[0:1], 0x84
	s_addc_u32 s60, s6, s3
	s_lshl_b64 s[0:1], s[28:29], 1
	v_or_b32_e32 v10, 64, v9
	v_lshrrev_b32_e32 v7, 5, v11
	v_and_b32_e32 v16, 6, v14
	s_mul_i32 s28, s5, s12
	s_add_u32 s2, s52, s0
	s_addc_u32 s3, s53, s1
	s_lshl_b64 s[0:1], s[28:29], 1
	v_lshrrev_b32_e32 v5, 5, v2
	s_add_u32 s52, s2, s0
	v_lshrrev_b32_e32 v6, 5, v10
	v_and_b32_e32 v7, 6, v7
	v_lshl_add_u32 v4, v4, 2, v16
	s_addc_u32 s53, s3, s1
	s_add_i32 s0, s23, 0x7ff
	v_add_lshl_u32 v5, v5, v9, 1
	s_lshr_b32 s61, s0, 11
	s_bitcmp1_b32 s8, 0
	v_add_lshl_u32 v6, v6, v9, 1
	v_add_lshl_u32 v7, v7, v9, 1
	v_lshl_add_u32 v17, v4, 1, 0
	v_and_b32_e32 v4, 15, v1
	s_cselect_b32 s62, -1, 0
	s_cmp_gt_i32 s37, 0
	s_mul_i32 s28, s34, s16
	s_cselect_b32 s63, -1, 0
	s_add_i32 s0, 0, 0x210
	s_and_b32 s1, s23, 0xff
	v_add_nc_u32_e32 v18, s0, v5
	v_add_nc_u32_e32 v19, s0, v6
	s_cmp_eq_u32 s1, 0
	v_add_nc_u32_e32 v20, s0, v7
	v_cmp_ne_u32_e64 s0, 0, v4
	v_cmp_lt_u32_e64 s1, 1, v4
	v_cmp_lt_u32_e64 s2, 3, v4
	;; [unrolled: 1-line block ×3, first 2 shown]
	v_add_nc_u32_e32 v4, -1, v1
	v_or_b32_e32 v3, 31, v3
	s_cselect_b32 s64, -1, 0
	s_lshl_b64 s[14:15], s[28:29], 1
	s_add_i32 s65, s61, -1
	v_cmp_gt_i32_e32 vcc_lo, 0, v4
	s_mul_i32 s28, s17, s12
	v_add_nc_u32_e32 v14, 0, v5
	v_lshrrev_b32_e32 v5, 2, v0
	s_add_u32 s13, s30, s14
	v_cndmask_b32_e32 v4, v4, v1, vcc_lo
	s_addc_u32 s16, s31, s15
	s_lshl_b64 s[14:15], s[28:29], 1
	v_cmp_eq_u32_e64 s5, v3, v0
	v_and_b32_e32 v3, 1, v1
	v_cmp_gt_u32_e64 s6, 2, v0
	v_lshl_add_u32 v22, v0, 3, 0
	v_cmp_gt_u32_e64 s8, 32, v0
	v_cmp_lt_u32_e64 s9, 31, v0
	v_cmp_eq_u32_e64 s10, 0, v0
	s_mul_i32 s28, s34, s42
	v_lshlrev_b32_e32 v0, 1, v1
	s_add_u32 s13, s13, s14
	s_addc_u32 s16, s16, s15
	s_lshl_b64 s[14:15], s[28:29], 1
	v_and_b32_e32 v5, 8, v5
	s_mul_i32 s28, s43, s12
	s_add_u32 s17, s54, s14
	v_cmp_eq_u32_e64 s7, 0, v3
	s_addc_u32 s20, s55, s15
	s_lshl_b64 s[14:15], s[28:29], 1
	v_add_co_u32 v3, s13, s13, v0
	s_mul_i32 s28, s34, s18
	v_lshlrev_b32_e32 v23, 2, v4
	v_add_co_ci_u32_e64 v4, null, s16, 0, s13
	s_add_u32 s16, s17, s14
	v_add_nc_u32_e32 v21, 0, v5
	s_addc_u32 s17, s20, s15
	s_lshl_b64 s[14:15], s[28:29], 1
	v_lshlrev_b32_e32 v5, 1, v2
	s_mul_i32 s28, s19, s12
	s_add_u32 s14, s56, s14
	s_addc_u32 s15, s57, s15
	s_lshl_b64 s[12:13], s[28:29], 1
	v_add_nc_u32_e32 v15, 0, v6
	v_and_b32_e32 v6, 16, v1
	v_add_co_u32 v24, vcc_lo, v3, v5
	s_add_u32 s12, s14, s12
	v_add_co_u32 v3, s14, s16, v0
	v_add_co_ci_u32_e32 v25, vcc_lo, 0, v4, vcc_lo
	v_add_co_ci_u32_e64 v4, null, s17, 0, s14
	s_addc_u32 s13, s15, s13
	v_add_co_u32 v0, s12, s12, v0
	v_cmp_ne_u32_e64 s4, 0, v6
	v_add_co_ci_u32_e64 v6, null, s13, 0, s12
	v_add_co_u32 v26, vcc_lo, v3, v5
	v_add_co_ci_u32_e32 v27, vcc_lo, 0, v4, vcc_lo
	v_add_co_u32 v28, vcc_lo, v0, v5
	v_or_b32_e32 v13, 32, v9
	v_add_nc_u32_e32 v16, 0, v7
	v_cmp_eq_u32_e64 s11, 0, v1
	v_add_co_ci_u32_e32 v29, vcc_lo, 0, v6, vcc_lo
	v_or_b32_e32 v30, 1, v8
	v_or_b32_e32 v31, 2, v8
	;; [unrolled: 1-line block ×3, first 2 shown]
	v_lshlrev_b32_e32 v33, 1, v1
	v_lshlrev_b32_e32 v34, 1, v2
	s_mov_b32 s42, 0x3e9b6dac
	s_add_i32 s43, 0, 0x430
	s_mov_b32 s54, 0
	s_branch .LBB0_12
.LBB0_11:                               ;   in Loop: Header=BB0_12 Depth=1
	s_or_b32 exec_lo, exec_lo, s12
	s_add_u32 s40, s40, 0x200
	s_addc_u32 s41, s41, 0
	s_add_u32 s38, s38, 0x200
	s_addc_u32 s39, s39, 0
	;; [unrolled: 2-line block ×4, first 2 shown]
	s_add_i32 s54, s54, 1
	s_delay_alu instid0(SALU_CYCLE_1)
	s_cmp_lg_u32 s54, s61
	s_cbranch_scc0 .LBB0_108
.LBB0_12:                               ; =>This Loop Header: Depth=1
                                        ;     Child Loop BB0_37 Depth 2
	v_add_co_u32 v0, s12, s38, v33
	s_delay_alu instid0(VALU_DEP_1) | instskip(SKIP_1) | instid1(VALU_DEP_2)
	v_add_co_ci_u32_e64 v1, null, s39, 0, s12
	s_lshl_b32 s24, s54, 8
	v_add_co_u32 v0, vcc_lo, v0, v34
	s_sub_i32 s19, s23, s24
	s_delay_alu instid0(VALU_DEP_2)
	v_add_co_ci_u32_e32 v1, vcc_lo, 0, v1, vcc_lo
	v_cmp_gt_u32_e64 s12, s19, v9
	s_waitcnt lgkmcnt(0)
	v_mov_b32_e32 v2, 0
	s_waitcnt lgkmcnt(0)
	s_waitcnt_vscnt null, 0x0
	s_barrier
	buffer_gl0_inv
	s_and_saveexec_b32 s13, s12
	s_cbranch_execz .LBB0_14
; %bb.13:                               ;   in Loop: Header=BB0_12 Depth=1
	global_load_u16 v2, v[0:1], off
.LBB0_14:                               ;   in Loop: Header=BB0_12 Depth=1
	s_or_b32 exec_lo, exec_lo, s13
	v_cmp_gt_u32_e64 s13, s19, v13
	v_mov_b32_e32 v3, 0
	v_mov_b32_e32 v5, 0
	s_delay_alu instid0(VALU_DEP_3)
	s_and_saveexec_b32 s14, s13
	s_cbranch_execz .LBB0_16
; %bb.15:                               ;   in Loop: Header=BB0_12 Depth=1
	global_load_u16 v5, v[0:1], off offset:64
.LBB0_16:                               ;   in Loop: Header=BB0_12 Depth=1
	s_or_b32 exec_lo, exec_lo, s14
	v_cmp_gt_u32_e64 s14, s19, v10
	s_delay_alu instid0(VALU_DEP_1)
	s_and_saveexec_b32 s15, s14
	s_cbranch_execz .LBB0_18
; %bb.17:                               ;   in Loop: Header=BB0_12 Depth=1
	global_load_u16 v3, v[0:1], off offset:128
.LBB0_18:                               ;   in Loop: Header=BB0_12 Depth=1
	s_or_b32 exec_lo, exec_lo, s15
	v_cmp_gt_u32_e64 s15, s19, v11
	v_mov_b32_e32 v4, 0
	v_mov_b32_e32 v6, 0
	s_delay_alu instid0(VALU_DEP_3)
	s_and_saveexec_b32 s16, s15
	s_cbranch_execz .LBB0_20
; %bb.19:                               ;   in Loop: Header=BB0_12 Depth=1
	global_load_u16 v6, v[0:1], off offset:192
.LBB0_20:                               ;   in Loop: Header=BB0_12 Depth=1
	s_or_b32 exec_lo, exec_lo, s16
	s_waitcnt vmcnt(0)
	ds_store_b16 v14, v2
	ds_store_b16 v14, v5 offset:64
	ds_store_b16 v15, v3 offset:128
	;; [unrolled: 1-line block ×3, first 2 shown]
	; wave barrier
	ds_load_b64 v[0:1], v17
	v_add_co_u32 v2, s16, s40, v33
	s_delay_alu instid0(VALU_DEP_1) | instskip(SKIP_1) | instid1(VALU_DEP_2)
	v_add_co_ci_u32_e64 v3, null, s41, 0, s16
	s_waitcnt lgkmcnt(0)
	v_add_co_u32 v2, vcc_lo, v2, v34
	s_delay_alu instid0(VALU_DEP_2)
	v_add_co_ci_u32_e32 v3, vcc_lo, 0, v3, vcc_lo
	s_barrier
	buffer_gl0_inv
	s_and_saveexec_b32 s16, s12
	s_cbranch_execz .LBB0_22
; %bb.21:                               ;   in Loop: Header=BB0_12 Depth=1
	global_load_u16 v4, v[2:3], off
.LBB0_22:                               ;   in Loop: Header=BB0_12 Depth=1
	s_or_b32 exec_lo, exec_lo, s16
	v_dual_mov_b32 v5, 0 :: v_dual_mov_b32 v6, 0
	s_and_saveexec_b32 s16, s13
	s_cbranch_execnz .LBB0_99
; %bb.23:                               ;   in Loop: Header=BB0_12 Depth=1
	s_or_b32 exec_lo, exec_lo, s16
	s_and_saveexec_b32 s16, s14
	s_cbranch_execnz .LBB0_100
.LBB0_24:                               ;   in Loop: Header=BB0_12 Depth=1
	s_or_b32 exec_lo, exec_lo, s16
	v_mov_b32_e32 v7, 0
	s_and_saveexec_b32 s16, s15
	s_cbranch_execz .LBB0_26
.LBB0_25:                               ;   in Loop: Header=BB0_12 Depth=1
	global_load_u16 v7, v[2:3], off offset:192
.LBB0_26:                               ;   in Loop: Header=BB0_12 Depth=1
	s_or_b32 exec_lo, exec_lo, s16
	s_waitcnt vmcnt(0)
	ds_store_b16 v14, v4
	ds_store_b16 v14, v6 offset:64
	ds_store_b16 v15, v5 offset:128
	;; [unrolled: 1-line block ×3, first 2 shown]
	; wave barrier
	ds_load_b64 v[2:3], v17
	s_waitcnt lgkmcnt(0)
	v_lshlrev_b32_e32 v4, 16, v2
	s_delay_alu instid0(VALU_DEP_1) | instskip(NEXT) | instid1(VALU_DEP_1)
	v_add_f32_e32 v35, s58, v4
	v_cmp_ge_f32_e32 vcc_lo, 0x41a00000, v35
	s_and_b32 s16, s62, vcc_lo
	s_delay_alu instid0(SALU_CYCLE_1)
	s_and_saveexec_b32 s17, s16
	s_cbranch_execz .LBB0_28
; %bb.27:                               ;   in Loop: Header=BB0_12 Depth=1
	v_mul_f32_e32 v4, 0x3fb8aa3b, v35
	v_cmp_ngt_f32_e32 vcc_lo, 0xc2ce8ed0, v35
	s_delay_alu instid0(VALU_DEP_2) | instskip(SKIP_1) | instid1(VALU_DEP_2)
	v_rndne_f32_e32 v5, v4
	v_fma_f32 v6, 0x3fb8aa3b, v35, -v4
	v_sub_f32_e32 v4, v4, v5
	s_delay_alu instid0(VALU_DEP_2) | instskip(SKIP_1) | instid1(VALU_DEP_2)
	v_fmac_f32_e32 v6, 0x32a5705f, v35
	v_cvt_i32_f32_e32 v5, v5
	v_add_f32_e32 v4, v4, v6
	s_delay_alu instid0(VALU_DEP_1) | instskip(SKIP_2) | instid1(VALU_DEP_1)
	v_exp_f32_e32 v4, v4
	s_waitcnt_depctr 0xfff
	v_ldexp_f32 v4, v4, v5
	v_cndmask_b32_e32 v4, 0, v4, vcc_lo
	v_cmp_nlt_f32_e32 vcc_lo, 0x42b17218, v35
	s_delay_alu instid0(VALU_DEP_2) | instskip(NEXT) | instid1(VALU_DEP_1)
	v_cndmask_b32_e32 v6, 0x7f800000, v4, vcc_lo
	v_add_f32_e32 v7, 1.0, v6
	s_delay_alu instid0(VALU_DEP_1) | instskip(NEXT) | instid1(VALU_DEP_1)
	v_cvt_f64_f32_e32 v[4:5], v7
	v_frexp_exp_i32_f64_e32 v4, v[4:5]
	v_frexp_mant_f32_e32 v5, v7
	s_delay_alu instid0(VALU_DEP_1) | instskip(SKIP_1) | instid1(VALU_DEP_1)
	v_cmp_gt_f32_e32 vcc_lo, 0x3f2aaaab, v5
	v_add_f32_e32 v5, -1.0, v7
	v_dual_sub_f32 v36, v5, v7 :: v_dual_sub_f32 v5, v6, v5
	s_delay_alu instid0(VALU_DEP_1) | instskip(NEXT) | instid1(VALU_DEP_1)
	v_add_f32_e32 v36, 1.0, v36
	v_add_f32_e32 v5, v5, v36
	v_subrev_co_ci_u32_e32 v4, vcc_lo, 0, v4, vcc_lo
	s_delay_alu instid0(VALU_DEP_1) | instskip(SKIP_1) | instid1(VALU_DEP_2)
	v_sub_nc_u32_e32 v35, 0, v4
	v_cvt_f32_i32_e32 v4, v4
	v_ldexp_f32 v7, v7, v35
	v_ldexp_f32 v5, v5, v35
	s_delay_alu instid0(VALU_DEP_2) | instskip(SKIP_3) | instid1(VALU_DEP_4)
	v_add_f32_e32 v37, 1.0, v7
	v_add_f32_e32 v35, -1.0, v7
	v_cmp_eq_f32_e32 vcc_lo, 0x7f800000, v6
	v_cmp_gt_f32_e64 s16, 0x33800000, v6
	v_add_f32_e32 v36, -1.0, v37
	s_delay_alu instid0(VALU_DEP_4) | instskip(NEXT) | instid1(VALU_DEP_3)
	v_add_f32_e32 v38, 1.0, v35
	s_or_b32 vcc_lo, s16, vcc_lo
	s_delay_alu instid0(VALU_DEP_2) | instskip(NEXT) | instid1(VALU_DEP_1)
	v_sub_f32_e32 v36, v7, v36
	v_dual_sub_f32 v7, v7, v38 :: v_dual_add_f32 v36, v5, v36
	s_delay_alu instid0(VALU_DEP_1) | instskip(NEXT) | instid1(VALU_DEP_1)
	v_add_f32_e32 v5, v5, v7
	v_dual_add_f32 v39, v35, v5 :: v_dual_add_f32 v38, v37, v36
	s_delay_alu instid0(VALU_DEP_1) | instskip(NEXT) | instid1(VALU_DEP_2)
	v_sub_f32_e32 v35, v35, v39
	v_rcp_f32_e32 v7, v38
	v_sub_f32_e32 v37, v37, v38
	s_delay_alu instid0(VALU_DEP_1) | instskip(SKIP_2) | instid1(VALU_DEP_1)
	v_dual_add_f32 v5, v5, v35 :: v_dual_add_f32 v36, v36, v37
	s_waitcnt_depctr 0xfff
	v_mul_f32_e32 v40, v39, v7
	v_mul_f32_e32 v41, v38, v40
	s_delay_alu instid0(VALU_DEP_1) | instskip(NEXT) | instid1(VALU_DEP_1)
	v_fma_f32 v37, v40, v38, -v41
	v_fmac_f32_e32 v37, v40, v36
	s_delay_alu instid0(VALU_DEP_1) | instskip(NEXT) | instid1(VALU_DEP_1)
	v_add_f32_e32 v42, v41, v37
	v_sub_f32_e32 v43, v39, v42
	s_delay_alu instid0(VALU_DEP_1) | instskip(SKIP_1) | instid1(VALU_DEP_2)
	v_sub_f32_e32 v39, v39, v43
	v_sub_f32_e32 v35, v42, v41
	;; [unrolled: 1-line block ×3, first 2 shown]
	s_delay_alu instid0(VALU_DEP_2) | instskip(NEXT) | instid1(VALU_DEP_2)
	v_sub_f32_e32 v35, v35, v37
	v_add_f32_e32 v5, v5, v39
	s_delay_alu instid0(VALU_DEP_1) | instskip(NEXT) | instid1(VALU_DEP_1)
	v_add_f32_e32 v5, v35, v5
	v_add_f32_e32 v35, v43, v5
	s_delay_alu instid0(VALU_DEP_1) | instskip(NEXT) | instid1(VALU_DEP_1)
	v_mul_f32_e32 v37, v7, v35
	v_dual_sub_f32 v42, v43, v35 :: v_dual_mul_f32 v39, v38, v37
	s_delay_alu instid0(VALU_DEP_1) | instskip(NEXT) | instid1(VALU_DEP_2)
	v_add_f32_e32 v5, v5, v42
	v_fma_f32 v38, v37, v38, -v39
	s_delay_alu instid0(VALU_DEP_1) | instskip(NEXT) | instid1(VALU_DEP_1)
	v_fmac_f32_e32 v38, v37, v36
	v_add_f32_e32 v36, v39, v38
	s_delay_alu instid0(VALU_DEP_1) | instskip(SKIP_1) | instid1(VALU_DEP_2)
	v_sub_f32_e32 v41, v35, v36
	v_sub_f32_e32 v39, v36, v39
	v_sub_f32_e32 v35, v35, v41
	s_delay_alu instid0(VALU_DEP_1) | instskip(NEXT) | instid1(VALU_DEP_1)
	v_sub_f32_e32 v35, v35, v36
	v_dual_sub_f32 v36, v39, v38 :: v_dual_add_f32 v5, v5, v35
	v_add_f32_e32 v35, v40, v37
	s_delay_alu instid0(VALU_DEP_1) | instskip(NEXT) | instid1(VALU_DEP_1)
	v_dual_add_f32 v5, v36, v5 :: v_dual_sub_f32 v36, v35, v40
	v_add_f32_e32 v5, v41, v5
	s_delay_alu instid0(VALU_DEP_1) | instskip(NEXT) | instid1(VALU_DEP_1)
	v_dual_sub_f32 v36, v37, v36 :: v_dual_mul_f32 v5, v7, v5
	v_add_f32_e32 v5, v36, v5
	s_delay_alu instid0(VALU_DEP_1) | instskip(NEXT) | instid1(VALU_DEP_1)
	v_add_f32_e32 v7, v35, v5
	v_mul_f32_e32 v36, v7, v7
	s_delay_alu instid0(VALU_DEP_1) | instskip(SKIP_1) | instid1(VALU_DEP_2)
	v_fmaak_f32 v37, s42, v36, 0x3ecc95a3
	v_mul_f32_e32 v38, v7, v36
	v_fmaak_f32 v36, v36, v37, 0x3f2aaada
	v_ldexp_f32 v37, v7, 1
	s_delay_alu instid0(VALU_DEP_2) | instskip(NEXT) | instid1(VALU_DEP_1)
	v_dual_sub_f32 v7, v7, v35 :: v_dual_mul_f32 v36, v38, v36
	v_dual_mul_f32 v38, 0x3f317218, v4 :: v_dual_sub_f32 v5, v5, v7
	s_delay_alu instid0(VALU_DEP_2) | instskip(NEXT) | instid1(VALU_DEP_2)
	v_add_f32_e32 v35, v37, v36
	v_ldexp_f32 v5, v5, 1
	s_delay_alu instid0(VALU_DEP_2) | instskip(NEXT) | instid1(VALU_DEP_4)
	v_sub_f32_e32 v7, v35, v37
	v_fma_f32 v37, 0x3f317218, v4, -v38
	s_delay_alu instid0(VALU_DEP_2) | instskip(NEXT) | instid1(VALU_DEP_1)
	v_sub_f32_e32 v7, v36, v7
	v_dual_fmac_f32 v37, 0xb102e308, v4 :: v_dual_add_f32 v4, v5, v7
	s_delay_alu instid0(VALU_DEP_1) | instskip(NEXT) | instid1(VALU_DEP_1)
	v_add_f32_e32 v5, v38, v37
	v_dual_add_f32 v7, v35, v4 :: v_dual_sub_f32 v38, v5, v38
	s_delay_alu instid0(VALU_DEP_1) | instskip(SKIP_1) | instid1(VALU_DEP_3)
	v_add_f32_e32 v36, v5, v7
	v_sub_f32_e32 v35, v7, v35
	v_sub_f32_e32 v37, v37, v38
	s_delay_alu instid0(VALU_DEP_3) | instskip(NEXT) | instid1(VALU_DEP_3)
	v_sub_f32_e32 v39, v36, v5
	v_sub_f32_e32 v4, v4, v35
	s_delay_alu instid0(VALU_DEP_2) | instskip(SKIP_1) | instid1(VALU_DEP_3)
	v_sub_f32_e32 v40, v36, v39
	v_sub_f32_e32 v7, v7, v39
	v_add_f32_e32 v35, v37, v4
	s_delay_alu instid0(VALU_DEP_3) | instskip(NEXT) | instid1(VALU_DEP_1)
	v_sub_f32_e32 v5, v5, v40
	v_add_f32_e32 v5, v7, v5
	s_delay_alu instid0(VALU_DEP_3) | instskip(NEXT) | instid1(VALU_DEP_1)
	v_sub_f32_e32 v7, v35, v37
	v_dual_add_f32 v5, v35, v5 :: v_dual_sub_f32 v4, v4, v7
	s_delay_alu instid0(VALU_DEP_1) | instskip(NEXT) | instid1(VALU_DEP_1)
	v_dual_sub_f32 v35, v35, v7 :: v_dual_add_f32 v38, v36, v5
	v_sub_f32_e32 v35, v37, v35
	s_delay_alu instid0(VALU_DEP_1) | instskip(NEXT) | instid1(VALU_DEP_1)
	v_dual_sub_f32 v7, v38, v36 :: v_dual_add_f32 v4, v4, v35
	v_sub_f32_e32 v5, v5, v7
	s_delay_alu instid0(VALU_DEP_1) | instskip(NEXT) | instid1(VALU_DEP_1)
	v_add_f32_e32 v4, v4, v5
	v_add_f32_e32 v4, v38, v4
	s_delay_alu instid0(VALU_DEP_1)
	v_cndmask_b32_e32 v35, v4, v6, vcc_lo
.LBB0_28:                               ;   in Loop: Header=BB0_12 Depth=1
	s_or_b32 exec_lo, exec_lo, s17
	v_and_b32_e32 v2, 0xffff0000, v2
	s_delay_alu instid0(VALU_DEP_1) | instskip(NEXT) | instid1(VALU_DEP_1)
	v_add_f32_e32 v36, s58, v2
	v_cmp_ge_f32_e32 vcc_lo, 0x41a00000, v36
	s_and_b32 s16, s62, vcc_lo
	s_delay_alu instid0(SALU_CYCLE_1)
	s_and_saveexec_b32 s17, s16
	s_cbranch_execz .LBB0_30
; %bb.29:                               ;   in Loop: Header=BB0_12 Depth=1
	v_mul_f32_e32 v2, 0x3fb8aa3b, v36
	v_cmp_ngt_f32_e32 vcc_lo, 0xc2ce8ed0, v36
	s_delay_alu instid0(VALU_DEP_2) | instskip(SKIP_1) | instid1(VALU_DEP_2)
	v_rndne_f32_e32 v4, v2
	v_fma_f32 v5, 0x3fb8aa3b, v36, -v2
	v_sub_f32_e32 v2, v2, v4
	s_delay_alu instid0(VALU_DEP_2) | instskip(SKIP_1) | instid1(VALU_DEP_2)
	v_fmac_f32_e32 v5, 0x32a5705f, v36
	v_cvt_i32_f32_e32 v4, v4
	v_add_f32_e32 v2, v2, v5
	s_delay_alu instid0(VALU_DEP_1) | instskip(SKIP_2) | instid1(VALU_DEP_1)
	v_exp_f32_e32 v2, v2
	s_waitcnt_depctr 0xfff
	v_ldexp_f32 v2, v2, v4
	v_cndmask_b32_e32 v2, 0, v2, vcc_lo
	v_cmp_nlt_f32_e32 vcc_lo, 0x42b17218, v36
	s_delay_alu instid0(VALU_DEP_2) | instskip(NEXT) | instid1(VALU_DEP_1)
	v_cndmask_b32_e32 v2, 0x7f800000, v2, vcc_lo
	v_add_f32_e32 v6, 1.0, v2
	s_delay_alu instid0(VALU_DEP_1) | instskip(NEXT) | instid1(VALU_DEP_1)
	v_cvt_f64_f32_e32 v[4:5], v6
	v_frexp_exp_i32_f64_e32 v4, v[4:5]
	v_frexp_mant_f32_e32 v5, v6
	s_delay_alu instid0(VALU_DEP_1) | instskip(SKIP_1) | instid1(VALU_DEP_1)
	v_cmp_gt_f32_e32 vcc_lo, 0x3f2aaaab, v5
	v_add_f32_e32 v5, -1.0, v6
	v_dual_sub_f32 v36, v5, v6 :: v_dual_sub_f32 v5, v2, v5
	v_subrev_co_ci_u32_e32 v4, vcc_lo, 0, v4, vcc_lo
	s_delay_alu instid0(VALU_DEP_1) | instskip(SKIP_1) | instid1(VALU_DEP_2)
	v_sub_nc_u32_e32 v7, 0, v4
	v_cvt_f32_i32_e32 v4, v4
	v_ldexp_f32 v6, v6, v7
	s_delay_alu instid0(VALU_DEP_1) | instskip(NEXT) | instid1(VALU_DEP_1)
	v_dual_add_f32 v36, 1.0, v36 :: v_dual_add_f32 v37, 1.0, v6
	v_add_f32_e32 v5, v5, v36
	s_delay_alu instid0(VALU_DEP_1) | instskip(NEXT) | instid1(VALU_DEP_3)
	v_ldexp_f32 v5, v5, v7
	v_dual_add_f32 v7, -1.0, v6 :: v_dual_add_f32 v36, -1.0, v37
	s_delay_alu instid0(VALU_DEP_1) | instskip(NEXT) | instid1(VALU_DEP_2)
	v_add_f32_e32 v38, 1.0, v7
	v_sub_f32_e32 v36, v6, v36
	s_delay_alu instid0(VALU_DEP_2) | instskip(NEXT) | instid1(VALU_DEP_2)
	v_sub_f32_e32 v6, v6, v38
	v_add_f32_e32 v36, v5, v36
	s_delay_alu instid0(VALU_DEP_2) | instskip(NEXT) | instid1(VALU_DEP_1)
	v_add_f32_e32 v5, v5, v6
	v_dual_add_f32 v39, v7, v5 :: v_dual_add_f32 v38, v37, v36
	v_cmp_eq_f32_e32 vcc_lo, 0x7f800000, v2
	v_cmp_gt_f32_e64 s16, 0x33800000, v2
	s_delay_alu instid0(VALU_DEP_3) | instskip(NEXT) | instid1(VALU_DEP_4)
	v_sub_f32_e32 v7, v7, v39
	v_rcp_f32_e32 v6, v38
	v_sub_f32_e32 v37, v37, v38
	s_delay_alu instid0(VALU_DEP_3) | instskip(NEXT) | instid1(VALU_DEP_1)
	s_or_b32 vcc_lo, s16, vcc_lo
	v_dual_add_f32 v5, v5, v7 :: v_dual_add_f32 v36, v36, v37
	s_waitcnt_depctr 0xfff
	v_mul_f32_e32 v40, v39, v6
	s_delay_alu instid0(VALU_DEP_1) | instskip(NEXT) | instid1(VALU_DEP_1)
	v_mul_f32_e32 v41, v38, v40
	v_fma_f32 v37, v40, v38, -v41
	s_delay_alu instid0(VALU_DEP_1) | instskip(NEXT) | instid1(VALU_DEP_1)
	v_fmac_f32_e32 v37, v40, v36
	v_add_f32_e32 v42, v41, v37
	s_delay_alu instid0(VALU_DEP_1) | instskip(NEXT) | instid1(VALU_DEP_1)
	v_sub_f32_e32 v43, v39, v42
	v_sub_f32_e32 v39, v39, v43
	s_delay_alu instid0(VALU_DEP_1) | instskip(SKIP_1) | instid1(VALU_DEP_2)
	v_sub_f32_e32 v39, v39, v42
	v_sub_f32_e32 v7, v42, v41
	v_add_f32_e32 v5, v5, v39
	s_delay_alu instid0(VALU_DEP_2) | instskip(NEXT) | instid1(VALU_DEP_1)
	v_sub_f32_e32 v7, v7, v37
	v_add_f32_e32 v5, v7, v5
	s_delay_alu instid0(VALU_DEP_1) | instskip(NEXT) | instid1(VALU_DEP_1)
	v_add_f32_e32 v7, v43, v5
	v_mul_f32_e32 v37, v6, v7
	s_delay_alu instid0(VALU_DEP_1) | instskip(NEXT) | instid1(VALU_DEP_1)
	v_dual_sub_f32 v42, v43, v7 :: v_dual_mul_f32 v39, v38, v37
	v_add_f32_e32 v5, v5, v42
	s_delay_alu instid0(VALU_DEP_2) | instskip(NEXT) | instid1(VALU_DEP_1)
	v_fma_f32 v38, v37, v38, -v39
	v_fmac_f32_e32 v38, v37, v36
	s_delay_alu instid0(VALU_DEP_1) | instskip(NEXT) | instid1(VALU_DEP_1)
	v_add_f32_e32 v36, v39, v38
	v_sub_f32_e32 v41, v7, v36
	s_delay_alu instid0(VALU_DEP_1) | instskip(NEXT) | instid1(VALU_DEP_1)
	v_sub_f32_e32 v7, v7, v41
	v_sub_f32_e32 v7, v7, v36
	s_delay_alu instid0(VALU_DEP_1) | instskip(SKIP_2) | instid1(VALU_DEP_1)
	v_add_f32_e32 v5, v5, v7
	v_add_f32_e32 v7, v40, v37
	v_sub_f32_e32 v39, v36, v39
	v_sub_f32_e32 v36, v39, v38
	s_delay_alu instid0(VALU_DEP_1) | instskip(NEXT) | instid1(VALU_DEP_1)
	v_dual_add_f32 v5, v36, v5 :: v_dual_sub_f32 v36, v7, v40
	v_add_f32_e32 v5, v41, v5
	s_delay_alu instid0(VALU_DEP_1) | instskip(NEXT) | instid1(VALU_DEP_1)
	v_dual_sub_f32 v36, v37, v36 :: v_dual_mul_f32 v5, v6, v5
	v_add_f32_e32 v5, v36, v5
	s_delay_alu instid0(VALU_DEP_1) | instskip(NEXT) | instid1(VALU_DEP_1)
	v_add_f32_e32 v6, v7, v5
	v_mul_f32_e32 v36, v6, v6
	s_delay_alu instid0(VALU_DEP_1) | instskip(SKIP_1) | instid1(VALU_DEP_2)
	v_fmaak_f32 v37, s42, v36, 0x3ecc95a3
	v_mul_f32_e32 v38, v6, v36
	v_fmaak_f32 v36, v36, v37, 0x3f2aaada
	v_ldexp_f32 v37, v6, 1
	v_sub_f32_e32 v6, v6, v7
	s_delay_alu instid0(VALU_DEP_3) | instskip(SKIP_1) | instid1(VALU_DEP_2)
	v_mul_f32_e32 v36, v38, v36
	v_mul_f32_e32 v38, 0x3f317218, v4
	v_add_f32_e32 v7, v37, v36
	s_delay_alu instid0(VALU_DEP_1) | instskip(NEXT) | instid1(VALU_DEP_3)
	v_dual_sub_f32 v5, v5, v6 :: v_dual_sub_f32 v6, v7, v37
	v_fma_f32 v37, 0x3f317218, v4, -v38
	s_delay_alu instid0(VALU_DEP_2) | instskip(NEXT) | instid1(VALU_DEP_2)
	v_ldexp_f32 v5, v5, 1
	v_dual_sub_f32 v6, v36, v6 :: v_dual_fmac_f32 v37, 0xb102e308, v4
	s_delay_alu instid0(VALU_DEP_1) | instskip(NEXT) | instid1(VALU_DEP_1)
	v_dual_add_f32 v4, v5, v6 :: v_dual_add_f32 v5, v38, v37
	v_add_f32_e32 v6, v7, v4
	s_delay_alu instid0(VALU_DEP_1) | instskip(NEXT) | instid1(VALU_DEP_1)
	v_add_f32_e32 v36, v5, v6
	v_sub_f32_e32 v39, v36, v5
	s_delay_alu instid0(VALU_DEP_1) | instskip(SKIP_2) | instid1(VALU_DEP_2)
	v_sub_f32_e32 v40, v36, v39
	v_sub_f32_e32 v7, v6, v7
	;; [unrolled: 1-line block ×5, first 2 shown]
	s_delay_alu instid0(VALU_DEP_1) | instskip(NEXT) | instid1(VALU_DEP_1)
	v_sub_f32_e32 v37, v37, v38
	v_add_f32_e32 v7, v37, v4
	v_sub_f32_e32 v5, v5, v40
	s_delay_alu instid0(VALU_DEP_1) | instskip(NEXT) | instid1(VALU_DEP_3)
	v_add_f32_e32 v5, v6, v5
	v_sub_f32_e32 v6, v7, v37
	s_delay_alu instid0(VALU_DEP_1) | instskip(NEXT) | instid1(VALU_DEP_1)
	v_dual_sub_f32 v4, v4, v6 :: v_dual_add_f32 v5, v7, v5
	v_dual_sub_f32 v7, v7, v6 :: v_dual_add_f32 v38, v36, v5
	s_delay_alu instid0(VALU_DEP_1) | instskip(NEXT) | instid1(VALU_DEP_1)
	v_dual_sub_f32 v7, v37, v7 :: v_dual_sub_f32 v6, v38, v36
	v_dual_add_f32 v4, v4, v7 :: v_dual_sub_f32 v5, v5, v6
	s_delay_alu instid0(VALU_DEP_1) | instskip(NEXT) | instid1(VALU_DEP_1)
	v_add_f32_e32 v4, v4, v5
	v_add_f32_e32 v4, v38, v4
	s_delay_alu instid0(VALU_DEP_1)
	v_cndmask_b32_e32 v36, v4, v2, vcc_lo
.LBB0_30:                               ;   in Loop: Header=BB0_12 Depth=1
	s_or_b32 exec_lo, exec_lo, s17
	v_lshlrev_b32_e32 v2, 16, v3
	s_delay_alu instid0(VALU_DEP_1) | instskip(NEXT) | instid1(VALU_DEP_1)
	v_add_f32_e32 v41, s58, v2
	v_cmp_ge_f32_e32 vcc_lo, 0x41a00000, v41
	s_and_b32 s16, s62, vcc_lo
	s_delay_alu instid0(SALU_CYCLE_1)
	s_and_saveexec_b32 s17, s16
	s_cbranch_execz .LBB0_32
; %bb.31:                               ;   in Loop: Header=BB0_12 Depth=1
	v_mul_f32_e32 v2, 0x3fb8aa3b, v41
	v_cmp_ngt_f32_e32 vcc_lo, 0xc2ce8ed0, v41
	s_delay_alu instid0(VALU_DEP_2) | instskip(SKIP_1) | instid1(VALU_DEP_1)
	v_rndne_f32_e32 v4, v2
	v_fma_f32 v5, 0x3fb8aa3b, v41, -v2
	v_dual_sub_f32 v2, v2, v4 :: v_dual_fmac_f32 v5, 0x32a5705f, v41
	v_cvt_i32_f32_e32 v4, v4
	s_delay_alu instid0(VALU_DEP_2) | instskip(NEXT) | instid1(VALU_DEP_1)
	v_add_f32_e32 v2, v2, v5
	v_exp_f32_e32 v2, v2
	s_waitcnt_depctr 0xfff
	v_ldexp_f32 v2, v2, v4
	s_delay_alu instid0(VALU_DEP_1) | instskip(SKIP_1) | instid1(VALU_DEP_2)
	v_cndmask_b32_e32 v2, 0, v2, vcc_lo
	v_cmp_nlt_f32_e32 vcc_lo, 0x42b17218, v41
	v_cndmask_b32_e32 v2, 0x7f800000, v2, vcc_lo
	s_delay_alu instid0(VALU_DEP_1) | instskip(NEXT) | instid1(VALU_DEP_1)
	v_add_f32_e32 v6, 1.0, v2
	v_cvt_f64_f32_e32 v[4:5], v6
	s_delay_alu instid0(VALU_DEP_1) | instskip(SKIP_1) | instid1(VALU_DEP_1)
	v_frexp_exp_i32_f64_e32 v4, v[4:5]
	v_frexp_mant_f32_e32 v5, v6
	v_cmp_gt_f32_e32 vcc_lo, 0x3f2aaaab, v5
	v_add_f32_e32 v5, -1.0, v6
	s_delay_alu instid0(VALU_DEP_1) | instskip(SKIP_1) | instid1(VALU_DEP_2)
	v_sub_f32_e32 v37, v5, v6
	v_sub_f32_e32 v5, v2, v5
	v_add_f32_e32 v37, 1.0, v37
	s_delay_alu instid0(VALU_DEP_1) | instskip(SKIP_3) | instid1(VALU_DEP_2)
	v_add_f32_e32 v5, v5, v37
	v_cmp_gt_f32_e64 s16, 0x33800000, v2
	v_subrev_co_ci_u32_e32 v4, vcc_lo, 0, v4, vcc_lo
	v_cmp_eq_f32_e32 vcc_lo, 0x7f800000, v2
	v_sub_nc_u32_e32 v7, 0, v4
	v_cvt_f32_i32_e32 v4, v4
	s_or_b32 vcc_lo, s16, vcc_lo
	s_delay_alu instid0(VALU_DEP_2) | instskip(SKIP_1) | instid1(VALU_DEP_2)
	v_ldexp_f32 v6, v6, v7
	v_ldexp_f32 v5, v5, v7
	v_add_f32_e32 v38, 1.0, v6
	v_add_f32_e32 v7, -1.0, v6
	s_delay_alu instid0(VALU_DEP_1) | instskip(NEXT) | instid1(VALU_DEP_3)
	v_add_f32_e32 v39, 1.0, v7
	v_add_f32_e32 v37, -1.0, v38
	s_delay_alu instid0(VALU_DEP_1) | instskip(NEXT) | instid1(VALU_DEP_1)
	v_sub_f32_e32 v37, v6, v37
	v_dual_sub_f32 v6, v6, v39 :: v_dual_add_f32 v37, v5, v37
	s_delay_alu instid0(VALU_DEP_1) | instskip(NEXT) | instid1(VALU_DEP_2)
	v_add_f32_e32 v39, v38, v37
	v_add_f32_e32 v5, v5, v6
	s_delay_alu instid0(VALU_DEP_2) | instskip(SKIP_1) | instid1(VALU_DEP_1)
	v_rcp_f32_e32 v6, v39
	v_sub_f32_e32 v38, v38, v39
	v_dual_add_f32 v40, v7, v5 :: v_dual_add_f32 v37, v37, v38
	s_delay_alu instid0(VALU_DEP_1) | instskip(SKIP_2) | instid1(VALU_DEP_1)
	v_sub_f32_e32 v7, v7, v40
	s_waitcnt_depctr 0xfff
	v_mul_f32_e32 v41, v40, v6
	v_mul_f32_e32 v42, v39, v41
	s_delay_alu instid0(VALU_DEP_1) | instskip(NEXT) | instid1(VALU_DEP_1)
	v_fma_f32 v38, v41, v39, -v42
	v_fmac_f32_e32 v38, v41, v37
	s_delay_alu instid0(VALU_DEP_1) | instskip(NEXT) | instid1(VALU_DEP_1)
	v_add_f32_e32 v43, v42, v38
	v_sub_f32_e32 v44, v40, v43
	s_delay_alu instid0(VALU_DEP_1) | instskip(NEXT) | instid1(VALU_DEP_1)
	v_dual_sub_f32 v40, v40, v44 :: v_dual_add_f32 v5, v5, v7
	v_dual_sub_f32 v7, v43, v42 :: v_dual_sub_f32 v40, v40, v43
	s_delay_alu instid0(VALU_DEP_1) | instskip(NEXT) | instid1(VALU_DEP_2)
	v_sub_f32_e32 v7, v7, v38
	v_add_f32_e32 v5, v5, v40
	s_delay_alu instid0(VALU_DEP_1) | instskip(NEXT) | instid1(VALU_DEP_1)
	v_add_f32_e32 v5, v7, v5
	v_add_f32_e32 v7, v44, v5
	s_delay_alu instid0(VALU_DEP_1) | instskip(NEXT) | instid1(VALU_DEP_1)
	v_mul_f32_e32 v38, v6, v7
	v_dual_sub_f32 v43, v44, v7 :: v_dual_mul_f32 v40, v39, v38
	s_delay_alu instid0(VALU_DEP_1) | instskip(NEXT) | instid1(VALU_DEP_2)
	v_add_f32_e32 v5, v5, v43
	v_fma_f32 v39, v38, v39, -v40
	s_delay_alu instid0(VALU_DEP_1) | instskip(NEXT) | instid1(VALU_DEP_1)
	v_fmac_f32_e32 v39, v38, v37
	v_add_f32_e32 v37, v40, v39
	s_delay_alu instid0(VALU_DEP_1) | instskip(NEXT) | instid1(VALU_DEP_1)
	v_sub_f32_e32 v42, v7, v37
	v_dual_sub_f32 v40, v37, v40 :: v_dual_sub_f32 v7, v7, v42
	s_delay_alu instid0(VALU_DEP_1) | instskip(NEXT) | instid1(VALU_DEP_2)
	v_sub_f32_e32 v7, v7, v37
	v_sub_f32_e32 v37, v40, v39
	s_delay_alu instid0(VALU_DEP_2) | instskip(SKIP_1) | instid1(VALU_DEP_2)
	v_add_f32_e32 v5, v5, v7
	v_add_f32_e32 v7, v41, v38
	;; [unrolled: 1-line block ×3, first 2 shown]
	s_delay_alu instid0(VALU_DEP_2) | instskip(NEXT) | instid1(VALU_DEP_2)
	v_sub_f32_e32 v37, v7, v41
	v_add_f32_e32 v5, v42, v5
	s_delay_alu instid0(VALU_DEP_2) | instskip(NEXT) | instid1(VALU_DEP_2)
	v_sub_f32_e32 v37, v38, v37
	v_mul_f32_e32 v5, v6, v5
	s_delay_alu instid0(VALU_DEP_1) | instskip(NEXT) | instid1(VALU_DEP_1)
	v_add_f32_e32 v5, v37, v5
	v_add_f32_e32 v6, v7, v5
	s_delay_alu instid0(VALU_DEP_1) | instskip(NEXT) | instid1(VALU_DEP_1)
	v_mul_f32_e32 v37, v6, v6
	v_fmaak_f32 v38, s42, v37, 0x3ecc95a3
	v_mul_f32_e32 v39, v6, v37
	s_delay_alu instid0(VALU_DEP_2) | instskip(SKIP_1) | instid1(VALU_DEP_2)
	v_fmaak_f32 v37, v37, v38, 0x3f2aaada
	v_ldexp_f32 v38, v6, 1
	v_dual_sub_f32 v6, v6, v7 :: v_dual_mul_f32 v37, v39, v37
	v_mul_f32_e32 v39, 0x3f317218, v4
	s_delay_alu instid0(VALU_DEP_2) | instskip(NEXT) | instid1(VALU_DEP_3)
	v_sub_f32_e32 v5, v5, v6
	v_add_f32_e32 v7, v38, v37
	s_delay_alu instid0(VALU_DEP_2) | instskip(NEXT) | instid1(VALU_DEP_2)
	v_ldexp_f32 v5, v5, 1
	v_sub_f32_e32 v6, v7, v38
	v_fma_f32 v38, 0x3f317218, v4, -v39
	s_delay_alu instid0(VALU_DEP_2) | instskip(NEXT) | instid1(VALU_DEP_2)
	v_sub_f32_e32 v6, v37, v6
	v_fmac_f32_e32 v38, 0xb102e308, v4
	s_delay_alu instid0(VALU_DEP_2) | instskip(NEXT) | instid1(VALU_DEP_2)
	v_add_f32_e32 v4, v5, v6
	v_add_f32_e32 v5, v39, v38
	s_delay_alu instid0(VALU_DEP_1) | instskip(NEXT) | instid1(VALU_DEP_1)
	v_dual_add_f32 v6, v7, v4 :: v_dual_sub_f32 v39, v5, v39
	v_add_f32_e32 v37, v5, v6
	v_sub_f32_e32 v7, v6, v7
	s_delay_alu instid0(VALU_DEP_3) | instskip(NEXT) | instid1(VALU_DEP_3)
	v_sub_f32_e32 v38, v38, v39
	v_sub_f32_e32 v40, v37, v5
	s_delay_alu instid0(VALU_DEP_1) | instskip(SKIP_1) | instid1(VALU_DEP_2)
	v_dual_sub_f32 v4, v4, v7 :: v_dual_sub_f32 v41, v37, v40
	v_sub_f32_e32 v6, v6, v40
	v_add_f32_e32 v7, v38, v4
	s_delay_alu instid0(VALU_DEP_3) | instskip(NEXT) | instid1(VALU_DEP_1)
	v_sub_f32_e32 v5, v5, v41
	v_dual_add_f32 v5, v6, v5 :: v_dual_sub_f32 v6, v7, v38
	s_delay_alu instid0(VALU_DEP_1) | instskip(NEXT) | instid1(VALU_DEP_2)
	v_add_f32_e32 v5, v7, v5
	v_sub_f32_e32 v7, v7, v6
	s_delay_alu instid0(VALU_DEP_2) | instskip(NEXT) | instid1(VALU_DEP_1)
	v_dual_sub_f32 v4, v4, v6 :: v_dual_add_f32 v39, v37, v5
	v_dual_sub_f32 v7, v38, v7 :: v_dual_sub_f32 v6, v39, v37
	s_delay_alu instid0(VALU_DEP_1) | instskip(NEXT) | instid1(VALU_DEP_1)
	v_dual_add_f32 v4, v4, v7 :: v_dual_sub_f32 v5, v5, v6
	v_add_f32_e32 v4, v4, v5
	s_delay_alu instid0(VALU_DEP_1) | instskip(NEXT) | instid1(VALU_DEP_1)
	v_add_f32_e32 v4, v39, v4
	v_cndmask_b32_e32 v41, v4, v2, vcc_lo
.LBB0_32:                               ;   in Loop: Header=BB0_12 Depth=1
	s_or_b32 exec_lo, exec_lo, s17
	v_and_b32_e32 v2, 0xffff0000, v3
	s_delay_alu instid0(VALU_DEP_1) | instskip(NEXT) | instid1(VALU_DEP_1)
	v_add_f32_e32 v42, s58, v2
	v_cmp_ge_f32_e32 vcc_lo, 0x41a00000, v42
	s_and_b32 s16, s62, vcc_lo
	s_delay_alu instid0(SALU_CYCLE_1)
	s_and_saveexec_b32 s17, s16
	s_cbranch_execz .LBB0_34
; %bb.33:                               ;   in Loop: Header=BB0_12 Depth=1
	v_mul_f32_e32 v2, 0x3fb8aa3b, v42
	v_cmp_ngt_f32_e32 vcc_lo, 0xc2ce8ed0, v42
	s_delay_alu instid0(VALU_DEP_2) | instskip(SKIP_1) | instid1(VALU_DEP_2)
	v_rndne_f32_e32 v3, v2
	v_fma_f32 v4, 0x3fb8aa3b, v42, -v2
	v_sub_f32_e32 v2, v2, v3
	s_delay_alu instid0(VALU_DEP_2) | instskip(SKIP_1) | instid1(VALU_DEP_2)
	v_fmac_f32_e32 v4, 0x32a5705f, v42
	v_cvt_i32_f32_e32 v3, v3
	v_add_f32_e32 v2, v2, v4
	s_delay_alu instid0(VALU_DEP_1) | instskip(SKIP_2) | instid1(VALU_DEP_1)
	v_exp_f32_e32 v2, v2
	s_waitcnt_depctr 0xfff
	v_ldexp_f32 v2, v2, v3
	v_cndmask_b32_e32 v2, 0, v2, vcc_lo
	v_cmp_nlt_f32_e32 vcc_lo, 0x42b17218, v42
	s_delay_alu instid0(VALU_DEP_2) | instskip(NEXT) | instid1(VALU_DEP_1)
	v_cndmask_b32_e32 v4, 0x7f800000, v2, vcc_lo
	v_add_f32_e32 v5, 1.0, v4
	s_delay_alu instid0(VALU_DEP_1) | instskip(NEXT) | instid1(VALU_DEP_1)
	v_cvt_f64_f32_e32 v[2:3], v5
	v_frexp_exp_i32_f64_e32 v2, v[2:3]
	v_frexp_mant_f32_e32 v3, v5
	s_delay_alu instid0(VALU_DEP_1) | instskip(SKIP_1) | instid1(VALU_DEP_1)
	v_cmp_gt_f32_e32 vcc_lo, 0x3f2aaaab, v3
	v_add_f32_e32 v3, -1.0, v5
	v_sub_f32_e32 v7, v3, v5
	s_delay_alu instid0(VALU_DEP_1) | instskip(SKIP_1) | instid1(VALU_DEP_1)
	v_add_f32_e32 v7, 1.0, v7
	v_subrev_co_ci_u32_e32 v2, vcc_lo, 0, v2, vcc_lo
	v_sub_nc_u32_e32 v6, 0, v2
	v_cvt_f32_i32_e32 v2, v2
	s_delay_alu instid0(VALU_DEP_2) | instskip(NEXT) | instid1(VALU_DEP_1)
	v_ldexp_f32 v5, v5, v6
	v_add_f32_e32 v37, 1.0, v5
	v_sub_f32_e32 v3, v4, v3
	v_cmp_eq_f32_e32 vcc_lo, 0x7f800000, v4
	v_cmp_gt_f32_e64 s16, 0x33800000, v4
	s_delay_alu instid0(VALU_DEP_3) | instskip(NEXT) | instid1(VALU_DEP_2)
	v_add_f32_e32 v3, v3, v7
	s_or_b32 vcc_lo, s16, vcc_lo
	s_delay_alu instid0(VALU_DEP_1) | instskip(SKIP_1) | instid1(VALU_DEP_1)
	v_ldexp_f32 v3, v3, v6
	v_add_f32_e32 v6, -1.0, v5
	v_dual_add_f32 v7, -1.0, v37 :: v_dual_add_f32 v38, 1.0, v6
	s_delay_alu instid0(VALU_DEP_1) | instskip(NEXT) | instid1(VALU_DEP_2)
	v_sub_f32_e32 v7, v5, v7
	v_sub_f32_e32 v5, v5, v38
	s_delay_alu instid0(VALU_DEP_2) | instskip(NEXT) | instid1(VALU_DEP_1)
	v_add_f32_e32 v7, v3, v7
	v_dual_add_f32 v3, v3, v5 :: v_dual_add_f32 v38, v37, v7
	s_delay_alu instid0(VALU_DEP_1) | instskip(NEXT) | instid1(VALU_DEP_2)
	v_add_f32_e32 v39, v6, v3
	v_rcp_f32_e32 v5, v38
	s_delay_alu instid0(VALU_DEP_1) | instskip(NEXT) | instid1(VALU_DEP_1)
	v_dual_sub_f32 v37, v37, v38 :: v_dual_sub_f32 v6, v6, v39
	v_add_f32_e32 v3, v3, v6
	s_waitcnt_depctr 0xfff
	v_mul_f32_e32 v40, v39, v5
	s_delay_alu instid0(VALU_DEP_1) | instskip(NEXT) | instid1(VALU_DEP_1)
	v_dual_mul_f32 v42, v38, v40 :: v_dual_add_f32 v7, v7, v37
	v_fma_f32 v37, v40, v38, -v42
	s_delay_alu instid0(VALU_DEP_1) | instskip(NEXT) | instid1(VALU_DEP_1)
	v_fmac_f32_e32 v37, v40, v7
	v_add_f32_e32 v43, v42, v37
	s_delay_alu instid0(VALU_DEP_1) | instskip(SKIP_1) | instid1(VALU_DEP_1)
	v_sub_f32_e32 v6, v43, v42
	v_sub_f32_e32 v44, v39, v43
	v_dual_sub_f32 v6, v6, v37 :: v_dual_sub_f32 v39, v39, v44
	s_delay_alu instid0(VALU_DEP_1) | instskip(NEXT) | instid1(VALU_DEP_1)
	v_sub_f32_e32 v39, v39, v43
	v_add_f32_e32 v3, v3, v39
	s_delay_alu instid0(VALU_DEP_1) | instskip(NEXT) | instid1(VALU_DEP_1)
	v_add_f32_e32 v3, v6, v3
	v_add_f32_e32 v6, v44, v3
	s_delay_alu instid0(VALU_DEP_1) | instskip(SKIP_1) | instid1(VALU_DEP_2)
	v_mul_f32_e32 v37, v5, v6
	v_sub_f32_e32 v43, v44, v6
	v_mul_f32_e32 v39, v38, v37
	s_delay_alu instid0(VALU_DEP_2) | instskip(NEXT) | instid1(VALU_DEP_2)
	v_add_f32_e32 v3, v3, v43
	v_fma_f32 v38, v37, v38, -v39
	s_delay_alu instid0(VALU_DEP_1) | instskip(NEXT) | instid1(VALU_DEP_1)
	v_fmac_f32_e32 v38, v37, v7
	v_add_f32_e32 v7, v39, v38
	s_delay_alu instid0(VALU_DEP_1) | instskip(NEXT) | instid1(VALU_DEP_1)
	v_sub_f32_e32 v42, v6, v7
	v_dual_sub_f32 v39, v7, v39 :: v_dual_sub_f32 v6, v6, v42
	s_delay_alu instid0(VALU_DEP_1) | instskip(NEXT) | instid1(VALU_DEP_1)
	v_dual_sub_f32 v6, v6, v7 :: v_dual_sub_f32 v7, v39, v38
	v_dual_add_f32 v3, v3, v6 :: v_dual_add_f32 v6, v40, v37
	s_delay_alu instid0(VALU_DEP_1) | instskip(NEXT) | instid1(VALU_DEP_2)
	v_add_f32_e32 v3, v7, v3
	v_sub_f32_e32 v7, v6, v40
	s_delay_alu instid0(VALU_DEP_2) | instskip(NEXT) | instid1(VALU_DEP_2)
	v_add_f32_e32 v3, v42, v3
	v_sub_f32_e32 v7, v37, v7
	s_delay_alu instid0(VALU_DEP_2) | instskip(NEXT) | instid1(VALU_DEP_1)
	v_mul_f32_e32 v3, v5, v3
	v_add_f32_e32 v3, v7, v3
	s_delay_alu instid0(VALU_DEP_1) | instskip(NEXT) | instid1(VALU_DEP_1)
	v_add_f32_e32 v5, v6, v3
	v_mul_f32_e32 v7, v5, v5
	s_delay_alu instid0(VALU_DEP_1) | instskip(NEXT) | instid1(VALU_DEP_1)
	v_fmaak_f32 v37, s42, v7, 0x3ecc95a3
	v_dual_mul_f32 v38, v5, v7 :: v_dual_fmaak_f32 v7, v7, v37, 0x3f2aaada
	v_ldexp_f32 v37, v5, 1
	v_sub_f32_e32 v5, v5, v6
	s_delay_alu instid0(VALU_DEP_3) | instskip(NEXT) | instid1(VALU_DEP_1)
	v_dual_mul_f32 v7, v38, v7 :: v_dual_mul_f32 v38, 0x3f317218, v2
	v_dual_sub_f32 v3, v3, v5 :: v_dual_add_f32 v6, v37, v7
	s_delay_alu instid0(VALU_DEP_1) | instskip(NEXT) | instid1(VALU_DEP_2)
	v_ldexp_f32 v3, v3, 1
	v_sub_f32_e32 v5, v6, v37
	s_delay_alu instid0(VALU_DEP_4) | instskip(NEXT) | instid1(VALU_DEP_2)
	v_fma_f32 v37, 0x3f317218, v2, -v38
	v_sub_f32_e32 v5, v7, v5
	s_delay_alu instid0(VALU_DEP_1) | instskip(NEXT) | instid1(VALU_DEP_1)
	v_dual_fmac_f32 v37, 0xb102e308, v2 :: v_dual_add_f32 v2, v3, v5
	v_add_f32_e32 v3, v38, v37
	s_delay_alu instid0(VALU_DEP_2) | instskip(NEXT) | instid1(VALU_DEP_2)
	v_add_f32_e32 v5, v6, v2
	v_sub_f32_e32 v38, v3, v38
	s_delay_alu instid0(VALU_DEP_2) | instskip(NEXT) | instid1(VALU_DEP_2)
	v_dual_add_f32 v7, v3, v5 :: v_dual_sub_f32 v6, v5, v6
	v_sub_f32_e32 v37, v37, v38
	s_delay_alu instid0(VALU_DEP_2) | instskip(NEXT) | instid1(VALU_DEP_1)
	v_dual_sub_f32 v39, v7, v3 :: v_dual_sub_f32 v2, v2, v6
	v_sub_f32_e32 v40, v7, v39
	v_sub_f32_e32 v5, v5, v39
	s_delay_alu instid0(VALU_DEP_2) | instskip(NEXT) | instid1(VALU_DEP_1)
	v_dual_add_f32 v6, v37, v2 :: v_dual_sub_f32 v3, v3, v40
	v_add_f32_e32 v3, v5, v3
	s_delay_alu instid0(VALU_DEP_2) | instskip(NEXT) | instid1(VALU_DEP_2)
	v_sub_f32_e32 v5, v6, v37
	v_add_f32_e32 v3, v6, v3
	s_delay_alu instid0(VALU_DEP_2) | instskip(SKIP_1) | instid1(VALU_DEP_3)
	v_sub_f32_e32 v6, v6, v5
	v_sub_f32_e32 v2, v2, v5
	v_add_f32_e32 v38, v7, v3
	s_delay_alu instid0(VALU_DEP_1) | instskip(NEXT) | instid1(VALU_DEP_1)
	v_dual_sub_f32 v6, v37, v6 :: v_dual_sub_f32 v5, v38, v7
	v_dual_add_f32 v2, v2, v6 :: v_dual_sub_f32 v3, v3, v5
	s_delay_alu instid0(VALU_DEP_1) | instskip(NEXT) | instid1(VALU_DEP_1)
	v_add_f32_e32 v2, v2, v3
	v_add_f32_e32 v2, v38, v2
	s_delay_alu instid0(VALU_DEP_1)
	v_cndmask_b32_e32 v42, v2, v4, vcc_lo
.LBB0_34:                               ;   in Loop: Header=BB0_12 Depth=1
	s_or_b32 exec_lo, exec_lo, s17
	v_lshlrev_b32_e32 v2, 16, v1
	v_and_b32_e32 v3, 0xffff0000, v0
	v_lshlrev_b32_e32 v0, 16, v0
	v_and_b32_e32 v1, 0xffff0000, v1
	s_and_b32 vcc_lo, exec_lo, s63
	s_delay_alu instid0(VALU_DEP_3) | instskip(NEXT) | instid1(VALU_DEP_2)
	v_dual_mul_f32 v37, s59, v2 :: v_dual_mul_f32 v40, s59, v3
	v_dual_mul_f32 v38, s59, v0 :: v_dual_mul_f32 v39, s59, v1
	s_barrier
	buffer_gl0_inv
	s_cbranch_vccz .LBB0_82
; %bb.35:                               ;   in Loop: Header=BB0_12 Depth=1
	v_dual_mul_f32 v43, v42, v1 :: v_dual_mul_f32 v48, v41, v2
	v_add_co_u32 v1, s16, s47, v33
	s_delay_alu instid0(VALU_DEP_1) | instskip(SKIP_1) | instid1(VALU_DEP_1)
	v_add_co_ci_u32_e64 v4, null, s49, 0, s16
	v_add_co_u32 v5, s16, s51, v33
	v_add_co_ci_u32_e64 v6, null, s60, 0, s16
	s_delay_alu instid0(VALU_DEP_4) | instskip(NEXT) | instid1(VALU_DEP_4)
	v_add_co_u32 v44, vcc_lo, v1, v34
	v_add_co_ci_u32_e32 v45, vcc_lo, 0, v4, vcc_lo
	s_delay_alu instid0(VALU_DEP_4) | instskip(NEXT) | instid1(VALU_DEP_4)
	v_add_co_u32 v46, vcc_lo, v5, v34
	v_add_co_ci_u32_e32 v47, vcc_lo, 0, v6, vcc_lo
	v_cmp_gt_u32_e32 vcc_lo, s19, v8
	v_cmp_gt_u32_e64 s17, s19, v30
	v_cmp_gt_u32_e64 s18, s19, v31
	;; [unrolled: 1-line block ×3, first 2 shown]
	s_cmp_lg_u32 s54, 0
	v_dual_mul_f32 v49, v36, v3 :: v_dual_mul_f32 v50, v35, v0
	s_mov_b32 s28, 0
	s_cselect_b32 s25, -1, 0
	s_cmp_eq_u32 s54, s65
	s_mov_b32 s26, s28
	s_cselect_b32 s55, -1, 0
	s_or_b32 s16, s64, vcc_lo
	s_or_b32 s17, s64, s17
	s_or_b32 s18, s64, s18
	;; [unrolled: 1-line block ×3, first 2 shown]
	s_mov_b32 s30, s28
	s_mov_b32 s34, s28
	;; [unrolled: 1-line block ×4, first 2 shown]
	s_branch .LBB0_37
.LBB0_36:                               ;   in Loop: Header=BB0_37 Depth=2
	s_or_b32 exec_lo, exec_lo, s20
	v_cndmask_b32_e64 v2, v60, v7, s11
	v_cndmask_b32_e64 v3, v59, v6, s11
	s_add_i32 s56, s56, -1
	s_add_i32 s57, s57, 8
	s_add_i32 s34, s34, s50
	v_fma_f32 v2, v2, v58, v56
	v_mul_f32_e32 v3, v3, v58
	s_add_i32 s30, s30, s36
	s_add_i32 s26, s26, s48
	;; [unrolled: 1-line block ×3, first 2 shown]
	v_cndmask_b32_e64 v2, v2, v56, s10
	v_cndmask_b32_e64 v3, v3, v58, s10
	s_cmp_eq_u32 s56, 0
	s_waitcnt lgkmcnt(0)
	s_delay_alu instid0(VALU_DEP_1) | instskip(NEXT) | instid1(VALU_DEP_1)
	v_dual_fmac_f32 v2, v4, v3 :: v_dual_and_b32 v3, 0xffff0000, v0
	v_dual_fmac_f32 v51, v2, v57 :: v_dual_lshlrev_b32 v0, 16, v0
	s_delay_alu instid0(VALU_DEP_1) | instskip(SKIP_1) | instid1(VALU_DEP_3)
	v_fmac_f32_e32 v52, v51, v55
	v_and_b32_e32 v4, 0xffff0000, v1
	v_dual_fmac_f32 v38, v2, v0 :: v_dual_lshlrev_b32 v1, 16, v1
	s_delay_alu instid0(VALU_DEP_3) | instskip(NEXT) | instid1(VALU_DEP_2)
	v_dual_fmac_f32 v53, v52, v54 :: v_dual_fmac_f32 v40, v51, v3
	v_fmac_f32_e32 v37, v52, v1
	s_delay_alu instid0(VALU_DEP_2)
	v_fmac_f32_e32 v39, v53, v4
	s_cbranch_scc1 .LBB0_82
.LBB0_37:                               ;   Parent Loop BB0_12 Depth=1
                                        ; =>  This Inner Loop Header: Depth=2
	s_lshl_b64 s[20:21], s[28:29], 2
	s_mov_b32 s27, s29
	s_add_u32 s20, s44, s20
	s_addc_u32 s21, s46, s21
	v_dual_mov_b32 v2, 0 :: v_dual_mov_b32 v3, 0
	global_load_b32 v6, v12, s[20:21]
	s_lshl_b64 s[20:21], s[26:27], 1
	s_delay_alu instid0(SALU_CYCLE_1)
	v_add_co_u32 v0, vcc_lo, v44, s20
	v_add_co_ci_u32_e32 v1, vcc_lo, s21, v45, vcc_lo
	s_and_saveexec_b32 s20, s12
	s_cbranch_execz .LBB0_39
; %bb.38:                               ;   in Loop: Header=BB0_37 Depth=2
	global_load_u16 v3, v[0:1], off
.LBB0_39:                               ;   in Loop: Header=BB0_37 Depth=2
	s_or_b32 exec_lo, exec_lo, s20
	s_and_saveexec_b32 s20, s13
	s_cbranch_execz .LBB0_41
; %bb.40:                               ;   in Loop: Header=BB0_37 Depth=2
	global_load_u16 v2, v[0:1], off offset:64
.LBB0_41:                               ;   in Loop: Header=BB0_37 Depth=2
	s_or_b32 exec_lo, exec_lo, s20
	v_dual_mov_b32 v4, 0 :: v_dual_mov_b32 v5, 0
	s_and_saveexec_b32 s20, s14
	s_cbranch_execz .LBB0_43
; %bb.42:                               ;   in Loop: Header=BB0_37 Depth=2
	global_load_u16 v5, v[0:1], off offset:128
.LBB0_43:                               ;   in Loop: Header=BB0_37 Depth=2
	s_or_b32 exec_lo, exec_lo, s20
	s_and_saveexec_b32 s20, s15
	s_cbranch_execz .LBB0_45
; %bb.44:                               ;   in Loop: Header=BB0_37 Depth=2
	global_load_u16 v4, v[0:1], off offset:192
.LBB0_45:                               ;   in Loop: Header=BB0_37 Depth=2
	s_or_b32 exec_lo, exec_lo, s20
	s_waitcnt vmcnt(0)
	ds_store_b16 v14, v3
	ds_store_b16 v14, v2 offset:64
	ds_store_b16 v15, v5 offset:128
	;; [unrolled: 1-line block ×3, first 2 shown]
	; wave barrier
	ds_load_b64 v[4:5], v17
	s_mov_b32 s31, s29
	v_dual_mov_b32 v2, 0 :: v_dual_mov_b32 v3, 0
	s_lshl_b64 s[20:21], s[30:31], 1
	s_delay_alu instid0(SALU_CYCLE_1)
	v_add_co_u32 v0, vcc_lo, v46, s20
	v_add_co_ci_u32_e32 v1, vcc_lo, s21, v47, vcc_lo
	s_and_saveexec_b32 s20, s12
	s_cbranch_execz .LBB0_47
; %bb.46:                               ;   in Loop: Header=BB0_37 Depth=2
	global_load_u16 v3, v[0:1], off
.LBB0_47:                               ;   in Loop: Header=BB0_37 Depth=2
	s_or_b32 exec_lo, exec_lo, s20
	s_and_saveexec_b32 s20, s13
	s_cbranch_execz .LBB0_49
; %bb.48:                               ;   in Loop: Header=BB0_37 Depth=2
	global_load_u16 v2, v[0:1], off offset:64
.LBB0_49:                               ;   in Loop: Header=BB0_37 Depth=2
	s_or_b32 exec_lo, exec_lo, s20
	v_mov_b32_e32 v7, 0
	v_mov_b32_e32 v51, 0
	s_and_saveexec_b32 s20, s14
	s_cbranch_execz .LBB0_51
; %bb.50:                               ;   in Loop: Header=BB0_37 Depth=2
	global_load_u16 v51, v[0:1], off offset:128
.LBB0_51:                               ;   in Loop: Header=BB0_37 Depth=2
	s_or_b32 exec_lo, exec_lo, s20
	s_and_saveexec_b32 s20, s15
	s_cbranch_execz .LBB0_53
; %bb.52:                               ;   in Loop: Header=BB0_37 Depth=2
	global_load_u16 v7, v[0:1], off offset:192
.LBB0_53:                               ;   in Loop: Header=BB0_37 Depth=2
	s_or_b32 exec_lo, exec_lo, s20
	s_waitcnt vmcnt(0)
	ds_store_b16 v14, v3 offset:528
	ds_store_b16 v18, v2 offset:64
	;; [unrolled: 1-line block ×4, first 2 shown]
	; wave barrier
	ds_load_b64 v[0:1], v17 offset:528
	s_and_not1_b32 vcc_lo, exec_lo, s25
	s_cbranch_vccnz .LBB0_55
; %bb.54:                               ;   in Loop: Header=BB0_37 Depth=2
	v_mov_b32_e32 v2, s57
	ds_load_b64 v[2:3], v2
	s_cbranch_execz .LBB0_56
	s_branch .LBB0_59
.LBB0_55:                               ;   in Loop: Header=BB0_37 Depth=2
                                        ; implicit-def: $vgpr2
.LBB0_56:                               ;   in Loop: Header=BB0_37 Depth=2
	s_waitcnt lgkmcnt(0)
	v_mov_b32_e32 v3, 0
	s_and_not1_b32 vcc_lo, exec_lo, s33
	s_cbranch_vccnz .LBB0_58
; %bb.57:                               ;   in Loop: Header=BB0_37 Depth=2
	s_mov_b32 s35, s29
	s_delay_alu instid0(SALU_CYCLE_1) | instskip(NEXT) | instid1(SALU_CYCLE_1)
	s_lshl_b64 s[20:21], s[34:35], 1
	s_add_u32 s20, s52, s20
	s_addc_u32 s21, s53, s21
	global_load_u16 v2, v12, s[20:21]
	s_waitcnt vmcnt(0)
	v_lshlrev_b32_e32 v3, 16, v2
.LBB0_58:                               ;   in Loop: Header=BB0_37 Depth=2
	v_mov_b32_e32 v2, 1.0
.LBB0_59:                               ;   in Loop: Header=BB0_37 Depth=2
	s_waitcnt lgkmcnt(5)
	v_dual_mul_f32 v6, 0x3fb8aa3b, v6 :: v_dual_lshlrev_b32 v7, 16, v4
	v_lshlrev_b32_e32 v51, 16, v5
	v_and_b32_e32 v4, 0xffff0000, v4
	s_delay_alu instid0(VALU_DEP_3) | instskip(NEXT) | instid1(VALU_DEP_4)
	v_mul_f32_e32 v52, v6, v35
	v_mul_f32_e32 v7, v50, v7
	s_delay_alu instid0(VALU_DEP_3) | instskip(SKIP_1) | instid1(VALU_DEP_4)
	v_dual_mul_f32 v55, v6, v42 :: v_dual_mul_f32 v4, v49, v4
	v_dual_mul_f32 v54, v6, v41 :: v_dual_mul_f32 v59, v48, v51
	v_cmp_gt_f32_e32 vcc_lo, 0xc2fc0000, v52
	s_delay_alu instid0(VALU_DEP_3) | instskip(NEXT) | instid1(VALU_DEP_3)
	v_cmp_gt_f32_e64 s22, 0xc2fc0000, v55
	v_cmp_gt_f32_e64 s21, 0xc2fc0000, v54
	v_cndmask_b32_e64 v52, 0, 0x42800000, vcc_lo
	v_and_b32_e32 v5, 0xffff0000, v5
	s_delay_alu instid0(VALU_DEP_4) | instskip(SKIP_4) | instid1(VALU_DEP_3)
	v_cndmask_b32_e64 v55, 0, 0x42800000, s22
	v_cndmask_b32_e64 v56, 1.0, 0x1f800000, vcc_lo
	v_cndmask_b32_e64 v54, 0, 0x42800000, s21
	v_fmac_f32_e32 v52, v6, v35
	v_cndmask_b32_e64 v51, 1.0, 0x1f800000, s21
	v_fmac_f32_e32 v54, v6, v41
	s_delay_alu instid0(VALU_DEP_3) | instskip(SKIP_1) | instid1(VALU_DEP_2)
	v_exp_f32_e32 v52, v52
	v_fmac_f32_e32 v55, v6, v42
	v_exp_f32_e32 v54, v54
	s_waitcnt_depctr 0xfff
	v_mul_f32_e32 v52, v52, v56
	v_cndmask_b32_e64 v56, 0, v7, s16
	v_exp_f32_e32 v7, v55
	s_delay_alu instid0(VALU_DEP_2) | instskip(SKIP_2) | instid1(VALU_DEP_2)
	v_cndmask_b32_e64 v58, 1.0, v52, s16
	v_mul_f32_e32 v53, v6, v36
	v_cndmask_b32_e64 v52, 0, v59, s18
	v_cmp_gt_f32_e64 s20, 0xc2fc0000, v53
	s_delay_alu instid0(VALU_DEP_1) | instskip(NEXT) | instid1(VALU_DEP_1)
	v_cndmask_b32_e64 v53, 0, 0x42800000, s20
	v_fmac_f32_e32 v53, v6, v36
	v_cndmask_b32_e64 v6, 1.0, 0x1f800000, s20
	s_delay_alu instid0(VALU_DEP_2) | instskip(SKIP_4) | instid1(VALU_DEP_3)
	v_exp_f32_e32 v53, v53
	s_waitcnt_depctr 0xfff
	v_dual_mul_f32 v6, v53, v6 :: v_dual_mul_f32 v53, v54, v51
	v_cndmask_b32_e64 v51, 0, v4, s17
	v_cndmask_b32_e64 v4, 1.0, 0x1f800000, s22
	v_cndmask_b32_e64 v57, 1.0, v6, s17
	s_delay_alu instid0(VALU_DEP_4) | instskip(NEXT) | instid1(VALU_DEP_3)
	v_cndmask_b32_e64 v55, 1.0, v53, s18
	v_mul_f32_e32 v4, v7, v4
	s_delay_alu instid0(VALU_DEP_3) | instskip(SKIP_1) | instid1(VALU_DEP_3)
	v_dual_mul_f32 v6, v57, v58 :: v_dual_mul_f32 v5, v43, v5
	v_fma_f32 v7, v57, v56, v51
	v_cndmask_b32_e64 v54, 1.0, v4, s19
	s_delay_alu instid0(VALU_DEP_3) | instskip(NEXT) | instid1(VALU_DEP_4)
	v_mul_f32_e32 v4, v6, v55
	v_cndmask_b32_e64 v53, 0, v5, s19
	s_delay_alu instid0(VALU_DEP_4) | instskip(NEXT) | instid1(VALU_DEP_3)
	v_fma_f32 v5, v7, v55, v52
	v_mul_f32_e32 v4, v4, v54
	s_delay_alu instid0(VALU_DEP_2) | instskip(NEXT) | instid1(VALU_DEP_2)
	v_fma_f32 v5, v5, v54, v53
	v_mov_b32_dpp v7, v4 row_shr:1 row_mask:0xf bank_mask:0xf
	s_delay_alu instid0(VALU_DEP_2)
	v_mov_b32_dpp v6, v5 row_shr:1 row_mask:0xf bank_mask:0xf
	s_and_saveexec_b32 s20, s0
; %bb.60:                               ;   in Loop: Header=BB0_37 Depth=2
	s_delay_alu instid0(VALU_DEP_2) | instskip(NEXT) | instid1(VALU_DEP_1)
	v_mul_f32_e32 v7, v4, v7
	v_dual_fmac_f32 v5, v4, v6 :: v_dual_mov_b32 v4, v7
; %bb.61:                               ;   in Loop: Header=BB0_37 Depth=2
	s_or_b32 exec_lo, exec_lo, s20
	s_delay_alu instid0(VALU_DEP_1) | instskip(NEXT) | instid1(VALU_DEP_2)
	v_mov_b32_dpp v6, v4 row_shr:2 row_mask:0xf bank_mask:0xf
	v_mov_b32_dpp v7, v5 row_shr:2 row_mask:0xf bank_mask:0xf
	s_and_saveexec_b32 s20, s1
; %bb.62:                               ;   in Loop: Header=BB0_37 Depth=2
	s_delay_alu instid0(VALU_DEP_1) | instskip(NEXT) | instid1(VALU_DEP_3)
	v_fmac_f32_e32 v5, v4, v7
	v_mul_f32_e32 v4, v4, v6
; %bb.63:                               ;   in Loop: Header=BB0_37 Depth=2
	s_or_b32 exec_lo, exec_lo, s20
	s_delay_alu instid0(VALU_DEP_1) | instskip(NEXT) | instid1(VALU_DEP_3)
	v_mov_b32_dpp v6, v4 row_shr:4 row_mask:0xf bank_mask:0xf
	v_mov_b32_dpp v7, v5 row_shr:4 row_mask:0xf bank_mask:0xf
	s_and_saveexec_b32 s20, s2
; %bb.64:                               ;   in Loop: Header=BB0_37 Depth=2
	s_delay_alu instid0(VALU_DEP_1) | instskip(NEXT) | instid1(VALU_DEP_3)
	v_fmac_f32_e32 v5, v4, v7
	v_mul_f32_e32 v4, v4, v6
; %bb.65:                               ;   in Loop: Header=BB0_37 Depth=2
	s_or_b32 exec_lo, exec_lo, s20
	s_delay_alu instid0(VALU_DEP_1) | instskip(NEXT) | instid1(VALU_DEP_3)
	v_mov_b32_dpp v6, v4 row_shr:8 row_mask:0xf bank_mask:0xf
	v_mov_b32_dpp v7, v5 row_shr:8 row_mask:0xf bank_mask:0xf
	s_and_saveexec_b32 s20, s3
; %bb.66:                               ;   in Loop: Header=BB0_37 Depth=2
	s_delay_alu instid0(VALU_DEP_1) | instskip(NEXT) | instid1(VALU_DEP_3)
	v_fmac_f32_e32 v5, v4, v7
	v_mul_f32_e32 v4, v4, v6
; %bb.67:                               ;   in Loop: Header=BB0_37 Depth=2
	s_or_b32 exec_lo, exec_lo, s20
	ds_swizzle_b32 v7, v4 offset:swizzle(BROADCAST,32,15)
	ds_swizzle_b32 v6, v5 offset:swizzle(BROADCAST,32,15)
	s_and_saveexec_b32 s20, s4
	s_cbranch_execz .LBB0_69
; %bb.68:                               ;   in Loop: Header=BB0_37 Depth=2
	s_waitcnt lgkmcnt(1)
	v_mul_f32_e32 v7, v4, v7
	s_waitcnt lgkmcnt(0)
	s_delay_alu instid0(VALU_DEP_1)
	v_dual_fmac_f32 v5, v4, v6 :: v_dual_mov_b32 v4, v7
.LBB0_69:                               ;   in Loop: Header=BB0_37 Depth=2
	s_or_b32 exec_lo, exec_lo, s20
	s_and_saveexec_b32 s20, s5
	s_cbranch_execz .LBB0_71
; %bb.70:                               ;   in Loop: Header=BB0_37 Depth=2
	ds_store_b64 v21, v[4:5] offset:1056
.LBB0_71:                               ;   in Loop: Header=BB0_37 Depth=2
	s_or_b32 exec_lo, exec_lo, s20
	s_waitcnt lgkmcnt(0)
	s_waitcnt_vscnt null, 0x0
	s_barrier
	buffer_gl0_inv
	s_and_saveexec_b32 s20, s6
	s_cbranch_execz .LBB0_73
; %bb.72:                               ;   in Loop: Header=BB0_37 Depth=2
	ds_load_b64 v[6:7], v22 offset:1056
	s_waitcnt lgkmcnt(0)
	v_mov_b32_dpp v59, v6 row_shr:1 row_mask:0xf bank_mask:0xf
	v_mov_b32_dpp v60, v7 row_shr:1 row_mask:0xf bank_mask:0xf
	s_delay_alu instid0(VALU_DEP_2) | instskip(NEXT) | instid1(VALU_DEP_2)
	v_mul_f32_e32 v59, v6, v59
	v_fma_f32 v60, v6, v60, v7
	s_delay_alu instid0(VALU_DEP_2) | instskip(NEXT) | instid1(VALU_DEP_2)
	v_cndmask_b32_e64 v6, v59, v6, s7
	v_cndmask_b32_e64 v7, v60, v7, s7
	ds_store_b64 v22, v[6:7] offset:1056
.LBB0_73:                               ;   in Loop: Header=BB0_37 Depth=2
	s_or_b32 exec_lo, exec_lo, s20
	s_waitcnt lgkmcnt(0)
	s_barrier
	buffer_gl0_inv
                                        ; implicit-def: $vgpr7
	s_and_saveexec_b32 s20, s9
	s_cbranch_execz .LBB0_75
; %bb.74:                               ;   in Loop: Header=BB0_37 Depth=2
	ds_load_b64 v[6:7], v21 offset:1048
	s_waitcnt lgkmcnt(0)
	v_mul_f32_e32 v59, v4, v6
	s_delay_alu instid0(VALU_DEP_1)
	v_dual_fmac_f32 v5, v4, v7 :: v_dual_mov_b32 v4, v59
.LBB0_75:                               ;   in Loop: Header=BB0_37 Depth=2
	s_or_b32 exec_lo, exec_lo, s20
	ds_bpermute_b32 v59, v23, v4
	ds_bpermute_b32 v60, v23, v5
	s_and_saveexec_b32 s20, s8
	s_cbranch_execz .LBB0_79
; %bb.76:                               ;   in Loop: Header=BB0_37 Depth=2
	ds_load_b64 v[4:5], v12 offset:1064
	s_and_saveexec_b32 s21, s10
	s_cbranch_execz .LBB0_78
; %bb.77:                               ;   in Loop: Header=BB0_37 Depth=2
	ds_store_b64 v12, v[2:3] offset:1064
.LBB0_78:                               ;   in Loop: Header=BB0_37 Depth=2
	s_or_b32 exec_lo, exec_lo, s21
	s_waitcnt lgkmcnt(0)
	v_dual_fmac_f32 v5, v4, v3 :: v_dual_mul_f32 v2, v2, v4
	s_delay_alu instid0(VALU_DEP_1)
	v_mov_b32_e32 v3, v5
.LBB0_79:                               ;   in Loop: Header=BB0_37 Depth=2
	s_or_b32 exec_lo, exec_lo, s20
	s_waitcnt lgkmcnt(0)
	s_barrier
	buffer_gl0_inv
	ds_load_b32 v4, v12 offset:1068
	s_and_saveexec_b32 s20, s10
	s_cbranch_execz .LBB0_36
; %bb.80:                               ;   in Loop: Header=BB0_37 Depth=2
	v_mov_b32_e32 v5, s57
	s_and_not1_b32 vcc_lo, exec_lo, s55
	ds_store_b64 v5, v[2:3]
	s_cbranch_vccnz .LBB0_36
; %bb.81:                               ;   in Loop: Header=BB0_37 Depth=2
	v_bfe_u32 v2, v3, 16, 1
	v_cmp_o_f32_e32 vcc_lo, v3, v3
	s_mov_b32 s35, s29
	s_delay_alu instid0(SALU_CYCLE_1) | instskip(NEXT) | instid1(VALU_DEP_2)
	s_lshl_b64 s[66:67], s[34:35], 1
	v_add3_u32 v2, v3, v2, 0x7fff
	s_add_u32 s66, s52, s66
	s_addc_u32 s67, s53, s67
	s_delay_alu instid0(VALU_DEP_1) | instskip(NEXT) | instid1(VALU_DEP_1)
	v_lshrrev_b32_e32 v2, 16, v2
	v_cndmask_b32_e32 v2, 0x7fc0, v2, vcc_lo
	global_store_b16 v12, v2, s[66:67]
	s_branch .LBB0_36
.LBB0_82:                               ;   in Loop: Header=BB0_12 Depth=1
	v_bfe_u32 v0, v38, 16, 1
	s_delay_alu instid0(VALU_DEP_3) | instskip(NEXT) | instid1(VALU_DEP_3)
	v_bfe_u32 v2, v37, 16, 1
	v_bfe_u32 v3, v39, 16, 1
	v_cmp_o_f32_e32 vcc_lo, v38, v38
	v_bfe_u32 v1, v40, 16, 1
	v_add3_u32 v0, v38, v0, 0x7fff
	v_add3_u32 v2, v37, v2, 0x7fff
	;; [unrolled: 1-line block ×3, first 2 shown]
	s_waitcnt_vscnt null, 0x0
	v_add3_u32 v1, v40, v1, 0x7fff
	v_lshrrev_b32_e32 v0, 16, v0
	v_lshrrev_b32_e32 v2, 16, v2
	;; [unrolled: 1-line block ×3, first 2 shown]
	s_barrier
	v_lshrrev_b32_e32 v1, 16, v1
	v_cndmask_b32_e32 v0, 0x7fc0, v0, vcc_lo
	v_cmp_o_f32_e32 vcc_lo, v37, v37
	buffer_gl0_inv
	s_mov_b32 s25, s29
	s_delay_alu instid0(SALU_CYCLE_1)
	s_lshl_b64 s[20:21], s[24:25], 1
	v_cndmask_b32_e32 v2, 0x7fc0, v2, vcc_lo
	v_cmp_o_f32_e32 vcc_lo, v39, v39
	v_cndmask_b32_e32 v3, 0x7fc0, v3, vcc_lo
	v_cmp_o_f32_e32 vcc_lo, v40, v40
	v_cndmask_b32_e32 v4, 0x7fc0, v1, vcc_lo
	s_delay_alu instid0(VALU_DEP_3) | instskip(NEXT) | instid1(VALU_DEP_2)
	v_perm_b32 v1, v3, v2, 0x5040100
	v_perm_b32 v0, v4, v0, 0x5040100
	ds_store_b64 v17, v[0:1]
	; wave barrier
	ds_load_u16 v4, v14 offset:64
	ds_load_u16 v3, v15 offset:128
	;; [unrolled: 1-line block ×3, first 2 shown]
	v_add_co_u32 v0, vcc_lo, v24, s20
	v_add_co_ci_u32_e32 v1, vcc_lo, s21, v25, vcc_lo
	s_and_saveexec_b32 s16, s12
	s_cbranch_execnz .LBB0_101
; %bb.83:                               ;   in Loop: Header=BB0_12 Depth=1
	s_or_b32 exec_lo, exec_lo, s16
	s_and_saveexec_b32 s16, s13
	s_cbranch_execnz .LBB0_102
.LBB0_84:                               ;   in Loop: Header=BB0_12 Depth=1
	s_or_b32 exec_lo, exec_lo, s16
	s_and_saveexec_b32 s16, s14
	s_cbranch_execnz .LBB0_103
.LBB0_85:                               ;   in Loop: Header=BB0_12 Depth=1
	s_or_b32 exec_lo, exec_lo, s16
	s_and_saveexec_b32 s16, s15
	s_cbranch_execz .LBB0_87
.LBB0_86:                               ;   in Loop: Header=BB0_12 Depth=1
	s_waitcnt lgkmcnt(0)
	global_store_b16 v[0:1], v2, off offset:192
.LBB0_87:                               ;   in Loop: Header=BB0_12 Depth=1
	s_or_b32 exec_lo, exec_lo, s16
	v_add_co_u32 v0, vcc_lo, v26, s20
	v_add_co_ci_u32_e32 v1, vcc_lo, s21, v27, vcc_lo
	s_waitcnt lgkmcnt(0)
	v_dual_mov_b32 v2, 0 :: v_dual_mov_b32 v3, 0
	s_waitcnt_vscnt null, 0x0
	s_barrier
	buffer_gl0_inv
	s_and_saveexec_b32 s16, s12
	s_cbranch_execz .LBB0_89
; %bb.88:                               ;   in Loop: Header=BB0_12 Depth=1
	global_load_u16 v3, v[0:1], off
.LBB0_89:                               ;   in Loop: Header=BB0_12 Depth=1
	s_or_b32 exec_lo, exec_lo, s16
	s_and_saveexec_b32 s16, s13
	s_cbranch_execz .LBB0_91
; %bb.90:                               ;   in Loop: Header=BB0_12 Depth=1
	global_load_u16 v2, v[0:1], off offset:64
.LBB0_91:                               ;   in Loop: Header=BB0_12 Depth=1
	s_or_b32 exec_lo, exec_lo, s16
	v_dual_mov_b32 v4, 0 :: v_dual_mov_b32 v5, 0
	s_and_saveexec_b32 s16, s14
	s_cbranch_execz .LBB0_93
; %bb.92:                               ;   in Loop: Header=BB0_12 Depth=1
	global_load_u16 v5, v[0:1], off offset:128
.LBB0_93:                               ;   in Loop: Header=BB0_12 Depth=1
	s_or_b32 exec_lo, exec_lo, s16
	s_and_saveexec_b32 s16, s15
	s_cbranch_execz .LBB0_95
; %bb.94:                               ;   in Loop: Header=BB0_12 Depth=1
	global_load_u16 v4, v[0:1], off offset:192
.LBB0_95:                               ;   in Loop: Header=BB0_12 Depth=1
	s_or_b32 exec_lo, exec_lo, s16
	s_waitcnt vmcnt(0)
	ds_store_b16 v14, v3
	ds_store_b16 v14, v2 offset:64
	ds_store_b16 v15, v5 offset:128
	;; [unrolled: 1-line block ×3, first 2 shown]
	; wave barrier
	ds_load_b64 v[0:1], v17
	s_waitcnt lgkmcnt(0)
	s_barrier
	buffer_gl0_inv
	v_and_b32_e32 v2, 0xffff0000, v0
	v_and_b32_e32 v3, 0xffff0000, v1
	v_lshlrev_b32_e32 v1, 16, v1
	s_delay_alu instid0(VALU_DEP_1) | instskip(NEXT) | instid1(VALU_DEP_1)
	v_dual_mul_f32 v7, 0xbfb8aa3b, v1 :: v_dual_lshlrev_b32 v0, 16, v0
	v_mul_f32_e32 v5, 0xbfb8aa3b, v0
	s_delay_alu instid0(VALU_DEP_2) | instskip(NEXT) | instid1(VALU_DEP_2)
	v_rndne_f32_e32 v45, v7
	v_rndne_f32_e32 v41, v5
	v_fma_f32 v42, 0xbfb8aa3b, v0, -v5
	s_delay_alu instid0(VALU_DEP_2) | instskip(SKIP_2) | instid1(VALU_DEP_4)
	v_dual_sub_f32 v5, v5, v41 :: v_dual_mul_f32 v4, 0xbfb8aa3b, v2
	v_fma_f32 v46, 0xbfb8aa3b, v1, -v7
	v_cmp_nlt_f32_e32 vcc_lo, 0x42ce8ed0, v2
	v_fmac_f32_e32 v42, 0xb2a5705f, v0
	s_delay_alu instid0(VALU_DEP_4) | instskip(SKIP_1) | instid1(VALU_DEP_3)
	v_fma_f32 v35, 0xbfb8aa3b, v2, -v4
	v_rndne_f32_e32 v36, v4
	v_dual_fmac_f32 v46, 0xb2a5705f, v1 :: v_dual_add_f32 v5, v5, v42
	v_cvt_i32_f32_e32 v42, v45
	s_delay_alu instid0(VALU_DEP_3) | instskip(SKIP_1) | instid1(VALU_DEP_4)
	v_dual_fmac_f32 v35, 0xb2a5705f, v2 :: v_dual_sub_f32 v4, v4, v36
	v_dual_mul_f32 v6, 0xbfb8aa3b, v3 :: v_dual_sub_f32 v7, v7, v45
	v_exp_f32_e32 v5, v5
	s_delay_alu instid0(VALU_DEP_2) | instskip(NEXT) | instid1(VALU_DEP_2)
	v_add_f32_e32 v4, v4, v35
	v_fma_f32 v43, 0xbfb8aa3b, v3, -v6
	v_rndne_f32_e32 v44, v6
	v_cvt_i32_f32_e32 v35, v36
	v_add_f32_e32 v7, v7, v46
	v_exp_f32_e32 v4, v4
	s_delay_alu instid0(VALU_DEP_3) | instskip(SKIP_1) | instid1(VALU_DEP_3)
	v_dual_fmac_f32 v43, 0xb2a5705f, v3 :: v_dual_sub_f32 v6, v6, v44
	v_cvt_i32_f32_e32 v36, v41
	v_exp_f32_e32 v7, v7
	v_cvt_i32_f32_e32 v41, v44
	s_delay_alu instid0(VALU_DEP_3) | instskip(NEXT) | instid1(VALU_DEP_3)
	v_add_f32_e32 v6, v6, v43
	v_ldexp_f32 v5, v5, v36
	s_delay_alu instid0(TRANS32_DEP_2) | instskip(NEXT) | instid1(VALU_DEP_3)
	v_ldexp_f32 v4, v4, v35
	v_exp_f32_e32 v6, v6
	s_waitcnt_depctr 0xfff
	v_ldexp_f32 v7, v7, v42
	v_cndmask_b32_e32 v4, 0, v4, vcc_lo
	v_cmp_nlt_f32_e32 vcc_lo, 0x42ce8ed0, v0
	v_cndmask_b32_e32 v5, 0, v5, vcc_lo
	v_ldexp_f32 v6, v6, v41
	v_cmp_nlt_f32_e32 vcc_lo, 0x42ce8ed0, v3
	s_delay_alu instid0(VALU_DEP_2)
	v_cndmask_b32_e32 v6, 0, v6, vcc_lo
	v_cmp_nlt_f32_e32 vcc_lo, 0x42ce8ed0, v1
	v_cndmask_b32_e32 v7, 0, v7, vcc_lo
	v_cmp_ngt_f32_e32 vcc_lo, 0xc2b17218, v2
	v_cndmask_b32_e32 v4, 0x7f800000, v4, vcc_lo
	v_cmp_ngt_f32_e32 vcc_lo, 0xc2b17218, v0
	;; [unrolled: 2-line block ×3, first 2 shown]
	s_delay_alu instid0(VALU_DEP_2) | instskip(SKIP_2) | instid1(VALU_DEP_3)
	v_dual_add_f32 v5, 1.0, v5 :: v_dual_add_f32 v4, 1.0, v4
	v_cndmask_b32_e32 v6, 0x7f800000, v6, vcc_lo
	v_cmp_ngt_f32_e32 vcc_lo, 0xc2b17218, v1
	v_div_scale_f32 v36, null, v5, v5, v0
	s_delay_alu instid0(VALU_DEP_4) | instskip(SKIP_1) | instid1(VALU_DEP_3)
	v_div_scale_f32 v35, null, v4, v4, v2
	v_cndmask_b32_e32 v7, 0x7f800000, v7, vcc_lo
	v_rcp_f32_e32 v44, v36
	v_div_scale_f32 v47, vcc_lo, v2, v4, v2
	s_delay_alu instid0(VALU_DEP_3) | instskip(NEXT) | instid1(VALU_DEP_2)
	v_rcp_f32_e32 v43, v35
	v_dual_add_f32 v7, 1.0, v7 :: v_dual_add_f32 v6, 1.0, v6
	v_div_scale_f32 v48, s16, v0, v5, v0
	s_delay_alu instid0(VALU_DEP_2) | instskip(NEXT) | instid1(VALU_DEP_3)
	v_div_scale_f32 v42, null, v7, v7, v1
	v_div_scale_f32 v41, null, v6, v6, v3
	s_waitcnt_depctr 0xfff
	v_fma_f32 v50, -v35, v43, 1.0
	v_rcp_f32_e32 v46, v42
	v_fma_f32 v51, -v36, v44, 1.0
	v_rcp_f32_e32 v45, v41
	v_div_scale_f32 v49, s17, v3, v6, v3
	s_delay_alu instid0(VALU_DEP_2)
	v_dual_fmac_f32 v43, v50, v43 :: v_dual_fmac_f32 v44, v51, v44
	v_div_scale_f32 v54, s18, v1, v7, v1
	s_waitcnt_depctr 0xfff
	v_fma_f32 v53, -v42, v46, 1.0
	v_dual_mul_f32 v50, v47, v43 :: v_dual_mul_f32 v51, v48, v44
	v_fma_f32 v52, -v41, v45, 1.0
	s_delay_alu instid0(VALU_DEP_3) | instskip(NEXT) | instid1(VALU_DEP_3)
	v_fmac_f32_e32 v46, v53, v46
	v_fma_f32 v55, -v35, v50, v47
	s_delay_alu instid0(VALU_DEP_4) | instskip(NEXT) | instid1(VALU_DEP_4)
	v_fma_f32 v56, -v36, v51, v48
	v_fmac_f32_e32 v45, v52, v45
	s_delay_alu instid0(VALU_DEP_3) | instskip(NEXT) | instid1(VALU_DEP_2)
	v_dual_mul_f32 v53, v54, v46 :: v_dual_fmac_f32 v50, v55, v43
	v_dual_fmac_f32 v51, v56, v44 :: v_dual_mul_f32 v52, v49, v45
	s_delay_alu instid0(VALU_DEP_2) | instskip(NEXT) | instid1(VALU_DEP_3)
	v_fma_f32 v58, -v42, v53, v54
	v_fma_f32 v35, -v35, v50, v47
	s_delay_alu instid0(VALU_DEP_3) | instskip(NEXT) | instid1(VALU_DEP_4)
	v_fma_f32 v36, -v36, v51, v48
	v_fma_f32 v57, -v41, v52, v49
	s_delay_alu instid0(VALU_DEP_4) | instskip(NEXT) | instid1(VALU_DEP_4)
	v_fmac_f32_e32 v53, v58, v46
	v_div_fmas_f32 v35, v35, v43, v50
	s_mov_b32 vcc_lo, s16
	s_delay_alu instid0(VALU_DEP_3)
	v_fmac_f32_e32 v52, v57, v45
	v_div_fmas_f32 v36, v36, v44, v51
	s_mov_b32 vcc_lo, s17
	v_fma_f32 v42, -v42, v53, v54
	v_div_fixup_f32 v2, v35, v4, v2
	v_fma_f32 v41, -v41, v52, v49
	v_div_fixup_f32 v0, v36, v5, v0
	s_delay_alu instid0(VALU_DEP_2) | instskip(SKIP_2) | instid1(VALU_DEP_2)
	v_div_fmas_f32 v41, v41, v45, v52
	s_mov_b32 vcc_lo, s18
	v_div_fmas_f32 v4, v42, v46, v53
	v_div_fixup_f32 v3, v41, v6, v3
	v_mul_f32_e32 v2, v40, v2
	s_delay_alu instid0(VALU_DEP_3) | instskip(NEXT) | instid1(VALU_DEP_3)
	v_div_fixup_f32 v1, v4, v7, v1
	v_dual_mul_f32 v0, v38, v0 :: v_dual_mul_f32 v3, v39, v3
	s_delay_alu instid0(VALU_DEP_3) | instskip(SKIP_1) | instid1(VALU_DEP_4)
	v_bfe_u32 v4, v2, 16, 1
	v_cmp_o_f32_e32 vcc_lo, v2, v2
	v_mul_f32_e32 v1, v37, v1
	s_delay_alu instid0(VALU_DEP_4) | instskip(SKIP_2) | instid1(VALU_DEP_4)
	v_bfe_u32 v5, v0, 16, 1
	v_bfe_u32 v6, v3, 16, 1
	v_add3_u32 v4, v2, v4, 0x7fff
	v_bfe_u32 v7, v1, 16, 1
	s_delay_alu instid0(VALU_DEP_4) | instskip(NEXT) | instid1(VALU_DEP_4)
	v_add3_u32 v5, v0, v5, 0x7fff
	v_add3_u32 v6, v3, v6, 0x7fff
	s_delay_alu instid0(VALU_DEP_4) | instskip(NEXT) | instid1(VALU_DEP_4)
	v_lshrrev_b32_e32 v4, 16, v4
	v_add3_u32 v7, v1, v7, 0x7fff
	s_delay_alu instid0(VALU_DEP_4) | instskip(NEXT) | instid1(VALU_DEP_4)
	v_lshrrev_b32_e32 v5, 16, v5
	v_lshrrev_b32_e32 v6, 16, v6
	s_delay_alu instid0(VALU_DEP_4) | instskip(SKIP_4) | instid1(VALU_DEP_2)
	v_cndmask_b32_e32 v2, 0x7fc0, v4, vcc_lo
	v_cmp_o_f32_e32 vcc_lo, v0, v0
	v_lshrrev_b32_e32 v4, 16, v7
	v_cndmask_b32_e32 v0, 0x7fc0, v5, vcc_lo
	v_cmp_o_f32_e32 vcc_lo, v3, v3
	v_perm_b32 v0, v2, v0, 0x5040100
	v_cndmask_b32_e32 v3, 0x7fc0, v6, vcc_lo
	v_cmp_o_f32_e32 vcc_lo, v1, v1
	v_cndmask_b32_e32 v1, 0x7fc0, v4, vcc_lo
	s_delay_alu instid0(VALU_DEP_1)
	v_perm_b32 v1, v3, v1, 0x5040100
	ds_store_b64 v17, v[0:1]
	; wave barrier
	ds_load_u16 v4, v14 offset:64
	ds_load_u16 v3, v15 offset:128
	;; [unrolled: 1-line block ×3, first 2 shown]
	v_add_co_u32 v0, vcc_lo, v28, s20
	v_add_co_ci_u32_e32 v1, vcc_lo, s21, v29, vcc_lo
	s_and_saveexec_b32 s16, s12
	s_cbranch_execnz .LBB0_104
; %bb.96:                               ;   in Loop: Header=BB0_12 Depth=1
	s_or_b32 exec_lo, exec_lo, s16
	s_and_saveexec_b32 s12, s13
	s_cbranch_execnz .LBB0_105
.LBB0_97:                               ;   in Loop: Header=BB0_12 Depth=1
	s_or_b32 exec_lo, exec_lo, s12
	s_and_saveexec_b32 s12, s14
	s_cbranch_execnz .LBB0_106
.LBB0_98:                               ;   in Loop: Header=BB0_12 Depth=1
	s_or_b32 exec_lo, exec_lo, s12
	s_and_saveexec_b32 s12, s15
	s_cbranch_execz .LBB0_11
	s_branch .LBB0_107
.LBB0_99:                               ;   in Loop: Header=BB0_12 Depth=1
	global_load_u16 v6, v[2:3], off offset:64
	s_or_b32 exec_lo, exec_lo, s16
	s_and_saveexec_b32 s16, s14
	s_cbranch_execz .LBB0_24
.LBB0_100:                              ;   in Loop: Header=BB0_12 Depth=1
	global_load_u16 v5, v[2:3], off offset:128
	s_or_b32 exec_lo, exec_lo, s16
	v_mov_b32_e32 v7, 0
	s_and_saveexec_b32 s16, s15
	s_cbranch_execnz .LBB0_25
	s_branch .LBB0_26
.LBB0_101:                              ;   in Loop: Header=BB0_12 Depth=1
	ds_load_u16 v5, v14
	s_waitcnt lgkmcnt(0)
	global_store_b16 v[0:1], v5, off
	s_or_b32 exec_lo, exec_lo, s16
	s_and_saveexec_b32 s16, s13
	s_cbranch_execz .LBB0_84
.LBB0_102:                              ;   in Loop: Header=BB0_12 Depth=1
	s_waitcnt lgkmcnt(2)
	global_store_b16 v[0:1], v4, off offset:64
	s_or_b32 exec_lo, exec_lo, s16
	s_and_saveexec_b32 s16, s14
	s_cbranch_execz .LBB0_85
.LBB0_103:                              ;   in Loop: Header=BB0_12 Depth=1
	s_waitcnt lgkmcnt(1)
	global_store_b16 v[0:1], v3, off offset:128
	s_or_b32 exec_lo, exec_lo, s16
	s_and_saveexec_b32 s16, s15
	s_cbranch_execnz .LBB0_86
	s_branch .LBB0_87
.LBB0_104:                              ;   in Loop: Header=BB0_12 Depth=1
	ds_load_u16 v5, v14
	s_waitcnt lgkmcnt(0)
	global_store_b16 v[0:1], v5, off
	s_or_b32 exec_lo, exec_lo, s16
	s_and_saveexec_b32 s12, s13
	s_cbranch_execz .LBB0_97
.LBB0_105:                              ;   in Loop: Header=BB0_12 Depth=1
	s_waitcnt lgkmcnt(2)
	global_store_b16 v[0:1], v4, off offset:64
	s_or_b32 exec_lo, exec_lo, s12
	s_and_saveexec_b32 s12, s14
	s_cbranch_execz .LBB0_98
.LBB0_106:                              ;   in Loop: Header=BB0_12 Depth=1
	s_waitcnt lgkmcnt(1)
	global_store_b16 v[0:1], v3, off offset:128
	s_or_b32 exec_lo, exec_lo, s12
	s_and_saveexec_b32 s12, s15
	s_cbranch_execz .LBB0_11
.LBB0_107:                              ;   in Loop: Header=BB0_12 Depth=1
	s_waitcnt lgkmcnt(0)
	global_store_b16 v[0:1], v2, off offset:192
	s_branch .LBB0_11
.LBB0_108:
	s_nop 0
	s_sendmsg sendmsg(MSG_DEALLOC_VGPRS)
	s_endpgm
	.section	.rodata,"a",@progbits
	.p2align	6, 0x0
	.amdhsa_kernel _Z25selective_scan_fwd_kernelI32Selective_Scan_fwd_kernel_traitsILi64ELi4ELi1ELb1ELb1ELb1ELb1ELb1EN3c108BFloat16EfS2_EEv13SSMParamsBase
		.amdhsa_group_segment_fixed_size 0
		.amdhsa_private_segment_fixed_size 0
		.amdhsa_kernarg_size 248
		.amdhsa_user_sgpr_count 14
		.amdhsa_user_sgpr_dispatch_ptr 0
		.amdhsa_user_sgpr_queue_ptr 0
		.amdhsa_user_sgpr_kernarg_segment_ptr 1
		.amdhsa_user_sgpr_dispatch_id 0
		.amdhsa_user_sgpr_private_segment_size 0
		.amdhsa_wavefront_size32 1
		.amdhsa_uses_dynamic_stack 0
		.amdhsa_enable_private_segment 0
		.amdhsa_system_sgpr_workgroup_id_x 1
		.amdhsa_system_sgpr_workgroup_id_y 1
		.amdhsa_system_sgpr_workgroup_id_z 0
		.amdhsa_system_sgpr_workgroup_info 0
		.amdhsa_system_vgpr_workitem_id 0
		.amdhsa_next_free_vgpr 61
		.amdhsa_next_free_sgpr 68
		.amdhsa_reserve_vcc 1
		.amdhsa_float_round_mode_32 0
		.amdhsa_float_round_mode_16_64 0
		.amdhsa_float_denorm_mode_32 3
		.amdhsa_float_denorm_mode_16_64 3
		.amdhsa_dx10_clamp 1
		.amdhsa_ieee_mode 1
		.amdhsa_fp16_overflow 0
		.amdhsa_workgroup_processor_mode 1
		.amdhsa_memory_ordered 1
		.amdhsa_forward_progress 0
		.amdhsa_shared_vgpr_count 0
		.amdhsa_exception_fp_ieee_invalid_op 0
		.amdhsa_exception_fp_denorm_src 0
		.amdhsa_exception_fp_ieee_div_zero 0
		.amdhsa_exception_fp_ieee_overflow 0
		.amdhsa_exception_fp_ieee_underflow 0
		.amdhsa_exception_fp_ieee_inexact 0
		.amdhsa_exception_int_div_zero 0
	.end_amdhsa_kernel
	.section	.text._Z25selective_scan_fwd_kernelI32Selective_Scan_fwd_kernel_traitsILi64ELi4ELi1ELb1ELb1ELb1ELb1ELb1EN3c108BFloat16EfS2_EEv13SSMParamsBase,"axG",@progbits,_Z25selective_scan_fwd_kernelI32Selective_Scan_fwd_kernel_traitsILi64ELi4ELi1ELb1ELb1ELb1ELb1ELb1EN3c108BFloat16EfS2_EEv13SSMParamsBase,comdat
.Lfunc_end0:
	.size	_Z25selective_scan_fwd_kernelI32Selective_Scan_fwd_kernel_traitsILi64ELi4ELi1ELb1ELb1ELb1ELb1ELb1EN3c108BFloat16EfS2_EEv13SSMParamsBase, .Lfunc_end0-_Z25selective_scan_fwd_kernelI32Selective_Scan_fwd_kernel_traitsILi64ELi4ELi1ELb1ELb1ELb1ELb1ELb1EN3c108BFloat16EfS2_EEv13SSMParamsBase
                                        ; -- End function
	.section	.AMDGPU.csdata,"",@progbits
; Kernel info:
; codeLenInByte = 8564
; NumSgprs: 70
; NumVgprs: 61
; ScratchSize: 0
; MemoryBound: 0
; FloatMode: 240
; IeeeMode: 1
; LDSByteSize: 0 bytes/workgroup (compile time only)
; SGPRBlocks: 8
; VGPRBlocks: 7
; NumSGPRsForWavesPerEU: 70
; NumVGPRsForWavesPerEU: 61
; Occupancy: 16
; WaveLimiterHint : 1
; COMPUTE_PGM_RSRC2:SCRATCH_EN: 0
; COMPUTE_PGM_RSRC2:USER_SGPR: 14
; COMPUTE_PGM_RSRC2:TRAP_HANDLER: 0
; COMPUTE_PGM_RSRC2:TGID_X_EN: 1
; COMPUTE_PGM_RSRC2:TGID_Y_EN: 1
; COMPUTE_PGM_RSRC2:TGID_Z_EN: 0
; COMPUTE_PGM_RSRC2:TIDIG_COMP_CNT: 0
	.section	.text._Z25selective_scan_fwd_kernelI32Selective_Scan_fwd_kernel_traitsILi64ELi4ELi1ELb1ELb1ELb1ELb1ELb0EN3c108BFloat16EfS2_EEv13SSMParamsBase,"axG",@progbits,_Z25selective_scan_fwd_kernelI32Selective_Scan_fwd_kernel_traitsILi64ELi4ELi1ELb1ELb1ELb1ELb1ELb0EN3c108BFloat16EfS2_EEv13SSMParamsBase,comdat
	.protected	_Z25selective_scan_fwd_kernelI32Selective_Scan_fwd_kernel_traitsILi64ELi4ELi1ELb1ELb1ELb1ELb1ELb0EN3c108BFloat16EfS2_EEv13SSMParamsBase ; -- Begin function _Z25selective_scan_fwd_kernelI32Selective_Scan_fwd_kernel_traitsILi64ELi4ELi1ELb1ELb1ELb1ELb1ELb0EN3c108BFloat16EfS2_EEv13SSMParamsBase
	.globl	_Z25selective_scan_fwd_kernelI32Selective_Scan_fwd_kernel_traitsILi64ELi4ELi1ELb1ELb1ELb1ELb1ELb0EN3c108BFloat16EfS2_EEv13SSMParamsBase
	.p2align	8
	.type	_Z25selective_scan_fwd_kernelI32Selective_Scan_fwd_kernel_traitsILi64ELi4ELi1ELb1ELb1ELb1ELb1ELb0EN3c108BFloat16EfS2_EEv13SSMParamsBase,@function
_Z25selective_scan_fwd_kernelI32Selective_Scan_fwd_kernel_traitsILi64ELi4ELi1ELb1ELb1ELb1ELb1ELb0EN3c108BFloat16EfS2_EEv13SSMParamsBase: ; @_Z25selective_scan_fwd_kernelI32Selective_Scan_fwd_kernel_traitsILi64ELi4ELi1ELb1ELb1ELb1ELb1ELb0EN3c108BFloat16EfS2_EEv13SSMParamsBase
; %bb.0:
	s_clause 0x1
	s_load_b32 s9, s[0:1], 0x18
	s_load_b128 s[4:7], s[0:1], 0xe8
	s_mov_b32 s12, s15
	s_mov_b32 s33, 0
	s_waitcnt lgkmcnt(0)
	s_abs_i32 s8, s9
	s_cmp_eq_u64 s[6:7], 0
	v_cvt_f32_u32_e32 v1, s8
	s_delay_alu instid0(VALU_DEP_1) | instskip(SKIP_2) | instid1(VALU_DEP_1)
	v_rcp_iflag_f32_e32 v1, v1
	s_waitcnt_depctr 0xfff
	v_mul_f32_e32 v1, 0x4f7ffffe, v1
	v_cvt_u32_f32_e32 v1, v1
	s_delay_alu instid0(VALU_DEP_1)
	v_readfirstlane_b32 s10, v1
	s_cbranch_scc1 .LBB1_2
; %bb.1:
	v_mov_b32_e32 v1, 0
	s_ashr_i32 s3, s14, 31
	s_add_u32 s2, s6, s14
	s_addc_u32 s3, s7, s3
	global_load_u8 v1, v1, s[2:3]
	s_waitcnt vmcnt(0)
	v_and_b32_e32 v1, 1, v1
	s_delay_alu instid0(VALU_DEP_1)
	v_cmp_eq_u32_e64 s33, 1, v1
.LBB1_2:
	s_load_b64 s[6:7], s[0:1], 0x20
	s_cmp_eq_u64 s[4:5], 0
	s_cbranch_scc1 .LBB1_4
; %bb.3:
	s_ashr_i32 s15, s14, 31
	s_delay_alu instid0(SALU_CYCLE_1) | instskip(NEXT) | instid1(SALU_CYCLE_1)
	s_lshl_b64 s[2:3], s[14:15], 2
	s_add_u32 s2, s4, s2
	s_addc_u32 s3, s5, s3
	s_load_b32 s2, s[2:3], 0x0
	s_waitcnt lgkmcnt(0)
	s_ashr_i32 s3, s2, 31
	s_delay_alu instid0(SALU_CYCLE_1)
	s_cmp_eq_u64 s[6:7], s[2:3]
	s_cbranch_scc0 .LBB1_5
	s_branch .LBB1_56
.LBB1_4:
	s_mov_b32 s2, s14
	s_delay_alu instid0(SALU_CYCLE_1)
	s_ashr_i32 s3, s2, 31
	s_waitcnt lgkmcnt(0)
	s_cmp_eq_u64 s[6:7], s[2:3]
	s_cbranch_scc1 .LBB1_56
.LBB1_5:
	s_clause 0x1
	s_load_b512 s[16:31], s[0:1], 0x88
	s_load_b64 s[34:35], s[0:1], 0x8
	s_mov_b32 s52, 0
	s_mov_b32 s53, 0
	s_waitcnt lgkmcnt(0)
	s_cmp_eq_u64 s[22:23], 0
	s_cbranch_scc1 .LBB1_7
; %bb.6:
	s_ashr_i32 s13, s12, 31
	s_delay_alu instid0(SALU_CYCLE_1) | instskip(NEXT) | instid1(SALU_CYCLE_1)
	s_lshl_b64 s[4:5], s[12:13], 2
	s_add_u32 s4, s22, s4
	s_addc_u32 s5, s23, s5
	s_load_b32 s53, s[4:5], 0x0
.LBB1_7:
	s_cmp_eq_u64 s[28:29], 0
	s_cbranch_scc1 .LBB1_9
; %bb.8:
	s_ashr_i32 s13, s12, 31
	s_delay_alu instid0(SALU_CYCLE_1) | instskip(NEXT) | instid1(SALU_CYCLE_1)
	s_lshl_b64 s[4:5], s[12:13], 2
	s_add_u32 s4, s28, s4
	s_addc_u32 s5, s29, s5
	s_load_b32 s52, s[4:5], 0x0
.LBB1_9:
	s_cmp_lt_i32 s34, 1
	s_cbranch_scc1 .LBB1_56
; %bb.10:
	s_sub_i32 s3, 0, s8
	s_load_b256 s[36:43], s[0:1], 0x4c
	s_mul_i32 s3, s3, s10
	s_abs_i32 s4, s12
	s_mul_hi_u32 s3, s10, s3
	s_ashr_i32 s6, s9, 31
	s_add_i32 s10, s10, s3
	s_ashr_i32 s3, s12, 31
	s_mul_hi_u32 s5, s4, s10
	s_xor_b32 s3, s3, s6
	s_mul_i32 s7, s5, s8
	s_add_i32 s6, s5, 1
	s_sub_i32 s4, s4, s7
	s_load_b256 s[44:51], s[0:1], 0x2c
	s_sub_i32 s7, s4, s8
	s_cmp_ge_u32 s4, s8
	s_mov_b32 s23, 0
	s_cselect_b32 s5, s6, s5
	s_cselect_b32 s4, s7, s4
	s_add_i32 s6, s5, 1
	s_cmp_ge_u32 s4, s8
	s_waitcnt lgkmcnt(0)
	s_mul_i32 s22, s38, s14
	s_cselect_b32 s6, s6, s5
	s_lshl_b64 s[4:5], s[22:23], 1
	s_xor_b32 s6, s6, s3
	s_mul_i32 s22, s39, s12
	s_sub_i32 s3, s6, s3
	s_add_u32 s6, s24, s4
	s_addc_u32 s7, s25, s5
	s_lshl_b64 s[4:5], s[22:23], 1
	s_mul_i32 s22, s40, s14
	s_add_u32 s24, s6, s4
	s_addc_u32 s25, s7, s5
	s_lshl_b64 s[4:5], s[22:23], 1
	s_mul_i32 s22, s41, s12
	;; [unrolled: 4-line block ×3, first 2 shown]
	s_add_u32 s26, s6, s4
	s_load_b64 s[28:29], s[0:1], 0x7c
	s_addc_u32 s27, s7, s5
	s_lshl_b64 s[4:5], s[22:23], 2
	s_mul_i32 s22, s46, s14
	s_add_u32 s40, s16, s4
	s_addc_u32 s41, s17, s5
	s_load_b128 s[4:7], s[0:1], 0xc8
	s_lshl_b64 s[8:9], s[22:23], 1
	s_mul_i32 s22, s3, s49
	s_load_b32 s49, s[0:1], 0x84
	s_add_u32 s10, s18, s8
	s_addc_u32 s11, s19, s9
	s_lshl_b64 s[8:9], s[22:23], 1
	s_load_b32 s13, s[0:1], 0x28
	s_mul_i32 s22, s50, s14
	s_add_u32 s44, s10, s8
	s_addc_u32 s46, s11, s9
	s_lshl_b64 s[8:9], s[22:23], 1
	s_mul_i32 s22, s3, s37
	s_add_u32 s15, s20, s8
	s_addc_u32 s3, s21, s9
	s_load_b128 s[8:11], s[0:1], 0x6c
	s_lshl_b64 s[16:17], s[22:23], 1
	s_waitcnt lgkmcnt(0)
	s_mul_i32 s22, s2, s28
	s_add_u32 s37, s15, s16
	s_addc_u32 s47, s3, s17
	s_lshl_b64 s[2:3], s[22:23], 1
	s_mul_i32 s22, s29, s12
	s_add_u32 s4, s4, s2
	s_addc_u32 s5, s5, s3
	s_lshl_b64 s[2:3], s[22:23], 1
	v_lshrrev_b32_e32 v1, 2, v0
	s_add_u32 s50, s4, s2
	s_addc_u32 s51, s5, s3
	s_load_b64 s[4:5], s[0:1], 0xd8
	s_add_i32 s2, s34, 0x7ff
	v_dual_mov_b32 v14, 0 :: v_dual_and_b32 v1, 8, v1
	s_lshr_b32 s54, s2, 11
	s_bitcmp1_b32 s13, 0
	v_or_b32_e32 v2, 31, v0
	s_cselect_b32 s55, -1, 0
	s_cmp_gt_i32 s35, 0
	s_mul_i32 s22, s8, s14
	s_cselect_b32 s56, -1, 0
	s_and_b32 s1, s34, 0xff
	v_add_nc_u32_e32 v16, 0, v1
	s_cmp_eq_u32 s1, 0
	v_lshlrev_b32_e32 v1, 3, v0
	s_cselect_b32 s57, -1, 0
	s_lshl_b64 s[16:17], s[22:23], 1
	s_add_i32 s58, s54, -1
	s_mul_i32 s22, s9, s12
	s_add_u32 s3, s30, s16
	s_addc_u32 s13, s31, s17
	s_lshl_b64 s[8:9], s[22:23], 1
	s_mul_i32 s22, s10, s14
	s_add_u32 s15, s3, s8
	s_addc_u32 s10, s13, s9
	s_lshl_b64 s[8:9], s[22:23], 1
	s_mul_i32 s22, s11, s12
	s_waitcnt lgkmcnt(0)
	s_add_u32 s13, s4, s8
	s_addc_u32 s5, s5, s9
	s_lshl_b64 s[8:9], s[22:23], 1
	s_mul_i32 s22, s42, s14
	s_add_u32 s11, s13, s8
	s_addc_u32 s13, s5, s9
	s_lshl_b64 s[8:9], s[22:23], 1
	s_mul_i32 s22, s43, s12
	s_add_u32 s8, s6, s8
	s_addc_u32 s9, s7, s9
	s_lshl_b64 s[6:7], s[22:23], 1
	v_lshlrev_b32_e32 v15, 2, v0
	s_add_u32 s6, s8, s6
	s_addc_u32 s7, s9, s7
	v_add_co_u32 v20, s6, s6, v1
	v_add_co_u32 v18, s12, s15, v1
	v_add_co_ci_u32_e64 v21, null, s7, 0, s6
	v_add_co_u32 v22, s6, s11, v1
	v_cmp_gt_u32_e64 s0, 64, v0
	v_cmp_eq_u32_e64 s1, v2, v0
	v_cmp_gt_u32_e64 s2, 2, v0
	v_add_nc_u32_e32 v17, 0, v1
	v_cmp_gt_u32_e64 s3, 32, v0
	v_cmp_lt_u32_e64 s4, 31, v0
	v_cmp_eq_u32_e64 s5, 0, v0
	v_add_co_ci_u32_e64 v19, null, s10, 0, s12
	v_add_co_ci_u32_e64 v23, null, s13, 0, s6
	v_or_b32_e32 v24, 1, v15
	v_or_b32_e32 v25, 2, v15
	;; [unrolled: 1-line block ×3, first 2 shown]
	v_lshlrev_b32_e32 v27, 3, v0
	v_mbcnt_lo_u32_b32 v28, -1, 0
	s_mov_b32 s42, 0x3e9b6dac
	s_add_i32 s43, 0, 0x430
	s_mov_b32 s59, 0
                                        ; implicit-def: $vgpr32
                                        ; implicit-def: $vgpr3
                                        ; implicit-def: $vgpr30
                                        ; implicit-def: $vgpr0
                                        ; implicit-def: $vgpr29
                                        ; implicit-def: $vgpr33
                                        ; implicit-def: $vgpr34
                                        ; implicit-def: $vgpr5
                                        ; implicit-def: $vgpr31
	s_branch .LBB1_12
.LBB1_11:                               ;   in Loop: Header=BB1_12 Depth=1
	s_or_b32 exec_lo, exec_lo, s6
	s_delay_alu instid0(VALU_DEP_2) | instskip(SKIP_4) | instid1(VALU_DEP_1)
	v_lshlrev_b32_e32 v7, 16, v31
	v_lshlrev_b32_e32 v6, 16, v4
	s_add_u32 s26, s26, 0x200
	s_addc_u32 s27, s27, 0
	s_add_u32 s24, s24, 0x200
	v_dual_mul_f32 v11, 0xbfb8aa3b, v7 :: v_dual_mul_f32 v10, 0xbfb8aa3b, v6
	v_cmp_nlt_f32_e32 vcc_lo, 0x42ce8ed0, v6
	s_addc_u32 s25, s25, 0
	s_add_u32 s44, s44, 0x200
	s_delay_alu instid0(VALU_DEP_2) | instskip(SKIP_4) | instid1(VALU_DEP_3)
	v_rndne_f32_e32 v41, v11
	v_fma_f32 v36, 0xbfb8aa3b, v6, -v10
	v_fma_f32 v42, 0xbfb8aa3b, v7, -v11
	v_rndne_f32_e32 v35, v10
	s_addc_u32 s46, s46, 0
	v_dual_sub_f32 v11, v11, v41 :: v_dual_fmac_f32 v36, 0xb2a5705f, v6
	s_delay_alu instid0(VALU_DEP_3)
	v_fmac_f32_e32 v42, 0xb2a5705f, v7
	v_lshlrev_b32_e32 v8, 16, v5
	s_add_u32 s37, s37, 0x200
	s_addc_u32 s47, s47, 0
	s_add_i32 s59, s59, 1
	v_add_f32_e32 v11, v11, v42
	v_dual_mul_f32 v12, 0xbfb8aa3b, v8 :: v_dual_lshlrev_b32 v9, 16, v34
	v_sub_f32_e32 v10, v10, v35
	v_cvt_i32_f32_e32 v35, v35
	s_delay_alu instid0(VALU_DEP_4) | instskip(NEXT) | instid1(VALU_DEP_3)
	v_exp_f32_e32 v11, v11
	v_mul_f32_e32 v13, 0xbfb8aa3b, v9
	v_rndne_f32_e32 v43, v12
	v_fma_f32 v44, 0xbfb8aa3b, v8, -v12
	s_cmp_eq_u32 s59, s54
	s_delay_alu instid0(VALU_DEP_3)
	v_rndne_f32_e32 v45, v13
	v_fma_f32 v46, 0xbfb8aa3b, v9, -v13
	s_barrier
	buffer_gl0_inv
	v_sub_f32_e32 v13, v13, v45
	v_fmac_f32_e32 v46, 0xb2a5705f, v9
	v_add_f32_e32 v10, v10, v36
	v_cvt_i32_f32_e32 v36, v43
	s_delay_alu instid0(VALU_DEP_3) | instskip(NEXT) | instid1(VALU_DEP_3)
	v_add_f32_e32 v13, v13, v46
	v_exp_f32_e32 v10, v10
	s_delay_alu instid0(VALU_DEP_1) | instskip(SKIP_4) | instid1(VALU_DEP_3)
	v_exp_f32_e32 v13, v13
	s_waitcnt_depctr 0xfff
	v_ldexp_f32 v10, v10, v35
	v_cvt_i32_f32_e32 v35, v41
	v_cvt_i32_f32_e32 v41, v45
	v_cndmask_b32_e32 v10, 0, v10, vcc_lo
	v_cmp_ngt_f32_e32 vcc_lo, 0xc2b17218, v6
	s_delay_alu instid0(VALU_DEP_4) | instskip(NEXT) | instid1(VALU_DEP_4)
	v_ldexp_f32 v11, v11, v35
	v_ldexp_f32 v13, v13, v41
	v_sub_f32_e32 v12, v12, v43
	v_cndmask_b32_e32 v10, 0x7f800000, v10, vcc_lo
	v_cmp_nlt_f32_e32 vcc_lo, 0x42ce8ed0, v7
	v_dual_fmac_f32 v44, 0xb2a5705f, v8 :: v_dual_cndmask_b32 v11, 0, v11
	s_delay_alu instid0(VALU_DEP_1) | instskip(SKIP_1) | instid1(VALU_DEP_2)
	v_add_f32_e32 v12, v12, v44
	v_cmp_nlt_f32_e32 vcc_lo, 0x42ce8ed0, v8
	v_exp_f32_e32 v12, v12
	s_waitcnt_depctr 0xfff
	v_ldexp_f32 v12, v12, v36
	s_delay_alu instid0(VALU_DEP_1) | instskip(SKIP_3) | instid1(VALU_DEP_2)
	v_cndmask_b32_e32 v12, 0, v12, vcc_lo
	v_cmp_ngt_f32_e32 vcc_lo, 0xc2b17218, v7
	v_cndmask_b32_e32 v11, 0x7f800000, v11, vcc_lo
	v_cmp_ngt_f32_e32 vcc_lo, 0xc2b17218, v8
	v_add_f32_e32 v11, 1.0, v11
	s_delay_alu instid0(VALU_DEP_1) | instskip(SKIP_1) | instid1(VALU_DEP_2)
	v_div_scale_f32 v41, null, v11, v11, v7
	v_div_scale_f32 v50, s6, v7, v11, v7
	v_rcp_f32_e32 v43, v41
	s_waitcnt_depctr 0xfff
	v_fma_f32 v48, -v41, v43, 1.0
	s_delay_alu instid0(VALU_DEP_1) | instskip(NEXT) | instid1(VALU_DEP_1)
	v_fmac_f32_e32 v43, v48, v43
	v_dual_mul_f32 v53, v50, v43 :: v_dual_cndmask_b32 v12, 0x7f800000, v12
	v_cmp_nlt_f32_e32 vcc_lo, 0x42ce8ed0, v9
	v_cndmask_b32_e32 v13, 0, v13, vcc_lo
	v_cmp_ngt_f32_e32 vcc_lo, 0xc2b17218, v9
	s_delay_alu instid0(VALU_DEP_2) | instskip(NEXT) | instid1(VALU_DEP_1)
	v_dual_add_f32 v10, 1.0, v10 :: v_dual_cndmask_b32 v13, 0x7f800000, v13
	v_div_scale_f32 v35, null, v10, v10, v6
	v_div_scale_f32 v47, vcc_lo, v6, v10, v6
	s_delay_alu instid0(VALU_DEP_3) | instskip(NEXT) | instid1(VALU_DEP_3)
	v_add_f32_e32 v13, 1.0, v13
	v_rcp_f32_e32 v36, v35
	s_delay_alu instid0(VALU_DEP_1) | instskip(SKIP_2) | instid1(VALU_DEP_1)
	v_div_scale_f32 v46, null, v13, v13, v9
	s_waitcnt_depctr 0xfff
	v_fma_f32 v45, -v35, v36, 1.0
	v_fmac_f32_e32 v36, v45, v36
	v_rcp_f32_e32 v45, v46
	s_delay_alu instid0(VALU_DEP_1) | instskip(NEXT) | instid1(VALU_DEP_1)
	v_mul_f32_e32 v48, v47, v36
	v_fma_f32 v52, -v35, v48, v47
	s_waitcnt_depctr 0xfff
	v_fma_f32 v51, -v46, v45, 1.0
	v_fmac_f32_e32 v48, v52, v36
	v_fma_f32 v52, -v41, v53, v50
	s_delay_alu instid0(VALU_DEP_3) | instskip(SKIP_1) | instid1(VALU_DEP_3)
	v_dual_fmac_f32 v45, v51, v45 :: v_dual_add_f32 v12, 1.0, v12
	v_div_scale_f32 v51, s8, v9, v13, v9
	v_fmac_f32_e32 v53, v52, v43
	v_fma_f32 v35, -v35, v48, v47
	s_delay_alu instid0(VALU_DEP_4) | instskip(NEXT) | instid1(VALU_DEP_4)
	v_div_scale_f32 v42, null, v12, v12, v8
	v_mul_f32_e32 v56, v51, v45
	s_delay_alu instid0(VALU_DEP_3)
	v_div_fmas_f32 v35, v35, v36, v48
	v_fma_f32 v36, -v41, v53, v50
	s_mov_b32 vcc_lo, s6
	v_rcp_f32_e32 v44, v42
	v_fma_f32 v47, -v46, v56, v51
	v_div_fixup_f32 v6, v35, v10, v6
	v_div_fmas_f32 v36, v36, v43, v53
	s_delay_alu instid0(VALU_DEP_3) | instskip(NEXT) | instid1(VALU_DEP_3)
	v_fmac_f32_e32 v56, v47, v45
	v_mul_f32_e32 v6, v38, v6
	s_delay_alu instid0(VALU_DEP_3) | instskip(NEXT) | instid1(TRANS32_DEP_1)
	v_div_fixup_f32 v7, v36, v11, v7
	v_fma_f32 v49, -v42, v44, 1.0
	s_delay_alu instid0(VALU_DEP_3) | instskip(NEXT) | instid1(VALU_DEP_2)
	v_bfe_u32 v11, v6, 16, 1
	v_dual_mul_f32 v7, v39, v7 :: v_dual_fmac_f32 v44, v49, v44
	v_div_scale_f32 v49, s7, v8, v12, v8
	s_delay_alu instid0(VALU_DEP_2) | instskip(SKIP_2) | instid1(VALU_DEP_2)
	v_bfe_u32 v10, v7, 16, 1
	s_mov_b32 vcc_lo, s7
	v_add3_u32 v11, v6, v11, 0x7fff
	v_add3_u32 v10, v7, v10, 0x7fff
	s_delay_alu instid0(VALU_DEP_2) | instskip(NEXT) | instid1(VALU_DEP_2)
	v_lshrrev_b32_e32 v11, 16, v11
	v_and_b32_e32 v10, 0xffff0000, v10
	v_mul_f32_e32 v54, v49, v44
	s_delay_alu instid0(VALU_DEP_1) | instskip(NEXT) | instid1(VALU_DEP_1)
	v_fma_f32 v55, -v42, v54, v49
	v_fmac_f32_e32 v54, v55, v44
	s_delay_alu instid0(VALU_DEP_1) | instskip(SKIP_1) | instid1(VALU_DEP_2)
	v_fma_f32 v41, -v42, v54, v49
	v_fma_f32 v42, -v46, v56, v51
	v_div_fmas_f32 v41, v41, v44, v54
	s_mov_b32 vcc_lo, s8
	s_delay_alu instid0(VALU_DEP_2) | instskip(SKIP_1) | instid1(VALU_DEP_3)
	v_div_fmas_f32 v42, v42, v45, v56
	v_cmp_o_f32_e32 vcc_lo, v7, v7
	v_div_fixup_f32 v8, v41, v12, v8
	s_delay_alu instid0(VALU_DEP_3) | instskip(NEXT) | instid1(VALU_DEP_2)
	v_div_fixup_f32 v9, v42, v13, v9
	v_dual_cndmask_b32 v7, 0x7fc00000, v10 :: v_dual_mul_f32 v8, v37, v8
	v_cmp_o_f32_e32 vcc_lo, v6, v6
	s_delay_alu instid0(VALU_DEP_3) | instskip(NEXT) | instid1(VALU_DEP_3)
	v_mul_f32_e32 v9, v40, v9
	v_bfe_u32 v12, v8, 16, 1
	v_cndmask_b32_e32 v6, 0x7fc0, v11, vcc_lo
	s_delay_alu instid0(VALU_DEP_3) | instskip(SKIP_1) | instid1(VALU_DEP_4)
	v_bfe_u32 v13, v9, 16, 1
	v_cmp_o_f32_e32 vcc_lo, v9, v9
	v_add3_u32 v12, v8, v12, 0x7fff
	s_delay_alu instid0(VALU_DEP_4) | instskip(NEXT) | instid1(VALU_DEP_4)
	v_or_b32_e32 v6, v7, v6
	v_add3_u32 v13, v9, v13, 0x7fff
	s_delay_alu instid0(VALU_DEP_3) | instskip(NEXT) | instid1(VALU_DEP_3)
	v_lshrrev_b32_e32 v12, 16, v12
	v_or3_b32 v6, v6, 0, 0
	s_delay_alu instid0(VALU_DEP_3) | instskip(NEXT) | instid1(VALU_DEP_1)
	v_and_b32_e32 v13, 0xffff0000, v13
	v_cndmask_b32_e32 v9, 0x7fc00000, v13, vcc_lo
	v_cmp_o_f32_e32 vcc_lo, v8, v8
	v_cndmask_b32_e32 v8, 0x7fc0, v12, vcc_lo
	s_delay_alu instid0(VALU_DEP_1)
	v_or3_b32 v7, 0, v8, v9
	v_add_co_u32 v8, vcc_lo, v22, s10
	v_add_co_ci_u32_e32 v9, vcc_lo, s11, v23, vcc_lo
	global_store_b64 v[8:9], v[6:7], off
	s_cbranch_scc1 .LBB1_56
.LBB1_12:                               ; =>This Loop Header: Depth=1
                                        ;     Child Loop BB1_25 Depth 2
	s_waitcnt_vscnt null, 0x0
	s_barrier
	buffer_gl0_inv
	s_and_saveexec_b32 s6, s0
	s_cbranch_execz .LBB1_14
; %bb.13:                               ;   in Loop: Header=BB1_12 Depth=1
	s_clause 0x1
	global_load_b64 v[0:1], v27, s[24:25]
	global_load_b64 v[2:3], v27, s[26:27]
	s_waitcnt vmcnt(1)
	v_lshrrev_b32_e32 v29, 16, v0
	v_lshrrev_b32_e32 v33, 16, v1
	s_waitcnt vmcnt(0)
	v_lshrrev_b32_e32 v30, 16, v2
	v_lshrrev_b32_e32 v32, 16, v3
.LBB1_14:                               ;   in Loop: Header=BB1_12 Depth=1
	s_or_b32 exec_lo, exec_lo, s6
	v_lshlrev_b32_e32 v6, 16, v2
	s_delay_alu instid0(VALU_DEP_1) | instskip(NEXT) | instid1(VALU_DEP_1)
	v_add_f32_e32 v35, s52, v6
	v_cmp_ge_f32_e32 vcc_lo, 0x41a00000, v35
	s_and_b32 s6, s55, vcc_lo
	s_delay_alu instid0(SALU_CYCLE_1)
	s_and_saveexec_b32 s7, s6
	s_cbranch_execz .LBB1_16
; %bb.15:                               ;   in Loop: Header=BB1_12 Depth=1
	v_mul_f32_e32 v6, 0x3fb8aa3b, v35
	v_cmp_ngt_f32_e32 vcc_lo, 0xc2ce8ed0, v35
	s_delay_alu instid0(VALU_DEP_2) | instskip(SKIP_1) | instid1(VALU_DEP_2)
	v_rndne_f32_e32 v7, v6
	v_fma_f32 v8, 0x3fb8aa3b, v35, -v6
	v_sub_f32_e32 v6, v6, v7
	s_delay_alu instid0(VALU_DEP_2) | instskip(SKIP_1) | instid1(VALU_DEP_2)
	v_fmac_f32_e32 v8, 0x32a5705f, v35
	v_cvt_i32_f32_e32 v7, v7
	v_add_f32_e32 v6, v6, v8
	s_delay_alu instid0(VALU_DEP_1) | instskip(SKIP_2) | instid1(VALU_DEP_1)
	v_exp_f32_e32 v6, v6
	s_waitcnt_depctr 0xfff
	v_ldexp_f32 v6, v6, v7
	v_cndmask_b32_e32 v6, 0, v6, vcc_lo
	v_cmp_nlt_f32_e32 vcc_lo, 0x42b17218, v35
	s_delay_alu instid0(VALU_DEP_2) | instskip(NEXT) | instid1(VALU_DEP_1)
	v_cndmask_b32_e32 v8, 0x7f800000, v6, vcc_lo
	v_add_f32_e32 v9, 1.0, v8
	s_delay_alu instid0(VALU_DEP_1) | instskip(NEXT) | instid1(VALU_DEP_1)
	v_cvt_f64_f32_e32 v[6:7], v9
	v_frexp_exp_i32_f64_e32 v6, v[6:7]
	v_frexp_mant_f32_e32 v7, v9
	s_delay_alu instid0(VALU_DEP_1) | instskip(SKIP_1) | instid1(VALU_DEP_1)
	v_cmp_gt_f32_e32 vcc_lo, 0x3f2aaaab, v7
	v_add_f32_e32 v7, -1.0, v9
	v_sub_f32_e32 v11, v7, v9
	v_sub_f32_e32 v7, v8, v7
	s_delay_alu instid0(VALU_DEP_2) | instskip(NEXT) | instid1(VALU_DEP_1)
	v_add_f32_e32 v11, 1.0, v11
	v_add_f32_e32 v7, v7, v11
	v_cmp_gt_f32_e64 s6, 0x33800000, v8
	v_subrev_co_ci_u32_e32 v6, vcc_lo, 0, v6, vcc_lo
	v_cmp_eq_f32_e32 vcc_lo, 0x7f800000, v8
	s_delay_alu instid0(VALU_DEP_2) | instskip(SKIP_2) | instid1(VALU_DEP_2)
	v_sub_nc_u32_e32 v10, 0, v6
	v_cvt_f32_i32_e32 v6, v6
	s_or_b32 vcc_lo, s6, vcc_lo
	v_ldexp_f32 v9, v9, v10
	v_ldexp_f32 v7, v7, v10
	s_delay_alu instid0(VALU_DEP_2) | instskip(NEXT) | instid1(VALU_DEP_1)
	v_add_f32_e32 v12, 1.0, v9
	v_dual_add_f32 v10, -1.0, v9 :: v_dual_add_f32 v11, -1.0, v12
	s_delay_alu instid0(VALU_DEP_1) | instskip(NEXT) | instid1(VALU_DEP_2)
	v_add_f32_e32 v13, 1.0, v10
	v_sub_f32_e32 v11, v9, v11
	s_delay_alu instid0(VALU_DEP_2) | instskip(NEXT) | instid1(VALU_DEP_2)
	v_sub_f32_e32 v9, v9, v13
	v_add_f32_e32 v11, v7, v11
	s_delay_alu instid0(VALU_DEP_2) | instskip(NEXT) | instid1(VALU_DEP_2)
	v_add_f32_e32 v7, v7, v9
	v_add_f32_e32 v13, v12, v11
	s_delay_alu instid0(VALU_DEP_1) | instskip(NEXT) | instid1(VALU_DEP_2)
	v_rcp_f32_e32 v9, v13
	v_dual_add_f32 v35, v10, v7 :: v_dual_sub_f32 v12, v12, v13
	s_delay_alu instid0(VALU_DEP_1) | instskip(SKIP_3) | instid1(VALU_DEP_2)
	v_sub_f32_e32 v10, v10, v35
	s_waitcnt_depctr 0xfff
	v_mul_f32_e32 v36, v35, v9
	v_add_f32_e32 v7, v7, v10
	v_mul_f32_e32 v37, v13, v36
	v_add_f32_e32 v11, v11, v12
	s_delay_alu instid0(VALU_DEP_2) | instskip(NEXT) | instid1(VALU_DEP_1)
	v_fma_f32 v12, v36, v13, -v37
	v_fmac_f32_e32 v12, v36, v11
	s_delay_alu instid0(VALU_DEP_1) | instskip(NEXT) | instid1(VALU_DEP_1)
	v_add_f32_e32 v38, v37, v12
	v_dual_sub_f32 v10, v38, v37 :: v_dual_sub_f32 v39, v35, v38
	s_delay_alu instid0(VALU_DEP_1) | instskip(NEXT) | instid1(VALU_DEP_1)
	v_dual_sub_f32 v10, v10, v12 :: v_dual_sub_f32 v35, v35, v39
	v_sub_f32_e32 v35, v35, v38
	s_delay_alu instid0(VALU_DEP_1) | instskip(NEXT) | instid1(VALU_DEP_1)
	v_add_f32_e32 v7, v7, v35
	v_add_f32_e32 v7, v10, v7
	s_delay_alu instid0(VALU_DEP_1) | instskip(NEXT) | instid1(VALU_DEP_1)
	v_add_f32_e32 v10, v39, v7
	v_sub_f32_e32 v38, v39, v10
	v_mul_f32_e32 v12, v9, v10
	s_delay_alu instid0(VALU_DEP_2) | instskip(NEXT) | instid1(VALU_DEP_2)
	v_add_f32_e32 v7, v7, v38
	v_mul_f32_e32 v35, v13, v12
	s_delay_alu instid0(VALU_DEP_1) | instskip(NEXT) | instid1(VALU_DEP_1)
	v_fma_f32 v13, v12, v13, -v35
	v_fmac_f32_e32 v13, v12, v11
	s_delay_alu instid0(VALU_DEP_1) | instskip(NEXT) | instid1(VALU_DEP_1)
	v_add_f32_e32 v11, v35, v13
	v_sub_f32_e32 v37, v10, v11
	s_delay_alu instid0(VALU_DEP_1) | instskip(NEXT) | instid1(VALU_DEP_1)
	v_dual_sub_f32 v35, v11, v35 :: v_dual_sub_f32 v10, v10, v37
	v_dual_sub_f32 v10, v10, v11 :: v_dual_sub_f32 v11, v35, v13
	s_delay_alu instid0(VALU_DEP_1) | instskip(NEXT) | instid1(VALU_DEP_1)
	v_dual_add_f32 v7, v7, v10 :: v_dual_add_f32 v10, v36, v12
	v_add_f32_e32 v7, v11, v7
	s_delay_alu instid0(VALU_DEP_2) | instskip(NEXT) | instid1(VALU_DEP_2)
	v_sub_f32_e32 v11, v10, v36
	v_add_f32_e32 v7, v37, v7
	s_delay_alu instid0(VALU_DEP_2) | instskip(NEXT) | instid1(VALU_DEP_2)
	v_sub_f32_e32 v11, v12, v11
	v_mul_f32_e32 v7, v9, v7
	s_delay_alu instid0(VALU_DEP_1) | instskip(NEXT) | instid1(VALU_DEP_1)
	v_add_f32_e32 v7, v11, v7
	v_add_f32_e32 v9, v10, v7
	s_delay_alu instid0(VALU_DEP_1) | instskip(NEXT) | instid1(VALU_DEP_1)
	v_mul_f32_e32 v11, v9, v9
	v_fmaak_f32 v12, s42, v11, 0x3ecc95a3
	v_mul_f32_e32 v13, v9, v11
	s_delay_alu instid0(VALU_DEP_2) | instskip(SKIP_2) | instid1(VALU_DEP_3)
	v_fmaak_f32 v11, v11, v12, 0x3f2aaada
	v_ldexp_f32 v12, v9, 1
	v_sub_f32_e32 v9, v9, v10
	v_mul_f32_e32 v11, v13, v11
	v_mul_f32_e32 v13, 0x3f317218, v6
	s_delay_alu instid0(VALU_DEP_2) | instskip(NEXT) | instid1(VALU_DEP_1)
	v_dual_sub_f32 v7, v7, v9 :: v_dual_add_f32 v10, v12, v11
	v_ldexp_f32 v7, v7, 1
	s_delay_alu instid0(VALU_DEP_2) | instskip(NEXT) | instid1(VALU_DEP_4)
	v_sub_f32_e32 v9, v10, v12
	v_fma_f32 v12, 0x3f317218, v6, -v13
	s_delay_alu instid0(VALU_DEP_1) | instskip(NEXT) | instid1(VALU_DEP_1)
	v_dual_sub_f32 v9, v11, v9 :: v_dual_fmac_f32 v12, 0xb102e308, v6
	v_dual_add_f32 v6, v7, v9 :: v_dual_add_f32 v7, v13, v12
	s_delay_alu instid0(VALU_DEP_1) | instskip(NEXT) | instid1(VALU_DEP_2)
	v_add_f32_e32 v9, v10, v6
	v_sub_f32_e32 v13, v7, v13
	s_delay_alu instid0(VALU_DEP_2) | instskip(NEXT) | instid1(VALU_DEP_1)
	v_dual_add_f32 v11, v7, v9 :: v_dual_sub_f32 v10, v9, v10
	v_dual_sub_f32 v12, v12, v13 :: v_dual_sub_f32 v35, v11, v7
	s_delay_alu instid0(VALU_DEP_2) | instskip(NEXT) | instid1(VALU_DEP_2)
	v_sub_f32_e32 v6, v6, v10
	v_sub_f32_e32 v36, v11, v35
	s_delay_alu instid0(VALU_DEP_2) | instskip(NEXT) | instid1(VALU_DEP_2)
	v_dual_sub_f32 v9, v9, v35 :: v_dual_add_f32 v10, v12, v6
	v_sub_f32_e32 v7, v7, v36
	s_delay_alu instid0(VALU_DEP_1) | instskip(NEXT) | instid1(VALU_DEP_3)
	v_add_f32_e32 v7, v9, v7
	v_sub_f32_e32 v9, v10, v12
	s_delay_alu instid0(VALU_DEP_2) | instskip(NEXT) | instid1(VALU_DEP_2)
	v_add_f32_e32 v7, v10, v7
	v_sub_f32_e32 v10, v10, v9
	s_delay_alu instid0(VALU_DEP_2) | instskip(NEXT) | instid1(VALU_DEP_1)
	v_dual_sub_f32 v6, v6, v9 :: v_dual_add_f32 v13, v11, v7
	v_dual_sub_f32 v10, v12, v10 :: v_dual_sub_f32 v9, v13, v11
	s_delay_alu instid0(VALU_DEP_1) | instskip(NEXT) | instid1(VALU_DEP_1)
	v_dual_add_f32 v6, v6, v10 :: v_dual_sub_f32 v7, v7, v9
	v_add_f32_e32 v6, v6, v7
	s_delay_alu instid0(VALU_DEP_1) | instskip(NEXT) | instid1(VALU_DEP_1)
	v_add_f32_e32 v6, v13, v6
	v_cndmask_b32_e32 v35, v6, v8, vcc_lo
.LBB1_16:                               ;   in Loop: Header=BB1_12 Depth=1
	s_or_b32 exec_lo, exec_lo, s7
	v_lshlrev_b32_e32 v6, 16, v30
	s_delay_alu instid0(VALU_DEP_1) | instskip(NEXT) | instid1(VALU_DEP_1)
	v_add_f32_e32 v36, s52, v6
	v_cmp_ge_f32_e32 vcc_lo, 0x41a00000, v36
	s_and_b32 s6, s55, vcc_lo
	s_delay_alu instid0(SALU_CYCLE_1)
	s_and_saveexec_b32 s7, s6
	s_cbranch_execz .LBB1_18
; %bb.17:                               ;   in Loop: Header=BB1_12 Depth=1
	v_mul_f32_e32 v6, 0x3fb8aa3b, v36
	v_cmp_ngt_f32_e32 vcc_lo, 0xc2ce8ed0, v36
	s_delay_alu instid0(VALU_DEP_2) | instskip(SKIP_1) | instid1(VALU_DEP_2)
	v_rndne_f32_e32 v7, v6
	v_fma_f32 v8, 0x3fb8aa3b, v36, -v6
	v_sub_f32_e32 v6, v6, v7
	s_delay_alu instid0(VALU_DEP_2) | instskip(SKIP_1) | instid1(VALU_DEP_2)
	v_fmac_f32_e32 v8, 0x32a5705f, v36
	v_cvt_i32_f32_e32 v7, v7
	v_add_f32_e32 v6, v6, v8
	s_delay_alu instid0(VALU_DEP_1) | instskip(SKIP_2) | instid1(VALU_DEP_1)
	v_exp_f32_e32 v6, v6
	s_waitcnt_depctr 0xfff
	v_ldexp_f32 v6, v6, v7
	v_cndmask_b32_e32 v6, 0, v6, vcc_lo
	v_cmp_nlt_f32_e32 vcc_lo, 0x42b17218, v36
	s_delay_alu instid0(VALU_DEP_2) | instskip(NEXT) | instid1(VALU_DEP_1)
	v_cndmask_b32_e32 v8, 0x7f800000, v6, vcc_lo
	v_add_f32_e32 v9, 1.0, v8
	s_delay_alu instid0(VALU_DEP_1) | instskip(NEXT) | instid1(VALU_DEP_1)
	v_cvt_f64_f32_e32 v[6:7], v9
	v_frexp_exp_i32_f64_e32 v6, v[6:7]
	v_frexp_mant_f32_e32 v7, v9
	s_delay_alu instid0(VALU_DEP_1) | instskip(SKIP_1) | instid1(VALU_DEP_1)
	v_cmp_gt_f32_e32 vcc_lo, 0x3f2aaaab, v7
	v_add_f32_e32 v7, -1.0, v9
	v_sub_f32_e32 v11, v7, v9
	v_sub_f32_e32 v7, v8, v7
	s_delay_alu instid0(VALU_DEP_2) | instskip(NEXT) | instid1(VALU_DEP_1)
	v_add_f32_e32 v11, 1.0, v11
	v_add_f32_e32 v7, v7, v11
	v_cmp_gt_f32_e64 s6, 0x33800000, v8
	v_subrev_co_ci_u32_e32 v6, vcc_lo, 0, v6, vcc_lo
	v_cmp_eq_f32_e32 vcc_lo, 0x7f800000, v8
	s_delay_alu instid0(VALU_DEP_2) | instskip(SKIP_2) | instid1(VALU_DEP_2)
	v_sub_nc_u32_e32 v10, 0, v6
	v_cvt_f32_i32_e32 v6, v6
	s_or_b32 vcc_lo, s6, vcc_lo
	v_ldexp_f32 v9, v9, v10
	v_ldexp_f32 v7, v7, v10
	s_delay_alu instid0(VALU_DEP_2) | instskip(NEXT) | instid1(VALU_DEP_1)
	v_add_f32_e32 v12, 1.0, v9
	v_dual_add_f32 v10, -1.0, v9 :: v_dual_add_f32 v11, -1.0, v12
	s_delay_alu instid0(VALU_DEP_1) | instskip(NEXT) | instid1(VALU_DEP_2)
	v_add_f32_e32 v13, 1.0, v10
	v_sub_f32_e32 v11, v9, v11
	s_delay_alu instid0(VALU_DEP_2) | instskip(NEXT) | instid1(VALU_DEP_2)
	v_sub_f32_e32 v9, v9, v13
	v_add_f32_e32 v11, v7, v11
	s_delay_alu instid0(VALU_DEP_2) | instskip(NEXT) | instid1(VALU_DEP_1)
	v_add_f32_e32 v7, v7, v9
	v_add_f32_e32 v36, v10, v7
	s_delay_alu instid0(VALU_DEP_1) | instskip(NEXT) | instid1(VALU_DEP_1)
	v_dual_add_f32 v13, v12, v11 :: v_dual_sub_f32 v10, v10, v36
	v_rcp_f32_e32 v9, v13
	v_sub_f32_e32 v12, v12, v13
	s_delay_alu instid0(VALU_DEP_1) | instskip(SKIP_2) | instid1(VALU_DEP_1)
	v_add_f32_e32 v11, v11, v12
	s_waitcnt_depctr 0xfff
	v_mul_f32_e32 v37, v36, v9
	v_mul_f32_e32 v38, v13, v37
	s_delay_alu instid0(VALU_DEP_1) | instskip(NEXT) | instid1(VALU_DEP_1)
	v_fma_f32 v12, v37, v13, -v38
	v_dual_fmac_f32 v12, v37, v11 :: v_dual_add_f32 v7, v7, v10
	s_delay_alu instid0(VALU_DEP_1) | instskip(NEXT) | instid1(VALU_DEP_1)
	v_add_f32_e32 v39, v38, v12
	v_sub_f32_e32 v40, v36, v39
	v_sub_f32_e32 v10, v39, v38
	s_delay_alu instid0(VALU_DEP_2) | instskip(NEXT) | instid1(VALU_DEP_2)
	v_sub_f32_e32 v36, v36, v40
	v_sub_f32_e32 v10, v10, v12
	s_delay_alu instid0(VALU_DEP_2) | instskip(NEXT) | instid1(VALU_DEP_1)
	v_sub_f32_e32 v36, v36, v39
	v_add_f32_e32 v7, v7, v36
	s_delay_alu instid0(VALU_DEP_1) | instskip(NEXT) | instid1(VALU_DEP_1)
	v_add_f32_e32 v7, v10, v7
	v_add_f32_e32 v10, v40, v7
	s_delay_alu instid0(VALU_DEP_1) | instskip(NEXT) | instid1(VALU_DEP_1)
	v_mul_f32_e32 v12, v9, v10
	v_dual_sub_f32 v39, v40, v10 :: v_dual_mul_f32 v36, v13, v12
	s_delay_alu instid0(VALU_DEP_1) | instskip(NEXT) | instid1(VALU_DEP_2)
	v_add_f32_e32 v7, v7, v39
	v_fma_f32 v13, v12, v13, -v36
	s_delay_alu instid0(VALU_DEP_1) | instskip(NEXT) | instid1(VALU_DEP_1)
	v_fmac_f32_e32 v13, v12, v11
	v_add_f32_e32 v11, v36, v13
	s_delay_alu instid0(VALU_DEP_1) | instskip(NEXT) | instid1(VALU_DEP_1)
	v_sub_f32_e32 v38, v10, v11
	v_sub_f32_e32 v10, v10, v38
	s_delay_alu instid0(VALU_DEP_1) | instskip(NEXT) | instid1(VALU_DEP_1)
	v_sub_f32_e32 v10, v10, v11
	v_dual_add_f32 v7, v7, v10 :: v_dual_add_f32 v10, v37, v12
	v_sub_f32_e32 v36, v11, v36
	s_delay_alu instid0(VALU_DEP_1) | instskip(NEXT) | instid1(VALU_DEP_1)
	v_sub_f32_e32 v11, v36, v13
	v_add_f32_e32 v7, v11, v7
	s_delay_alu instid0(VALU_DEP_4) | instskip(NEXT) | instid1(VALU_DEP_2)
	v_sub_f32_e32 v11, v10, v37
	v_add_f32_e32 v7, v38, v7
	s_delay_alu instid0(VALU_DEP_2) | instskip(NEXT) | instid1(VALU_DEP_2)
	v_sub_f32_e32 v11, v12, v11
	v_mul_f32_e32 v7, v9, v7
	s_delay_alu instid0(VALU_DEP_1) | instskip(NEXT) | instid1(VALU_DEP_1)
	v_add_f32_e32 v7, v11, v7
	v_add_f32_e32 v9, v10, v7
	s_delay_alu instid0(VALU_DEP_1) | instskip(NEXT) | instid1(VALU_DEP_1)
	v_mul_f32_e32 v11, v9, v9
	v_fmaak_f32 v12, s42, v11, 0x3ecc95a3
	v_mul_f32_e32 v13, v9, v11
	s_delay_alu instid0(VALU_DEP_2) | instskip(SKIP_2) | instid1(VALU_DEP_3)
	v_fmaak_f32 v11, v11, v12, 0x3f2aaada
	v_ldexp_f32 v12, v9, 1
	v_sub_f32_e32 v9, v9, v10
	v_mul_f32_e32 v11, v13, v11
	v_mul_f32_e32 v13, 0x3f317218, v6
	s_delay_alu instid0(VALU_DEP_2) | instskip(NEXT) | instid1(VALU_DEP_1)
	v_dual_sub_f32 v7, v7, v9 :: v_dual_add_f32 v10, v12, v11
	v_ldexp_f32 v7, v7, 1
	s_delay_alu instid0(VALU_DEP_2) | instskip(NEXT) | instid1(VALU_DEP_4)
	v_sub_f32_e32 v9, v10, v12
	v_fma_f32 v12, 0x3f317218, v6, -v13
	s_delay_alu instid0(VALU_DEP_1) | instskip(NEXT) | instid1(VALU_DEP_1)
	v_dual_sub_f32 v9, v11, v9 :: v_dual_fmac_f32 v12, 0xb102e308, v6
	v_dual_add_f32 v6, v7, v9 :: v_dual_add_f32 v7, v13, v12
	s_delay_alu instid0(VALU_DEP_1) | instskip(NEXT) | instid1(VALU_DEP_2)
	v_add_f32_e32 v9, v10, v6
	v_sub_f32_e32 v13, v7, v13
	s_delay_alu instid0(VALU_DEP_2) | instskip(NEXT) | instid1(VALU_DEP_2)
	v_dual_add_f32 v11, v7, v9 :: v_dual_sub_f32 v10, v9, v10
	v_sub_f32_e32 v12, v12, v13
	s_delay_alu instid0(VALU_DEP_2) | instskip(NEXT) | instid1(VALU_DEP_1)
	v_sub_f32_e32 v36, v11, v7
	v_dual_sub_f32 v6, v6, v10 :: v_dual_sub_f32 v37, v11, v36
	s_delay_alu instid0(VALU_DEP_1) | instskip(NEXT) | instid1(VALU_DEP_2)
	v_dual_sub_f32 v9, v9, v36 :: v_dual_add_f32 v10, v12, v6
	v_sub_f32_e32 v7, v7, v37
	s_delay_alu instid0(VALU_DEP_1) | instskip(NEXT) | instid1(VALU_DEP_3)
	v_add_f32_e32 v7, v9, v7
	v_sub_f32_e32 v9, v10, v12
	s_delay_alu instid0(VALU_DEP_2) | instskip(NEXT) | instid1(VALU_DEP_2)
	v_add_f32_e32 v7, v10, v7
	v_sub_f32_e32 v10, v10, v9
	s_delay_alu instid0(VALU_DEP_2) | instskip(NEXT) | instid1(VALU_DEP_1)
	v_dual_sub_f32 v6, v6, v9 :: v_dual_add_f32 v13, v11, v7
	v_dual_sub_f32 v10, v12, v10 :: v_dual_sub_f32 v9, v13, v11
	s_delay_alu instid0(VALU_DEP_1) | instskip(NEXT) | instid1(VALU_DEP_1)
	v_dual_add_f32 v6, v6, v10 :: v_dual_sub_f32 v7, v7, v9
	v_add_f32_e32 v6, v6, v7
	s_delay_alu instid0(VALU_DEP_1) | instskip(NEXT) | instid1(VALU_DEP_1)
	v_add_f32_e32 v6, v13, v6
	v_cndmask_b32_e32 v36, v6, v8, vcc_lo
.LBB1_18:                               ;   in Loop: Header=BB1_12 Depth=1
	s_or_b32 exec_lo, exec_lo, s7
	v_lshlrev_b32_e32 v6, 16, v3
	s_delay_alu instid0(VALU_DEP_1) | instskip(NEXT) | instid1(VALU_DEP_1)
	v_add_f32_e32 v41, s52, v6
	v_cmp_ge_f32_e32 vcc_lo, 0x41a00000, v41
	s_and_b32 s6, s55, vcc_lo
	s_delay_alu instid0(SALU_CYCLE_1)
	s_and_saveexec_b32 s7, s6
	s_cbranch_execz .LBB1_20
; %bb.19:                               ;   in Loop: Header=BB1_12 Depth=1
	v_mul_f32_e32 v6, 0x3fb8aa3b, v41
	v_cmp_ngt_f32_e32 vcc_lo, 0xc2ce8ed0, v41
	s_delay_alu instid0(VALU_DEP_2) | instskip(SKIP_1) | instid1(VALU_DEP_2)
	v_rndne_f32_e32 v7, v6
	v_fma_f32 v8, 0x3fb8aa3b, v41, -v6
	v_sub_f32_e32 v6, v6, v7
	s_delay_alu instid0(VALU_DEP_2) | instskip(SKIP_1) | instid1(VALU_DEP_2)
	v_fmac_f32_e32 v8, 0x32a5705f, v41
	v_cvt_i32_f32_e32 v7, v7
	v_add_f32_e32 v6, v6, v8
	s_delay_alu instid0(VALU_DEP_1) | instskip(SKIP_2) | instid1(VALU_DEP_1)
	v_exp_f32_e32 v6, v6
	s_waitcnt_depctr 0xfff
	v_ldexp_f32 v6, v6, v7
	v_cndmask_b32_e32 v6, 0, v6, vcc_lo
	v_cmp_nlt_f32_e32 vcc_lo, 0x42b17218, v41
	s_delay_alu instid0(VALU_DEP_2) | instskip(NEXT) | instid1(VALU_DEP_1)
	v_cndmask_b32_e32 v8, 0x7f800000, v6, vcc_lo
	v_add_f32_e32 v9, 1.0, v8
	s_delay_alu instid0(VALU_DEP_1) | instskip(NEXT) | instid1(VALU_DEP_1)
	v_cvt_f64_f32_e32 v[6:7], v9
	v_frexp_exp_i32_f64_e32 v6, v[6:7]
	v_frexp_mant_f32_e32 v7, v9
	s_delay_alu instid0(VALU_DEP_1) | instskip(SKIP_1) | instid1(VALU_DEP_1)
	v_cmp_gt_f32_e32 vcc_lo, 0x3f2aaaab, v7
	v_add_f32_e32 v7, -1.0, v9
	v_sub_f32_e32 v11, v7, v9
	v_sub_f32_e32 v7, v8, v7
	s_delay_alu instid0(VALU_DEP_2) | instskip(NEXT) | instid1(VALU_DEP_1)
	v_add_f32_e32 v11, 1.0, v11
	v_add_f32_e32 v7, v7, v11
	v_cmp_gt_f32_e64 s6, 0x33800000, v8
	v_subrev_co_ci_u32_e32 v6, vcc_lo, 0, v6, vcc_lo
	v_cmp_eq_f32_e32 vcc_lo, 0x7f800000, v8
	s_delay_alu instid0(VALU_DEP_2) | instskip(SKIP_2) | instid1(VALU_DEP_2)
	v_sub_nc_u32_e32 v10, 0, v6
	v_cvt_f32_i32_e32 v6, v6
	s_or_b32 vcc_lo, s6, vcc_lo
	v_ldexp_f32 v9, v9, v10
	v_ldexp_f32 v7, v7, v10
	s_delay_alu instid0(VALU_DEP_2) | instskip(NEXT) | instid1(VALU_DEP_1)
	v_add_f32_e32 v12, 1.0, v9
	v_dual_add_f32 v10, -1.0, v9 :: v_dual_add_f32 v11, -1.0, v12
	s_delay_alu instid0(VALU_DEP_1) | instskip(NEXT) | instid1(VALU_DEP_2)
	v_add_f32_e32 v13, 1.0, v10
	v_sub_f32_e32 v11, v9, v11
	s_delay_alu instid0(VALU_DEP_2) | instskip(NEXT) | instid1(VALU_DEP_2)
	v_sub_f32_e32 v9, v9, v13
	v_add_f32_e32 v11, v7, v11
	s_delay_alu instid0(VALU_DEP_2) | instskip(NEXT) | instid1(VALU_DEP_2)
	v_add_f32_e32 v7, v7, v9
	v_add_f32_e32 v13, v12, v11
	s_delay_alu instid0(VALU_DEP_1) | instskip(NEXT) | instid1(VALU_DEP_2)
	v_rcp_f32_e32 v9, v13
	v_dual_add_f32 v37, v10, v7 :: v_dual_sub_f32 v12, v12, v13
	s_delay_alu instid0(VALU_DEP_1) | instskip(SKIP_2) | instid1(VALU_DEP_1)
	v_dual_sub_f32 v10, v10, v37 :: v_dual_add_f32 v11, v11, v12
	s_waitcnt_depctr 0xfff
	v_dual_mul_f32 v38, v37, v9 :: v_dual_add_f32 v7, v7, v10
	v_mul_f32_e32 v39, v13, v38
	s_delay_alu instid0(VALU_DEP_1) | instskip(NEXT) | instid1(VALU_DEP_1)
	v_fma_f32 v12, v38, v13, -v39
	v_fmac_f32_e32 v12, v38, v11
	s_delay_alu instid0(VALU_DEP_1) | instskip(NEXT) | instid1(VALU_DEP_1)
	v_add_f32_e32 v40, v39, v12
	v_dual_sub_f32 v41, v37, v40 :: v_dual_sub_f32 v10, v40, v39
	s_delay_alu instid0(VALU_DEP_1) | instskip(NEXT) | instid1(VALU_DEP_1)
	v_dual_sub_f32 v37, v37, v41 :: v_dual_sub_f32 v10, v10, v12
	v_sub_f32_e32 v37, v37, v40
	s_delay_alu instid0(VALU_DEP_1) | instskip(NEXT) | instid1(VALU_DEP_1)
	v_add_f32_e32 v7, v7, v37
	v_add_f32_e32 v7, v10, v7
	s_delay_alu instid0(VALU_DEP_1) | instskip(NEXT) | instid1(VALU_DEP_1)
	v_add_f32_e32 v10, v41, v7
	v_mul_f32_e32 v12, v9, v10
	v_sub_f32_e32 v40, v41, v10
	s_delay_alu instid0(VALU_DEP_2) | instskip(NEXT) | instid1(VALU_DEP_2)
	v_mul_f32_e32 v37, v13, v12
	v_add_f32_e32 v7, v7, v40
	s_delay_alu instid0(VALU_DEP_2) | instskip(NEXT) | instid1(VALU_DEP_1)
	v_fma_f32 v13, v12, v13, -v37
	v_fmac_f32_e32 v13, v12, v11
	s_delay_alu instid0(VALU_DEP_1) | instskip(NEXT) | instid1(VALU_DEP_1)
	v_add_f32_e32 v11, v37, v13
	v_sub_f32_e32 v39, v10, v11
	s_delay_alu instid0(VALU_DEP_1) | instskip(NEXT) | instid1(VALU_DEP_1)
	v_dual_sub_f32 v37, v11, v37 :: v_dual_sub_f32 v10, v10, v39
	v_sub_f32_e32 v10, v10, v11
	s_delay_alu instid0(VALU_DEP_1) | instskip(NEXT) | instid1(VALU_DEP_3)
	v_dual_add_f32 v7, v7, v10 :: v_dual_add_f32 v10, v38, v12
	v_sub_f32_e32 v11, v37, v13
	s_delay_alu instid0(VALU_DEP_1) | instskip(NEXT) | instid1(VALU_DEP_3)
	v_add_f32_e32 v7, v11, v7
	v_sub_f32_e32 v11, v10, v38
	s_delay_alu instid0(VALU_DEP_2) | instskip(NEXT) | instid1(VALU_DEP_2)
	v_add_f32_e32 v7, v39, v7
	v_sub_f32_e32 v11, v12, v11
	s_delay_alu instid0(VALU_DEP_2) | instskip(NEXT) | instid1(VALU_DEP_1)
	v_mul_f32_e32 v7, v9, v7
	v_add_f32_e32 v7, v11, v7
	s_delay_alu instid0(VALU_DEP_1) | instskip(NEXT) | instid1(VALU_DEP_1)
	v_add_f32_e32 v9, v10, v7
	v_mul_f32_e32 v11, v9, v9
	s_delay_alu instid0(VALU_DEP_1) | instskip(SKIP_1) | instid1(VALU_DEP_2)
	v_fmaak_f32 v12, s42, v11, 0x3ecc95a3
	v_mul_f32_e32 v13, v9, v11
	v_fmaak_f32 v11, v11, v12, 0x3f2aaada
	v_ldexp_f32 v12, v9, 1
	v_sub_f32_e32 v9, v9, v10
	s_delay_alu instid0(VALU_DEP_3) | instskip(SKIP_1) | instid1(VALU_DEP_2)
	v_mul_f32_e32 v11, v13, v11
	v_mul_f32_e32 v13, 0x3f317218, v6
	v_dual_sub_f32 v7, v7, v9 :: v_dual_add_f32 v10, v12, v11
	s_delay_alu instid0(VALU_DEP_1) | instskip(NEXT) | instid1(VALU_DEP_2)
	v_ldexp_f32 v7, v7, 1
	v_sub_f32_e32 v9, v10, v12
	s_delay_alu instid0(VALU_DEP_4) | instskip(NEXT) | instid1(VALU_DEP_1)
	v_fma_f32 v12, 0x3f317218, v6, -v13
	v_dual_sub_f32 v9, v11, v9 :: v_dual_fmac_f32 v12, 0xb102e308, v6
	s_delay_alu instid0(VALU_DEP_1) | instskip(NEXT) | instid1(VALU_DEP_1)
	v_dual_add_f32 v6, v7, v9 :: v_dual_add_f32 v7, v13, v12
	v_add_f32_e32 v9, v10, v6
	s_delay_alu instid0(VALU_DEP_2) | instskip(NEXT) | instid1(VALU_DEP_2)
	v_sub_f32_e32 v13, v7, v13
	v_dual_add_f32 v11, v7, v9 :: v_dual_sub_f32 v10, v9, v10
	s_delay_alu instid0(VALU_DEP_1) | instskip(NEXT) | instid1(VALU_DEP_2)
	v_dual_sub_f32 v12, v12, v13 :: v_dual_sub_f32 v37, v11, v7
	v_sub_f32_e32 v6, v6, v10
	s_delay_alu instid0(VALU_DEP_2) | instskip(NEXT) | instid1(VALU_DEP_2)
	v_sub_f32_e32 v38, v11, v37
	v_dual_sub_f32 v9, v9, v37 :: v_dual_add_f32 v10, v12, v6
	s_delay_alu instid0(VALU_DEP_2) | instskip(NEXT) | instid1(VALU_DEP_1)
	v_sub_f32_e32 v7, v7, v38
	v_add_f32_e32 v7, v9, v7
	s_delay_alu instid0(VALU_DEP_3) | instskip(NEXT) | instid1(VALU_DEP_2)
	v_sub_f32_e32 v9, v10, v12
	v_add_f32_e32 v7, v10, v7
	s_delay_alu instid0(VALU_DEP_2) | instskip(NEXT) | instid1(VALU_DEP_2)
	v_sub_f32_e32 v10, v10, v9
	v_dual_sub_f32 v6, v6, v9 :: v_dual_add_f32 v13, v11, v7
	s_delay_alu instid0(VALU_DEP_1) | instskip(NEXT) | instid1(VALU_DEP_1)
	v_dual_sub_f32 v10, v12, v10 :: v_dual_sub_f32 v9, v13, v11
	v_dual_add_f32 v6, v6, v10 :: v_dual_sub_f32 v7, v7, v9
	s_delay_alu instid0(VALU_DEP_1) | instskip(NEXT) | instid1(VALU_DEP_1)
	v_add_f32_e32 v6, v6, v7
	v_add_f32_e32 v6, v13, v6
	s_delay_alu instid0(VALU_DEP_1)
	v_cndmask_b32_e32 v41, v6, v8, vcc_lo
.LBB1_20:                               ;   in Loop: Header=BB1_12 Depth=1
	s_or_b32 exec_lo, exec_lo, s7
	v_lshlrev_b32_e32 v6, 16, v32
	s_delay_alu instid0(VALU_DEP_1) | instskip(NEXT) | instid1(VALU_DEP_1)
	v_add_f32_e32 v42, s52, v6
	v_cmp_ge_f32_e32 vcc_lo, 0x41a00000, v42
	s_and_b32 s6, s55, vcc_lo
	s_delay_alu instid0(SALU_CYCLE_1)
	s_and_saveexec_b32 s7, s6
	s_cbranch_execz .LBB1_22
; %bb.21:                               ;   in Loop: Header=BB1_12 Depth=1
	v_mul_f32_e32 v6, 0x3fb8aa3b, v42
	v_cmp_ngt_f32_e32 vcc_lo, 0xc2ce8ed0, v42
	s_delay_alu instid0(VALU_DEP_2) | instskip(SKIP_1) | instid1(VALU_DEP_2)
	v_rndne_f32_e32 v7, v6
	v_fma_f32 v8, 0x3fb8aa3b, v42, -v6
	v_sub_f32_e32 v6, v6, v7
	s_delay_alu instid0(VALU_DEP_2) | instskip(SKIP_1) | instid1(VALU_DEP_2)
	v_fmac_f32_e32 v8, 0x32a5705f, v42
	v_cvt_i32_f32_e32 v7, v7
	v_add_f32_e32 v6, v6, v8
	s_delay_alu instid0(VALU_DEP_1) | instskip(SKIP_2) | instid1(VALU_DEP_1)
	v_exp_f32_e32 v6, v6
	s_waitcnt_depctr 0xfff
	v_ldexp_f32 v6, v6, v7
	v_cndmask_b32_e32 v6, 0, v6, vcc_lo
	v_cmp_nlt_f32_e32 vcc_lo, 0x42b17218, v42
	s_delay_alu instid0(VALU_DEP_2) | instskip(NEXT) | instid1(VALU_DEP_1)
	v_cndmask_b32_e32 v8, 0x7f800000, v6, vcc_lo
	v_add_f32_e32 v9, 1.0, v8
	s_delay_alu instid0(VALU_DEP_1) | instskip(NEXT) | instid1(VALU_DEP_1)
	v_cvt_f64_f32_e32 v[6:7], v9
	v_frexp_exp_i32_f64_e32 v6, v[6:7]
	v_frexp_mant_f32_e32 v7, v9
	s_delay_alu instid0(VALU_DEP_1) | instskip(SKIP_1) | instid1(VALU_DEP_1)
	v_cmp_gt_f32_e32 vcc_lo, 0x3f2aaaab, v7
	v_add_f32_e32 v7, -1.0, v9
	v_sub_f32_e32 v11, v7, v9
	v_sub_f32_e32 v7, v8, v7
	s_delay_alu instid0(VALU_DEP_2) | instskip(NEXT) | instid1(VALU_DEP_1)
	v_add_f32_e32 v11, 1.0, v11
	v_add_f32_e32 v7, v7, v11
	v_cmp_gt_f32_e64 s6, 0x33800000, v8
	v_subrev_co_ci_u32_e32 v6, vcc_lo, 0, v6, vcc_lo
	v_cmp_eq_f32_e32 vcc_lo, 0x7f800000, v8
	s_delay_alu instid0(VALU_DEP_2) | instskip(SKIP_2) | instid1(VALU_DEP_2)
	v_sub_nc_u32_e32 v10, 0, v6
	v_cvt_f32_i32_e32 v6, v6
	s_or_b32 vcc_lo, s6, vcc_lo
	v_ldexp_f32 v9, v9, v10
	v_ldexp_f32 v7, v7, v10
	s_delay_alu instid0(VALU_DEP_2) | instskip(NEXT) | instid1(VALU_DEP_1)
	v_add_f32_e32 v12, 1.0, v9
	v_dual_add_f32 v10, -1.0, v9 :: v_dual_add_f32 v11, -1.0, v12
	s_delay_alu instid0(VALU_DEP_1) | instskip(NEXT) | instid1(VALU_DEP_2)
	v_add_f32_e32 v13, 1.0, v10
	v_sub_f32_e32 v11, v9, v11
	s_delay_alu instid0(VALU_DEP_2) | instskip(NEXT) | instid1(VALU_DEP_2)
	v_sub_f32_e32 v9, v9, v13
	v_add_f32_e32 v11, v7, v11
	s_delay_alu instid0(VALU_DEP_2) | instskip(NEXT) | instid1(VALU_DEP_2)
	v_add_f32_e32 v7, v7, v9
	v_add_f32_e32 v13, v12, v11
	s_delay_alu instid0(VALU_DEP_1) | instskip(NEXT) | instid1(VALU_DEP_2)
	v_rcp_f32_e32 v9, v13
	v_dual_add_f32 v37, v10, v7 :: v_dual_sub_f32 v12, v12, v13
	s_delay_alu instid0(VALU_DEP_1) | instskip(SKIP_2) | instid1(VALU_DEP_1)
	v_sub_f32_e32 v10, v10, v37
	s_waitcnt_depctr 0xfff
	v_mul_f32_e32 v38, v37, v9
	v_mul_f32_e32 v39, v13, v38
	v_add_f32_e32 v11, v11, v12
	s_delay_alu instid0(VALU_DEP_2) | instskip(NEXT) | instid1(VALU_DEP_1)
	v_fma_f32 v12, v38, v13, -v39
	v_fmac_f32_e32 v12, v38, v11
	s_delay_alu instid0(VALU_DEP_1) | instskip(NEXT) | instid1(VALU_DEP_1)
	v_add_f32_e32 v40, v39, v12
	v_dual_sub_f32 v42, v37, v40 :: v_dual_add_f32 v7, v7, v10
	s_delay_alu instid0(VALU_DEP_1) | instskip(NEXT) | instid1(VALU_DEP_1)
	v_dual_sub_f32 v10, v40, v39 :: v_dual_sub_f32 v37, v37, v42
	v_sub_f32_e32 v10, v10, v12
	s_delay_alu instid0(VALU_DEP_2) | instskip(NEXT) | instid1(VALU_DEP_1)
	v_sub_f32_e32 v37, v37, v40
	v_add_f32_e32 v7, v7, v37
	s_delay_alu instid0(VALU_DEP_1) | instskip(NEXT) | instid1(VALU_DEP_1)
	v_add_f32_e32 v7, v10, v7
	v_add_f32_e32 v10, v42, v7
	s_delay_alu instid0(VALU_DEP_1) | instskip(NEXT) | instid1(VALU_DEP_1)
	v_mul_f32_e32 v12, v9, v10
	v_dual_sub_f32 v40, v42, v10 :: v_dual_mul_f32 v37, v13, v12
	s_delay_alu instid0(VALU_DEP_1) | instskip(NEXT) | instid1(VALU_DEP_2)
	v_add_f32_e32 v7, v7, v40
	v_fma_f32 v13, v12, v13, -v37
	s_delay_alu instid0(VALU_DEP_1) | instskip(NEXT) | instid1(VALU_DEP_1)
	v_fmac_f32_e32 v13, v12, v11
	v_add_f32_e32 v11, v37, v13
	s_delay_alu instid0(VALU_DEP_1) | instskip(NEXT) | instid1(VALU_DEP_1)
	v_sub_f32_e32 v39, v10, v11
	v_sub_f32_e32 v10, v10, v39
	s_delay_alu instid0(VALU_DEP_1) | instskip(NEXT) | instid1(VALU_DEP_1)
	v_dual_sub_f32 v10, v10, v11 :: v_dual_sub_f32 v37, v11, v37
	v_dual_add_f32 v7, v7, v10 :: v_dual_add_f32 v10, v38, v12
	s_delay_alu instid0(VALU_DEP_2) | instskip(NEXT) | instid1(VALU_DEP_1)
	v_sub_f32_e32 v11, v37, v13
	v_add_f32_e32 v7, v11, v7
	s_delay_alu instid0(VALU_DEP_3) | instskip(NEXT) | instid1(VALU_DEP_2)
	v_sub_f32_e32 v11, v10, v38
	v_add_f32_e32 v7, v39, v7
	s_delay_alu instid0(VALU_DEP_2) | instskip(NEXT) | instid1(VALU_DEP_2)
	v_sub_f32_e32 v11, v12, v11
	v_mul_f32_e32 v7, v9, v7
	s_delay_alu instid0(VALU_DEP_1) | instskip(NEXT) | instid1(VALU_DEP_1)
	v_add_f32_e32 v7, v11, v7
	v_add_f32_e32 v9, v10, v7
	s_delay_alu instid0(VALU_DEP_1) | instskip(NEXT) | instid1(VALU_DEP_1)
	v_mul_f32_e32 v11, v9, v9
	v_fmaak_f32 v12, s42, v11, 0x3ecc95a3
	v_mul_f32_e32 v13, v9, v11
	s_delay_alu instid0(VALU_DEP_2) | instskip(SKIP_2) | instid1(VALU_DEP_3)
	v_fmaak_f32 v11, v11, v12, 0x3f2aaada
	v_ldexp_f32 v12, v9, 1
	v_sub_f32_e32 v9, v9, v10
	v_mul_f32_e32 v11, v13, v11
	v_mul_f32_e32 v13, 0x3f317218, v6
	s_delay_alu instid0(VALU_DEP_2) | instskip(NEXT) | instid1(VALU_DEP_1)
	v_dual_sub_f32 v7, v7, v9 :: v_dual_add_f32 v10, v12, v11
	v_ldexp_f32 v7, v7, 1
	s_delay_alu instid0(VALU_DEP_2) | instskip(NEXT) | instid1(VALU_DEP_4)
	v_sub_f32_e32 v9, v10, v12
	v_fma_f32 v12, 0x3f317218, v6, -v13
	s_delay_alu instid0(VALU_DEP_1) | instskip(NEXT) | instid1(VALU_DEP_1)
	v_dual_sub_f32 v9, v11, v9 :: v_dual_fmac_f32 v12, 0xb102e308, v6
	v_dual_add_f32 v6, v7, v9 :: v_dual_add_f32 v7, v13, v12
	s_delay_alu instid0(VALU_DEP_1) | instskip(NEXT) | instid1(VALU_DEP_2)
	v_add_f32_e32 v9, v10, v6
	v_sub_f32_e32 v13, v7, v13
	s_delay_alu instid0(VALU_DEP_2) | instskip(NEXT) | instid1(VALU_DEP_1)
	v_dual_add_f32 v11, v7, v9 :: v_dual_sub_f32 v10, v9, v10
	v_dual_sub_f32 v12, v12, v13 :: v_dual_sub_f32 v37, v11, v7
	s_delay_alu instid0(VALU_DEP_2) | instskip(NEXT) | instid1(VALU_DEP_2)
	v_sub_f32_e32 v6, v6, v10
	v_sub_f32_e32 v38, v11, v37
	s_delay_alu instid0(VALU_DEP_2) | instskip(NEXT) | instid1(VALU_DEP_2)
	v_dual_sub_f32 v9, v9, v37 :: v_dual_add_f32 v10, v12, v6
	v_sub_f32_e32 v7, v7, v38
	s_delay_alu instid0(VALU_DEP_1) | instskip(NEXT) | instid1(VALU_DEP_3)
	v_add_f32_e32 v7, v9, v7
	v_sub_f32_e32 v9, v10, v12
	s_delay_alu instid0(VALU_DEP_2) | instskip(NEXT) | instid1(VALU_DEP_2)
	v_add_f32_e32 v7, v10, v7
	v_sub_f32_e32 v10, v10, v9
	s_delay_alu instid0(VALU_DEP_2) | instskip(NEXT) | instid1(VALU_DEP_1)
	v_dual_sub_f32 v6, v6, v9 :: v_dual_add_f32 v13, v11, v7
	v_dual_sub_f32 v10, v12, v10 :: v_dual_sub_f32 v9, v13, v11
	s_delay_alu instid0(VALU_DEP_1) | instskip(NEXT) | instid1(VALU_DEP_1)
	v_dual_add_f32 v6, v6, v10 :: v_dual_sub_f32 v7, v7, v9
	v_add_f32_e32 v6, v6, v7
	s_delay_alu instid0(VALU_DEP_1) | instskip(NEXT) | instid1(VALU_DEP_1)
	v_add_f32_e32 v6, v13, v6
	v_cndmask_b32_e32 v42, v6, v8, vcc_lo
.LBB1_22:                               ;   in Loop: Header=BB1_12 Depth=1
	s_or_b32 exec_lo, exec_lo, s7
	v_lshlrev_b32_e32 v8, 16, v0
	v_lshlrev_b32_e32 v7, 16, v29
	;; [unrolled: 1-line block ×3, first 2 shown]
	s_lshl_b32 s20, s59, 8
	s_and_b32 vcc_lo, exec_lo, s56
	v_mul_f32_e32 v38, s53, v8
	v_dual_mul_f32 v39, s53, v7 :: v_dual_lshlrev_b32 v6, 16, v1
	v_mul_f32_e32 v40, s53, v9
	s_barrier
	s_delay_alu instid0(VALU_DEP_2)
	v_mul_f32_e32 v37, s53, v6
	buffer_gl0_inv
	s_cbranch_vccz .LBB1_54
; %bb.23:                               ;   in Loop: Header=BB1_12 Depth=1
	v_dual_mul_f32 v45, v36, v7 :: v_dual_mul_f32 v46, v35, v8
	v_add_nc_u32_e32 v7, -1, v28
	v_dual_mul_f32 v43, v42, v9 :: v_dual_mul_f32 v44, v41, v6
	v_and_b32_e32 v6, 15, v28
	v_and_b32_e32 v8, 16, v28
	s_delay_alu instid0(VALU_DEP_4)
	v_cmp_gt_i32_e32 vcc_lo, 0, v7
	v_and_b32_e32 v9, 1, v28
	s_sub_i32 s13, s34, s20
	v_add_co_u32 v47, s6, s44, v27
	v_cndmask_b32_e32 v7, v7, v28, vcc_lo
	v_add_co_ci_u32_e64 v48, null, s46, 0, s6
	v_add_co_u32 v49, s6, s37, v27
	v_cmp_gt_u32_e32 vcc_lo, s13, v15
	v_cmp_gt_u32_e64 s14, s13, v24
	v_cmp_gt_u32_e64 s15, s13, v25
	;; [unrolled: 1-line block ×3, first 2 shown]
	s_cmp_lg_u32 s59, 0
	v_add_co_ci_u32_e64 v50, null, s47, 0, s6
	v_cmp_ne_u32_e64 s6, 0, v6
	v_cmp_lt_u32_e64 s7, 1, v6
	v_cmp_lt_u32_e64 s8, 3, v6
	;; [unrolled: 1-line block ×3, first 2 shown]
	v_cmp_ne_u32_e64 s10, 0, v8
	v_cmp_eq_u32_e64 s11, 0, v9
	v_lshlrev_b32_e32 v51, 2, v7
	v_cmp_eq_u32_e64 s12, 0, v28
	s_mov_b32 s22, 0
	s_cselect_b32 s21, -1, 0
	s_cmp_eq_u32 s59, s58
	s_mov_b32 s28, s22
	s_cselect_b32 s60, -1, 0
	s_or_b32 s13, s57, vcc_lo
	s_or_b32 s14, s57, s14
	s_or_b32 s15, s57, s15
	;; [unrolled: 1-line block ×3, first 2 shown]
	s_mov_b32 s30, s22
	s_mov_b32 s38, s22
	;; [unrolled: 1-line block ×4, first 2 shown]
	s_branch .LBB1_25
.LBB1_24:                               ;   in Loop: Header=BB1_25 Depth=2
	s_or_b32 exec_lo, exec_lo, s17
	v_cndmask_b32_e64 v8, v61, v13, s12
	v_cndmask_b32_e64 v9, v60, v12, s12
	s_add_i32 s61, s61, -1
	s_add_i32 s62, s62, 8
	s_add_i32 s38, s38, s49
	v_fma_f32 v8, v8, v59, v56
	v_mul_f32_e32 v9, v9, v59
	s_add_i32 s30, s30, s36
	s_add_i32 s28, s28, s48
	s_add_i32 s22, s22, s45
	v_cndmask_b32_e64 v8, v8, v56, s5
	v_cndmask_b32_e64 v9, v9, v59, s5
	s_cmp_eq_u32 s61, 0
	s_waitcnt lgkmcnt(0)
	s_delay_alu instid0(VALU_DEP_1) | instskip(NEXT) | instid1(VALU_DEP_1)
	v_dual_fmac_f32 v8, v10, v9 :: v_dual_and_b32 v9, 0xffff0000, v6
	v_fmac_f32_e32 v52, v8, v58
	v_lshlrev_b32_e32 v10, 16, v6
	v_alignbit_b32 v6, v7, v6, 16
	s_delay_alu instid0(VALU_DEP_3) | instskip(NEXT) | instid1(VALU_DEP_3)
	v_fmac_f32_e32 v53, v52, v57
	v_dual_fmac_f32 v38, v8, v10 :: v_dual_and_b32 v7, 0xffff0000, v7
	s_delay_alu instid0(VALU_DEP_3) | instskip(NEXT) | instid1(VALU_DEP_3)
	v_dual_fmac_f32 v39, v52, v9 :: v_dual_and_b32 v6, 0xffff0000, v6
	v_fmac_f32_e32 v54, v53, v55
	s_delay_alu instid0(VALU_DEP_1)
	v_dual_fmac_f32 v37, v53, v6 :: v_dual_fmac_f32 v40, v54, v7
	s_cbranch_scc1 .LBB1_54
.LBB1_25:                               ;   Parent Loop BB1_12 Depth=1
                                        ; =>  This Inner Loop Header: Depth=2
	s_lshl_b64 s[18:19], s[22:23], 2
	s_mov_b32 s29, s23
	s_add_u32 s18, s40, s18
	s_addc_u32 s19, s41, s19
	s_lshl_b64 s[64:65], s[28:29], 1
	s_mov_b32 s31, s23
	v_add_co_u32 v6, vcc_lo, v47, s64
	v_add_co_ci_u32_e32 v7, vcc_lo, s65, v48, vcc_lo
	s_lshl_b64 s[64:65], s[30:31], 1
	s_delay_alu instid0(SALU_CYCLE_1)
	v_add_co_u32 v8, vcc_lo, v49, s64
	v_add_co_ci_u32_e32 v9, vcc_lo, s65, v50, vcc_lo
	global_load_b32 v12, v14, s[18:19]
	global_load_b64 v[10:11], v[6:7], off
	global_load_b64 v[6:7], v[8:9], off
	s_and_not1_b32 vcc_lo, exec_lo, s21
	s_cbranch_vccnz .LBB1_27
; %bb.26:                               ;   in Loop: Header=BB1_25 Depth=2
	v_mov_b32_e32 v8, s62
	ds_load_b64 v[8:9], v8
	s_cbranch_execz .LBB1_28
	s_branch .LBB1_31
.LBB1_27:                               ;   in Loop: Header=BB1_25 Depth=2
                                        ; implicit-def: $vgpr8
.LBB1_28:                               ;   in Loop: Header=BB1_25 Depth=2
	s_waitcnt lgkmcnt(0)
	v_mov_b32_e32 v9, 0
	s_and_not1_b32 vcc_lo, exec_lo, s33
	s_cbranch_vccnz .LBB1_30
; %bb.29:                               ;   in Loop: Header=BB1_25 Depth=2
	s_mov_b32 s39, s23
	s_delay_alu instid0(SALU_CYCLE_1) | instskip(NEXT) | instid1(SALU_CYCLE_1)
	s_lshl_b64 s[18:19], s[38:39], 1
	s_add_u32 s18, s50, s18
	s_addc_u32 s19, s51, s19
	global_load_u16 v8, v14, s[18:19]
	s_waitcnt vmcnt(0)
	v_lshlrev_b32_e32 v9, 16, v8
.LBB1_30:                               ;   in Loop: Header=BB1_25 Depth=2
	v_mov_b32_e32 v8, 1.0
.LBB1_31:                               ;   in Loop: Header=BB1_25 Depth=2
	s_waitcnt vmcnt(1)
	v_alignbit_b32 v13, v11, v10, 16
	s_delay_alu instid0(VALU_DEP_1) | instskip(NEXT) | instid1(VALU_DEP_1)
	v_and_b32_e32 v13, 0xffff0000, v13
	v_dual_mul_f32 v12, 0x3fb8aa3b, v12 :: v_dual_mul_f32 v13, v44, v13
	s_delay_alu instid0(VALU_DEP_1) | instskip(SKIP_2) | instid1(VALU_DEP_3)
	v_dual_mul_f32 v53, v12, v35 :: v_dual_and_b32 v52, 0xffff0000, v10
	v_dual_mul_f32 v55, v12, v41 :: v_dual_lshlrev_b32 v10, 16, v10
	v_dual_mul_f32 v54, v12, v36 :: v_dual_and_b32 v11, 0xffff0000, v11
	v_cmp_gt_f32_e32 vcc_lo, 0xc2fc0000, v53
	v_mul_f32_e32 v56, v12, v42
	s_delay_alu instid0(VALU_DEP_4)
	v_cmp_gt_f32_e64 s18, 0xc2fc0000, v55
	v_mul_f32_e32 v10, v46, v10
	v_cmp_gt_f32_e64 s17, 0xc2fc0000, v54
	v_cndmask_b32_e64 v53, 0, 0x42800000, vcc_lo
	v_cmp_gt_f32_e64 s19, 0xc2fc0000, v56
	v_cndmask_b32_e64 v55, 0, 0x42800000, s18
	v_mul_f32_e32 v52, v45, v52
	v_cndmask_b32_e64 v54, 0, 0x42800000, s17
	v_fmac_f32_e32 v53, v12, v35
	v_cndmask_b32_e64 v57, 0, 0x42800000, s19
	v_cndmask_b32_e64 v58, 1.0, 0x1f800000, vcc_lo
	v_cndmask_b32_e64 v56, 0, v10, s13
	v_fmac_f32_e32 v54, v12, v36
	v_exp_f32_e32 v53, v53
	v_fmac_f32_e32 v55, v12, v41
	v_fmac_f32_e32 v57, v12, v42
	v_cndmask_b32_e64 v10, 1.0, 0x1f800000, s17
	v_exp_f32_e32 v54, v54
	v_cndmask_b32_e64 v52, 0, v52, s14
	s_waitcnt_depctr 0xfff
	v_mul_f32_e32 v12, v53, v58
	v_exp_f32_e32 v55, v55
	v_cndmask_b32_e64 v53, 1.0, 0x1f800000, s18
	v_mul_f32_e32 v10, v54, v10
	s_delay_alu instid0(VALU_DEP_3) | instskip(SKIP_1) | instid1(VALU_DEP_3)
	v_cndmask_b32_e64 v59, 1.0, v12, s13
	v_cndmask_b32_e64 v54, 1.0, 0x1f800000, s19
	;; [unrolled: 1-line block ×3, first 2 shown]
	s_waitcnt_depctr 0xfff
	v_mul_f32_e32 v12, v55, v53
	v_exp_f32_e32 v60, v57
	v_cndmask_b32_e64 v53, 0, v13, s15
	v_mul_f32_e32 v10, v43, v11
	v_fma_f32 v13, v58, v56, v52
	v_cndmask_b32_e64 v57, 1.0, v12, s15
	s_waitcnt_depctr 0xfff
	v_dual_mul_f32 v12, v58, v59 :: v_dual_mul_f32 v11, v60, v54
	v_cndmask_b32_e64 v54, 0, v10, s16
	s_delay_alu instid0(VALU_DEP_2) | instskip(NEXT) | instid1(VALU_DEP_3)
	v_mul_f32_e32 v10, v12, v57
	v_cndmask_b32_e64 v55, 1.0, v11, s16
	v_fma_f32 v11, v13, v57, v53
	s_delay_alu instid0(VALU_DEP_2) | instskip(NEXT) | instid1(VALU_DEP_2)
	v_mul_f32_e32 v10, v10, v55
	v_fma_f32 v11, v11, v55, v54
	s_delay_alu instid0(VALU_DEP_2) | instskip(NEXT) | instid1(VALU_DEP_2)
	v_mov_b32_dpp v13, v10 row_shr:1 row_mask:0xf bank_mask:0xf
	v_mov_b32_dpp v12, v11 row_shr:1 row_mask:0xf bank_mask:0xf
	s_and_saveexec_b32 s17, s6
; %bb.32:                               ;   in Loop: Header=BB1_25 Depth=2
	s_delay_alu instid0(VALU_DEP_2) | instskip(NEXT) | instid1(VALU_DEP_1)
	v_mul_f32_e32 v13, v10, v13
	v_dual_fmac_f32 v11, v10, v12 :: v_dual_mov_b32 v10, v13
; %bb.33:                               ;   in Loop: Header=BB1_25 Depth=2
	s_or_b32 exec_lo, exec_lo, s17
	s_delay_alu instid0(VALU_DEP_1) | instskip(NEXT) | instid1(VALU_DEP_2)
	v_mov_b32_dpp v12, v10 row_shr:2 row_mask:0xf bank_mask:0xf
	v_mov_b32_dpp v13, v11 row_shr:2 row_mask:0xf bank_mask:0xf
	s_and_saveexec_b32 s17, s7
; %bb.34:                               ;   in Loop: Header=BB1_25 Depth=2
	s_delay_alu instid0(VALU_DEP_1) | instskip(NEXT) | instid1(VALU_DEP_3)
	v_fmac_f32_e32 v11, v10, v13
	v_mul_f32_e32 v10, v10, v12
; %bb.35:                               ;   in Loop: Header=BB1_25 Depth=2
	s_or_b32 exec_lo, exec_lo, s17
	s_delay_alu instid0(VALU_DEP_1) | instskip(NEXT) | instid1(VALU_DEP_3)
	v_mov_b32_dpp v12, v10 row_shr:4 row_mask:0xf bank_mask:0xf
	v_mov_b32_dpp v13, v11 row_shr:4 row_mask:0xf bank_mask:0xf
	s_and_saveexec_b32 s17, s8
; %bb.36:                               ;   in Loop: Header=BB1_25 Depth=2
	s_delay_alu instid0(VALU_DEP_1) | instskip(NEXT) | instid1(VALU_DEP_3)
	v_fmac_f32_e32 v11, v10, v13
	v_mul_f32_e32 v10, v10, v12
; %bb.37:                               ;   in Loop: Header=BB1_25 Depth=2
	s_or_b32 exec_lo, exec_lo, s17
	s_delay_alu instid0(VALU_DEP_1) | instskip(NEXT) | instid1(VALU_DEP_3)
	v_mov_b32_dpp v12, v10 row_shr:8 row_mask:0xf bank_mask:0xf
	v_mov_b32_dpp v13, v11 row_shr:8 row_mask:0xf bank_mask:0xf
	s_and_saveexec_b32 s17, s9
; %bb.38:                               ;   in Loop: Header=BB1_25 Depth=2
	s_delay_alu instid0(VALU_DEP_1) | instskip(NEXT) | instid1(VALU_DEP_3)
	v_fmac_f32_e32 v11, v10, v13
	v_mul_f32_e32 v10, v10, v12
; %bb.39:                               ;   in Loop: Header=BB1_25 Depth=2
	s_or_b32 exec_lo, exec_lo, s17
	ds_swizzle_b32 v13, v10 offset:swizzle(BROADCAST,32,15)
	ds_swizzle_b32 v12, v11 offset:swizzle(BROADCAST,32,15)
	s_and_saveexec_b32 s17, s10
	s_cbranch_execz .LBB1_41
; %bb.40:                               ;   in Loop: Header=BB1_25 Depth=2
	s_waitcnt lgkmcnt(1)
	v_mul_f32_e32 v13, v10, v13
	s_waitcnt lgkmcnt(0)
	s_delay_alu instid0(VALU_DEP_1)
	v_dual_fmac_f32 v11, v10, v12 :: v_dual_mov_b32 v10, v13
.LBB1_41:                               ;   in Loop: Header=BB1_25 Depth=2
	s_or_b32 exec_lo, exec_lo, s17
	s_and_saveexec_b32 s17, s1
	s_cbranch_execz .LBB1_43
; %bb.42:                               ;   in Loop: Header=BB1_25 Depth=2
	ds_store_b64 v16, v[10:11] offset:1056
.LBB1_43:                               ;   in Loop: Header=BB1_25 Depth=2
	s_or_b32 exec_lo, exec_lo, s17
	s_waitcnt vmcnt(0) lgkmcnt(0)
	s_waitcnt_vscnt null, 0x0
	s_barrier
	buffer_gl0_inv
	s_and_saveexec_b32 s17, s2
	s_cbranch_execz .LBB1_45
; %bb.44:                               ;   in Loop: Header=BB1_25 Depth=2
	ds_load_b64 v[12:13], v17 offset:1056
	s_waitcnt lgkmcnt(0)
	v_mov_b32_dpp v60, v12 row_shr:1 row_mask:0xf bank_mask:0xf
	v_mov_b32_dpp v61, v13 row_shr:1 row_mask:0xf bank_mask:0xf
	s_delay_alu instid0(VALU_DEP_2) | instskip(NEXT) | instid1(VALU_DEP_2)
	v_mul_f32_e32 v60, v12, v60
	v_fma_f32 v61, v12, v61, v13
	s_delay_alu instid0(VALU_DEP_2) | instskip(NEXT) | instid1(VALU_DEP_2)
	v_cndmask_b32_e64 v12, v60, v12, s11
	v_cndmask_b32_e64 v13, v61, v13, s11
	ds_store_b64 v17, v[12:13] offset:1056
.LBB1_45:                               ;   in Loop: Header=BB1_25 Depth=2
	s_or_b32 exec_lo, exec_lo, s17
	s_waitcnt lgkmcnt(0)
	s_barrier
	buffer_gl0_inv
                                        ; implicit-def: $vgpr13
	s_and_saveexec_b32 s17, s4
	s_cbranch_execz .LBB1_47
; %bb.46:                               ;   in Loop: Header=BB1_25 Depth=2
	ds_load_b64 v[12:13], v16 offset:1048
	s_waitcnt lgkmcnt(0)
	v_mul_f32_e32 v60, v10, v12
	s_delay_alu instid0(VALU_DEP_1)
	v_dual_fmac_f32 v11, v10, v13 :: v_dual_mov_b32 v10, v60
.LBB1_47:                               ;   in Loop: Header=BB1_25 Depth=2
	s_or_b32 exec_lo, exec_lo, s17
	ds_bpermute_b32 v60, v51, v10
	ds_bpermute_b32 v61, v51, v11
	s_and_saveexec_b32 s17, s3
	s_cbranch_execz .LBB1_51
; %bb.48:                               ;   in Loop: Header=BB1_25 Depth=2
	ds_load_b64 v[10:11], v14 offset:1064
	s_and_saveexec_b32 s18, s5
	s_cbranch_execz .LBB1_50
; %bb.49:                               ;   in Loop: Header=BB1_25 Depth=2
	ds_store_b64 v14, v[8:9] offset:1064
.LBB1_50:                               ;   in Loop: Header=BB1_25 Depth=2
	s_or_b32 exec_lo, exec_lo, s18
	s_waitcnt lgkmcnt(0)
	v_dual_fmac_f32 v11, v10, v9 :: v_dual_mul_f32 v8, v8, v10
	s_delay_alu instid0(VALU_DEP_1)
	v_mov_b32_e32 v9, v11
.LBB1_51:                               ;   in Loop: Header=BB1_25 Depth=2
	s_or_b32 exec_lo, exec_lo, s17
	s_waitcnt lgkmcnt(0)
	s_barrier
	buffer_gl0_inv
	ds_load_b32 v10, v14 offset:1068
	s_and_saveexec_b32 s17, s5
	s_cbranch_execz .LBB1_24
; %bb.52:                               ;   in Loop: Header=BB1_25 Depth=2
	v_mov_b32_e32 v11, s62
	s_and_not1_b32 vcc_lo, exec_lo, s60
	ds_store_b64 v11, v[8:9]
	s_cbranch_vccnz .LBB1_24
; %bb.53:                               ;   in Loop: Header=BB1_25 Depth=2
	v_bfe_u32 v8, v9, 16, 1
	v_cmp_o_f32_e32 vcc_lo, v9, v9
	s_mov_b32 s39, s23
	s_delay_alu instid0(SALU_CYCLE_1) | instskip(NEXT) | instid1(VALU_DEP_2)
	s_lshl_b64 s[18:19], s[38:39], 1
	v_add3_u32 v8, v9, v8, 0x7fff
	s_add_u32 s18, s50, s18
	s_addc_u32 s19, s51, s19
	s_delay_alu instid0(VALU_DEP_1) | instskip(NEXT) | instid1(VALU_DEP_1)
	v_lshrrev_b32_e32 v8, 16, v8
	v_cndmask_b32_e32 v8, 0x7fc0, v8, vcc_lo
	global_store_b16 v14, v8, s[18:19]
	s_branch .LBB1_24
.LBB1_54:                               ;   in Loop: Header=BB1_12 Depth=1
	s_delay_alu instid0(VALU_DEP_3) | instskip(SKIP_1) | instid1(VALU_DEP_3)
	v_bfe_u32 v6, v39, 16, 1
	v_bfe_u32 v7, v38, 16, 1
	;; [unrolled: 1-line block ×3, first 2 shown]
	v_cmp_o_f32_e32 vcc_lo, v39, v39
	v_bfe_u32 v8, v37, 16, 1
	v_add3_u32 v6, v39, v6, 0x7fff
	v_add3_u32 v7, v38, v7, 0x7fff
	v_add3_u32 v9, v40, v9, 0x7fff
	s_mov_b32 s21, s23
	v_add3_u32 v8, v37, v8, 0x7fff
	v_and_b32_e32 v6, 0xffff0000, v6
	v_lshrrev_b32_e32 v7, 16, v7
	v_and_b32_e32 v9, 0xffff0000, v9
	s_lshl_b64 s[10:11], s[20:21], 1
	v_lshrrev_b32_e32 v8, 16, v8
	v_cndmask_b32_e32 v6, 0x7fc00000, v6, vcc_lo
	v_cmp_o_f32_e32 vcc_lo, v38, v38
	s_waitcnt_vscnt null, 0x0
	s_barrier
	buffer_gl0_inv
	v_cndmask_b32_e32 v7, 0x7fc0, v7, vcc_lo
	v_cmp_o_f32_e32 vcc_lo, v40, v40
	s_delay_alu instid0(VALU_DEP_2) | instskip(SKIP_2) | instid1(VALU_DEP_3)
	v_or_b32_e32 v6, v6, v7
	v_cndmask_b32_e32 v9, 0x7fc00000, v9, vcc_lo
	v_cmp_o_f32_e32 vcc_lo, v37, v37
	v_or3_b32 v6, v6, 0, 0
	v_cndmask_b32_e32 v8, 0x7fc0, v8, vcc_lo
	s_delay_alu instid0(VALU_DEP_1)
	v_or3_b32 v7, 0, v8, v9
	v_add_co_u32 v8, vcc_lo, v18, s10
	v_add_co_ci_u32_e32 v9, vcc_lo, s11, v19, vcc_lo
	global_store_b64 v[8:9], v[6:7], off
	s_waitcnt_vscnt null, 0x0
	s_barrier
	buffer_gl0_inv
	s_and_saveexec_b32 s6, s0
	s_cbranch_execz .LBB1_11
; %bb.55:                               ;   in Loop: Header=BB1_12 Depth=1
	v_add_co_u32 v4, vcc_lo, v20, s10
	v_add_co_ci_u32_e32 v5, vcc_lo, s11, v21, vcc_lo
	global_load_b64 v[4:5], v[4:5], off
	s_waitcnt vmcnt(0)
	v_lshrrev_b32_e32 v31, 16, v4
	v_lshrrev_b32_e32 v34, 16, v5
	s_branch .LBB1_11
.LBB1_56:
	s_nop 0
	s_sendmsg sendmsg(MSG_DEALLOC_VGPRS)
	s_endpgm
	.section	.rodata,"a",@progbits
	.p2align	6, 0x0
	.amdhsa_kernel _Z25selective_scan_fwd_kernelI32Selective_Scan_fwd_kernel_traitsILi64ELi4ELi1ELb1ELb1ELb1ELb1ELb0EN3c108BFloat16EfS2_EEv13SSMParamsBase
		.amdhsa_group_segment_fixed_size 0
		.amdhsa_private_segment_fixed_size 0
		.amdhsa_kernarg_size 248
		.amdhsa_user_sgpr_count 14
		.amdhsa_user_sgpr_dispatch_ptr 0
		.amdhsa_user_sgpr_queue_ptr 0
		.amdhsa_user_sgpr_kernarg_segment_ptr 1
		.amdhsa_user_sgpr_dispatch_id 0
		.amdhsa_user_sgpr_private_segment_size 0
		.amdhsa_wavefront_size32 1
		.amdhsa_uses_dynamic_stack 0
		.amdhsa_enable_private_segment 0
		.amdhsa_system_sgpr_workgroup_id_x 1
		.amdhsa_system_sgpr_workgroup_id_y 1
		.amdhsa_system_sgpr_workgroup_id_z 0
		.amdhsa_system_sgpr_workgroup_info 0
		.amdhsa_system_vgpr_workitem_id 0
		.amdhsa_next_free_vgpr 62
		.amdhsa_next_free_sgpr 66
		.amdhsa_reserve_vcc 1
		.amdhsa_float_round_mode_32 0
		.amdhsa_float_round_mode_16_64 0
		.amdhsa_float_denorm_mode_32 3
		.amdhsa_float_denorm_mode_16_64 3
		.amdhsa_dx10_clamp 1
		.amdhsa_ieee_mode 1
		.amdhsa_fp16_overflow 0
		.amdhsa_workgroup_processor_mode 1
		.amdhsa_memory_ordered 1
		.amdhsa_forward_progress 0
		.amdhsa_shared_vgpr_count 0
		.amdhsa_exception_fp_ieee_invalid_op 0
		.amdhsa_exception_fp_denorm_src 0
		.amdhsa_exception_fp_ieee_div_zero 0
		.amdhsa_exception_fp_ieee_overflow 0
		.amdhsa_exception_fp_ieee_underflow 0
		.amdhsa_exception_fp_ieee_inexact 0
		.amdhsa_exception_int_div_zero 0
	.end_amdhsa_kernel
	.section	.text._Z25selective_scan_fwd_kernelI32Selective_Scan_fwd_kernel_traitsILi64ELi4ELi1ELb1ELb1ELb1ELb1ELb0EN3c108BFloat16EfS2_EEv13SSMParamsBase,"axG",@progbits,_Z25selective_scan_fwd_kernelI32Selective_Scan_fwd_kernel_traitsILi64ELi4ELi1ELb1ELb1ELb1ELb1ELb0EN3c108BFloat16EfS2_EEv13SSMParamsBase,comdat
.Lfunc_end1:
	.size	_Z25selective_scan_fwd_kernelI32Selective_Scan_fwd_kernel_traitsILi64ELi4ELi1ELb1ELb1ELb1ELb1ELb0EN3c108BFloat16EfS2_EEv13SSMParamsBase, .Lfunc_end1-_Z25selective_scan_fwd_kernelI32Selective_Scan_fwd_kernel_traitsILi64ELi4ELi1ELb1ELb1ELb1ELb1ELb0EN3c108BFloat16EfS2_EEv13SSMParamsBase
                                        ; -- End function
	.section	.AMDGPU.csdata,"",@progbits
; Kernel info:
; codeLenInByte = 7264
; NumSgprs: 68
; NumVgprs: 62
; ScratchSize: 0
; MemoryBound: 0
; FloatMode: 240
; IeeeMode: 1
; LDSByteSize: 0 bytes/workgroup (compile time only)
; SGPRBlocks: 8
; VGPRBlocks: 7
; NumSGPRsForWavesPerEU: 68
; NumVGPRsForWavesPerEU: 62
; Occupancy: 16
; WaveLimiterHint : 0
; COMPUTE_PGM_RSRC2:SCRATCH_EN: 0
; COMPUTE_PGM_RSRC2:USER_SGPR: 14
; COMPUTE_PGM_RSRC2:TRAP_HANDLER: 0
; COMPUTE_PGM_RSRC2:TGID_X_EN: 1
; COMPUTE_PGM_RSRC2:TGID_Y_EN: 1
; COMPUTE_PGM_RSRC2:TGID_Z_EN: 0
; COMPUTE_PGM_RSRC2:TIDIG_COMP_CNT: 0
	.section	.text._Z25selective_scan_fwd_kernelI32Selective_Scan_fwd_kernel_traitsILi64ELi4ELi1ELb1ELb1ELb1ELb0ELb1EN3c108BFloat16EfS2_EEv13SSMParamsBase,"axG",@progbits,_Z25selective_scan_fwd_kernelI32Selective_Scan_fwd_kernel_traitsILi64ELi4ELi1ELb1ELb1ELb1ELb0ELb1EN3c108BFloat16EfS2_EEv13SSMParamsBase,comdat
	.protected	_Z25selective_scan_fwd_kernelI32Selective_Scan_fwd_kernel_traitsILi64ELi4ELi1ELb1ELb1ELb1ELb0ELb1EN3c108BFloat16EfS2_EEv13SSMParamsBase ; -- Begin function _Z25selective_scan_fwd_kernelI32Selective_Scan_fwd_kernel_traitsILi64ELi4ELi1ELb1ELb1ELb1ELb0ELb1EN3c108BFloat16EfS2_EEv13SSMParamsBase
	.globl	_Z25selective_scan_fwd_kernelI32Selective_Scan_fwd_kernel_traitsILi64ELi4ELi1ELb1ELb1ELb1ELb0ELb1EN3c108BFloat16EfS2_EEv13SSMParamsBase
	.p2align	8
	.type	_Z25selective_scan_fwd_kernelI32Selective_Scan_fwd_kernel_traitsILi64ELi4ELi1ELb1ELb1ELb1ELb0ELb1EN3c108BFloat16EfS2_EEv13SSMParamsBase,@function
_Z25selective_scan_fwd_kernelI32Selective_Scan_fwd_kernel_traitsILi64ELi4ELi1ELb1ELb1ELb1ELb0ELb1EN3c108BFloat16EfS2_EEv13SSMParamsBase: ; @_Z25selective_scan_fwd_kernelI32Selective_Scan_fwd_kernel_traitsILi64ELi4ELi1ELb1ELb1ELb1ELb0ELb1EN3c108BFloat16EfS2_EEv13SSMParamsBase
; %bb.0:
	s_clause 0x2
	s_load_b32 s35, s[0:1], 0x18
	s_load_b128 s[4:7], s[0:1], 0xe0
	s_load_b64 s[10:11], s[0:1], 0xf0
	s_mov_b32 s12, s15
	s_ashr_i32 s15, s14, 31
	s_mov_b32 s33, 0
	s_lshl_b64 s[8:9], s[14:15], 2
	s_waitcnt lgkmcnt(0)
	s_abs_i32 s34, s35
	s_add_u32 s2, s4, s8
	v_cvt_f32_u32_e32 v1, s34
	s_addc_u32 s3, s5, s9
	s_cmp_eq_u64 s[10:11], 0
	s_delay_alu instid0(VALU_DEP_1) | instskip(SKIP_2) | instid1(VALU_DEP_1)
	v_rcp_iflag_f32_e32 v1, v1
	s_waitcnt_depctr 0xfff
	v_mul_f32_e32 v1, 0x4f7ffffe, v1
	v_cvt_u32_f32_e32 v1, v1
	s_delay_alu instid0(VALU_DEP_1)
	v_readfirstlane_b32 s36, v1
	s_cbranch_scc1 .LBB2_2
; %bb.1:
	v_mov_b32_e32 v1, 0
	s_add_u32 s4, s10, s14
	s_addc_u32 s5, s11, s15
	global_load_u8 v1, v1, s[4:5]
	s_waitcnt vmcnt(0)
	v_and_b32_e32 v1, 1, v1
	s_delay_alu instid0(VALU_DEP_1)
	v_cmp_eq_u32_e64 s33, 1, v1
.LBB2_2:
	s_load_b64 s[4:5], s[0:1], 0x20
	s_cmp_eq_u64 s[6:7], 0
	s_cbranch_scc1 .LBB2_4
; %bb.3:
	s_add_u32 s6, s6, s8
	s_addc_u32 s7, s7, s9
	s_load_b32 s14, s[6:7], 0x0
	s_waitcnt lgkmcnt(0)
	s_ashr_i32 s15, s14, 31
.LBB2_4:
	s_waitcnt lgkmcnt(0)
	s_cmp_eq_u64 s[4:5], s[14:15]
	s_cbranch_scc1 .LBB2_92
; %bb.5:
	s_load_b512 s[16:31], s[0:1], 0x88
	s_load_b64 s[10:11], s[2:3], 0x0
	s_mov_b32 s48, 0
	s_mov_b32 s49, 0
	s_waitcnt lgkmcnt(0)
	s_cmp_eq_u64 s[22:23], 0
	s_cbranch_scc1 .LBB2_7
; %bb.6:
	s_ashr_i32 s13, s12, 31
	s_delay_alu instid0(SALU_CYCLE_1) | instskip(NEXT) | instid1(SALU_CYCLE_1)
	s_lshl_b64 s[2:3], s[12:13], 2
	s_add_u32 s2, s22, s2
	s_addc_u32 s3, s23, s3
	s_load_b32 s49, s[2:3], 0x0
.LBB2_7:
	s_cmp_eq_u64 s[28:29], 0
	s_cbranch_scc1 .LBB2_9
; %bb.8:
	s_ashr_i32 s13, s12, 31
	s_delay_alu instid0(SALU_CYCLE_1) | instskip(NEXT) | instid1(SALU_CYCLE_1)
	s_lshl_b64 s[2:3], s[12:13], 2
	s_add_u32 s2, s28, s2
	s_addc_u32 s3, s29, s3
	s_load_b32 s48, s[2:3], 0x0
.LBB2_9:
	s_sub_i32 s23, s11, s10
	s_delay_alu instid0(SALU_CYCLE_1)
	s_cmp_lt_i32 s23, 1
	s_cbranch_scc1 .LBB2_92
; %bb.10:
	s_sub_i32 s2, 0, s34
	s_abs_i32 s5, s12
	s_mul_i32 s4, s2, s36
	s_clause 0x1
	s_load_b64 s[2:3], s[0:1], 0x5c
	s_load_b128 s[44:47], s[0:1], 0x4c
	s_mul_hi_u32 s4, s36, s4
	s_ashr_i32 s7, s35, 31
	s_add_i32 s36, s36, s4
	s_ashr_i32 s4, s12, 31
	s_mul_hi_u32 s6, s5, s36
	s_xor_b32 s7, s4, s7
	s_mul_i32 s8, s6, s34
	s_load_b256 s[36:43], s[0:1], 0x2c
	s_sub_i32 s4, s5, s8
	s_add_i32 s5, s6, 1
	s_sub_i32 s8, s4, s34
	s_cmp_ge_u32 s4, s34
	s_mov_b32 s29, 0
	s_cselect_b32 s5, s5, s6
	s_cselect_b32 s4, s8, s4
	s_add_i32 s6, s5, 1
	s_cmp_ge_u32 s4, s34
	v_lshlrev_b32_e32 v8, 2, v0
	s_cselect_b32 s4, s6, s5
	s_waitcnt lgkmcnt(0)
	s_mul_i32 s28, s10, s46
	s_xor_b32 s6, s4, s7
	s_lshl_b64 s[4:5], s[28:29], 1
	s_sub_i32 s6, s6, s7
	s_mul_i32 s28, s47, s12
	s_add_u32 s7, s24, s4
	s_addc_u32 s8, s25, s5
	s_lshl_b64 s[4:5], s[28:29], 1
	s_mul_i32 s28, s10, s2
	s_add_u32 s43, s7, s4
	s_addc_u32 s46, s8, s5
	s_lshl_b64 s[4:5], s[28:29], 1
	;; [unrolled: 4-line block ×3, first 2 shown]
	s_mul_i32 s28, s36, s12
	s_add_u32 s47, s4, s2
	s_addc_u32 s36, s5, s3
	s_clause 0x1
	s_load_b128 s[24:27], s[0:1], 0x7c
	s_load_b64 s[4:5], s[0:1], 0xc8
	s_lshl_b64 s[2:3], s[28:29], 2
	s_mul_i32 s28, s10, s38
	s_add_u32 s50, s16, s2
	s_addc_u32 s51, s17, s3
	s_lshl_b64 s[2:3], s[28:29], 1
	s_mul_i32 s28, s6, s41
	s_add_u32 s7, s18, s2
	v_mbcnt_lo_u32_b32 v1, -1, 0
	v_and_b32_e32 v2, 0x80, v8
	v_dual_mov_b32 v12, 0 :: v_dual_and_b32 v3, 32, v0
	s_addc_u32 s8, s19, s3
	s_lshl_b64 s[2:3], s[28:29], 1
	s_mul_i32 s28, s10, s42
	s_waitcnt lgkmcnt(0)
	s_add_u32 s27, s7, s2
	s_addc_u32 s41, s8, s3
	s_clause 0x1
	s_load_b32 s42, s[0:1], 0xc
	s_load_b32 s8, s[0:1], 0x28
	v_or_b32_e32 v9, v1, v2
	v_or_b32_e32 v4, v1, v3
	s_lshl_b64 s[2:3], s[28:29], 1
	s_mul_i32 s28, s6, s45
	s_add_u32 s7, s20, s2
	v_or_b32_e32 v11, 0x60, v9
	v_lshrrev_b32_e32 v14, 3, v4
	s_addc_u32 s6, s21, s3
	s_lshl_b64 s[2:3], s[28:29], 1
	s_mul_i32 s28, s14, s24
	s_load_b64 s[16:17], s[0:1], 0x6c
	s_add_u32 s45, s7, s2
	s_addc_u32 s52, s6, s3
	s_lshl_b64 s[0:1], s[28:29], 1
	v_or_b32_e32 v10, 64, v9
	v_lshrrev_b32_e32 v7, 5, v11
	v_and_b32_e32 v16, 6, v14
	s_mul_i32 s28, s25, s12
	s_add_u32 s2, s4, s0
	s_addc_u32 s3, s5, s1
	s_lshl_b64 s[0:1], s[28:29], 1
	v_lshrrev_b32_e32 v5, 5, v2
	s_add_u32 s53, s2, s0
	v_lshrrev_b32_e32 v6, 5, v10
	v_and_b32_e32 v7, 6, v7
	v_lshl_add_u32 v4, v4, 2, v16
	s_addc_u32 s54, s3, s1
	s_add_i32 s0, s23, 0x7ff
	v_add_lshl_u32 v5, v5, v9, 1
	s_lshr_b32 s55, s0, 11
	s_waitcnt lgkmcnt(0)
	s_bitcmp1_b32 s8, 0
	v_add_lshl_u32 v6, v6, v9, 1
	v_add_lshl_u32 v7, v7, v9, 1
	v_lshl_add_u32 v17, v4, 1, 0
	v_and_b32_e32 v4, 15, v1
	s_cselect_b32 s56, -1, 0
	s_cmp_gt_i32 s42, 0
	v_or_b32_e32 v3, 31, v3
	s_cselect_b32 s57, -1, 0
	s_add_i32 s0, 0, 0x210
	s_and_b32 s1, s23, 0xff
	v_add_nc_u32_e32 v18, s0, v5
	v_add_nc_u32_e32 v19, s0, v6
	s_cmp_eq_u32 s1, 0
	v_add_nc_u32_e32 v20, s0, v7
	v_cmp_ne_u32_e64 s0, 0, v4
	v_cmp_lt_u32_e64 s1, 1, v4
	v_cmp_lt_u32_e64 s2, 3, v4
	;; [unrolled: 1-line block ×3, first 2 shown]
	v_add_nc_u32_e32 v4, -1, v1
	s_mul_i32 s28, s10, s16
	s_cselect_b32 s58, -1, 0
	s_lshl_b64 s[14:15], s[28:29], 1
	s_add_i32 s59, s55, -1
	v_cmp_gt_i32_e32 vcc_lo, 0, v4
	s_mul_i32 s28, s17, s12
	v_add_nc_u32_e32 v14, 0, v5
	v_lshrrev_b32_e32 v5, 2, v0
	v_cmp_eq_u32_e64 s5, v3, v0
	v_cndmask_b32_e32 v4, v4, v1, vcc_lo
	v_and_b32_e32 v3, 1, v1
	v_cmp_gt_u32_e64 s6, 2, v0
	v_lshl_add_u32 v22, v0, 3, 0
	v_cmp_gt_u32_e64 s8, 32, v0
	v_cmp_lt_u32_e64 s9, 31, v0
	v_cmp_eq_u32_e64 s10, 0, v0
	s_add_u32 s11, s30, s14
	v_lshlrev_b32_e32 v0, 1, v1
	s_addc_u32 s14, s31, s15
	s_lshl_b64 s[12:13], s[28:29], 1
	v_cmp_eq_u32_e64 s7, 0, v3
	s_add_u32 s11, s11, s12
	s_addc_u32 s12, s14, s13
	v_lshlrev_b32_e32 v3, 1, v2
	v_add_co_u32 v0, s11, s11, v0
	v_add_nc_u32_e32 v15, 0, v6
	v_and_b32_e32 v6, 16, v1
	v_and_b32_e32 v5, 8, v5
	v_lshlrev_b32_e32 v23, 2, v4
	v_add_co_ci_u32_e64 v4, null, s12, 0, s11
	v_add_co_u32 v24, vcc_lo, v0, v3
	v_or_b32_e32 v13, 32, v9
	v_add_nc_u32_e32 v16, 0, v7
	v_cmp_ne_u32_e64 s4, 0, v6
	v_add_nc_u32_e32 v21, 0, v5
	v_cmp_eq_u32_e64 s11, 0, v1
	v_add_co_ci_u32_e32 v25, vcc_lo, 0, v4, vcc_lo
	v_or_b32_e32 v26, 1, v8
	v_or_b32_e32 v27, 2, v8
	;; [unrolled: 1-line block ×3, first 2 shown]
	v_lshlrev_b32_e32 v29, 1, v1
	v_lshlrev_b32_e32 v30, 1, v2
	s_mov_b32 s60, 0x3e9b6dac
	s_add_i32 s61, 0, 0x430
	s_mov_b32 s62, 0
	s_branch .LBB2_12
.LBB2_11:                               ;   in Loop: Header=BB2_12 Depth=1
	s_or_b32 exec_lo, exec_lo, s12
	s_add_u32 s47, s47, 0x200
	s_addc_u32 s36, s36, 0
	s_add_u32 s43, s43, 0x200
	s_addc_u32 s46, s46, 0
	;; [unrolled: 2-line block ×4, first 2 shown]
	s_add_i32 s62, s62, 1
	s_delay_alu instid0(SALU_CYCLE_1)
	s_cmp_eq_u32 s62, s55
	s_cbranch_scc1 .LBB2_92
.LBB2_12:                               ; =>This Loop Header: Depth=1
                                        ;     Child Loop BB2_37 Depth 2
	v_add_co_u32 v0, s12, s43, v29
	s_delay_alu instid0(VALU_DEP_1) | instskip(SKIP_1) | instid1(VALU_DEP_2)
	v_add_co_ci_u32_e64 v1, null, s46, 0, s12
	s_lshl_b32 s24, s62, 8
	v_add_co_u32 v0, vcc_lo, v0, v30
	s_sub_i32 s19, s23, s24
	s_delay_alu instid0(VALU_DEP_2)
	v_add_co_ci_u32_e32 v1, vcc_lo, 0, v1, vcc_lo
	v_cmp_gt_u32_e64 s12, s19, v9
	s_waitcnt lgkmcnt(0)
	v_mov_b32_e32 v2, 0
	s_waitcnt_vscnt null, 0x0
	s_barrier
	buffer_gl0_inv
	s_and_saveexec_b32 s13, s12
	s_cbranch_execz .LBB2_14
; %bb.13:                               ;   in Loop: Header=BB2_12 Depth=1
	global_load_u16 v2, v[0:1], off
.LBB2_14:                               ;   in Loop: Header=BB2_12 Depth=1
	s_or_b32 exec_lo, exec_lo, s13
	v_cmp_gt_u32_e64 s13, s19, v13
	v_mov_b32_e32 v3, 0
	v_mov_b32_e32 v5, 0
	s_delay_alu instid0(VALU_DEP_3)
	s_and_saveexec_b32 s14, s13
	s_cbranch_execz .LBB2_16
; %bb.15:                               ;   in Loop: Header=BB2_12 Depth=1
	global_load_u16 v5, v[0:1], off offset:64
.LBB2_16:                               ;   in Loop: Header=BB2_12 Depth=1
	s_or_b32 exec_lo, exec_lo, s14
	v_cmp_gt_u32_e64 s14, s19, v10
	s_delay_alu instid0(VALU_DEP_1)
	s_and_saveexec_b32 s15, s14
	s_cbranch_execz .LBB2_18
; %bb.17:                               ;   in Loop: Header=BB2_12 Depth=1
	global_load_u16 v3, v[0:1], off offset:128
.LBB2_18:                               ;   in Loop: Header=BB2_12 Depth=1
	s_or_b32 exec_lo, exec_lo, s15
	v_cmp_gt_u32_e64 s15, s19, v11
	v_mov_b32_e32 v4, 0
	v_mov_b32_e32 v6, 0
	s_delay_alu instid0(VALU_DEP_3)
	s_and_saveexec_b32 s16, s15
	s_cbranch_execz .LBB2_20
; %bb.19:                               ;   in Loop: Header=BB2_12 Depth=1
	global_load_u16 v6, v[0:1], off offset:192
.LBB2_20:                               ;   in Loop: Header=BB2_12 Depth=1
	s_or_b32 exec_lo, exec_lo, s16
	s_waitcnt vmcnt(0)
	ds_store_b16 v14, v2
	ds_store_b16 v14, v5 offset:64
	ds_store_b16 v15, v3 offset:128
	;; [unrolled: 1-line block ×3, first 2 shown]
	; wave barrier
	ds_load_b64 v[0:1], v17
	v_add_co_u32 v2, s16, s47, v29
	s_delay_alu instid0(VALU_DEP_1) | instskip(SKIP_1) | instid1(VALU_DEP_2)
	v_add_co_ci_u32_e64 v3, null, s36, 0, s16
	s_waitcnt lgkmcnt(0)
	v_add_co_u32 v2, vcc_lo, v2, v30
	s_delay_alu instid0(VALU_DEP_2)
	v_add_co_ci_u32_e32 v3, vcc_lo, 0, v3, vcc_lo
	s_barrier
	buffer_gl0_inv
	s_and_saveexec_b32 s16, s12
	s_cbranch_execz .LBB2_22
; %bb.21:                               ;   in Loop: Header=BB2_12 Depth=1
	global_load_u16 v4, v[2:3], off
.LBB2_22:                               ;   in Loop: Header=BB2_12 Depth=1
	s_or_b32 exec_lo, exec_lo, s16
	v_dual_mov_b32 v5, 0 :: v_dual_mov_b32 v6, 0
	s_and_saveexec_b32 s16, s13
	s_cbranch_execnz .LBB2_86
; %bb.23:                               ;   in Loop: Header=BB2_12 Depth=1
	s_or_b32 exec_lo, exec_lo, s16
	s_and_saveexec_b32 s16, s14
	s_cbranch_execnz .LBB2_87
.LBB2_24:                               ;   in Loop: Header=BB2_12 Depth=1
	s_or_b32 exec_lo, exec_lo, s16
	v_mov_b32_e32 v7, 0
	s_and_saveexec_b32 s16, s15
	s_cbranch_execz .LBB2_26
.LBB2_25:                               ;   in Loop: Header=BB2_12 Depth=1
	global_load_u16 v7, v[2:3], off offset:192
.LBB2_26:                               ;   in Loop: Header=BB2_12 Depth=1
	s_or_b32 exec_lo, exec_lo, s16
	s_waitcnt vmcnt(0)
	ds_store_b16 v14, v4
	ds_store_b16 v14, v6 offset:64
	ds_store_b16 v15, v5 offset:128
	;; [unrolled: 1-line block ×3, first 2 shown]
	; wave barrier
	ds_load_b64 v[2:3], v17
	s_waitcnt lgkmcnt(0)
	v_lshlrev_b32_e32 v4, 16, v2
	s_delay_alu instid0(VALU_DEP_1) | instskip(NEXT) | instid1(VALU_DEP_1)
	v_add_f32_e32 v31, s48, v4
	v_cmp_ge_f32_e32 vcc_lo, 0x41a00000, v31
	s_and_b32 s16, s56, vcc_lo
	s_delay_alu instid0(SALU_CYCLE_1)
	s_and_saveexec_b32 s17, s16
	s_cbranch_execz .LBB2_28
; %bb.27:                               ;   in Loop: Header=BB2_12 Depth=1
	v_mul_f32_e32 v4, 0x3fb8aa3b, v31
	v_cmp_ngt_f32_e32 vcc_lo, 0xc2ce8ed0, v31
	s_delay_alu instid0(VALU_DEP_2) | instskip(SKIP_1) | instid1(VALU_DEP_2)
	v_rndne_f32_e32 v5, v4
	v_fma_f32 v6, 0x3fb8aa3b, v31, -v4
	v_sub_f32_e32 v4, v4, v5
	s_delay_alu instid0(VALU_DEP_2) | instskip(SKIP_1) | instid1(VALU_DEP_2)
	v_fmac_f32_e32 v6, 0x32a5705f, v31
	v_cvt_i32_f32_e32 v5, v5
	v_add_f32_e32 v4, v4, v6
	s_delay_alu instid0(VALU_DEP_1) | instskip(SKIP_2) | instid1(VALU_DEP_1)
	v_exp_f32_e32 v4, v4
	s_waitcnt_depctr 0xfff
	v_ldexp_f32 v4, v4, v5
	v_cndmask_b32_e32 v4, 0, v4, vcc_lo
	v_cmp_nlt_f32_e32 vcc_lo, 0x42b17218, v31
	s_delay_alu instid0(VALU_DEP_2) | instskip(NEXT) | instid1(VALU_DEP_1)
	v_cndmask_b32_e32 v6, 0x7f800000, v4, vcc_lo
	v_add_f32_e32 v7, 1.0, v6
	s_delay_alu instid0(VALU_DEP_1) | instskip(NEXT) | instid1(VALU_DEP_1)
	v_cvt_f64_f32_e32 v[4:5], v7
	v_frexp_exp_i32_f64_e32 v4, v[4:5]
	v_frexp_mant_f32_e32 v5, v7
	s_delay_alu instid0(VALU_DEP_1) | instskip(SKIP_1) | instid1(VALU_DEP_1)
	v_cmp_gt_f32_e32 vcc_lo, 0x3f2aaaab, v5
	v_add_f32_e32 v5, -1.0, v7
	v_dual_sub_f32 v32, v5, v7 :: v_dual_sub_f32 v5, v6, v5
	s_delay_alu instid0(VALU_DEP_1) | instskip(NEXT) | instid1(VALU_DEP_1)
	v_add_f32_e32 v32, 1.0, v32
	v_add_f32_e32 v5, v5, v32
	v_subrev_co_ci_u32_e32 v4, vcc_lo, 0, v4, vcc_lo
	s_delay_alu instid0(VALU_DEP_1) | instskip(SKIP_1) | instid1(VALU_DEP_2)
	v_sub_nc_u32_e32 v31, 0, v4
	v_cvt_f32_i32_e32 v4, v4
	v_ldexp_f32 v7, v7, v31
	v_ldexp_f32 v5, v5, v31
	s_delay_alu instid0(VALU_DEP_2) | instskip(SKIP_3) | instid1(VALU_DEP_4)
	v_add_f32_e32 v33, 1.0, v7
	v_add_f32_e32 v31, -1.0, v7
	v_cmp_eq_f32_e32 vcc_lo, 0x7f800000, v6
	v_cmp_gt_f32_e64 s16, 0x33800000, v6
	v_add_f32_e32 v32, -1.0, v33
	s_delay_alu instid0(VALU_DEP_4) | instskip(NEXT) | instid1(VALU_DEP_3)
	v_add_f32_e32 v34, 1.0, v31
	s_or_b32 vcc_lo, s16, vcc_lo
	s_delay_alu instid0(VALU_DEP_2) | instskip(NEXT) | instid1(VALU_DEP_1)
	v_sub_f32_e32 v32, v7, v32
	v_dual_sub_f32 v7, v7, v34 :: v_dual_add_f32 v32, v5, v32
	s_delay_alu instid0(VALU_DEP_1) | instskip(NEXT) | instid1(VALU_DEP_1)
	v_add_f32_e32 v5, v5, v7
	v_dual_add_f32 v35, v31, v5 :: v_dual_add_f32 v34, v33, v32
	s_delay_alu instid0(VALU_DEP_1) | instskip(NEXT) | instid1(VALU_DEP_2)
	v_sub_f32_e32 v31, v31, v35
	v_rcp_f32_e32 v7, v34
	v_sub_f32_e32 v33, v33, v34
	s_delay_alu instid0(VALU_DEP_1) | instskip(SKIP_2) | instid1(VALU_DEP_1)
	v_dual_add_f32 v5, v5, v31 :: v_dual_add_f32 v32, v32, v33
	s_waitcnt_depctr 0xfff
	v_mul_f32_e32 v36, v35, v7
	v_mul_f32_e32 v37, v34, v36
	s_delay_alu instid0(VALU_DEP_1) | instskip(NEXT) | instid1(VALU_DEP_1)
	v_fma_f32 v33, v36, v34, -v37
	v_fmac_f32_e32 v33, v36, v32
	s_delay_alu instid0(VALU_DEP_1) | instskip(NEXT) | instid1(VALU_DEP_1)
	v_add_f32_e32 v38, v37, v33
	v_sub_f32_e32 v39, v35, v38
	s_delay_alu instid0(VALU_DEP_1) | instskip(SKIP_1) | instid1(VALU_DEP_2)
	v_sub_f32_e32 v35, v35, v39
	v_sub_f32_e32 v31, v38, v37
	;; [unrolled: 1-line block ×3, first 2 shown]
	s_delay_alu instid0(VALU_DEP_2) | instskip(NEXT) | instid1(VALU_DEP_2)
	v_sub_f32_e32 v31, v31, v33
	v_add_f32_e32 v5, v5, v35
	s_delay_alu instid0(VALU_DEP_1) | instskip(NEXT) | instid1(VALU_DEP_1)
	v_add_f32_e32 v5, v31, v5
	v_add_f32_e32 v31, v39, v5
	s_delay_alu instid0(VALU_DEP_1) | instskip(NEXT) | instid1(VALU_DEP_1)
	v_mul_f32_e32 v33, v7, v31
	v_dual_sub_f32 v38, v39, v31 :: v_dual_mul_f32 v35, v34, v33
	s_delay_alu instid0(VALU_DEP_1) | instskip(NEXT) | instid1(VALU_DEP_2)
	v_add_f32_e32 v5, v5, v38
	v_fma_f32 v34, v33, v34, -v35
	s_delay_alu instid0(VALU_DEP_1) | instskip(NEXT) | instid1(VALU_DEP_1)
	v_fmac_f32_e32 v34, v33, v32
	v_add_f32_e32 v32, v35, v34
	s_delay_alu instid0(VALU_DEP_1) | instskip(SKIP_1) | instid1(VALU_DEP_2)
	v_sub_f32_e32 v37, v31, v32
	v_sub_f32_e32 v35, v32, v35
	;; [unrolled: 1-line block ×3, first 2 shown]
	s_delay_alu instid0(VALU_DEP_1) | instskip(NEXT) | instid1(VALU_DEP_1)
	v_sub_f32_e32 v31, v31, v32
	v_dual_sub_f32 v32, v35, v34 :: v_dual_add_f32 v5, v5, v31
	v_add_f32_e32 v31, v36, v33
	s_delay_alu instid0(VALU_DEP_1) | instskip(NEXT) | instid1(VALU_DEP_1)
	v_dual_add_f32 v5, v32, v5 :: v_dual_sub_f32 v32, v31, v36
	v_add_f32_e32 v5, v37, v5
	s_delay_alu instid0(VALU_DEP_1) | instskip(NEXT) | instid1(VALU_DEP_1)
	v_dual_sub_f32 v32, v33, v32 :: v_dual_mul_f32 v5, v7, v5
	v_add_f32_e32 v5, v32, v5
	s_delay_alu instid0(VALU_DEP_1) | instskip(NEXT) | instid1(VALU_DEP_1)
	v_add_f32_e32 v7, v31, v5
	v_mul_f32_e32 v32, v7, v7
	s_delay_alu instid0(VALU_DEP_1) | instskip(SKIP_1) | instid1(VALU_DEP_2)
	v_fmaak_f32 v33, s60, v32, 0x3ecc95a3
	v_mul_f32_e32 v34, v7, v32
	v_fmaak_f32 v32, v32, v33, 0x3f2aaada
	v_ldexp_f32 v33, v7, 1
	s_delay_alu instid0(VALU_DEP_2) | instskip(NEXT) | instid1(VALU_DEP_1)
	v_dual_sub_f32 v7, v7, v31 :: v_dual_mul_f32 v32, v34, v32
	v_dual_mul_f32 v34, 0x3f317218, v4 :: v_dual_sub_f32 v5, v5, v7
	s_delay_alu instid0(VALU_DEP_2) | instskip(NEXT) | instid1(VALU_DEP_2)
	v_add_f32_e32 v31, v33, v32
	v_ldexp_f32 v5, v5, 1
	s_delay_alu instid0(VALU_DEP_2) | instskip(NEXT) | instid1(VALU_DEP_4)
	v_sub_f32_e32 v7, v31, v33
	v_fma_f32 v33, 0x3f317218, v4, -v34
	s_delay_alu instid0(VALU_DEP_2) | instskip(NEXT) | instid1(VALU_DEP_1)
	v_sub_f32_e32 v7, v32, v7
	v_dual_fmac_f32 v33, 0xb102e308, v4 :: v_dual_add_f32 v4, v5, v7
	s_delay_alu instid0(VALU_DEP_1) | instskip(NEXT) | instid1(VALU_DEP_1)
	v_add_f32_e32 v5, v34, v33
	v_dual_add_f32 v7, v31, v4 :: v_dual_sub_f32 v34, v5, v34
	s_delay_alu instid0(VALU_DEP_1) | instskip(SKIP_1) | instid1(VALU_DEP_3)
	v_add_f32_e32 v32, v5, v7
	v_sub_f32_e32 v31, v7, v31
	v_sub_f32_e32 v33, v33, v34
	s_delay_alu instid0(VALU_DEP_3) | instskip(NEXT) | instid1(VALU_DEP_3)
	v_sub_f32_e32 v35, v32, v5
	v_sub_f32_e32 v4, v4, v31
	s_delay_alu instid0(VALU_DEP_2) | instskip(SKIP_1) | instid1(VALU_DEP_3)
	v_sub_f32_e32 v36, v32, v35
	v_sub_f32_e32 v7, v7, v35
	v_add_f32_e32 v31, v33, v4
	s_delay_alu instid0(VALU_DEP_3) | instskip(NEXT) | instid1(VALU_DEP_1)
	v_sub_f32_e32 v5, v5, v36
	v_add_f32_e32 v5, v7, v5
	s_delay_alu instid0(VALU_DEP_3) | instskip(NEXT) | instid1(VALU_DEP_1)
	v_sub_f32_e32 v7, v31, v33
	v_dual_add_f32 v5, v31, v5 :: v_dual_sub_f32 v4, v4, v7
	s_delay_alu instid0(VALU_DEP_1) | instskip(NEXT) | instid1(VALU_DEP_1)
	v_dual_sub_f32 v31, v31, v7 :: v_dual_add_f32 v34, v32, v5
	v_sub_f32_e32 v31, v33, v31
	s_delay_alu instid0(VALU_DEP_1) | instskip(NEXT) | instid1(VALU_DEP_1)
	v_dual_sub_f32 v7, v34, v32 :: v_dual_add_f32 v4, v4, v31
	v_sub_f32_e32 v5, v5, v7
	s_delay_alu instid0(VALU_DEP_1) | instskip(NEXT) | instid1(VALU_DEP_1)
	v_add_f32_e32 v4, v4, v5
	v_add_f32_e32 v4, v34, v4
	s_delay_alu instid0(VALU_DEP_1)
	v_cndmask_b32_e32 v31, v4, v6, vcc_lo
.LBB2_28:                               ;   in Loop: Header=BB2_12 Depth=1
	s_or_b32 exec_lo, exec_lo, s17
	v_and_b32_e32 v2, 0xffff0000, v2
	s_delay_alu instid0(VALU_DEP_1) | instskip(NEXT) | instid1(VALU_DEP_1)
	v_add_f32_e32 v32, s48, v2
	v_cmp_ge_f32_e32 vcc_lo, 0x41a00000, v32
	s_and_b32 s16, s56, vcc_lo
	s_delay_alu instid0(SALU_CYCLE_1)
	s_and_saveexec_b32 s17, s16
	s_cbranch_execz .LBB2_30
; %bb.29:                               ;   in Loop: Header=BB2_12 Depth=1
	v_mul_f32_e32 v2, 0x3fb8aa3b, v32
	v_cmp_ngt_f32_e32 vcc_lo, 0xc2ce8ed0, v32
	s_delay_alu instid0(VALU_DEP_2) | instskip(SKIP_1) | instid1(VALU_DEP_2)
	v_rndne_f32_e32 v4, v2
	v_fma_f32 v5, 0x3fb8aa3b, v32, -v2
	v_sub_f32_e32 v2, v2, v4
	s_delay_alu instid0(VALU_DEP_2) | instskip(SKIP_1) | instid1(VALU_DEP_2)
	v_fmac_f32_e32 v5, 0x32a5705f, v32
	v_cvt_i32_f32_e32 v4, v4
	v_add_f32_e32 v2, v2, v5
	s_delay_alu instid0(VALU_DEP_1) | instskip(SKIP_2) | instid1(VALU_DEP_1)
	v_exp_f32_e32 v2, v2
	s_waitcnt_depctr 0xfff
	v_ldexp_f32 v2, v2, v4
	v_cndmask_b32_e32 v2, 0, v2, vcc_lo
	v_cmp_nlt_f32_e32 vcc_lo, 0x42b17218, v32
	s_delay_alu instid0(VALU_DEP_2) | instskip(NEXT) | instid1(VALU_DEP_1)
	v_cndmask_b32_e32 v2, 0x7f800000, v2, vcc_lo
	v_add_f32_e32 v6, 1.0, v2
	s_delay_alu instid0(VALU_DEP_1) | instskip(NEXT) | instid1(VALU_DEP_1)
	v_cvt_f64_f32_e32 v[4:5], v6
	v_frexp_exp_i32_f64_e32 v4, v[4:5]
	v_frexp_mant_f32_e32 v5, v6
	s_delay_alu instid0(VALU_DEP_1) | instskip(SKIP_1) | instid1(VALU_DEP_1)
	v_cmp_gt_f32_e32 vcc_lo, 0x3f2aaaab, v5
	v_add_f32_e32 v5, -1.0, v6
	v_dual_sub_f32 v32, v5, v6 :: v_dual_sub_f32 v5, v2, v5
	v_subrev_co_ci_u32_e32 v4, vcc_lo, 0, v4, vcc_lo
	s_delay_alu instid0(VALU_DEP_1) | instskip(SKIP_1) | instid1(VALU_DEP_2)
	v_sub_nc_u32_e32 v7, 0, v4
	v_cvt_f32_i32_e32 v4, v4
	v_ldexp_f32 v6, v6, v7
	s_delay_alu instid0(VALU_DEP_1) | instskip(NEXT) | instid1(VALU_DEP_1)
	v_dual_add_f32 v32, 1.0, v32 :: v_dual_add_f32 v33, 1.0, v6
	v_add_f32_e32 v5, v5, v32
	s_delay_alu instid0(VALU_DEP_1) | instskip(NEXT) | instid1(VALU_DEP_3)
	v_ldexp_f32 v5, v5, v7
	v_dual_add_f32 v7, -1.0, v6 :: v_dual_add_f32 v32, -1.0, v33
	s_delay_alu instid0(VALU_DEP_1) | instskip(NEXT) | instid1(VALU_DEP_2)
	v_add_f32_e32 v34, 1.0, v7
	v_sub_f32_e32 v32, v6, v32
	s_delay_alu instid0(VALU_DEP_2) | instskip(NEXT) | instid1(VALU_DEP_2)
	v_sub_f32_e32 v6, v6, v34
	v_add_f32_e32 v32, v5, v32
	s_delay_alu instid0(VALU_DEP_2) | instskip(NEXT) | instid1(VALU_DEP_1)
	v_add_f32_e32 v5, v5, v6
	v_dual_add_f32 v35, v7, v5 :: v_dual_add_f32 v34, v33, v32
	v_cmp_eq_f32_e32 vcc_lo, 0x7f800000, v2
	v_cmp_gt_f32_e64 s16, 0x33800000, v2
	s_delay_alu instid0(VALU_DEP_3) | instskip(NEXT) | instid1(VALU_DEP_4)
	v_sub_f32_e32 v7, v7, v35
	v_rcp_f32_e32 v6, v34
	v_sub_f32_e32 v33, v33, v34
	s_delay_alu instid0(VALU_DEP_3) | instskip(NEXT) | instid1(VALU_DEP_1)
	s_or_b32 vcc_lo, s16, vcc_lo
	v_dual_add_f32 v5, v5, v7 :: v_dual_add_f32 v32, v32, v33
	s_waitcnt_depctr 0xfff
	v_mul_f32_e32 v36, v35, v6
	s_delay_alu instid0(VALU_DEP_1) | instskip(NEXT) | instid1(VALU_DEP_1)
	v_mul_f32_e32 v37, v34, v36
	v_fma_f32 v33, v36, v34, -v37
	s_delay_alu instid0(VALU_DEP_1) | instskip(NEXT) | instid1(VALU_DEP_1)
	v_fmac_f32_e32 v33, v36, v32
	v_add_f32_e32 v38, v37, v33
	s_delay_alu instid0(VALU_DEP_1) | instskip(NEXT) | instid1(VALU_DEP_1)
	v_sub_f32_e32 v39, v35, v38
	v_sub_f32_e32 v35, v35, v39
	s_delay_alu instid0(VALU_DEP_1) | instskip(SKIP_1) | instid1(VALU_DEP_2)
	v_sub_f32_e32 v35, v35, v38
	v_sub_f32_e32 v7, v38, v37
	v_add_f32_e32 v5, v5, v35
	s_delay_alu instid0(VALU_DEP_2) | instskip(NEXT) | instid1(VALU_DEP_1)
	v_sub_f32_e32 v7, v7, v33
	v_add_f32_e32 v5, v7, v5
	s_delay_alu instid0(VALU_DEP_1) | instskip(NEXT) | instid1(VALU_DEP_1)
	v_add_f32_e32 v7, v39, v5
	v_mul_f32_e32 v33, v6, v7
	s_delay_alu instid0(VALU_DEP_1) | instskip(NEXT) | instid1(VALU_DEP_1)
	v_dual_sub_f32 v38, v39, v7 :: v_dual_mul_f32 v35, v34, v33
	v_add_f32_e32 v5, v5, v38
	s_delay_alu instid0(VALU_DEP_2) | instskip(NEXT) | instid1(VALU_DEP_1)
	v_fma_f32 v34, v33, v34, -v35
	v_fmac_f32_e32 v34, v33, v32
	s_delay_alu instid0(VALU_DEP_1) | instskip(NEXT) | instid1(VALU_DEP_1)
	v_add_f32_e32 v32, v35, v34
	v_sub_f32_e32 v37, v7, v32
	s_delay_alu instid0(VALU_DEP_1) | instskip(NEXT) | instid1(VALU_DEP_1)
	v_sub_f32_e32 v7, v7, v37
	v_sub_f32_e32 v7, v7, v32
	s_delay_alu instid0(VALU_DEP_1) | instskip(SKIP_2) | instid1(VALU_DEP_1)
	v_add_f32_e32 v5, v5, v7
	v_add_f32_e32 v7, v36, v33
	v_sub_f32_e32 v35, v32, v35
	v_sub_f32_e32 v32, v35, v34
	s_delay_alu instid0(VALU_DEP_1) | instskip(NEXT) | instid1(VALU_DEP_1)
	v_dual_add_f32 v5, v32, v5 :: v_dual_sub_f32 v32, v7, v36
	v_add_f32_e32 v5, v37, v5
	s_delay_alu instid0(VALU_DEP_1) | instskip(NEXT) | instid1(VALU_DEP_1)
	v_dual_sub_f32 v32, v33, v32 :: v_dual_mul_f32 v5, v6, v5
	v_add_f32_e32 v5, v32, v5
	s_delay_alu instid0(VALU_DEP_1) | instskip(NEXT) | instid1(VALU_DEP_1)
	v_add_f32_e32 v6, v7, v5
	v_mul_f32_e32 v32, v6, v6
	s_delay_alu instid0(VALU_DEP_1) | instskip(SKIP_1) | instid1(VALU_DEP_2)
	v_fmaak_f32 v33, s60, v32, 0x3ecc95a3
	v_mul_f32_e32 v34, v6, v32
	v_fmaak_f32 v32, v32, v33, 0x3f2aaada
	v_ldexp_f32 v33, v6, 1
	v_sub_f32_e32 v6, v6, v7
	s_delay_alu instid0(VALU_DEP_3) | instskip(SKIP_1) | instid1(VALU_DEP_2)
	v_mul_f32_e32 v32, v34, v32
	v_mul_f32_e32 v34, 0x3f317218, v4
	v_add_f32_e32 v7, v33, v32
	s_delay_alu instid0(VALU_DEP_1) | instskip(NEXT) | instid1(VALU_DEP_3)
	v_dual_sub_f32 v5, v5, v6 :: v_dual_sub_f32 v6, v7, v33
	v_fma_f32 v33, 0x3f317218, v4, -v34
	s_delay_alu instid0(VALU_DEP_2) | instskip(NEXT) | instid1(VALU_DEP_2)
	v_ldexp_f32 v5, v5, 1
	v_dual_sub_f32 v6, v32, v6 :: v_dual_fmac_f32 v33, 0xb102e308, v4
	s_delay_alu instid0(VALU_DEP_1) | instskip(NEXT) | instid1(VALU_DEP_1)
	v_dual_add_f32 v4, v5, v6 :: v_dual_add_f32 v5, v34, v33
	v_add_f32_e32 v6, v7, v4
	s_delay_alu instid0(VALU_DEP_1) | instskip(NEXT) | instid1(VALU_DEP_1)
	v_add_f32_e32 v32, v5, v6
	v_sub_f32_e32 v35, v32, v5
	s_delay_alu instid0(VALU_DEP_1) | instskip(SKIP_2) | instid1(VALU_DEP_2)
	v_sub_f32_e32 v36, v32, v35
	v_sub_f32_e32 v7, v6, v7
	;; [unrolled: 1-line block ×5, first 2 shown]
	s_delay_alu instid0(VALU_DEP_1) | instskip(NEXT) | instid1(VALU_DEP_1)
	v_sub_f32_e32 v33, v33, v34
	v_add_f32_e32 v7, v33, v4
	v_sub_f32_e32 v5, v5, v36
	s_delay_alu instid0(VALU_DEP_1) | instskip(NEXT) | instid1(VALU_DEP_3)
	v_add_f32_e32 v5, v6, v5
	v_sub_f32_e32 v6, v7, v33
	s_delay_alu instid0(VALU_DEP_1) | instskip(NEXT) | instid1(VALU_DEP_1)
	v_dual_sub_f32 v4, v4, v6 :: v_dual_add_f32 v5, v7, v5
	v_dual_sub_f32 v7, v7, v6 :: v_dual_add_f32 v34, v32, v5
	s_delay_alu instid0(VALU_DEP_1) | instskip(NEXT) | instid1(VALU_DEP_1)
	v_dual_sub_f32 v7, v33, v7 :: v_dual_sub_f32 v6, v34, v32
	v_dual_add_f32 v4, v4, v7 :: v_dual_sub_f32 v5, v5, v6
	s_delay_alu instid0(VALU_DEP_1) | instskip(NEXT) | instid1(VALU_DEP_1)
	v_add_f32_e32 v4, v4, v5
	v_add_f32_e32 v4, v34, v4
	s_delay_alu instid0(VALU_DEP_1)
	v_cndmask_b32_e32 v32, v4, v2, vcc_lo
.LBB2_30:                               ;   in Loop: Header=BB2_12 Depth=1
	s_or_b32 exec_lo, exec_lo, s17
	v_lshlrev_b32_e32 v2, 16, v3
	s_delay_alu instid0(VALU_DEP_1) | instskip(NEXT) | instid1(VALU_DEP_1)
	v_add_f32_e32 v33, s48, v2
	v_cmp_ge_f32_e32 vcc_lo, 0x41a00000, v33
	s_and_b32 s16, s56, vcc_lo
	s_delay_alu instid0(SALU_CYCLE_1)
	s_and_saveexec_b32 s17, s16
	s_cbranch_execz .LBB2_32
; %bb.31:                               ;   in Loop: Header=BB2_12 Depth=1
	v_mul_f32_e32 v2, 0x3fb8aa3b, v33
	v_cmp_ngt_f32_e32 vcc_lo, 0xc2ce8ed0, v33
	s_delay_alu instid0(VALU_DEP_2) | instskip(SKIP_1) | instid1(VALU_DEP_1)
	v_rndne_f32_e32 v4, v2
	v_fma_f32 v5, 0x3fb8aa3b, v33, -v2
	v_dual_sub_f32 v2, v2, v4 :: v_dual_fmac_f32 v5, 0x32a5705f, v33
	v_cvt_i32_f32_e32 v4, v4
	s_delay_alu instid0(VALU_DEP_2) | instskip(NEXT) | instid1(VALU_DEP_1)
	v_add_f32_e32 v2, v2, v5
	v_exp_f32_e32 v2, v2
	s_waitcnt_depctr 0xfff
	v_ldexp_f32 v2, v2, v4
	s_delay_alu instid0(VALU_DEP_1) | instskip(SKIP_1) | instid1(VALU_DEP_2)
	v_cndmask_b32_e32 v2, 0, v2, vcc_lo
	v_cmp_nlt_f32_e32 vcc_lo, 0x42b17218, v33
	v_cndmask_b32_e32 v2, 0x7f800000, v2, vcc_lo
	s_delay_alu instid0(VALU_DEP_1) | instskip(NEXT) | instid1(VALU_DEP_1)
	v_add_f32_e32 v6, 1.0, v2
	v_cvt_f64_f32_e32 v[4:5], v6
	s_delay_alu instid0(VALU_DEP_1) | instskip(SKIP_1) | instid1(VALU_DEP_1)
	v_frexp_exp_i32_f64_e32 v4, v[4:5]
	v_frexp_mant_f32_e32 v5, v6
	v_cmp_gt_f32_e32 vcc_lo, 0x3f2aaaab, v5
	v_add_f32_e32 v5, -1.0, v6
	s_delay_alu instid0(VALU_DEP_1) | instskip(SKIP_1) | instid1(VALU_DEP_2)
	v_sub_f32_e32 v33, v5, v6
	v_sub_f32_e32 v5, v2, v5
	v_add_f32_e32 v33, 1.0, v33
	s_delay_alu instid0(VALU_DEP_1) | instskip(SKIP_3) | instid1(VALU_DEP_2)
	v_add_f32_e32 v5, v5, v33
	v_cmp_gt_f32_e64 s16, 0x33800000, v2
	v_subrev_co_ci_u32_e32 v4, vcc_lo, 0, v4, vcc_lo
	v_cmp_eq_f32_e32 vcc_lo, 0x7f800000, v2
	v_sub_nc_u32_e32 v7, 0, v4
	v_cvt_f32_i32_e32 v4, v4
	s_or_b32 vcc_lo, s16, vcc_lo
	s_delay_alu instid0(VALU_DEP_2) | instskip(SKIP_1) | instid1(VALU_DEP_2)
	v_ldexp_f32 v6, v6, v7
	v_ldexp_f32 v5, v5, v7
	v_add_f32_e32 v34, 1.0, v6
	v_add_f32_e32 v7, -1.0, v6
	s_delay_alu instid0(VALU_DEP_1) | instskip(NEXT) | instid1(VALU_DEP_3)
	v_add_f32_e32 v35, 1.0, v7
	v_add_f32_e32 v33, -1.0, v34
	s_delay_alu instid0(VALU_DEP_1) | instskip(NEXT) | instid1(VALU_DEP_1)
	v_sub_f32_e32 v33, v6, v33
	v_dual_sub_f32 v6, v6, v35 :: v_dual_add_f32 v33, v5, v33
	s_delay_alu instid0(VALU_DEP_1) | instskip(NEXT) | instid1(VALU_DEP_2)
	v_add_f32_e32 v35, v34, v33
	v_add_f32_e32 v5, v5, v6
	s_delay_alu instid0(VALU_DEP_2) | instskip(SKIP_1) | instid1(VALU_DEP_1)
	v_rcp_f32_e32 v6, v35
	v_sub_f32_e32 v34, v34, v35
	v_dual_add_f32 v36, v7, v5 :: v_dual_add_f32 v33, v33, v34
	s_delay_alu instid0(VALU_DEP_1) | instskip(SKIP_2) | instid1(VALU_DEP_1)
	v_sub_f32_e32 v7, v7, v36
	s_waitcnt_depctr 0xfff
	v_mul_f32_e32 v37, v36, v6
	v_mul_f32_e32 v38, v35, v37
	s_delay_alu instid0(VALU_DEP_1) | instskip(NEXT) | instid1(VALU_DEP_1)
	v_fma_f32 v34, v37, v35, -v38
	v_fmac_f32_e32 v34, v37, v33
	s_delay_alu instid0(VALU_DEP_1) | instskip(NEXT) | instid1(VALU_DEP_1)
	v_add_f32_e32 v39, v38, v34
	v_sub_f32_e32 v40, v36, v39
	s_delay_alu instid0(VALU_DEP_1) | instskip(NEXT) | instid1(VALU_DEP_1)
	v_dual_sub_f32 v36, v36, v40 :: v_dual_add_f32 v5, v5, v7
	v_dual_sub_f32 v7, v39, v38 :: v_dual_sub_f32 v36, v36, v39
	s_delay_alu instid0(VALU_DEP_1) | instskip(NEXT) | instid1(VALU_DEP_2)
	v_sub_f32_e32 v7, v7, v34
	v_add_f32_e32 v5, v5, v36
	s_delay_alu instid0(VALU_DEP_1) | instskip(NEXT) | instid1(VALU_DEP_1)
	v_add_f32_e32 v5, v7, v5
	v_add_f32_e32 v7, v40, v5
	s_delay_alu instid0(VALU_DEP_1) | instskip(NEXT) | instid1(VALU_DEP_1)
	v_mul_f32_e32 v34, v6, v7
	v_dual_sub_f32 v39, v40, v7 :: v_dual_mul_f32 v36, v35, v34
	s_delay_alu instid0(VALU_DEP_1) | instskip(NEXT) | instid1(VALU_DEP_2)
	v_add_f32_e32 v5, v5, v39
	v_fma_f32 v35, v34, v35, -v36
	s_delay_alu instid0(VALU_DEP_1) | instskip(NEXT) | instid1(VALU_DEP_1)
	v_fmac_f32_e32 v35, v34, v33
	v_add_f32_e32 v33, v36, v35
	s_delay_alu instid0(VALU_DEP_1) | instskip(NEXT) | instid1(VALU_DEP_1)
	v_sub_f32_e32 v38, v7, v33
	v_dual_sub_f32 v36, v33, v36 :: v_dual_sub_f32 v7, v7, v38
	s_delay_alu instid0(VALU_DEP_1) | instskip(NEXT) | instid1(VALU_DEP_2)
	v_sub_f32_e32 v7, v7, v33
	v_sub_f32_e32 v33, v36, v35
	s_delay_alu instid0(VALU_DEP_2) | instskip(SKIP_1) | instid1(VALU_DEP_2)
	v_add_f32_e32 v5, v5, v7
	v_add_f32_e32 v7, v37, v34
	;; [unrolled: 1-line block ×3, first 2 shown]
	s_delay_alu instid0(VALU_DEP_2) | instskip(NEXT) | instid1(VALU_DEP_2)
	v_sub_f32_e32 v33, v7, v37
	v_add_f32_e32 v5, v38, v5
	s_delay_alu instid0(VALU_DEP_2) | instskip(NEXT) | instid1(VALU_DEP_2)
	v_sub_f32_e32 v33, v34, v33
	v_mul_f32_e32 v5, v6, v5
	s_delay_alu instid0(VALU_DEP_1) | instskip(NEXT) | instid1(VALU_DEP_1)
	v_add_f32_e32 v5, v33, v5
	v_add_f32_e32 v6, v7, v5
	s_delay_alu instid0(VALU_DEP_1) | instskip(NEXT) | instid1(VALU_DEP_1)
	v_mul_f32_e32 v33, v6, v6
	v_fmaak_f32 v34, s60, v33, 0x3ecc95a3
	v_mul_f32_e32 v35, v6, v33
	s_delay_alu instid0(VALU_DEP_2) | instskip(SKIP_1) | instid1(VALU_DEP_2)
	v_fmaak_f32 v33, v33, v34, 0x3f2aaada
	v_ldexp_f32 v34, v6, 1
	v_dual_sub_f32 v6, v6, v7 :: v_dual_mul_f32 v33, v35, v33
	v_mul_f32_e32 v35, 0x3f317218, v4
	s_delay_alu instid0(VALU_DEP_2) | instskip(NEXT) | instid1(VALU_DEP_3)
	v_sub_f32_e32 v5, v5, v6
	v_add_f32_e32 v7, v34, v33
	s_delay_alu instid0(VALU_DEP_2) | instskip(NEXT) | instid1(VALU_DEP_2)
	v_ldexp_f32 v5, v5, 1
	v_sub_f32_e32 v6, v7, v34
	v_fma_f32 v34, 0x3f317218, v4, -v35
	s_delay_alu instid0(VALU_DEP_2) | instskip(NEXT) | instid1(VALU_DEP_2)
	v_sub_f32_e32 v6, v33, v6
	v_fmac_f32_e32 v34, 0xb102e308, v4
	s_delay_alu instid0(VALU_DEP_2) | instskip(NEXT) | instid1(VALU_DEP_2)
	v_add_f32_e32 v4, v5, v6
	v_add_f32_e32 v5, v35, v34
	s_delay_alu instid0(VALU_DEP_1) | instskip(NEXT) | instid1(VALU_DEP_1)
	v_dual_add_f32 v6, v7, v4 :: v_dual_sub_f32 v35, v5, v35
	v_add_f32_e32 v33, v5, v6
	v_sub_f32_e32 v7, v6, v7
	s_delay_alu instid0(VALU_DEP_3) | instskip(NEXT) | instid1(VALU_DEP_3)
	v_sub_f32_e32 v34, v34, v35
	v_sub_f32_e32 v36, v33, v5
	s_delay_alu instid0(VALU_DEP_1) | instskip(SKIP_1) | instid1(VALU_DEP_2)
	v_dual_sub_f32 v4, v4, v7 :: v_dual_sub_f32 v37, v33, v36
	v_sub_f32_e32 v6, v6, v36
	v_add_f32_e32 v7, v34, v4
	s_delay_alu instid0(VALU_DEP_3) | instskip(NEXT) | instid1(VALU_DEP_1)
	v_sub_f32_e32 v5, v5, v37
	v_dual_add_f32 v5, v6, v5 :: v_dual_sub_f32 v6, v7, v34
	s_delay_alu instid0(VALU_DEP_1) | instskip(NEXT) | instid1(VALU_DEP_2)
	v_add_f32_e32 v5, v7, v5
	v_sub_f32_e32 v7, v7, v6
	s_delay_alu instid0(VALU_DEP_2) | instskip(NEXT) | instid1(VALU_DEP_1)
	v_dual_sub_f32 v4, v4, v6 :: v_dual_add_f32 v35, v33, v5
	v_dual_sub_f32 v7, v34, v7 :: v_dual_sub_f32 v6, v35, v33
	s_delay_alu instid0(VALU_DEP_1) | instskip(NEXT) | instid1(VALU_DEP_1)
	v_dual_add_f32 v4, v4, v7 :: v_dual_sub_f32 v5, v5, v6
	v_add_f32_e32 v4, v4, v5
	s_delay_alu instid0(VALU_DEP_1) | instskip(NEXT) | instid1(VALU_DEP_1)
	v_add_f32_e32 v4, v35, v4
	v_cndmask_b32_e32 v33, v4, v2, vcc_lo
.LBB2_32:                               ;   in Loop: Header=BB2_12 Depth=1
	s_or_b32 exec_lo, exec_lo, s17
	v_and_b32_e32 v2, 0xffff0000, v3
	s_delay_alu instid0(VALU_DEP_1) | instskip(NEXT) | instid1(VALU_DEP_1)
	v_add_f32_e32 v38, s48, v2
	v_cmp_ge_f32_e32 vcc_lo, 0x41a00000, v38
	s_and_b32 s16, s56, vcc_lo
	s_delay_alu instid0(SALU_CYCLE_1)
	s_and_saveexec_b32 s17, s16
	s_cbranch_execz .LBB2_34
; %bb.33:                               ;   in Loop: Header=BB2_12 Depth=1
	v_mul_f32_e32 v2, 0x3fb8aa3b, v38
	v_cmp_ngt_f32_e32 vcc_lo, 0xc2ce8ed0, v38
	s_delay_alu instid0(VALU_DEP_2) | instskip(SKIP_1) | instid1(VALU_DEP_2)
	v_rndne_f32_e32 v3, v2
	v_fma_f32 v4, 0x3fb8aa3b, v38, -v2
	v_sub_f32_e32 v2, v2, v3
	s_delay_alu instid0(VALU_DEP_2) | instskip(SKIP_1) | instid1(VALU_DEP_2)
	v_fmac_f32_e32 v4, 0x32a5705f, v38
	v_cvt_i32_f32_e32 v3, v3
	v_add_f32_e32 v2, v2, v4
	s_delay_alu instid0(VALU_DEP_1) | instskip(SKIP_2) | instid1(VALU_DEP_1)
	v_exp_f32_e32 v2, v2
	s_waitcnt_depctr 0xfff
	v_ldexp_f32 v2, v2, v3
	v_cndmask_b32_e32 v2, 0, v2, vcc_lo
	v_cmp_nlt_f32_e32 vcc_lo, 0x42b17218, v38
	s_delay_alu instid0(VALU_DEP_2) | instskip(NEXT) | instid1(VALU_DEP_1)
	v_cndmask_b32_e32 v4, 0x7f800000, v2, vcc_lo
	v_add_f32_e32 v5, 1.0, v4
	s_delay_alu instid0(VALU_DEP_1) | instskip(NEXT) | instid1(VALU_DEP_1)
	v_cvt_f64_f32_e32 v[2:3], v5
	v_frexp_exp_i32_f64_e32 v2, v[2:3]
	v_frexp_mant_f32_e32 v3, v5
	s_delay_alu instid0(VALU_DEP_1) | instskip(SKIP_1) | instid1(VALU_DEP_1)
	v_cmp_gt_f32_e32 vcc_lo, 0x3f2aaaab, v3
	v_add_f32_e32 v3, -1.0, v5
	v_sub_f32_e32 v7, v3, v5
	v_sub_f32_e32 v3, v4, v3
	s_delay_alu instid0(VALU_DEP_2) | instskip(NEXT) | instid1(VALU_DEP_1)
	v_add_f32_e32 v7, 1.0, v7
	v_add_f32_e32 v3, v3, v7
	v_cmp_gt_f32_e64 s16, 0x33800000, v4
	v_subrev_co_ci_u32_e32 v2, vcc_lo, 0, v2, vcc_lo
	v_cmp_eq_f32_e32 vcc_lo, 0x7f800000, v4
	s_delay_alu instid0(VALU_DEP_2) | instskip(SKIP_2) | instid1(VALU_DEP_2)
	v_sub_nc_u32_e32 v6, 0, v2
	v_cvt_f32_i32_e32 v2, v2
	s_or_b32 vcc_lo, s16, vcc_lo
	v_ldexp_f32 v5, v5, v6
	v_ldexp_f32 v3, v3, v6
	s_delay_alu instid0(VALU_DEP_2) | instskip(NEXT) | instid1(VALU_DEP_1)
	v_add_f32_e32 v34, 1.0, v5
	v_dual_add_f32 v6, -1.0, v5 :: v_dual_add_f32 v7, -1.0, v34
	s_delay_alu instid0(VALU_DEP_1) | instskip(NEXT) | instid1(VALU_DEP_2)
	v_add_f32_e32 v35, 1.0, v6
	v_sub_f32_e32 v7, v5, v7
	s_delay_alu instid0(VALU_DEP_2) | instskip(NEXT) | instid1(VALU_DEP_2)
	v_sub_f32_e32 v5, v5, v35
	v_add_f32_e32 v7, v3, v7
	s_delay_alu instid0(VALU_DEP_2) | instskip(NEXT) | instid1(VALU_DEP_1)
	v_add_f32_e32 v3, v3, v5
	v_add_f32_e32 v36, v6, v3
	s_delay_alu instid0(VALU_DEP_1) | instskip(NEXT) | instid1(VALU_DEP_4)
	v_sub_f32_e32 v6, v6, v36
	v_add_f32_e32 v35, v34, v7
	s_delay_alu instid0(VALU_DEP_1) | instskip(NEXT) | instid1(VALU_DEP_2)
	v_rcp_f32_e32 v5, v35
	v_dual_sub_f32 v34, v34, v35 :: v_dual_add_f32 v3, v3, v6
	s_delay_alu instid0(VALU_DEP_1) | instskip(SKIP_2) | instid1(VALU_DEP_1)
	v_add_f32_e32 v7, v7, v34
	s_waitcnt_depctr 0xfff
	v_mul_f32_e32 v37, v36, v5
	v_mul_f32_e32 v38, v35, v37
	s_delay_alu instid0(VALU_DEP_1) | instskip(NEXT) | instid1(VALU_DEP_1)
	v_fma_f32 v34, v37, v35, -v38
	v_fmac_f32_e32 v34, v37, v7
	s_delay_alu instid0(VALU_DEP_1) | instskip(NEXT) | instid1(VALU_DEP_1)
	v_add_f32_e32 v39, v38, v34
	v_sub_f32_e32 v40, v36, v39
	v_sub_f32_e32 v6, v39, v38
	s_delay_alu instid0(VALU_DEP_2) | instskip(NEXT) | instid1(VALU_DEP_1)
	v_sub_f32_e32 v36, v36, v40
	v_sub_f32_e32 v36, v36, v39
	s_delay_alu instid0(VALU_DEP_1) | instskip(NEXT) | instid1(VALU_DEP_1)
	v_dual_sub_f32 v6, v6, v34 :: v_dual_add_f32 v3, v3, v36
	v_add_f32_e32 v3, v6, v3
	s_delay_alu instid0(VALU_DEP_1) | instskip(NEXT) | instid1(VALU_DEP_1)
	v_add_f32_e32 v6, v40, v3
	v_mul_f32_e32 v34, v5, v6
	v_sub_f32_e32 v39, v40, v6
	s_delay_alu instid0(VALU_DEP_2) | instskip(NEXT) | instid1(VALU_DEP_2)
	v_mul_f32_e32 v36, v35, v34
	v_add_f32_e32 v3, v3, v39
	s_delay_alu instid0(VALU_DEP_2) | instskip(NEXT) | instid1(VALU_DEP_1)
	v_fma_f32 v35, v34, v35, -v36
	v_fmac_f32_e32 v35, v34, v7
	s_delay_alu instid0(VALU_DEP_1) | instskip(NEXT) | instid1(VALU_DEP_1)
	v_add_f32_e32 v7, v36, v35
	v_sub_f32_e32 v38, v6, v7
	s_delay_alu instid0(VALU_DEP_1) | instskip(NEXT) | instid1(VALU_DEP_1)
	v_sub_f32_e32 v6, v6, v38
	v_sub_f32_e32 v6, v6, v7
	s_delay_alu instid0(VALU_DEP_1) | instskip(SKIP_2) | instid1(VALU_DEP_1)
	v_add_f32_e32 v3, v3, v6
	v_add_f32_e32 v6, v37, v34
	v_sub_f32_e32 v36, v7, v36
	v_sub_f32_e32 v7, v36, v35
	s_delay_alu instid0(VALU_DEP_1) | instskip(NEXT) | instid1(VALU_DEP_4)
	v_add_f32_e32 v3, v7, v3
	v_sub_f32_e32 v7, v6, v37
	s_delay_alu instid0(VALU_DEP_2) | instskip(NEXT) | instid1(VALU_DEP_2)
	v_add_f32_e32 v3, v38, v3
	v_sub_f32_e32 v7, v34, v7
	s_delay_alu instid0(VALU_DEP_2) | instskip(NEXT) | instid1(VALU_DEP_1)
	v_mul_f32_e32 v3, v5, v3
	v_add_f32_e32 v3, v7, v3
	s_delay_alu instid0(VALU_DEP_1) | instskip(NEXT) | instid1(VALU_DEP_1)
	v_add_f32_e32 v5, v6, v3
	v_mul_f32_e32 v7, v5, v5
	s_delay_alu instid0(VALU_DEP_1) | instskip(SKIP_1) | instid1(VALU_DEP_2)
	v_fmaak_f32 v34, s60, v7, 0x3ecc95a3
	v_mul_f32_e32 v35, v5, v7
	v_fmaak_f32 v7, v7, v34, 0x3f2aaada
	v_ldexp_f32 v34, v5, 1
	v_sub_f32_e32 v5, v5, v6
	s_delay_alu instid0(VALU_DEP_3) | instskip(SKIP_1) | instid1(VALU_DEP_2)
	v_mul_f32_e32 v7, v35, v7
	v_mul_f32_e32 v35, 0x3f317218, v2
	v_dual_sub_f32 v3, v3, v5 :: v_dual_add_f32 v6, v34, v7
	s_delay_alu instid0(VALU_DEP_1) | instskip(NEXT) | instid1(VALU_DEP_2)
	v_ldexp_f32 v3, v3, 1
	v_sub_f32_e32 v5, v6, v34
	s_delay_alu instid0(VALU_DEP_4) | instskip(NEXT) | instid1(VALU_DEP_1)
	v_fma_f32 v34, 0x3f317218, v2, -v35
	v_dual_sub_f32 v5, v7, v5 :: v_dual_fmac_f32 v34, 0xb102e308, v2
	s_delay_alu instid0(VALU_DEP_1) | instskip(NEXT) | instid1(VALU_DEP_1)
	v_add_f32_e32 v2, v3, v5
	v_add_f32_e32 v5, v6, v2
	s_delay_alu instid0(VALU_DEP_1) | instskip(NEXT) | instid1(VALU_DEP_1)
	v_sub_f32_e32 v6, v5, v6
	v_sub_f32_e32 v2, v2, v6
	v_add_f32_e32 v3, v35, v34
	s_delay_alu instid0(VALU_DEP_1) | instskip(SKIP_1) | instid1(VALU_DEP_2)
	v_add_f32_e32 v7, v3, v5
	v_sub_f32_e32 v35, v3, v35
	v_sub_f32_e32 v36, v7, v3
	s_delay_alu instid0(VALU_DEP_1) | instskip(NEXT) | instid1(VALU_DEP_1)
	v_dual_sub_f32 v34, v34, v35 :: v_dual_sub_f32 v37, v7, v36
	v_dual_sub_f32 v5, v5, v36 :: v_dual_add_f32 v6, v34, v2
	s_delay_alu instid0(VALU_DEP_2) | instskip(NEXT) | instid1(VALU_DEP_1)
	v_sub_f32_e32 v3, v3, v37
	v_add_f32_e32 v3, v5, v3
	s_delay_alu instid0(VALU_DEP_3) | instskip(NEXT) | instid1(VALU_DEP_2)
	v_sub_f32_e32 v5, v6, v34
	v_add_f32_e32 v3, v6, v3
	s_delay_alu instid0(VALU_DEP_2) | instskip(NEXT) | instid1(VALU_DEP_2)
	v_sub_f32_e32 v6, v6, v5
	v_dual_sub_f32 v2, v2, v5 :: v_dual_add_f32 v35, v7, v3
	s_delay_alu instid0(VALU_DEP_1) | instskip(NEXT) | instid1(VALU_DEP_1)
	v_dual_sub_f32 v6, v34, v6 :: v_dual_sub_f32 v5, v35, v7
	v_dual_add_f32 v2, v2, v6 :: v_dual_sub_f32 v3, v3, v5
	s_delay_alu instid0(VALU_DEP_1) | instskip(NEXT) | instid1(VALU_DEP_1)
	v_add_f32_e32 v2, v2, v3
	v_add_f32_e32 v2, v35, v2
	s_delay_alu instid0(VALU_DEP_1)
	v_cndmask_b32_e32 v38, v2, v4, vcc_lo
.LBB2_34:                               ;   in Loop: Header=BB2_12 Depth=1
	s_or_b32 exec_lo, exec_lo, s17
	v_and_b32_e32 v3, 0xffff0000, v0
	v_lshlrev_b32_e32 v0, 16, v0
	v_lshlrev_b32_e32 v2, 16, v1
	v_and_b32_e32 v1, 0xffff0000, v1
	s_and_b32 vcc_lo, exec_lo, s57
	s_delay_alu instid0(VALU_DEP_3) | instskip(NEXT) | instid1(VALU_DEP_2)
	v_mul_f32_e32 v37, s49, v0
	v_dual_mul_f32 v35, s49, v2 :: v_dual_mul_f32 v36, s49, v1
	v_mul_f32_e32 v34, s49, v3
	s_barrier
	buffer_gl0_inv
	s_cbranch_vccz .LBB2_82
; %bb.35:                               ;   in Loop: Header=BB2_12 Depth=1
	v_dual_mul_f32 v39, v38, v1 :: v_dual_mul_f32 v44, v33, v2
	v_add_co_u32 v1, s16, s27, v29
	s_delay_alu instid0(VALU_DEP_1) | instskip(SKIP_1) | instid1(VALU_DEP_1)
	v_add_co_ci_u32_e64 v4, null, s41, 0, s16
	v_add_co_u32 v5, s16, s45, v29
	v_add_co_ci_u32_e64 v6, null, s52, 0, s16
	s_delay_alu instid0(VALU_DEP_4) | instskip(NEXT) | instid1(VALU_DEP_4)
	v_add_co_u32 v40, vcc_lo, v1, v30
	v_add_co_ci_u32_e32 v41, vcc_lo, 0, v4, vcc_lo
	s_delay_alu instid0(VALU_DEP_4) | instskip(NEXT) | instid1(VALU_DEP_4)
	v_add_co_u32 v42, vcc_lo, v5, v30
	v_add_co_ci_u32_e32 v43, vcc_lo, 0, v6, vcc_lo
	v_cmp_gt_u32_e32 vcc_lo, s19, v8
	v_cmp_gt_u32_e64 s17, s19, v26
	v_cmp_gt_u32_e64 s18, s19, v27
	;; [unrolled: 1-line block ×3, first 2 shown]
	s_cmp_lg_u32 s62, 0
	v_dual_mul_f32 v45, v32, v3 :: v_dual_mul_f32 v46, v31, v0
	s_mov_b32 s28, 0
	s_cselect_b32 s25, -1, 0
	s_cmp_eq_u32 s62, s59
	s_mov_b32 s30, s28
	s_cselect_b32 s63, -1, 0
	s_or_b32 s16, s58, vcc_lo
	s_or_b32 s17, s58, s17
	s_or_b32 s18, s58, s18
	;; [unrolled: 1-line block ×3, first 2 shown]
	s_mov_b32 s34, s28
	s_mov_b32 s38, s28
	;; [unrolled: 1-line block ×4, first 2 shown]
	s_branch .LBB2_37
.LBB2_36:                               ;   in Loop: Header=BB2_37 Depth=2
	s_or_b32 exec_lo, exec_lo, s20
	v_cndmask_b32_e64 v2, v56, v7, s11
	v_cndmask_b32_e64 v3, v55, v6, s11
	s_add_i32 s64, s64, -1
	s_add_i32 s65, s65, 8
	s_add_i32 s38, s38, s26
	v_fma_f32 v2, v2, v54, v52
	v_mul_f32_e32 v3, v3, v54
	s_add_i32 s34, s34, s44
	s_add_i32 s30, s30, s40
	;; [unrolled: 1-line block ×3, first 2 shown]
	v_cndmask_b32_e64 v2, v2, v52, s10
	v_cndmask_b32_e64 v3, v3, v54, s10
	s_cmp_eq_u32 s64, 0
	s_waitcnt lgkmcnt(0)
	s_delay_alu instid0(VALU_DEP_1) | instskip(SKIP_3) | instid1(VALU_DEP_4)
	v_dual_fmac_f32 v2, v4, v3 :: v_dual_and_b32 v3, 0xffff0000, v0
	v_and_b32_e32 v4, 0xffff0000, v1
	v_lshlrev_b32_e32 v0, 16, v0
	v_lshlrev_b32_e32 v1, 16, v1
	v_fmac_f32_e32 v47, v2, v53
	s_delay_alu instid0(VALU_DEP_1) | instskip(NEXT) | instid1(VALU_DEP_1)
	v_fmac_f32_e32 v48, v47, v51
	v_fmac_f32_e32 v49, v48, v50
	s_delay_alu instid0(VALU_DEP_1)
	v_dual_fmac_f32 v35, v48, v1 :: v_dual_fmac_f32 v36, v49, v4
	v_dual_fmac_f32 v37, v2, v0 :: v_dual_fmac_f32 v34, v47, v3
	s_cbranch_scc1 .LBB2_82
.LBB2_37:                               ;   Parent Loop BB2_12 Depth=1
                                        ; =>  This Inner Loop Header: Depth=2
	s_lshl_b64 s[20:21], s[28:29], 2
	s_mov_b32 s31, s29
	s_add_u32 s20, s50, s20
	s_addc_u32 s21, s51, s21
	v_dual_mov_b32 v2, 0 :: v_dual_mov_b32 v3, 0
	global_load_b32 v6, v12, s[20:21]
	s_lshl_b64 s[20:21], s[30:31], 1
	s_delay_alu instid0(SALU_CYCLE_1)
	v_add_co_u32 v0, vcc_lo, v40, s20
	v_add_co_ci_u32_e32 v1, vcc_lo, s21, v41, vcc_lo
	s_and_saveexec_b32 s20, s12
	s_cbranch_execz .LBB2_39
; %bb.38:                               ;   in Loop: Header=BB2_37 Depth=2
	global_load_u16 v3, v[0:1], off
.LBB2_39:                               ;   in Loop: Header=BB2_37 Depth=2
	s_or_b32 exec_lo, exec_lo, s20
	s_and_saveexec_b32 s20, s13
	s_cbranch_execz .LBB2_41
; %bb.40:                               ;   in Loop: Header=BB2_37 Depth=2
	global_load_u16 v2, v[0:1], off offset:64
.LBB2_41:                               ;   in Loop: Header=BB2_37 Depth=2
	s_or_b32 exec_lo, exec_lo, s20
	v_dual_mov_b32 v4, 0 :: v_dual_mov_b32 v5, 0
	s_and_saveexec_b32 s20, s14
	s_cbranch_execz .LBB2_43
; %bb.42:                               ;   in Loop: Header=BB2_37 Depth=2
	global_load_u16 v5, v[0:1], off offset:128
.LBB2_43:                               ;   in Loop: Header=BB2_37 Depth=2
	s_or_b32 exec_lo, exec_lo, s20
	s_and_saveexec_b32 s20, s15
	s_cbranch_execz .LBB2_45
; %bb.44:                               ;   in Loop: Header=BB2_37 Depth=2
	global_load_u16 v4, v[0:1], off offset:192
.LBB2_45:                               ;   in Loop: Header=BB2_37 Depth=2
	s_or_b32 exec_lo, exec_lo, s20
	s_waitcnt vmcnt(0)
	ds_store_b16 v14, v3
	ds_store_b16 v14, v2 offset:64
	ds_store_b16 v15, v5 offset:128
	;; [unrolled: 1-line block ×3, first 2 shown]
	; wave barrier
	ds_load_b64 v[4:5], v17
	s_mov_b32 s35, s29
	v_dual_mov_b32 v2, 0 :: v_dual_mov_b32 v3, 0
	s_lshl_b64 s[20:21], s[34:35], 1
	s_delay_alu instid0(SALU_CYCLE_1)
	v_add_co_u32 v0, vcc_lo, v42, s20
	v_add_co_ci_u32_e32 v1, vcc_lo, s21, v43, vcc_lo
	s_and_saveexec_b32 s20, s12
	s_cbranch_execz .LBB2_47
; %bb.46:                               ;   in Loop: Header=BB2_37 Depth=2
	global_load_u16 v3, v[0:1], off
.LBB2_47:                               ;   in Loop: Header=BB2_37 Depth=2
	s_or_b32 exec_lo, exec_lo, s20
	s_and_saveexec_b32 s20, s13
	s_cbranch_execz .LBB2_49
; %bb.48:                               ;   in Loop: Header=BB2_37 Depth=2
	global_load_u16 v2, v[0:1], off offset:64
.LBB2_49:                               ;   in Loop: Header=BB2_37 Depth=2
	s_or_b32 exec_lo, exec_lo, s20
	v_mov_b32_e32 v7, 0
	v_mov_b32_e32 v47, 0
	s_and_saveexec_b32 s20, s14
	s_cbranch_execz .LBB2_51
; %bb.50:                               ;   in Loop: Header=BB2_37 Depth=2
	global_load_u16 v47, v[0:1], off offset:128
.LBB2_51:                               ;   in Loop: Header=BB2_37 Depth=2
	s_or_b32 exec_lo, exec_lo, s20
	s_and_saveexec_b32 s20, s15
	s_cbranch_execz .LBB2_53
; %bb.52:                               ;   in Loop: Header=BB2_37 Depth=2
	global_load_u16 v7, v[0:1], off offset:192
.LBB2_53:                               ;   in Loop: Header=BB2_37 Depth=2
	s_or_b32 exec_lo, exec_lo, s20
	s_waitcnt vmcnt(0)
	ds_store_b16 v14, v3 offset:528
	ds_store_b16 v18, v2 offset:64
	;; [unrolled: 1-line block ×4, first 2 shown]
	; wave barrier
	ds_load_b64 v[0:1], v17 offset:528
	s_and_not1_b32 vcc_lo, exec_lo, s25
	s_cbranch_vccnz .LBB2_55
; %bb.54:                               ;   in Loop: Header=BB2_37 Depth=2
	v_mov_b32_e32 v2, s65
	ds_load_b64 v[2:3], v2
	s_cbranch_execz .LBB2_56
	s_branch .LBB2_59
.LBB2_55:                               ;   in Loop: Header=BB2_37 Depth=2
                                        ; implicit-def: $vgpr2
.LBB2_56:                               ;   in Loop: Header=BB2_37 Depth=2
	s_waitcnt lgkmcnt(0)
	v_mov_b32_e32 v3, 0
	s_and_not1_b32 vcc_lo, exec_lo, s33
	s_cbranch_vccnz .LBB2_58
; %bb.57:                               ;   in Loop: Header=BB2_37 Depth=2
	s_mov_b32 s39, s29
	s_delay_alu instid0(SALU_CYCLE_1) | instskip(NEXT) | instid1(SALU_CYCLE_1)
	s_lshl_b64 s[20:21], s[38:39], 1
	s_add_u32 s20, s53, s20
	s_addc_u32 s21, s54, s21
	global_load_u16 v2, v12, s[20:21]
	s_waitcnt vmcnt(0)
	v_lshlrev_b32_e32 v3, 16, v2
.LBB2_58:                               ;   in Loop: Header=BB2_37 Depth=2
	v_mov_b32_e32 v2, 1.0
.LBB2_59:                               ;   in Loop: Header=BB2_37 Depth=2
	s_waitcnt lgkmcnt(5)
	v_dual_mul_f32 v6, 0x3fb8aa3b, v6 :: v_dual_lshlrev_b32 v7, 16, v4
	v_lshlrev_b32_e32 v47, 16, v5
	v_and_b32_e32 v4, 0xffff0000, v4
	s_delay_alu instid0(VALU_DEP_3) | instskip(NEXT) | instid1(VALU_DEP_4)
	v_mul_f32_e32 v48, v6, v31
	v_mul_f32_e32 v7, v46, v7
	s_delay_alu instid0(VALU_DEP_3) | instskip(SKIP_1) | instid1(VALU_DEP_4)
	v_dual_mul_f32 v51, v6, v38 :: v_dual_mul_f32 v4, v45, v4
	v_dual_mul_f32 v50, v6, v33 :: v_dual_mul_f32 v55, v44, v47
	v_cmp_gt_f32_e32 vcc_lo, 0xc2fc0000, v48
	s_delay_alu instid0(VALU_DEP_3) | instskip(NEXT) | instid1(VALU_DEP_3)
	v_cmp_gt_f32_e64 s22, 0xc2fc0000, v51
	v_cmp_gt_f32_e64 s21, 0xc2fc0000, v50
	v_cndmask_b32_e64 v48, 0, 0x42800000, vcc_lo
	v_and_b32_e32 v5, 0xffff0000, v5
	s_delay_alu instid0(VALU_DEP_4) | instskip(SKIP_4) | instid1(VALU_DEP_3)
	v_cndmask_b32_e64 v51, 0, 0x42800000, s22
	v_cndmask_b32_e64 v52, 1.0, 0x1f800000, vcc_lo
	v_cndmask_b32_e64 v50, 0, 0x42800000, s21
	v_fmac_f32_e32 v48, v6, v31
	v_cndmask_b32_e64 v47, 1.0, 0x1f800000, s21
	v_fmac_f32_e32 v50, v6, v33
	s_delay_alu instid0(VALU_DEP_3) | instskip(SKIP_1) | instid1(VALU_DEP_2)
	v_exp_f32_e32 v48, v48
	v_fmac_f32_e32 v51, v6, v38
	v_exp_f32_e32 v50, v50
	s_waitcnt_depctr 0xfff
	v_mul_f32_e32 v48, v48, v52
	v_cndmask_b32_e64 v52, 0, v7, s16
	v_exp_f32_e32 v7, v51
	s_delay_alu instid0(VALU_DEP_2) | instskip(SKIP_2) | instid1(VALU_DEP_2)
	v_cndmask_b32_e64 v54, 1.0, v48, s16
	v_mul_f32_e32 v49, v6, v32
	v_cndmask_b32_e64 v48, 0, v55, s18
	v_cmp_gt_f32_e64 s20, 0xc2fc0000, v49
	s_delay_alu instid0(VALU_DEP_1) | instskip(NEXT) | instid1(VALU_DEP_1)
	v_cndmask_b32_e64 v49, 0, 0x42800000, s20
	v_fmac_f32_e32 v49, v6, v32
	v_cndmask_b32_e64 v6, 1.0, 0x1f800000, s20
	s_delay_alu instid0(VALU_DEP_2) | instskip(SKIP_4) | instid1(VALU_DEP_3)
	v_exp_f32_e32 v49, v49
	s_waitcnt_depctr 0xfff
	v_dual_mul_f32 v6, v49, v6 :: v_dual_mul_f32 v49, v50, v47
	v_cndmask_b32_e64 v47, 0, v4, s17
	v_cndmask_b32_e64 v4, 1.0, 0x1f800000, s22
	v_cndmask_b32_e64 v53, 1.0, v6, s17
	s_delay_alu instid0(VALU_DEP_4) | instskip(NEXT) | instid1(VALU_DEP_3)
	v_cndmask_b32_e64 v51, 1.0, v49, s18
	v_mul_f32_e32 v4, v7, v4
	s_delay_alu instid0(VALU_DEP_3) | instskip(SKIP_1) | instid1(VALU_DEP_3)
	v_dual_mul_f32 v6, v53, v54 :: v_dual_mul_f32 v5, v39, v5
	v_fma_f32 v7, v53, v52, v47
	v_cndmask_b32_e64 v50, 1.0, v4, s19
	s_delay_alu instid0(VALU_DEP_3) | instskip(NEXT) | instid1(VALU_DEP_4)
	v_mul_f32_e32 v4, v6, v51
	v_cndmask_b32_e64 v49, 0, v5, s19
	s_delay_alu instid0(VALU_DEP_4) | instskip(NEXT) | instid1(VALU_DEP_3)
	v_fma_f32 v5, v7, v51, v48
	v_mul_f32_e32 v4, v4, v50
	s_delay_alu instid0(VALU_DEP_2) | instskip(NEXT) | instid1(VALU_DEP_2)
	v_fma_f32 v5, v5, v50, v49
	v_mov_b32_dpp v7, v4 row_shr:1 row_mask:0xf bank_mask:0xf
	s_delay_alu instid0(VALU_DEP_2)
	v_mov_b32_dpp v6, v5 row_shr:1 row_mask:0xf bank_mask:0xf
	s_and_saveexec_b32 s20, s0
; %bb.60:                               ;   in Loop: Header=BB2_37 Depth=2
	s_delay_alu instid0(VALU_DEP_2) | instskip(NEXT) | instid1(VALU_DEP_1)
	v_mul_f32_e32 v7, v4, v7
	v_dual_fmac_f32 v5, v4, v6 :: v_dual_mov_b32 v4, v7
; %bb.61:                               ;   in Loop: Header=BB2_37 Depth=2
	s_or_b32 exec_lo, exec_lo, s20
	s_delay_alu instid0(VALU_DEP_1) | instskip(NEXT) | instid1(VALU_DEP_2)
	v_mov_b32_dpp v6, v4 row_shr:2 row_mask:0xf bank_mask:0xf
	v_mov_b32_dpp v7, v5 row_shr:2 row_mask:0xf bank_mask:0xf
	s_and_saveexec_b32 s20, s1
; %bb.62:                               ;   in Loop: Header=BB2_37 Depth=2
	s_delay_alu instid0(VALU_DEP_1) | instskip(NEXT) | instid1(VALU_DEP_3)
	v_fmac_f32_e32 v5, v4, v7
	v_mul_f32_e32 v4, v4, v6
; %bb.63:                               ;   in Loop: Header=BB2_37 Depth=2
	s_or_b32 exec_lo, exec_lo, s20
	s_delay_alu instid0(VALU_DEP_1) | instskip(NEXT) | instid1(VALU_DEP_3)
	v_mov_b32_dpp v6, v4 row_shr:4 row_mask:0xf bank_mask:0xf
	v_mov_b32_dpp v7, v5 row_shr:4 row_mask:0xf bank_mask:0xf
	s_and_saveexec_b32 s20, s2
; %bb.64:                               ;   in Loop: Header=BB2_37 Depth=2
	s_delay_alu instid0(VALU_DEP_1) | instskip(NEXT) | instid1(VALU_DEP_3)
	v_fmac_f32_e32 v5, v4, v7
	v_mul_f32_e32 v4, v4, v6
; %bb.65:                               ;   in Loop: Header=BB2_37 Depth=2
	s_or_b32 exec_lo, exec_lo, s20
	s_delay_alu instid0(VALU_DEP_1) | instskip(NEXT) | instid1(VALU_DEP_3)
	v_mov_b32_dpp v6, v4 row_shr:8 row_mask:0xf bank_mask:0xf
	v_mov_b32_dpp v7, v5 row_shr:8 row_mask:0xf bank_mask:0xf
	s_and_saveexec_b32 s20, s3
; %bb.66:                               ;   in Loop: Header=BB2_37 Depth=2
	s_delay_alu instid0(VALU_DEP_1) | instskip(NEXT) | instid1(VALU_DEP_3)
	v_fmac_f32_e32 v5, v4, v7
	v_mul_f32_e32 v4, v4, v6
; %bb.67:                               ;   in Loop: Header=BB2_37 Depth=2
	s_or_b32 exec_lo, exec_lo, s20
	ds_swizzle_b32 v7, v4 offset:swizzle(BROADCAST,32,15)
	ds_swizzle_b32 v6, v5 offset:swizzle(BROADCAST,32,15)
	s_and_saveexec_b32 s20, s4
	s_cbranch_execz .LBB2_69
; %bb.68:                               ;   in Loop: Header=BB2_37 Depth=2
	s_waitcnt lgkmcnt(1)
	v_mul_f32_e32 v7, v4, v7
	s_waitcnt lgkmcnt(0)
	s_delay_alu instid0(VALU_DEP_1)
	v_dual_fmac_f32 v5, v4, v6 :: v_dual_mov_b32 v4, v7
.LBB2_69:                               ;   in Loop: Header=BB2_37 Depth=2
	s_or_b32 exec_lo, exec_lo, s20
	s_and_saveexec_b32 s20, s5
	s_cbranch_execz .LBB2_71
; %bb.70:                               ;   in Loop: Header=BB2_37 Depth=2
	ds_store_b64 v21, v[4:5] offset:1056
.LBB2_71:                               ;   in Loop: Header=BB2_37 Depth=2
	s_or_b32 exec_lo, exec_lo, s20
	s_waitcnt lgkmcnt(0)
	s_waitcnt_vscnt null, 0x0
	s_barrier
	buffer_gl0_inv
	s_and_saveexec_b32 s20, s6
	s_cbranch_execz .LBB2_73
; %bb.72:                               ;   in Loop: Header=BB2_37 Depth=2
	ds_load_b64 v[6:7], v22 offset:1056
	s_waitcnt lgkmcnt(0)
	v_mov_b32_dpp v55, v6 row_shr:1 row_mask:0xf bank_mask:0xf
	v_mov_b32_dpp v56, v7 row_shr:1 row_mask:0xf bank_mask:0xf
	s_delay_alu instid0(VALU_DEP_2) | instskip(NEXT) | instid1(VALU_DEP_2)
	v_mul_f32_e32 v55, v6, v55
	v_fma_f32 v56, v6, v56, v7
	s_delay_alu instid0(VALU_DEP_2) | instskip(NEXT) | instid1(VALU_DEP_2)
	v_cndmask_b32_e64 v6, v55, v6, s7
	v_cndmask_b32_e64 v7, v56, v7, s7
	ds_store_b64 v22, v[6:7] offset:1056
.LBB2_73:                               ;   in Loop: Header=BB2_37 Depth=2
	s_or_b32 exec_lo, exec_lo, s20
	s_waitcnt lgkmcnt(0)
	s_barrier
	buffer_gl0_inv
                                        ; implicit-def: $vgpr7
	s_and_saveexec_b32 s20, s9
	s_cbranch_execz .LBB2_75
; %bb.74:                               ;   in Loop: Header=BB2_37 Depth=2
	ds_load_b64 v[6:7], v21 offset:1048
	s_waitcnt lgkmcnt(0)
	v_mul_f32_e32 v55, v4, v6
	s_delay_alu instid0(VALU_DEP_1)
	v_dual_fmac_f32 v5, v4, v7 :: v_dual_mov_b32 v4, v55
.LBB2_75:                               ;   in Loop: Header=BB2_37 Depth=2
	s_or_b32 exec_lo, exec_lo, s20
	ds_bpermute_b32 v55, v23, v4
	ds_bpermute_b32 v56, v23, v5
	s_and_saveexec_b32 s20, s8
	s_cbranch_execz .LBB2_79
; %bb.76:                               ;   in Loop: Header=BB2_37 Depth=2
	ds_load_b64 v[4:5], v12 offset:1064
	s_and_saveexec_b32 s21, s10
	s_cbranch_execz .LBB2_78
; %bb.77:                               ;   in Loop: Header=BB2_37 Depth=2
	ds_store_b64 v12, v[2:3] offset:1064
.LBB2_78:                               ;   in Loop: Header=BB2_37 Depth=2
	s_or_b32 exec_lo, exec_lo, s21
	s_waitcnt lgkmcnt(0)
	v_dual_fmac_f32 v5, v4, v3 :: v_dual_mul_f32 v2, v2, v4
	s_delay_alu instid0(VALU_DEP_1)
	v_mov_b32_e32 v3, v5
.LBB2_79:                               ;   in Loop: Header=BB2_37 Depth=2
	s_or_b32 exec_lo, exec_lo, s20
	s_waitcnt lgkmcnt(0)
	s_barrier
	buffer_gl0_inv
	ds_load_b32 v4, v12 offset:1068
	s_and_saveexec_b32 s20, s10
	s_cbranch_execz .LBB2_36
; %bb.80:                               ;   in Loop: Header=BB2_37 Depth=2
	v_mov_b32_e32 v5, s65
	s_and_not1_b32 vcc_lo, exec_lo, s63
	ds_store_b64 v5, v[2:3]
	s_cbranch_vccnz .LBB2_36
; %bb.81:                               ;   in Loop: Header=BB2_37 Depth=2
	v_bfe_u32 v2, v3, 16, 1
	v_cmp_o_f32_e32 vcc_lo, v3, v3
	s_mov_b32 s39, s29
	s_delay_alu instid0(SALU_CYCLE_1) | instskip(NEXT) | instid1(VALU_DEP_2)
	s_lshl_b64 s[66:67], s[38:39], 1
	v_add3_u32 v2, v3, v2, 0x7fff
	s_add_u32 s66, s53, s66
	s_addc_u32 s67, s54, s67
	s_delay_alu instid0(VALU_DEP_1) | instskip(NEXT) | instid1(VALU_DEP_1)
	v_lshrrev_b32_e32 v2, 16, v2
	v_cndmask_b32_e32 v2, 0x7fc0, v2, vcc_lo
	global_store_b16 v12, v2, s[66:67]
	s_branch .LBB2_36
.LBB2_82:                               ;   in Loop: Header=BB2_12 Depth=1
	s_delay_alu instid0(VALU_DEP_1) | instskip(NEXT) | instid1(VALU_DEP_3)
	v_bfe_u32 v0, v37, 16, 1
	v_bfe_u32 v2, v35, 16, 1
	;; [unrolled: 1-line block ×3, first 2 shown]
	v_cmp_o_f32_e32 vcc_lo, v37, v37
	v_bfe_u32 v1, v34, 16, 1
	v_add3_u32 v0, v37, v0, 0x7fff
	v_add3_u32 v2, v35, v2, 0x7fff
	;; [unrolled: 1-line block ×3, first 2 shown]
	s_waitcnt_vscnt null, 0x0
	v_add3_u32 v1, v34, v1, 0x7fff
	v_lshrrev_b32_e32 v0, 16, v0
	v_lshrrev_b32_e32 v2, 16, v2
	;; [unrolled: 1-line block ×3, first 2 shown]
	s_barrier
	v_lshrrev_b32_e32 v1, 16, v1
	v_cndmask_b32_e32 v0, 0x7fc0, v0, vcc_lo
	v_cmp_o_f32_e32 vcc_lo, v35, v35
	buffer_gl0_inv
	s_mov_b32 s25, s29
	s_delay_alu instid0(SALU_CYCLE_1)
	s_lshl_b64 s[16:17], s[24:25], 1
	v_cndmask_b32_e32 v2, 0x7fc0, v2, vcc_lo
	v_cmp_o_f32_e32 vcc_lo, v36, v36
	v_cndmask_b32_e32 v3, 0x7fc0, v3, vcc_lo
	v_cmp_o_f32_e32 vcc_lo, v34, v34
	v_cndmask_b32_e32 v4, 0x7fc0, v1, vcc_lo
	s_delay_alu instid0(VALU_DEP_3) | instskip(NEXT) | instid1(VALU_DEP_2)
	v_perm_b32 v1, v3, v2, 0x5040100
	v_perm_b32 v0, v4, v0, 0x5040100
	ds_store_b64 v17, v[0:1]
	; wave barrier
	ds_load_u16 v4, v14 offset:64
	ds_load_u16 v3, v15 offset:128
	;; [unrolled: 1-line block ×3, first 2 shown]
	v_add_co_u32 v0, vcc_lo, v24, s16
	v_add_co_ci_u32_e32 v1, vcc_lo, s17, v25, vcc_lo
	s_and_saveexec_b32 s16, s12
	s_cbranch_execnz .LBB2_88
; %bb.83:                               ;   in Loop: Header=BB2_12 Depth=1
	s_or_b32 exec_lo, exec_lo, s16
	s_and_saveexec_b32 s12, s13
	s_cbranch_execnz .LBB2_89
.LBB2_84:                               ;   in Loop: Header=BB2_12 Depth=1
	s_or_b32 exec_lo, exec_lo, s12
	s_and_saveexec_b32 s12, s14
	s_cbranch_execnz .LBB2_90
.LBB2_85:                               ;   in Loop: Header=BB2_12 Depth=1
	s_or_b32 exec_lo, exec_lo, s12
	s_and_saveexec_b32 s12, s15
	s_cbranch_execz .LBB2_11
	s_branch .LBB2_91
.LBB2_86:                               ;   in Loop: Header=BB2_12 Depth=1
	global_load_u16 v6, v[2:3], off offset:64
	s_or_b32 exec_lo, exec_lo, s16
	s_and_saveexec_b32 s16, s14
	s_cbranch_execz .LBB2_24
.LBB2_87:                               ;   in Loop: Header=BB2_12 Depth=1
	global_load_u16 v5, v[2:3], off offset:128
	s_or_b32 exec_lo, exec_lo, s16
	v_mov_b32_e32 v7, 0
	s_and_saveexec_b32 s16, s15
	s_cbranch_execnz .LBB2_25
	s_branch .LBB2_26
.LBB2_88:                               ;   in Loop: Header=BB2_12 Depth=1
	ds_load_u16 v5, v14
	s_waitcnt lgkmcnt(0)
	global_store_b16 v[0:1], v5, off
	s_or_b32 exec_lo, exec_lo, s16
	s_and_saveexec_b32 s12, s13
	s_cbranch_execz .LBB2_84
.LBB2_89:                               ;   in Loop: Header=BB2_12 Depth=1
	s_waitcnt lgkmcnt(2)
	global_store_b16 v[0:1], v4, off offset:64
	s_or_b32 exec_lo, exec_lo, s12
	s_and_saveexec_b32 s12, s14
	s_cbranch_execz .LBB2_85
.LBB2_90:                               ;   in Loop: Header=BB2_12 Depth=1
	s_waitcnt lgkmcnt(1)
	global_store_b16 v[0:1], v3, off offset:128
	s_or_b32 exec_lo, exec_lo, s12
	s_and_saveexec_b32 s12, s15
	s_cbranch_execz .LBB2_11
.LBB2_91:                               ;   in Loop: Header=BB2_12 Depth=1
	s_waitcnt lgkmcnt(0)
	global_store_b16 v[0:1], v2, off offset:192
	s_branch .LBB2_11
.LBB2_92:
	s_nop 0
	s_sendmsg sendmsg(MSG_DEALLOC_VGPRS)
	s_endpgm
	.section	.rodata,"a",@progbits
	.p2align	6, 0x0
	.amdhsa_kernel _Z25selective_scan_fwd_kernelI32Selective_Scan_fwd_kernel_traitsILi64ELi4ELi1ELb1ELb1ELb1ELb0ELb1EN3c108BFloat16EfS2_EEv13SSMParamsBase
		.amdhsa_group_segment_fixed_size 0
		.amdhsa_private_segment_fixed_size 0
		.amdhsa_kernarg_size 248
		.amdhsa_user_sgpr_count 14
		.amdhsa_user_sgpr_dispatch_ptr 0
		.amdhsa_user_sgpr_queue_ptr 0
		.amdhsa_user_sgpr_kernarg_segment_ptr 1
		.amdhsa_user_sgpr_dispatch_id 0
		.amdhsa_user_sgpr_private_segment_size 0
		.amdhsa_wavefront_size32 1
		.amdhsa_uses_dynamic_stack 0
		.amdhsa_enable_private_segment 0
		.amdhsa_system_sgpr_workgroup_id_x 1
		.amdhsa_system_sgpr_workgroup_id_y 1
		.amdhsa_system_sgpr_workgroup_id_z 0
		.amdhsa_system_sgpr_workgroup_info 0
		.amdhsa_system_vgpr_workitem_id 0
		.amdhsa_next_free_vgpr 57
		.amdhsa_next_free_sgpr 68
		.amdhsa_reserve_vcc 1
		.amdhsa_float_round_mode_32 0
		.amdhsa_float_round_mode_16_64 0
		.amdhsa_float_denorm_mode_32 3
		.amdhsa_float_denorm_mode_16_64 3
		.amdhsa_dx10_clamp 1
		.amdhsa_ieee_mode 1
		.amdhsa_fp16_overflow 0
		.amdhsa_workgroup_processor_mode 1
		.amdhsa_memory_ordered 1
		.amdhsa_forward_progress 0
		.amdhsa_shared_vgpr_count 0
		.amdhsa_exception_fp_ieee_invalid_op 0
		.amdhsa_exception_fp_denorm_src 0
		.amdhsa_exception_fp_ieee_div_zero 0
		.amdhsa_exception_fp_ieee_overflow 0
		.amdhsa_exception_fp_ieee_underflow 0
		.amdhsa_exception_fp_ieee_inexact 0
		.amdhsa_exception_int_div_zero 0
	.end_amdhsa_kernel
	.section	.text._Z25selective_scan_fwd_kernelI32Selective_Scan_fwd_kernel_traitsILi64ELi4ELi1ELb1ELb1ELb1ELb0ELb1EN3c108BFloat16EfS2_EEv13SSMParamsBase,"axG",@progbits,_Z25selective_scan_fwd_kernelI32Selective_Scan_fwd_kernel_traitsILi64ELi4ELi1ELb1ELb1ELb1ELb0ELb1EN3c108BFloat16EfS2_EEv13SSMParamsBase,comdat
.Lfunc_end2:
	.size	_Z25selective_scan_fwd_kernelI32Selective_Scan_fwd_kernel_traitsILi64ELi4ELi1ELb1ELb1ELb1ELb0ELb1EN3c108BFloat16EfS2_EEv13SSMParamsBase, .Lfunc_end2-_Z25selective_scan_fwd_kernelI32Selective_Scan_fwd_kernel_traitsILi64ELi4ELi1ELb1ELb1ELb1ELb0ELb1EN3c108BFloat16EfS2_EEv13SSMParamsBase
                                        ; -- End function
	.section	.AMDGPU.csdata,"",@progbits
; Kernel info:
; codeLenInByte = 7088
; NumSgprs: 70
; NumVgprs: 57
; ScratchSize: 0
; MemoryBound: 0
; FloatMode: 240
; IeeeMode: 1
; LDSByteSize: 0 bytes/workgroup (compile time only)
; SGPRBlocks: 8
; VGPRBlocks: 7
; NumSGPRsForWavesPerEU: 70
; NumVGPRsForWavesPerEU: 57
; Occupancy: 16
; WaveLimiterHint : 1
; COMPUTE_PGM_RSRC2:SCRATCH_EN: 0
; COMPUTE_PGM_RSRC2:USER_SGPR: 14
; COMPUTE_PGM_RSRC2:TRAP_HANDLER: 0
; COMPUTE_PGM_RSRC2:TGID_X_EN: 1
; COMPUTE_PGM_RSRC2:TGID_Y_EN: 1
; COMPUTE_PGM_RSRC2:TGID_Z_EN: 0
; COMPUTE_PGM_RSRC2:TIDIG_COMP_CNT: 0
	.section	.text._Z25selective_scan_fwd_kernelI32Selective_Scan_fwd_kernel_traitsILi64ELi4ELi1ELb1ELb1ELb1ELb0ELb0EN3c108BFloat16EfS2_EEv13SSMParamsBase,"axG",@progbits,_Z25selective_scan_fwd_kernelI32Selective_Scan_fwd_kernel_traitsILi64ELi4ELi1ELb1ELb1ELb1ELb0ELb0EN3c108BFloat16EfS2_EEv13SSMParamsBase,comdat
	.protected	_Z25selective_scan_fwd_kernelI32Selective_Scan_fwd_kernel_traitsILi64ELi4ELi1ELb1ELb1ELb1ELb0ELb0EN3c108BFloat16EfS2_EEv13SSMParamsBase ; -- Begin function _Z25selective_scan_fwd_kernelI32Selective_Scan_fwd_kernel_traitsILi64ELi4ELi1ELb1ELb1ELb1ELb0ELb0EN3c108BFloat16EfS2_EEv13SSMParamsBase
	.globl	_Z25selective_scan_fwd_kernelI32Selective_Scan_fwd_kernel_traitsILi64ELi4ELi1ELb1ELb1ELb1ELb0ELb0EN3c108BFloat16EfS2_EEv13SSMParamsBase
	.p2align	8
	.type	_Z25selective_scan_fwd_kernelI32Selective_Scan_fwd_kernel_traitsILi64ELi4ELi1ELb1ELb1ELb1ELb0ELb0EN3c108BFloat16EfS2_EEv13SSMParamsBase,@function
_Z25selective_scan_fwd_kernelI32Selective_Scan_fwd_kernel_traitsILi64ELi4ELi1ELb1ELb1ELb1ELb0ELb0EN3c108BFloat16EfS2_EEv13SSMParamsBase: ; @_Z25selective_scan_fwd_kernelI32Selective_Scan_fwd_kernel_traitsILi64ELi4ELi1ELb1ELb1ELb1ELb0ELb0EN3c108BFloat16EfS2_EEv13SSMParamsBase
; %bb.0:
	s_clause 0x1
	s_load_b32 s11, s[0:1], 0x18
	s_load_b128 s[4:7], s[0:1], 0xe8
	s_mov_b32 s8, s15
	s_mov_b32 s33, 0
	s_waitcnt lgkmcnt(0)
	s_abs_i32 s10, s11
	s_cmp_eq_u64 s[6:7], 0
	v_cvt_f32_u32_e32 v1, s10
	s_delay_alu instid0(VALU_DEP_1) | instskip(SKIP_2) | instid1(VALU_DEP_1)
	v_rcp_iflag_f32_e32 v1, v1
	s_waitcnt_depctr 0xfff
	v_mul_f32_e32 v1, 0x4f7ffffe, v1
	v_cvt_u32_f32_e32 v1, v1
	s_delay_alu instid0(VALU_DEP_1)
	v_readfirstlane_b32 s12, v1
	s_cbranch_scc1 .LBB3_2
; %bb.1:
	v_mov_b32_e32 v1, 0
	s_ashr_i32 s3, s14, 31
	s_add_u32 s2, s6, s14
	s_addc_u32 s3, s7, s3
	global_load_u8 v1, v1, s[2:3]
	s_waitcnt vmcnt(0)
	v_and_b32_e32 v1, 1, v1
	s_delay_alu instid0(VALU_DEP_1)
	v_cmp_eq_u32_e64 s33, 1, v1
.LBB3_2:
	s_load_b64 s[6:7], s[0:1], 0x20
	s_cmp_eq_u64 s[4:5], 0
	s_cbranch_scc1 .LBB3_4
; %bb.3:
	s_ashr_i32 s15, s14, 31
	s_delay_alu instid0(SALU_CYCLE_1) | instskip(NEXT) | instid1(SALU_CYCLE_1)
	s_lshl_b64 s[2:3], s[14:15], 2
	s_add_u32 s2, s4, s2
	s_addc_u32 s3, s5, s3
	s_load_b32 s2, s[2:3], 0x0
	s_waitcnt lgkmcnt(0)
	s_ashr_i32 s3, s2, 31
	s_delay_alu instid0(SALU_CYCLE_1)
	s_cmp_eq_u64 s[6:7], s[2:3]
	s_cbranch_scc0 .LBB3_5
	s_branch .LBB3_54
.LBB3_4:
	s_mov_b32 s2, s14
	s_delay_alu instid0(SALU_CYCLE_1)
	s_ashr_i32 s3, s2, 31
	s_waitcnt lgkmcnt(0)
	s_cmp_eq_u64 s[6:7], s[2:3]
	s_cbranch_scc1 .LBB3_54
.LBB3_5:
	s_clause 0x1
	s_load_b512 s[16:31], s[0:1], 0x88
	s_load_b64 s[34:35], s[0:1], 0x8
	s_mov_b32 s48, 0
	s_mov_b32 s49, 0
	s_waitcnt lgkmcnt(0)
	s_cmp_eq_u64 s[22:23], 0
	s_cbranch_scc1 .LBB3_7
; %bb.6:
	s_ashr_i32 s9, s8, 31
	s_delay_alu instid0(SALU_CYCLE_1) | instskip(NEXT) | instid1(SALU_CYCLE_1)
	s_lshl_b64 s[4:5], s[8:9], 2
	s_add_u32 s4, s22, s4
	s_addc_u32 s5, s23, s5
	s_load_b32 s49, s[4:5], 0x0
.LBB3_7:
	s_cmp_eq_u64 s[28:29], 0
	s_cbranch_scc1 .LBB3_9
; %bb.8:
	s_ashr_i32 s9, s8, 31
	s_delay_alu instid0(SALU_CYCLE_1) | instskip(NEXT) | instid1(SALU_CYCLE_1)
	s_lshl_b64 s[4:5], s[8:9], 2
	s_add_u32 s4, s28, s4
	s_addc_u32 s5, s29, s5
	s_load_b32 s48, s[4:5], 0x0
.LBB3_9:
	s_cmp_lt_i32 s34, 1
	s_cbranch_scc1 .LBB3_54
; %bb.10:
	s_sub_i32 s3, 0, s10
	s_clause 0x1
	s_load_b64 s[4:5], s[0:1], 0x5c
	s_load_b128 s[44:47], s[0:1], 0x4c
	s_mul_i32 s3, s3, s12
	s_abs_i32 s6, s8
	s_mul_hi_u32 s3, s12, s3
	s_ashr_i32 s9, s11, 31
	s_add_i32 s12, s12, s3
	s_ashr_i32 s3, s8, 31
	s_mul_hi_u32 s7, s6, s12
	s_xor_b32 s3, s3, s9
	s_mul_i32 s11, s7, s10
	s_add_i32 s9, s7, 1
	s_sub_i32 s6, s6, s11
	s_load_b256 s[36:43], s[0:1], 0x2c
	s_sub_i32 s11, s6, s10
	s_cmp_ge_u32 s6, s10
	s_mov_b32 s23, 0
	s_cselect_b32 s7, s9, s7
	s_cselect_b32 s6, s11, s6
	s_add_i32 s9, s7, 1
	s_cmp_ge_u32 s6, s10
	s_waitcnt lgkmcnt(0)
	s_mul_i32 s22, s46, s14
	s_cselect_b32 s6, s9, s7
	v_lshrrev_b32_e32 v1, 2, v0
	s_xor_b32 s9, s6, s3
	s_lshl_b64 s[6:7], s[22:23], 1
	s_sub_i32 s3, s9, s3
	s_mul_i32 s22, s47, s8
	s_add_u32 s9, s24, s6
	s_addc_u32 s10, s25, s7
	s_lshl_b64 s[6:7], s[22:23], 1
	s_mul_i32 s22, s4, s14
	s_add_u32 s28, s9, s6
	s_addc_u32 s29, s10, s7
	s_lshl_b64 s[6:7], s[22:23], 1
	;; [unrolled: 4-line block ×3, first 2 shown]
	s_load_b128 s[24:27], s[0:1], 0x7c
	s_mul_i32 s22, s36, s8
	s_add_u32 s46, s6, s4
	s_addc_u32 s47, s7, s5
	s_lshl_b64 s[4:5], s[22:23], 2
	s_mul_i32 s22, s38, s14
	s_load_b64 s[6:7], s[0:1], 0xc8
	s_add_u32 s36, s16, s4
	s_waitcnt lgkmcnt(0)
	s_addc_u32 s27, s17, s5
	s_lshl_b64 s[4:5], s[22:23], 1
	s_mul_i32 s22, s3, s41
	s_add_u32 s9, s18, s4
	s_addc_u32 s10, s19, s5
	s_lshl_b64 s[4:5], s[22:23], 1
	s_mul_i32 s22, s42, s14
	s_add_u32 s41, s9, s4
	s_load_b32 s9, s[0:1], 0x28
	s_addc_u32 s42, s10, s5
	s_load_b64 s[10:11], s[0:1], 0x6c
	s_lshl_b64 s[4:5], s[22:23], 1
	s_mul_i32 s22, s3, s45
	s_add_u32 s12, s20, s4
	s_addc_u32 s3, s21, s5
	s_lshl_b64 s[4:5], s[22:23], 1
	s_mul_i32 s22, s2, s24
	s_add_u32 s43, s12, s4
	s_addc_u32 s45, s3, s5
	;; [unrolled: 4-line block ×3, first 2 shown]
	s_lshl_b64 s[0:1], s[22:23], 1
	v_lshlrev_b32_e32 v3, 3, v0
	s_add_u32 s50, s2, s0
	s_addc_u32 s51, s3, s1
	s_add_i32 s0, s34, 0x7ff
	v_dual_mov_b32 v12, 0 :: v_dual_and_b32 v1, 8, v1
	s_lshr_b32 s52, s0, 11
	s_waitcnt lgkmcnt(0)
	s_bitcmp1_b32 s9, 0
	s_mul_i32 s22, s10, s14
	s_cselect_b32 s53, -1, 0
	s_cmp_gt_i32 s35, 0
	v_or_b32_e32 v2, 31, v0
	s_cselect_b32 s54, -1, 0
	s_and_b32 s1, s34, 0xff
	v_lshlrev_b32_e32 v13, 2, v0
	s_cmp_eq_u32 s1, 0
	v_cmp_gt_u32_e64 s0, 64, v0
	s_cselect_b32 s55, -1, 0
	s_lshl_b64 s[6:7], s[22:23], 1
	s_add_i32 s56, s52, -1
	s_mul_i32 s22, s11, s8
	s_add_u32 s9, s30, s6
	s_addc_u32 s8, s31, s7
	s_lshl_b64 s[6:7], s[22:23], 1
	v_cmp_eq_u32_e64 s1, v2, v0
	s_add_u32 s6, s9, s6
	s_addc_u32 s7, s8, s7
	v_add_co_u32 v16, s6, s6, v3
	v_add_nc_u32_e32 v14, 0, v1
	v_cmp_gt_u32_e64 s2, 2, v0
	v_add_nc_u32_e32 v15, 0, v3
	v_cmp_gt_u32_e64 s3, 32, v0
	v_cmp_lt_u32_e64 s4, 31, v0
	v_cmp_eq_u32_e64 s5, 0, v0
	v_add_co_ci_u32_e64 v17, null, s7, 0, s6
	v_or_b32_e32 v18, 1, v13
	v_or_b32_e32 v19, 2, v13
	v_or_b32_e32 v20, 3, v13
	v_lshlrev_b32_e32 v21, 3, v0
	v_mbcnt_lo_u32_b32 v22, -1, 0
	s_mov_b32 s57, 0x3e9b6dac
	s_add_i32 s58, 0, 0x430
	s_mov_b32 s59, 0
                                        ; implicit-def: $vgpr25
                                        ; implicit-def: $vgpr3
                                        ; implicit-def: $vgpr24
                                        ; implicit-def: $vgpr0
                                        ; implicit-def: $vgpr23
                                        ; implicit-def: $vgpr26
	s_branch .LBB3_12
.LBB3_11:                               ;   in Loop: Header=BB3_12 Depth=1
	v_bfe_u32 v4, v33, 16, 1
	v_bfe_u32 v5, v31, 16, 1
	s_delay_alu instid0(VALU_DEP_3)
	v_bfe_u32 v7, v32, 16, 1
	v_cmp_o_f32_e32 vcc_lo, v33, v33
	v_bfe_u32 v6, v30, 16, 1
	v_add3_u32 v4, v33, v4, 0x7fff
	v_add3_u32 v5, v31, v5, 0x7fff
	;; [unrolled: 1-line block ×3, first 2 shown]
	s_add_u32 s46, s46, 0x200
	v_add3_u32 v6, v30, v6, 0x7fff
	v_and_b32_e32 v4, 0xffff0000, v4
	v_lshrrev_b32_e32 v5, 16, v5
	v_and_b32_e32 v7, 0xffff0000, v7
	s_addc_u32 s47, s47, 0
	v_lshrrev_b32_e32 v6, 16, v6
	v_cndmask_b32_e32 v4, 0x7fc00000, v4, vcc_lo
	v_cmp_o_f32_e32 vcc_lo, v31, v31
	s_mov_b32 s21, s23
	s_add_u32 s28, s28, 0x200
	s_addc_u32 s29, s29, 0
	s_lshl_b64 s[6:7], s[20:21], 1
	v_cndmask_b32_e32 v5, 0x7fc0, v5, vcc_lo
	v_cmp_o_f32_e32 vcc_lo, v32, v32
	s_add_u32 s41, s41, 0x200
	s_addc_u32 s42, s42, 0
	s_add_u32 s43, s43, 0x200
	v_or_b32_e32 v4, v4, v5
	v_cndmask_b32_e32 v7, 0x7fc00000, v7, vcc_lo
	v_cmp_o_f32_e32 vcc_lo, v30, v30
	s_addc_u32 s45, s45, 0
	s_add_i32 s59, s59, 1
	v_or3_b32 v4, v4, 0, 0
	s_cmp_eq_u32 s59, s52
	v_cndmask_b32_e32 v6, 0x7fc0, v6, vcc_lo
	s_waitcnt_vscnt null, 0x0
	s_barrier
	buffer_gl0_inv
	v_or3_b32 v5, 0, v6, v7
	v_add_co_u32 v6, vcc_lo, v16, s6
	v_add_co_ci_u32_e32 v7, vcc_lo, s7, v17, vcc_lo
	global_store_b64 v[6:7], v[4:5], off
	s_cbranch_scc1 .LBB3_54
.LBB3_12:                               ; =>This Loop Header: Depth=1
                                        ;     Child Loop BB3_25 Depth 2
	s_waitcnt_vscnt null, 0x0
	s_barrier
	buffer_gl0_inv
	s_and_saveexec_b32 s6, s0
	s_cbranch_execz .LBB3_14
; %bb.13:                               ;   in Loop: Header=BB3_12 Depth=1
	s_clause 0x1
	global_load_b64 v[0:1], v21, s[28:29]
	global_load_b64 v[2:3], v21, s[46:47]
	s_waitcnt vmcnt(1)
	v_lshrrev_b32_e32 v23, 16, v0
	v_lshrrev_b32_e32 v26, 16, v1
	s_waitcnt vmcnt(0)
	v_lshrrev_b32_e32 v24, 16, v2
	v_lshrrev_b32_e32 v25, 16, v3
.LBB3_14:                               ;   in Loop: Header=BB3_12 Depth=1
	s_or_b32 exec_lo, exec_lo, s6
	v_lshlrev_b32_e32 v4, 16, v2
	s_delay_alu instid0(VALU_DEP_1) | instskip(NEXT) | instid1(VALU_DEP_1)
	v_add_f32_e32 v27, s48, v4
	v_cmp_ge_f32_e32 vcc_lo, 0x41a00000, v27
	s_and_b32 s6, s53, vcc_lo
	s_delay_alu instid0(SALU_CYCLE_1)
	s_and_saveexec_b32 s7, s6
	s_cbranch_execz .LBB3_16
; %bb.15:                               ;   in Loop: Header=BB3_12 Depth=1
	v_mul_f32_e32 v4, 0x3fb8aa3b, v27
	v_cmp_ngt_f32_e32 vcc_lo, 0xc2ce8ed0, v27
	s_delay_alu instid0(VALU_DEP_2) | instskip(SKIP_1) | instid1(VALU_DEP_2)
	v_rndne_f32_e32 v5, v4
	v_fma_f32 v6, 0x3fb8aa3b, v27, -v4
	v_sub_f32_e32 v4, v4, v5
	s_delay_alu instid0(VALU_DEP_2) | instskip(SKIP_1) | instid1(VALU_DEP_2)
	v_fmac_f32_e32 v6, 0x32a5705f, v27
	v_cvt_i32_f32_e32 v5, v5
	v_add_f32_e32 v4, v4, v6
	s_delay_alu instid0(VALU_DEP_1) | instskip(SKIP_2) | instid1(VALU_DEP_1)
	v_exp_f32_e32 v4, v4
	s_waitcnt_depctr 0xfff
	v_ldexp_f32 v4, v4, v5
	v_cndmask_b32_e32 v4, 0, v4, vcc_lo
	v_cmp_nlt_f32_e32 vcc_lo, 0x42b17218, v27
	s_delay_alu instid0(VALU_DEP_2) | instskip(NEXT) | instid1(VALU_DEP_1)
	v_cndmask_b32_e32 v6, 0x7f800000, v4, vcc_lo
	v_add_f32_e32 v7, 1.0, v6
	s_delay_alu instid0(VALU_DEP_1) | instskip(NEXT) | instid1(VALU_DEP_1)
	v_cvt_f64_f32_e32 v[4:5], v7
	v_frexp_exp_i32_f64_e32 v4, v[4:5]
	v_frexp_mant_f32_e32 v5, v7
	s_delay_alu instid0(VALU_DEP_1) | instskip(SKIP_1) | instid1(VALU_DEP_1)
	v_cmp_gt_f32_e32 vcc_lo, 0x3f2aaaab, v5
	v_add_f32_e32 v5, -1.0, v7
	v_sub_f32_e32 v9, v5, v7
	v_sub_f32_e32 v5, v6, v5
	s_delay_alu instid0(VALU_DEP_2) | instskip(NEXT) | instid1(VALU_DEP_1)
	v_add_f32_e32 v9, 1.0, v9
	v_add_f32_e32 v5, v5, v9
	v_cmp_gt_f32_e64 s6, 0x33800000, v6
	v_subrev_co_ci_u32_e32 v4, vcc_lo, 0, v4, vcc_lo
	v_cmp_eq_f32_e32 vcc_lo, 0x7f800000, v6
	s_delay_alu instid0(VALU_DEP_2) | instskip(SKIP_2) | instid1(VALU_DEP_2)
	v_sub_nc_u32_e32 v8, 0, v4
	v_cvt_f32_i32_e32 v4, v4
	s_or_b32 vcc_lo, s6, vcc_lo
	v_ldexp_f32 v7, v7, v8
	v_ldexp_f32 v5, v5, v8
	s_delay_alu instid0(VALU_DEP_2) | instskip(NEXT) | instid1(VALU_DEP_1)
	v_add_f32_e32 v10, 1.0, v7
	v_dual_add_f32 v8, -1.0, v7 :: v_dual_add_f32 v9, -1.0, v10
	s_delay_alu instid0(VALU_DEP_1) | instskip(NEXT) | instid1(VALU_DEP_2)
	v_add_f32_e32 v11, 1.0, v8
	v_sub_f32_e32 v9, v7, v9
	s_delay_alu instid0(VALU_DEP_2) | instskip(NEXT) | instid1(VALU_DEP_2)
	v_sub_f32_e32 v7, v7, v11
	v_add_f32_e32 v9, v5, v9
	s_delay_alu instid0(VALU_DEP_2) | instskip(NEXT) | instid1(VALU_DEP_2)
	v_add_f32_e32 v5, v5, v7
	v_add_f32_e32 v11, v10, v9
	s_delay_alu instid0(VALU_DEP_1) | instskip(NEXT) | instid1(VALU_DEP_2)
	v_rcp_f32_e32 v7, v11
	v_dual_add_f32 v27, v8, v5 :: v_dual_sub_f32 v10, v10, v11
	s_delay_alu instid0(VALU_DEP_1) | instskip(SKIP_2) | instid1(VALU_DEP_1)
	v_dual_sub_f32 v8, v8, v27 :: v_dual_add_f32 v9, v9, v10
	s_waitcnt_depctr 0xfff
	v_dual_mul_f32 v28, v27, v7 :: v_dual_add_f32 v5, v5, v8
	v_mul_f32_e32 v29, v11, v28
	s_delay_alu instid0(VALU_DEP_1) | instskip(NEXT) | instid1(VALU_DEP_1)
	v_fma_f32 v10, v28, v11, -v29
	v_fmac_f32_e32 v10, v28, v9
	s_delay_alu instid0(VALU_DEP_1) | instskip(NEXT) | instid1(VALU_DEP_1)
	v_add_f32_e32 v30, v29, v10
	v_dual_sub_f32 v31, v27, v30 :: v_dual_sub_f32 v8, v30, v29
	s_delay_alu instid0(VALU_DEP_1) | instskip(NEXT) | instid1(VALU_DEP_1)
	v_dual_sub_f32 v27, v27, v31 :: v_dual_sub_f32 v8, v8, v10
	v_sub_f32_e32 v27, v27, v30
	s_delay_alu instid0(VALU_DEP_1) | instskip(NEXT) | instid1(VALU_DEP_1)
	v_add_f32_e32 v5, v5, v27
	v_add_f32_e32 v5, v8, v5
	s_delay_alu instid0(VALU_DEP_1) | instskip(NEXT) | instid1(VALU_DEP_1)
	v_add_f32_e32 v8, v31, v5
	v_mul_f32_e32 v10, v7, v8
	v_sub_f32_e32 v30, v31, v8
	s_delay_alu instid0(VALU_DEP_2) | instskip(NEXT) | instid1(VALU_DEP_2)
	v_mul_f32_e32 v27, v11, v10
	v_add_f32_e32 v5, v5, v30
	s_delay_alu instid0(VALU_DEP_2) | instskip(NEXT) | instid1(VALU_DEP_1)
	v_fma_f32 v11, v10, v11, -v27
	v_fmac_f32_e32 v11, v10, v9
	s_delay_alu instid0(VALU_DEP_1) | instskip(NEXT) | instid1(VALU_DEP_1)
	v_add_f32_e32 v9, v27, v11
	v_sub_f32_e32 v29, v8, v9
	s_delay_alu instid0(VALU_DEP_1) | instskip(NEXT) | instid1(VALU_DEP_1)
	v_dual_sub_f32 v27, v9, v27 :: v_dual_sub_f32 v8, v8, v29
	v_sub_f32_e32 v8, v8, v9
	s_delay_alu instid0(VALU_DEP_1) | instskip(NEXT) | instid1(VALU_DEP_3)
	v_dual_add_f32 v5, v5, v8 :: v_dual_add_f32 v8, v28, v10
	v_sub_f32_e32 v9, v27, v11
	s_delay_alu instid0(VALU_DEP_1) | instskip(NEXT) | instid1(VALU_DEP_3)
	v_add_f32_e32 v5, v9, v5
	v_sub_f32_e32 v9, v8, v28
	s_delay_alu instid0(VALU_DEP_2) | instskip(NEXT) | instid1(VALU_DEP_2)
	v_add_f32_e32 v5, v29, v5
	v_sub_f32_e32 v9, v10, v9
	s_delay_alu instid0(VALU_DEP_2) | instskip(NEXT) | instid1(VALU_DEP_1)
	v_mul_f32_e32 v5, v7, v5
	v_add_f32_e32 v5, v9, v5
	s_delay_alu instid0(VALU_DEP_1) | instskip(NEXT) | instid1(VALU_DEP_1)
	v_add_f32_e32 v7, v8, v5
	v_mul_f32_e32 v9, v7, v7
	s_delay_alu instid0(VALU_DEP_1) | instskip(SKIP_1) | instid1(VALU_DEP_2)
	v_fmaak_f32 v10, s57, v9, 0x3ecc95a3
	v_mul_f32_e32 v11, v7, v9
	v_fmaak_f32 v9, v9, v10, 0x3f2aaada
	v_ldexp_f32 v10, v7, 1
	v_sub_f32_e32 v7, v7, v8
	s_delay_alu instid0(VALU_DEP_3) | instskip(SKIP_1) | instid1(VALU_DEP_2)
	v_mul_f32_e32 v9, v11, v9
	v_mul_f32_e32 v11, 0x3f317218, v4
	v_dual_sub_f32 v5, v5, v7 :: v_dual_add_f32 v8, v10, v9
	s_delay_alu instid0(VALU_DEP_1) | instskip(NEXT) | instid1(VALU_DEP_2)
	v_ldexp_f32 v5, v5, 1
	v_sub_f32_e32 v7, v8, v10
	s_delay_alu instid0(VALU_DEP_4) | instskip(NEXT) | instid1(VALU_DEP_1)
	v_fma_f32 v10, 0x3f317218, v4, -v11
	v_dual_sub_f32 v7, v9, v7 :: v_dual_fmac_f32 v10, 0xb102e308, v4
	s_delay_alu instid0(VALU_DEP_1) | instskip(NEXT) | instid1(VALU_DEP_1)
	v_dual_add_f32 v4, v5, v7 :: v_dual_add_f32 v5, v11, v10
	v_add_f32_e32 v7, v8, v4
	s_delay_alu instid0(VALU_DEP_2) | instskip(NEXT) | instid1(VALU_DEP_2)
	v_sub_f32_e32 v11, v5, v11
	v_dual_add_f32 v9, v5, v7 :: v_dual_sub_f32 v8, v7, v8
	s_delay_alu instid0(VALU_DEP_1) | instskip(NEXT) | instid1(VALU_DEP_2)
	v_dual_sub_f32 v10, v10, v11 :: v_dual_sub_f32 v27, v9, v5
	v_sub_f32_e32 v4, v4, v8
	s_delay_alu instid0(VALU_DEP_2) | instskip(NEXT) | instid1(VALU_DEP_2)
	v_sub_f32_e32 v28, v9, v27
	v_dual_sub_f32 v7, v7, v27 :: v_dual_add_f32 v8, v10, v4
	s_delay_alu instid0(VALU_DEP_2) | instskip(NEXT) | instid1(VALU_DEP_1)
	v_sub_f32_e32 v5, v5, v28
	v_add_f32_e32 v5, v7, v5
	s_delay_alu instid0(VALU_DEP_3) | instskip(NEXT) | instid1(VALU_DEP_2)
	v_sub_f32_e32 v7, v8, v10
	v_add_f32_e32 v5, v8, v5
	s_delay_alu instid0(VALU_DEP_2) | instskip(NEXT) | instid1(VALU_DEP_2)
	v_sub_f32_e32 v8, v8, v7
	v_dual_sub_f32 v4, v4, v7 :: v_dual_add_f32 v11, v9, v5
	s_delay_alu instid0(VALU_DEP_1) | instskip(NEXT) | instid1(VALU_DEP_1)
	v_dual_sub_f32 v8, v10, v8 :: v_dual_sub_f32 v7, v11, v9
	v_dual_add_f32 v4, v4, v8 :: v_dual_sub_f32 v5, v5, v7
	s_delay_alu instid0(VALU_DEP_1) | instskip(NEXT) | instid1(VALU_DEP_1)
	v_add_f32_e32 v4, v4, v5
	v_add_f32_e32 v4, v11, v4
	s_delay_alu instid0(VALU_DEP_1)
	v_cndmask_b32_e32 v27, v4, v6, vcc_lo
.LBB3_16:                               ;   in Loop: Header=BB3_12 Depth=1
	s_or_b32 exec_lo, exec_lo, s7
	v_lshlrev_b32_e32 v4, 16, v24
	s_delay_alu instid0(VALU_DEP_1) | instskip(NEXT) | instid1(VALU_DEP_1)
	v_add_f32_e32 v28, s48, v4
	v_cmp_ge_f32_e32 vcc_lo, 0x41a00000, v28
	s_and_b32 s6, s53, vcc_lo
	s_delay_alu instid0(SALU_CYCLE_1)
	s_and_saveexec_b32 s7, s6
	s_cbranch_execz .LBB3_18
; %bb.17:                               ;   in Loop: Header=BB3_12 Depth=1
	v_mul_f32_e32 v4, 0x3fb8aa3b, v28
	v_cmp_ngt_f32_e32 vcc_lo, 0xc2ce8ed0, v28
	s_delay_alu instid0(VALU_DEP_2) | instskip(SKIP_1) | instid1(VALU_DEP_2)
	v_rndne_f32_e32 v5, v4
	v_fma_f32 v6, 0x3fb8aa3b, v28, -v4
	v_sub_f32_e32 v4, v4, v5
	s_delay_alu instid0(VALU_DEP_2) | instskip(SKIP_1) | instid1(VALU_DEP_2)
	v_fmac_f32_e32 v6, 0x32a5705f, v28
	v_cvt_i32_f32_e32 v5, v5
	v_add_f32_e32 v4, v4, v6
	s_delay_alu instid0(VALU_DEP_1) | instskip(SKIP_2) | instid1(VALU_DEP_1)
	v_exp_f32_e32 v4, v4
	s_waitcnt_depctr 0xfff
	v_ldexp_f32 v4, v4, v5
	v_cndmask_b32_e32 v4, 0, v4, vcc_lo
	v_cmp_nlt_f32_e32 vcc_lo, 0x42b17218, v28
	s_delay_alu instid0(VALU_DEP_2) | instskip(NEXT) | instid1(VALU_DEP_1)
	v_cndmask_b32_e32 v6, 0x7f800000, v4, vcc_lo
	v_add_f32_e32 v7, 1.0, v6
	s_delay_alu instid0(VALU_DEP_1) | instskip(NEXT) | instid1(VALU_DEP_1)
	v_cvt_f64_f32_e32 v[4:5], v7
	v_frexp_exp_i32_f64_e32 v4, v[4:5]
	v_frexp_mant_f32_e32 v5, v7
	s_delay_alu instid0(VALU_DEP_1) | instskip(SKIP_1) | instid1(VALU_DEP_1)
	v_cmp_gt_f32_e32 vcc_lo, 0x3f2aaaab, v5
	v_add_f32_e32 v5, -1.0, v7
	v_sub_f32_e32 v9, v5, v7
	v_sub_f32_e32 v5, v6, v5
	s_delay_alu instid0(VALU_DEP_2) | instskip(NEXT) | instid1(VALU_DEP_1)
	v_add_f32_e32 v9, 1.0, v9
	v_add_f32_e32 v5, v5, v9
	v_cmp_gt_f32_e64 s6, 0x33800000, v6
	v_subrev_co_ci_u32_e32 v4, vcc_lo, 0, v4, vcc_lo
	v_cmp_eq_f32_e32 vcc_lo, 0x7f800000, v6
	s_delay_alu instid0(VALU_DEP_2) | instskip(SKIP_2) | instid1(VALU_DEP_2)
	v_sub_nc_u32_e32 v8, 0, v4
	v_cvt_f32_i32_e32 v4, v4
	s_or_b32 vcc_lo, s6, vcc_lo
	v_ldexp_f32 v7, v7, v8
	v_ldexp_f32 v5, v5, v8
	s_delay_alu instid0(VALU_DEP_2) | instskip(NEXT) | instid1(VALU_DEP_1)
	v_add_f32_e32 v10, 1.0, v7
	v_dual_add_f32 v8, -1.0, v7 :: v_dual_add_f32 v9, -1.0, v10
	s_delay_alu instid0(VALU_DEP_1) | instskip(NEXT) | instid1(VALU_DEP_2)
	v_add_f32_e32 v11, 1.0, v8
	v_sub_f32_e32 v9, v7, v9
	s_delay_alu instid0(VALU_DEP_2) | instskip(NEXT) | instid1(VALU_DEP_2)
	v_sub_f32_e32 v7, v7, v11
	v_add_f32_e32 v9, v5, v9
	s_delay_alu instid0(VALU_DEP_2) | instskip(NEXT) | instid1(VALU_DEP_1)
	v_add_f32_e32 v5, v5, v7
	v_add_f32_e32 v28, v8, v5
	s_delay_alu instid0(VALU_DEP_1) | instskip(NEXT) | instid1(VALU_DEP_1)
	v_dual_add_f32 v11, v10, v9 :: v_dual_sub_f32 v8, v8, v28
	v_rcp_f32_e32 v7, v11
	v_sub_f32_e32 v10, v10, v11
	s_delay_alu instid0(VALU_DEP_1) | instskip(SKIP_2) | instid1(VALU_DEP_1)
	v_add_f32_e32 v9, v9, v10
	s_waitcnt_depctr 0xfff
	v_mul_f32_e32 v29, v28, v7
	v_mul_f32_e32 v30, v11, v29
	s_delay_alu instid0(VALU_DEP_1) | instskip(NEXT) | instid1(VALU_DEP_1)
	v_fma_f32 v10, v29, v11, -v30
	v_fmac_f32_e32 v10, v29, v9
	s_delay_alu instid0(VALU_DEP_1) | instskip(NEXT) | instid1(VALU_DEP_1)
	v_add_f32_e32 v31, v30, v10
	v_sub_f32_e32 v32, v28, v31
	s_delay_alu instid0(VALU_DEP_1) | instskip(SKIP_1) | instid1(VALU_DEP_2)
	v_sub_f32_e32 v28, v28, v32
	v_dual_add_f32 v5, v5, v8 :: v_dual_sub_f32 v8, v31, v30
	v_sub_f32_e32 v28, v28, v31
	s_delay_alu instid0(VALU_DEP_1) | instskip(NEXT) | instid1(VALU_DEP_1)
	v_dual_sub_f32 v8, v8, v10 :: v_dual_add_f32 v5, v5, v28
	v_add_f32_e32 v5, v8, v5
	s_delay_alu instid0(VALU_DEP_1) | instskip(NEXT) | instid1(VALU_DEP_1)
	v_add_f32_e32 v8, v32, v5
	v_mul_f32_e32 v10, v7, v8
	s_delay_alu instid0(VALU_DEP_1) | instskip(NEXT) | instid1(VALU_DEP_1)
	v_dual_sub_f32 v31, v32, v8 :: v_dual_mul_f32 v28, v11, v10
	v_add_f32_e32 v5, v5, v31
	s_delay_alu instid0(VALU_DEP_2) | instskip(NEXT) | instid1(VALU_DEP_1)
	v_fma_f32 v11, v10, v11, -v28
	v_fmac_f32_e32 v11, v10, v9
	s_delay_alu instid0(VALU_DEP_1) | instskip(NEXT) | instid1(VALU_DEP_1)
	v_add_f32_e32 v9, v28, v11
	v_sub_f32_e32 v30, v8, v9
	s_delay_alu instid0(VALU_DEP_1) | instskip(NEXT) | instid1(VALU_DEP_1)
	v_sub_f32_e32 v8, v8, v30
	v_sub_f32_e32 v8, v8, v9
	s_delay_alu instid0(VALU_DEP_1) | instskip(SKIP_2) | instid1(VALU_DEP_1)
	v_add_f32_e32 v5, v5, v8
	v_add_f32_e32 v8, v29, v10
	v_sub_f32_e32 v28, v9, v28
	v_sub_f32_e32 v9, v28, v11
	s_delay_alu instid0(VALU_DEP_1) | instskip(NEXT) | instid1(VALU_DEP_4)
	v_add_f32_e32 v5, v9, v5
	v_sub_f32_e32 v9, v8, v29
	s_delay_alu instid0(VALU_DEP_2) | instskip(NEXT) | instid1(VALU_DEP_2)
	v_add_f32_e32 v5, v30, v5
	v_sub_f32_e32 v9, v10, v9
	s_delay_alu instid0(VALU_DEP_2) | instskip(NEXT) | instid1(VALU_DEP_1)
	v_mul_f32_e32 v5, v7, v5
	v_add_f32_e32 v5, v9, v5
	s_delay_alu instid0(VALU_DEP_1) | instskip(NEXT) | instid1(VALU_DEP_1)
	v_add_f32_e32 v7, v8, v5
	v_mul_f32_e32 v9, v7, v7
	s_delay_alu instid0(VALU_DEP_1) | instskip(SKIP_1) | instid1(VALU_DEP_2)
	v_fmaak_f32 v10, s57, v9, 0x3ecc95a3
	v_mul_f32_e32 v11, v7, v9
	v_fmaak_f32 v9, v9, v10, 0x3f2aaada
	v_ldexp_f32 v10, v7, 1
	s_delay_alu instid0(VALU_DEP_2) | instskip(SKIP_1) | instid1(VALU_DEP_2)
	v_mul_f32_e32 v9, v11, v9
	v_sub_f32_e32 v7, v7, v8
	v_dual_mul_f32 v11, 0x3f317218, v4 :: v_dual_add_f32 v8, v10, v9
	s_delay_alu instid0(VALU_DEP_2) | instskip(NEXT) | instid1(VALU_DEP_2)
	v_sub_f32_e32 v5, v5, v7
	v_sub_f32_e32 v7, v8, v10
	s_delay_alu instid0(VALU_DEP_3) | instskip(NEXT) | instid1(VALU_DEP_3)
	v_fma_f32 v10, 0x3f317218, v4, -v11
	v_ldexp_f32 v5, v5, 1
	s_delay_alu instid0(VALU_DEP_2) | instskip(NEXT) | instid1(VALU_DEP_1)
	v_dual_sub_f32 v7, v9, v7 :: v_dual_fmac_f32 v10, 0xb102e308, v4
	v_dual_add_f32 v4, v5, v7 :: v_dual_add_f32 v5, v11, v10
	s_delay_alu instid0(VALU_DEP_1) | instskip(NEXT) | instid1(VALU_DEP_1)
	v_add_f32_e32 v7, v8, v4
	v_dual_add_f32 v9, v5, v7 :: v_dual_sub_f32 v8, v7, v8
	s_delay_alu instid0(VALU_DEP_1) | instskip(NEXT) | instid1(VALU_DEP_2)
	v_sub_f32_e32 v28, v9, v5
	v_dual_sub_f32 v11, v5, v11 :: v_dual_sub_f32 v4, v4, v8
	s_delay_alu instid0(VALU_DEP_1) | instskip(SKIP_1) | instid1(VALU_DEP_2)
	v_dual_sub_f32 v29, v9, v28 :: v_dual_sub_f32 v10, v10, v11
	v_sub_f32_e32 v7, v7, v28
	v_dual_sub_f32 v5, v5, v29 :: v_dual_add_f32 v8, v10, v4
	s_delay_alu instid0(VALU_DEP_1) | instskip(NEXT) | instid1(VALU_DEP_2)
	v_add_f32_e32 v5, v7, v5
	v_sub_f32_e32 v7, v8, v10
	s_delay_alu instid0(VALU_DEP_2) | instskip(NEXT) | instid1(VALU_DEP_2)
	v_add_f32_e32 v5, v8, v5
	v_sub_f32_e32 v8, v8, v7
	s_delay_alu instid0(VALU_DEP_2) | instskip(NEXT) | instid1(VALU_DEP_1)
	v_dual_sub_f32 v4, v4, v7 :: v_dual_add_f32 v11, v9, v5
	v_dual_sub_f32 v8, v10, v8 :: v_dual_sub_f32 v7, v11, v9
	s_delay_alu instid0(VALU_DEP_1) | instskip(NEXT) | instid1(VALU_DEP_1)
	v_dual_add_f32 v4, v4, v8 :: v_dual_sub_f32 v5, v5, v7
	v_add_f32_e32 v4, v4, v5
	s_delay_alu instid0(VALU_DEP_1) | instskip(NEXT) | instid1(VALU_DEP_1)
	v_add_f32_e32 v4, v11, v4
	v_cndmask_b32_e32 v28, v4, v6, vcc_lo
.LBB3_18:                               ;   in Loop: Header=BB3_12 Depth=1
	s_or_b32 exec_lo, exec_lo, s7
	v_lshlrev_b32_e32 v4, 16, v3
	s_delay_alu instid0(VALU_DEP_1) | instskip(NEXT) | instid1(VALU_DEP_1)
	v_add_f32_e32 v29, s48, v4
	v_cmp_ge_f32_e32 vcc_lo, 0x41a00000, v29
	s_and_b32 s6, s53, vcc_lo
	s_delay_alu instid0(SALU_CYCLE_1)
	s_and_saveexec_b32 s7, s6
	s_cbranch_execz .LBB3_20
; %bb.19:                               ;   in Loop: Header=BB3_12 Depth=1
	v_mul_f32_e32 v4, 0x3fb8aa3b, v29
	v_cmp_ngt_f32_e32 vcc_lo, 0xc2ce8ed0, v29
	s_delay_alu instid0(VALU_DEP_2) | instskip(SKIP_1) | instid1(VALU_DEP_2)
	v_rndne_f32_e32 v5, v4
	v_fma_f32 v6, 0x3fb8aa3b, v29, -v4
	v_sub_f32_e32 v4, v4, v5
	s_delay_alu instid0(VALU_DEP_2) | instskip(SKIP_1) | instid1(VALU_DEP_2)
	v_fmac_f32_e32 v6, 0x32a5705f, v29
	v_cvt_i32_f32_e32 v5, v5
	v_add_f32_e32 v4, v4, v6
	s_delay_alu instid0(VALU_DEP_1) | instskip(SKIP_2) | instid1(VALU_DEP_1)
	v_exp_f32_e32 v4, v4
	s_waitcnt_depctr 0xfff
	v_ldexp_f32 v4, v4, v5
	v_cndmask_b32_e32 v4, 0, v4, vcc_lo
	v_cmp_nlt_f32_e32 vcc_lo, 0x42b17218, v29
	s_delay_alu instid0(VALU_DEP_2) | instskip(NEXT) | instid1(VALU_DEP_1)
	v_cndmask_b32_e32 v6, 0x7f800000, v4, vcc_lo
	v_add_f32_e32 v7, 1.0, v6
	s_delay_alu instid0(VALU_DEP_1) | instskip(NEXT) | instid1(VALU_DEP_1)
	v_cvt_f64_f32_e32 v[4:5], v7
	v_frexp_exp_i32_f64_e32 v4, v[4:5]
	v_frexp_mant_f32_e32 v5, v7
	s_delay_alu instid0(VALU_DEP_1) | instskip(SKIP_1) | instid1(VALU_DEP_1)
	v_cmp_gt_f32_e32 vcc_lo, 0x3f2aaaab, v5
	v_add_f32_e32 v5, -1.0, v7
	v_sub_f32_e32 v9, v5, v7
	v_sub_f32_e32 v5, v6, v5
	s_delay_alu instid0(VALU_DEP_2) | instskip(NEXT) | instid1(VALU_DEP_1)
	v_add_f32_e32 v9, 1.0, v9
	v_add_f32_e32 v5, v5, v9
	v_cmp_gt_f32_e64 s6, 0x33800000, v6
	v_subrev_co_ci_u32_e32 v4, vcc_lo, 0, v4, vcc_lo
	v_cmp_eq_f32_e32 vcc_lo, 0x7f800000, v6
	s_delay_alu instid0(VALU_DEP_2) | instskip(SKIP_2) | instid1(VALU_DEP_2)
	v_sub_nc_u32_e32 v8, 0, v4
	v_cvt_f32_i32_e32 v4, v4
	s_or_b32 vcc_lo, s6, vcc_lo
	v_ldexp_f32 v7, v7, v8
	v_ldexp_f32 v5, v5, v8
	s_delay_alu instid0(VALU_DEP_2) | instskip(NEXT) | instid1(VALU_DEP_1)
	v_add_f32_e32 v10, 1.0, v7
	v_dual_add_f32 v8, -1.0, v7 :: v_dual_add_f32 v9, -1.0, v10
	s_delay_alu instid0(VALU_DEP_1) | instskip(NEXT) | instid1(VALU_DEP_2)
	v_add_f32_e32 v11, 1.0, v8
	v_sub_f32_e32 v9, v7, v9
	s_delay_alu instid0(VALU_DEP_2) | instskip(NEXT) | instid1(VALU_DEP_2)
	v_sub_f32_e32 v7, v7, v11
	v_add_f32_e32 v9, v5, v9
	s_delay_alu instid0(VALU_DEP_2) | instskip(NEXT) | instid1(VALU_DEP_2)
	v_add_f32_e32 v5, v5, v7
	v_add_f32_e32 v11, v10, v9
	s_delay_alu instid0(VALU_DEP_1) | instskip(NEXT) | instid1(VALU_DEP_2)
	v_rcp_f32_e32 v7, v11
	v_dual_add_f32 v29, v8, v5 :: v_dual_sub_f32 v10, v10, v11
	s_delay_alu instid0(VALU_DEP_1) | instskip(SKIP_3) | instid1(VALU_DEP_2)
	v_sub_f32_e32 v8, v8, v29
	s_waitcnt_depctr 0xfff
	v_mul_f32_e32 v30, v29, v7
	v_add_f32_e32 v5, v5, v8
	v_mul_f32_e32 v31, v11, v30
	v_add_f32_e32 v9, v9, v10
	s_delay_alu instid0(VALU_DEP_2) | instskip(NEXT) | instid1(VALU_DEP_1)
	v_fma_f32 v10, v30, v11, -v31
	v_fmac_f32_e32 v10, v30, v9
	s_delay_alu instid0(VALU_DEP_1) | instskip(NEXT) | instid1(VALU_DEP_1)
	v_add_f32_e32 v32, v31, v10
	v_dual_sub_f32 v8, v32, v31 :: v_dual_sub_f32 v33, v29, v32
	s_delay_alu instid0(VALU_DEP_1) | instskip(NEXT) | instid1(VALU_DEP_1)
	v_dual_sub_f32 v8, v8, v10 :: v_dual_sub_f32 v29, v29, v33
	v_sub_f32_e32 v29, v29, v32
	s_delay_alu instid0(VALU_DEP_1) | instskip(NEXT) | instid1(VALU_DEP_1)
	v_add_f32_e32 v5, v5, v29
	v_add_f32_e32 v5, v8, v5
	s_delay_alu instid0(VALU_DEP_1) | instskip(NEXT) | instid1(VALU_DEP_1)
	v_add_f32_e32 v8, v33, v5
	v_sub_f32_e32 v32, v33, v8
	v_mul_f32_e32 v10, v7, v8
	s_delay_alu instid0(VALU_DEP_2) | instskip(NEXT) | instid1(VALU_DEP_2)
	v_add_f32_e32 v5, v5, v32
	v_mul_f32_e32 v29, v11, v10
	s_delay_alu instid0(VALU_DEP_1) | instskip(NEXT) | instid1(VALU_DEP_1)
	v_fma_f32 v11, v10, v11, -v29
	v_fmac_f32_e32 v11, v10, v9
	s_delay_alu instid0(VALU_DEP_1) | instskip(NEXT) | instid1(VALU_DEP_1)
	v_add_f32_e32 v9, v29, v11
	v_sub_f32_e32 v31, v8, v9
	s_delay_alu instid0(VALU_DEP_1) | instskip(NEXT) | instid1(VALU_DEP_1)
	v_dual_sub_f32 v29, v9, v29 :: v_dual_sub_f32 v8, v8, v31
	v_dual_sub_f32 v8, v8, v9 :: v_dual_sub_f32 v9, v29, v11
	s_delay_alu instid0(VALU_DEP_1) | instskip(NEXT) | instid1(VALU_DEP_1)
	v_dual_add_f32 v5, v5, v8 :: v_dual_add_f32 v8, v30, v10
	v_add_f32_e32 v5, v9, v5
	s_delay_alu instid0(VALU_DEP_2) | instskip(NEXT) | instid1(VALU_DEP_2)
	v_sub_f32_e32 v9, v8, v30
	v_add_f32_e32 v5, v31, v5
	s_delay_alu instid0(VALU_DEP_2) | instskip(NEXT) | instid1(VALU_DEP_2)
	v_sub_f32_e32 v9, v10, v9
	v_mul_f32_e32 v5, v7, v5
	s_delay_alu instid0(VALU_DEP_1) | instskip(NEXT) | instid1(VALU_DEP_1)
	v_add_f32_e32 v5, v9, v5
	v_add_f32_e32 v7, v8, v5
	s_delay_alu instid0(VALU_DEP_1) | instskip(NEXT) | instid1(VALU_DEP_1)
	v_mul_f32_e32 v9, v7, v7
	v_fmaak_f32 v10, s57, v9, 0x3ecc95a3
	v_mul_f32_e32 v11, v7, v9
	s_delay_alu instid0(VALU_DEP_2) | instskip(SKIP_2) | instid1(VALU_DEP_3)
	v_fmaak_f32 v9, v9, v10, 0x3f2aaada
	v_ldexp_f32 v10, v7, 1
	v_sub_f32_e32 v7, v7, v8
	v_mul_f32_e32 v9, v11, v9
	v_mul_f32_e32 v11, 0x3f317218, v4
	s_delay_alu instid0(VALU_DEP_2) | instskip(NEXT) | instid1(VALU_DEP_1)
	v_dual_sub_f32 v5, v5, v7 :: v_dual_add_f32 v8, v10, v9
	v_ldexp_f32 v5, v5, 1
	s_delay_alu instid0(VALU_DEP_2) | instskip(NEXT) | instid1(VALU_DEP_4)
	v_sub_f32_e32 v7, v8, v10
	v_fma_f32 v10, 0x3f317218, v4, -v11
	s_delay_alu instid0(VALU_DEP_1) | instskip(NEXT) | instid1(VALU_DEP_1)
	v_dual_sub_f32 v7, v9, v7 :: v_dual_fmac_f32 v10, 0xb102e308, v4
	v_dual_add_f32 v4, v5, v7 :: v_dual_add_f32 v5, v11, v10
	s_delay_alu instid0(VALU_DEP_1) | instskip(NEXT) | instid1(VALU_DEP_2)
	v_add_f32_e32 v7, v8, v4
	v_sub_f32_e32 v11, v5, v11
	s_delay_alu instid0(VALU_DEP_2) | instskip(NEXT) | instid1(VALU_DEP_1)
	v_dual_add_f32 v9, v5, v7 :: v_dual_sub_f32 v8, v7, v8
	v_dual_sub_f32 v10, v10, v11 :: v_dual_sub_f32 v29, v9, v5
	s_delay_alu instid0(VALU_DEP_2) | instskip(NEXT) | instid1(VALU_DEP_2)
	v_sub_f32_e32 v4, v4, v8
	v_sub_f32_e32 v30, v9, v29
	s_delay_alu instid0(VALU_DEP_2) | instskip(NEXT) | instid1(VALU_DEP_2)
	v_dual_sub_f32 v7, v7, v29 :: v_dual_add_f32 v8, v10, v4
	v_sub_f32_e32 v5, v5, v30
	s_delay_alu instid0(VALU_DEP_1) | instskip(NEXT) | instid1(VALU_DEP_3)
	v_add_f32_e32 v5, v7, v5
	v_sub_f32_e32 v7, v8, v10
	s_delay_alu instid0(VALU_DEP_2) | instskip(NEXT) | instid1(VALU_DEP_2)
	v_add_f32_e32 v5, v8, v5
	v_sub_f32_e32 v8, v8, v7
	s_delay_alu instid0(VALU_DEP_2) | instskip(NEXT) | instid1(VALU_DEP_1)
	v_dual_sub_f32 v4, v4, v7 :: v_dual_add_f32 v11, v9, v5
	v_dual_sub_f32 v8, v10, v8 :: v_dual_sub_f32 v7, v11, v9
	s_delay_alu instid0(VALU_DEP_1) | instskip(NEXT) | instid1(VALU_DEP_1)
	v_dual_add_f32 v4, v4, v8 :: v_dual_sub_f32 v5, v5, v7
	v_add_f32_e32 v4, v4, v5
	s_delay_alu instid0(VALU_DEP_1) | instskip(NEXT) | instid1(VALU_DEP_1)
	v_add_f32_e32 v4, v11, v4
	v_cndmask_b32_e32 v29, v4, v6, vcc_lo
.LBB3_20:                               ;   in Loop: Header=BB3_12 Depth=1
	s_or_b32 exec_lo, exec_lo, s7
	v_lshlrev_b32_e32 v4, 16, v25
	s_delay_alu instid0(VALU_DEP_1) | instskip(NEXT) | instid1(VALU_DEP_1)
	v_add_f32_e32 v34, s48, v4
	v_cmp_ge_f32_e32 vcc_lo, 0x41a00000, v34
	s_and_b32 s6, s53, vcc_lo
	s_delay_alu instid0(SALU_CYCLE_1)
	s_and_saveexec_b32 s7, s6
	s_cbranch_execz .LBB3_22
; %bb.21:                               ;   in Loop: Header=BB3_12 Depth=1
	v_mul_f32_e32 v4, 0x3fb8aa3b, v34
	v_cmp_ngt_f32_e32 vcc_lo, 0xc2ce8ed0, v34
	s_delay_alu instid0(VALU_DEP_2) | instskip(SKIP_1) | instid1(VALU_DEP_2)
	v_rndne_f32_e32 v5, v4
	v_fma_f32 v6, 0x3fb8aa3b, v34, -v4
	v_sub_f32_e32 v4, v4, v5
	s_delay_alu instid0(VALU_DEP_2) | instskip(SKIP_1) | instid1(VALU_DEP_2)
	v_fmac_f32_e32 v6, 0x32a5705f, v34
	v_cvt_i32_f32_e32 v5, v5
	v_add_f32_e32 v4, v4, v6
	s_delay_alu instid0(VALU_DEP_1) | instskip(SKIP_2) | instid1(VALU_DEP_1)
	v_exp_f32_e32 v4, v4
	s_waitcnt_depctr 0xfff
	v_ldexp_f32 v4, v4, v5
	v_cndmask_b32_e32 v4, 0, v4, vcc_lo
	v_cmp_nlt_f32_e32 vcc_lo, 0x42b17218, v34
	s_delay_alu instid0(VALU_DEP_2) | instskip(NEXT) | instid1(VALU_DEP_1)
	v_cndmask_b32_e32 v6, 0x7f800000, v4, vcc_lo
	v_add_f32_e32 v7, 1.0, v6
	s_delay_alu instid0(VALU_DEP_1) | instskip(NEXT) | instid1(VALU_DEP_1)
	v_cvt_f64_f32_e32 v[4:5], v7
	v_frexp_exp_i32_f64_e32 v4, v[4:5]
	v_frexp_mant_f32_e32 v5, v7
	s_delay_alu instid0(VALU_DEP_1) | instskip(SKIP_1) | instid1(VALU_DEP_1)
	v_cmp_gt_f32_e32 vcc_lo, 0x3f2aaaab, v5
	v_add_f32_e32 v5, -1.0, v7
	v_sub_f32_e32 v9, v5, v7
	v_sub_f32_e32 v5, v6, v5
	s_delay_alu instid0(VALU_DEP_2) | instskip(NEXT) | instid1(VALU_DEP_1)
	v_add_f32_e32 v9, 1.0, v9
	v_add_f32_e32 v5, v5, v9
	v_cmp_gt_f32_e64 s6, 0x33800000, v6
	v_subrev_co_ci_u32_e32 v4, vcc_lo, 0, v4, vcc_lo
	v_cmp_eq_f32_e32 vcc_lo, 0x7f800000, v6
	s_delay_alu instid0(VALU_DEP_2) | instskip(SKIP_2) | instid1(VALU_DEP_2)
	v_sub_nc_u32_e32 v8, 0, v4
	v_cvt_f32_i32_e32 v4, v4
	s_or_b32 vcc_lo, s6, vcc_lo
	v_ldexp_f32 v7, v7, v8
	v_ldexp_f32 v5, v5, v8
	s_delay_alu instid0(VALU_DEP_2) | instskip(NEXT) | instid1(VALU_DEP_1)
	v_add_f32_e32 v10, 1.0, v7
	v_dual_add_f32 v8, -1.0, v7 :: v_dual_add_f32 v9, -1.0, v10
	s_delay_alu instid0(VALU_DEP_1) | instskip(NEXT) | instid1(VALU_DEP_2)
	v_add_f32_e32 v11, 1.0, v8
	v_sub_f32_e32 v9, v7, v9
	s_delay_alu instid0(VALU_DEP_2) | instskip(NEXT) | instid1(VALU_DEP_2)
	v_sub_f32_e32 v7, v7, v11
	v_add_f32_e32 v9, v5, v9
	s_delay_alu instid0(VALU_DEP_2) | instskip(NEXT) | instid1(VALU_DEP_1)
	v_add_f32_e32 v5, v5, v7
	v_add_f32_e32 v30, v8, v5
	s_delay_alu instid0(VALU_DEP_1) | instskip(NEXT) | instid1(VALU_DEP_1)
	v_dual_add_f32 v11, v10, v9 :: v_dual_sub_f32 v8, v8, v30
	v_rcp_f32_e32 v7, v11
	v_sub_f32_e32 v10, v10, v11
	s_delay_alu instid0(VALU_DEP_1) | instskip(SKIP_2) | instid1(VALU_DEP_1)
	v_add_f32_e32 v9, v9, v10
	s_waitcnt_depctr 0xfff
	v_mul_f32_e32 v31, v30, v7
	v_mul_f32_e32 v32, v11, v31
	s_delay_alu instid0(VALU_DEP_1) | instskip(NEXT) | instid1(VALU_DEP_1)
	v_fma_f32 v10, v31, v11, -v32
	v_dual_fmac_f32 v10, v31, v9 :: v_dual_add_f32 v5, v5, v8
	s_delay_alu instid0(VALU_DEP_1) | instskip(NEXT) | instid1(VALU_DEP_1)
	v_add_f32_e32 v33, v32, v10
	v_sub_f32_e32 v34, v30, v33
	v_sub_f32_e32 v8, v33, v32
	s_delay_alu instid0(VALU_DEP_2) | instskip(NEXT) | instid1(VALU_DEP_2)
	v_sub_f32_e32 v30, v30, v34
	v_sub_f32_e32 v8, v8, v10
	s_delay_alu instid0(VALU_DEP_2) | instskip(NEXT) | instid1(VALU_DEP_1)
	v_sub_f32_e32 v30, v30, v33
	v_add_f32_e32 v5, v5, v30
	s_delay_alu instid0(VALU_DEP_1) | instskip(NEXT) | instid1(VALU_DEP_1)
	v_add_f32_e32 v5, v8, v5
	v_add_f32_e32 v8, v34, v5
	s_delay_alu instid0(VALU_DEP_1) | instskip(NEXT) | instid1(VALU_DEP_1)
	v_mul_f32_e32 v10, v7, v8
	v_dual_sub_f32 v33, v34, v8 :: v_dual_mul_f32 v30, v11, v10
	s_delay_alu instid0(VALU_DEP_1) | instskip(NEXT) | instid1(VALU_DEP_2)
	v_add_f32_e32 v5, v5, v33
	v_fma_f32 v11, v10, v11, -v30
	s_delay_alu instid0(VALU_DEP_1) | instskip(NEXT) | instid1(VALU_DEP_1)
	v_fmac_f32_e32 v11, v10, v9
	v_add_f32_e32 v9, v30, v11
	s_delay_alu instid0(VALU_DEP_1) | instskip(NEXT) | instid1(VALU_DEP_1)
	v_sub_f32_e32 v32, v8, v9
	v_sub_f32_e32 v8, v8, v32
	s_delay_alu instid0(VALU_DEP_1) | instskip(NEXT) | instid1(VALU_DEP_1)
	v_sub_f32_e32 v8, v8, v9
	v_dual_add_f32 v5, v5, v8 :: v_dual_add_f32 v8, v31, v10
	v_sub_f32_e32 v30, v9, v30
	s_delay_alu instid0(VALU_DEP_1) | instskip(NEXT) | instid1(VALU_DEP_1)
	v_sub_f32_e32 v9, v30, v11
	v_add_f32_e32 v5, v9, v5
	s_delay_alu instid0(VALU_DEP_4) | instskip(NEXT) | instid1(VALU_DEP_2)
	v_sub_f32_e32 v9, v8, v31
	v_add_f32_e32 v5, v32, v5
	s_delay_alu instid0(VALU_DEP_2) | instskip(NEXT) | instid1(VALU_DEP_2)
	v_sub_f32_e32 v9, v10, v9
	v_mul_f32_e32 v5, v7, v5
	s_delay_alu instid0(VALU_DEP_1) | instskip(NEXT) | instid1(VALU_DEP_1)
	v_add_f32_e32 v5, v9, v5
	v_add_f32_e32 v7, v8, v5
	s_delay_alu instid0(VALU_DEP_1) | instskip(NEXT) | instid1(VALU_DEP_1)
	v_mul_f32_e32 v9, v7, v7
	v_fmaak_f32 v10, s57, v9, 0x3ecc95a3
	v_mul_f32_e32 v11, v7, v9
	s_delay_alu instid0(VALU_DEP_2) | instskip(SKIP_2) | instid1(VALU_DEP_3)
	v_fmaak_f32 v9, v9, v10, 0x3f2aaada
	v_ldexp_f32 v10, v7, 1
	v_sub_f32_e32 v7, v7, v8
	v_mul_f32_e32 v9, v11, v9
	v_mul_f32_e32 v11, 0x3f317218, v4
	s_delay_alu instid0(VALU_DEP_2) | instskip(NEXT) | instid1(VALU_DEP_1)
	v_dual_sub_f32 v5, v5, v7 :: v_dual_add_f32 v8, v10, v9
	v_ldexp_f32 v5, v5, 1
	s_delay_alu instid0(VALU_DEP_2) | instskip(NEXT) | instid1(VALU_DEP_4)
	v_sub_f32_e32 v7, v8, v10
	v_fma_f32 v10, 0x3f317218, v4, -v11
	s_delay_alu instid0(VALU_DEP_1) | instskip(NEXT) | instid1(VALU_DEP_1)
	v_dual_sub_f32 v7, v9, v7 :: v_dual_fmac_f32 v10, 0xb102e308, v4
	v_dual_add_f32 v4, v5, v7 :: v_dual_add_f32 v5, v11, v10
	s_delay_alu instid0(VALU_DEP_1) | instskip(NEXT) | instid1(VALU_DEP_2)
	v_add_f32_e32 v7, v8, v4
	v_sub_f32_e32 v11, v5, v11
	s_delay_alu instid0(VALU_DEP_2) | instskip(NEXT) | instid1(VALU_DEP_2)
	v_dual_add_f32 v9, v5, v7 :: v_dual_sub_f32 v8, v7, v8
	v_sub_f32_e32 v10, v10, v11
	s_delay_alu instid0(VALU_DEP_2) | instskip(NEXT) | instid1(VALU_DEP_1)
	v_sub_f32_e32 v30, v9, v5
	v_dual_sub_f32 v4, v4, v8 :: v_dual_sub_f32 v31, v9, v30
	s_delay_alu instid0(VALU_DEP_1) | instskip(NEXT) | instid1(VALU_DEP_2)
	v_dual_sub_f32 v7, v7, v30 :: v_dual_add_f32 v8, v10, v4
	v_sub_f32_e32 v5, v5, v31
	s_delay_alu instid0(VALU_DEP_1) | instskip(NEXT) | instid1(VALU_DEP_3)
	v_add_f32_e32 v5, v7, v5
	v_sub_f32_e32 v7, v8, v10
	s_delay_alu instid0(VALU_DEP_2) | instskip(NEXT) | instid1(VALU_DEP_2)
	v_add_f32_e32 v5, v8, v5
	v_sub_f32_e32 v8, v8, v7
	s_delay_alu instid0(VALU_DEP_2) | instskip(NEXT) | instid1(VALU_DEP_1)
	v_dual_sub_f32 v4, v4, v7 :: v_dual_add_f32 v11, v9, v5
	v_dual_sub_f32 v8, v10, v8 :: v_dual_sub_f32 v7, v11, v9
	s_delay_alu instid0(VALU_DEP_1) | instskip(NEXT) | instid1(VALU_DEP_1)
	v_dual_add_f32 v4, v4, v8 :: v_dual_sub_f32 v5, v5, v7
	v_add_f32_e32 v4, v4, v5
	s_delay_alu instid0(VALU_DEP_1) | instskip(NEXT) | instid1(VALU_DEP_1)
	v_add_f32_e32 v4, v11, v4
	v_cndmask_b32_e32 v34, v4, v6, vcc_lo
.LBB3_22:                               ;   in Loop: Header=BB3_12 Depth=1
	s_or_b32 exec_lo, exec_lo, s7
	v_lshlrev_b32_e32 v6, 16, v0
	v_lshlrev_b32_e32 v4, 16, v1
	v_lshlrev_b32_e32 v7, 16, v26
	s_lshl_b32 s20, s59, 8
	s_and_b32 vcc_lo, exec_lo, s54
	v_mul_f32_e32 v31, s49, v6
	v_dual_mul_f32 v30, s49, v4 :: v_dual_lshlrev_b32 v5, 16, v23
	v_mul_f32_e32 v32, s49, v7
	s_barrier
	s_delay_alu instid0(VALU_DEP_2)
	v_mul_f32_e32 v33, s49, v5
	buffer_gl0_inv
	s_cbranch_vccz .LBB3_11
; %bb.23:                               ;   in Loop: Header=BB3_12 Depth=1
	v_dual_mul_f32 v37, v28, v5 :: v_dual_mul_f32 v38, v27, v6
	v_add_nc_u32_e32 v5, -1, v22
	v_dual_mul_f32 v35, v34, v7 :: v_dual_mul_f32 v36, v29, v4
	v_and_b32_e32 v4, 15, v22
	v_and_b32_e32 v6, 16, v22
	s_delay_alu instid0(VALU_DEP_4)
	v_cmp_gt_i32_e32 vcc_lo, 0, v5
	v_and_b32_e32 v7, 1, v22
	s_sub_i32 s13, s34, s20
	v_add_co_u32 v39, s6, s41, v21
	v_cndmask_b32_e32 v5, v5, v22, vcc_lo
	v_add_co_ci_u32_e64 v40, null, s42, 0, s6
	v_add_co_u32 v41, s6, s43, v21
	v_cmp_gt_u32_e32 vcc_lo, s13, v13
	v_cmp_gt_u32_e64 s14, s13, v18
	v_cmp_gt_u32_e64 s15, s13, v19
	;; [unrolled: 1-line block ×3, first 2 shown]
	s_cmp_lg_u32 s59, 0
	v_add_co_ci_u32_e64 v42, null, s45, 0, s6
	v_cmp_ne_u32_e64 s6, 0, v4
	v_cmp_lt_u32_e64 s7, 1, v4
	v_cmp_lt_u32_e64 s8, 3, v4
	;; [unrolled: 1-line block ×3, first 2 shown]
	v_cmp_ne_u32_e64 s10, 0, v6
	v_cmp_eq_u32_e64 s11, 0, v7
	v_lshlrev_b32_e32 v43, 2, v5
	v_cmp_eq_u32_e64 s12, 0, v22
	s_mov_b32 s22, 0
	s_cselect_b32 s21, -1, 0
	s_cmp_eq_u32 s59, s56
	s_mov_b32 s24, s22
	s_cselect_b32 s60, -1, 0
	s_or_b32 s13, s55, vcc_lo
	s_or_b32 s14, s55, s14
	s_or_b32 s15, s55, s15
	;; [unrolled: 1-line block ×3, first 2 shown]
	s_mov_b32 s30, s22
	s_mov_b32 s38, s22
	;; [unrolled: 1-line block ×4, first 2 shown]
	s_branch .LBB3_25
.LBB3_24:                               ;   in Loop: Header=BB3_25 Depth=2
	s_or_b32 exec_lo, exec_lo, s17
	v_cndmask_b32_e64 v6, v53, v11, s12
	v_cndmask_b32_e64 v7, v52, v10, s12
	s_add_i32 s61, s61, -1
	s_add_i32 s62, s62, 8
	s_add_i32 s38, s38, s26
	v_fma_f32 v6, v6, v51, v48
	v_mul_f32_e32 v7, v7, v51
	s_add_i32 s30, s30, s44
	s_add_i32 s24, s24, s40
	;; [unrolled: 1-line block ×3, first 2 shown]
	v_cndmask_b32_e64 v6, v6, v48, s5
	v_cndmask_b32_e64 v7, v7, v51, s5
	s_cmp_eq_u32 s61, 0
	s_waitcnt lgkmcnt(0)
	s_delay_alu instid0(VALU_DEP_1) | instskip(NEXT) | instid1(VALU_DEP_1)
	v_dual_fmac_f32 v6, v8, v7 :: v_dual_and_b32 v7, 0xffff0000, v4
	v_fmac_f32_e32 v44, v6, v50
	v_lshlrev_b32_e32 v8, 16, v4
	v_alignbit_b32 v4, v5, v4, 16
	s_delay_alu instid0(VALU_DEP_3) | instskip(SKIP_1) | instid1(VALU_DEP_3)
	v_fmac_f32_e32 v45, v44, v49
	v_and_b32_e32 v5, 0xffff0000, v5
	v_dual_fmac_f32 v33, v44, v7 :: v_dual_and_b32 v4, 0xffff0000, v4
	s_delay_alu instid0(VALU_DEP_3) | instskip(NEXT) | instid1(VALU_DEP_2)
	v_dual_fmac_f32 v31, v6, v8 :: v_dual_fmac_f32 v46, v45, v47
	v_fmac_f32_e32 v30, v45, v4
	s_delay_alu instid0(VALU_DEP_2)
	v_fmac_f32_e32 v32, v46, v5
	s_cbranch_scc1 .LBB3_11
.LBB3_25:                               ;   Parent Loop BB3_12 Depth=1
                                        ; =>  This Inner Loop Header: Depth=2
	s_lshl_b64 s[18:19], s[22:23], 2
	s_mov_b32 s25, s23
	s_add_u32 s18, s36, s18
	s_addc_u32 s19, s27, s19
	s_lshl_b64 s[64:65], s[24:25], 1
	s_mov_b32 s31, s23
	v_add_co_u32 v4, vcc_lo, v39, s64
	v_add_co_ci_u32_e32 v5, vcc_lo, s65, v40, vcc_lo
	s_lshl_b64 s[64:65], s[30:31], 1
	s_delay_alu instid0(SALU_CYCLE_1)
	v_add_co_u32 v6, vcc_lo, v41, s64
	v_add_co_ci_u32_e32 v7, vcc_lo, s65, v42, vcc_lo
	global_load_b32 v10, v12, s[18:19]
	global_load_b64 v[8:9], v[4:5], off
	global_load_b64 v[4:5], v[6:7], off
	s_and_not1_b32 vcc_lo, exec_lo, s21
	s_cbranch_vccnz .LBB3_27
; %bb.26:                               ;   in Loop: Header=BB3_25 Depth=2
	v_mov_b32_e32 v6, s62
	ds_load_b64 v[6:7], v6
	s_cbranch_execz .LBB3_28
	s_branch .LBB3_31
.LBB3_27:                               ;   in Loop: Header=BB3_25 Depth=2
                                        ; implicit-def: $vgpr6
.LBB3_28:                               ;   in Loop: Header=BB3_25 Depth=2
	s_waitcnt lgkmcnt(0)
	v_mov_b32_e32 v7, 0
	s_and_not1_b32 vcc_lo, exec_lo, s33
	s_cbranch_vccnz .LBB3_30
; %bb.29:                               ;   in Loop: Header=BB3_25 Depth=2
	s_mov_b32 s39, s23
	s_delay_alu instid0(SALU_CYCLE_1) | instskip(NEXT) | instid1(SALU_CYCLE_1)
	s_lshl_b64 s[18:19], s[38:39], 1
	s_add_u32 s18, s50, s18
	s_addc_u32 s19, s51, s19
	global_load_u16 v6, v12, s[18:19]
	s_waitcnt vmcnt(0)
	v_lshlrev_b32_e32 v7, 16, v6
.LBB3_30:                               ;   in Loop: Header=BB3_25 Depth=2
	v_mov_b32_e32 v6, 1.0
.LBB3_31:                               ;   in Loop: Header=BB3_25 Depth=2
	s_waitcnt vmcnt(1)
	v_alignbit_b32 v11, v9, v8, 16
	s_delay_alu instid0(VALU_DEP_1) | instskip(NEXT) | instid1(VALU_DEP_1)
	v_and_b32_e32 v11, 0xffff0000, v11
	v_dual_mul_f32 v10, 0x3fb8aa3b, v10 :: v_dual_mul_f32 v11, v36, v11
	s_delay_alu instid0(VALU_DEP_1) | instskip(SKIP_2) | instid1(VALU_DEP_3)
	v_dual_mul_f32 v45, v10, v27 :: v_dual_and_b32 v44, 0xffff0000, v8
	v_dual_mul_f32 v47, v10, v29 :: v_dual_lshlrev_b32 v8, 16, v8
	v_dual_mul_f32 v46, v10, v28 :: v_dual_and_b32 v9, 0xffff0000, v9
	v_cmp_gt_f32_e32 vcc_lo, 0xc2fc0000, v45
	v_mul_f32_e32 v48, v10, v34
	s_delay_alu instid0(VALU_DEP_4)
	v_cmp_gt_f32_e64 s18, 0xc2fc0000, v47
	v_mul_f32_e32 v8, v38, v8
	v_cmp_gt_f32_e64 s17, 0xc2fc0000, v46
	v_cndmask_b32_e64 v45, 0, 0x42800000, vcc_lo
	v_cmp_gt_f32_e64 s19, 0xc2fc0000, v48
	v_cndmask_b32_e64 v47, 0, 0x42800000, s18
	v_mul_f32_e32 v44, v37, v44
	v_cndmask_b32_e64 v46, 0, 0x42800000, s17
	v_fmac_f32_e32 v45, v10, v27
	v_cndmask_b32_e64 v49, 0, 0x42800000, s19
	v_cndmask_b32_e64 v50, 1.0, 0x1f800000, vcc_lo
	v_cndmask_b32_e64 v48, 0, v8, s13
	v_fmac_f32_e32 v46, v10, v28
	v_exp_f32_e32 v45, v45
	v_fmac_f32_e32 v47, v10, v29
	v_fmac_f32_e32 v49, v10, v34
	v_cndmask_b32_e64 v8, 1.0, 0x1f800000, s17
	v_exp_f32_e32 v46, v46
	v_cndmask_b32_e64 v44, 0, v44, s14
	s_waitcnt_depctr 0xfff
	v_mul_f32_e32 v10, v45, v50
	v_exp_f32_e32 v47, v47
	v_cndmask_b32_e64 v45, 1.0, 0x1f800000, s18
	s_delay_alu instid0(VALU_DEP_2)
	v_cndmask_b32_e64 v51, 1.0, v10, s13
	s_waitcnt_depctr 0xfff
	v_mul_f32_e32 v10, v47, v45
	v_exp_f32_e32 v52, v49
	v_mul_f32_e32 v8, v46, v8
	v_cndmask_b32_e64 v46, 1.0, 0x1f800000, s19
	v_cndmask_b32_e64 v45, 0, v11, s15
	v_cndmask_b32_e64 v49, 1.0, v10, s15
	s_delay_alu instid0(VALU_DEP_4) | instskip(SKIP_4) | instid1(VALU_DEP_3)
	v_cndmask_b32_e64 v50, 1.0, v8, s14
	s_waitcnt_depctr 0xfff
	v_dual_mul_f32 v8, v35, v9 :: v_dual_mul_f32 v9, v52, v46
	v_mul_f32_e32 v10, v50, v51
	v_fma_f32 v11, v50, v48, v44
	v_cndmask_b32_e64 v46, 0, v8, s16
	s_delay_alu instid0(VALU_DEP_4) | instskip(NEXT) | instid1(VALU_DEP_4)
	v_cndmask_b32_e64 v47, 1.0, v9, s16
	v_mul_f32_e32 v8, v10, v49
	s_delay_alu instid0(VALU_DEP_4) | instskip(NEXT) | instid1(VALU_DEP_2)
	v_fma_f32 v9, v11, v49, v45
	v_mul_f32_e32 v8, v8, v47
	s_delay_alu instid0(VALU_DEP_2) | instskip(NEXT) | instid1(VALU_DEP_2)
	v_fma_f32 v9, v9, v47, v46
	v_mov_b32_dpp v11, v8 row_shr:1 row_mask:0xf bank_mask:0xf
	s_delay_alu instid0(VALU_DEP_2)
	v_mov_b32_dpp v10, v9 row_shr:1 row_mask:0xf bank_mask:0xf
	s_and_saveexec_b32 s17, s6
; %bb.32:                               ;   in Loop: Header=BB3_25 Depth=2
	s_delay_alu instid0(VALU_DEP_2) | instskip(NEXT) | instid1(VALU_DEP_1)
	v_mul_f32_e32 v11, v8, v11
	v_dual_fmac_f32 v9, v8, v10 :: v_dual_mov_b32 v8, v11
; %bb.33:                               ;   in Loop: Header=BB3_25 Depth=2
	s_or_b32 exec_lo, exec_lo, s17
	s_delay_alu instid0(VALU_DEP_1) | instskip(NEXT) | instid1(VALU_DEP_2)
	v_mov_b32_dpp v10, v8 row_shr:2 row_mask:0xf bank_mask:0xf
	v_mov_b32_dpp v11, v9 row_shr:2 row_mask:0xf bank_mask:0xf
	s_and_saveexec_b32 s17, s7
; %bb.34:                               ;   in Loop: Header=BB3_25 Depth=2
	s_delay_alu instid0(VALU_DEP_1) | instskip(NEXT) | instid1(VALU_DEP_3)
	v_fmac_f32_e32 v9, v8, v11
	v_mul_f32_e32 v8, v8, v10
; %bb.35:                               ;   in Loop: Header=BB3_25 Depth=2
	s_or_b32 exec_lo, exec_lo, s17
	s_delay_alu instid0(VALU_DEP_1) | instskip(NEXT) | instid1(VALU_DEP_3)
	v_mov_b32_dpp v10, v8 row_shr:4 row_mask:0xf bank_mask:0xf
	v_mov_b32_dpp v11, v9 row_shr:4 row_mask:0xf bank_mask:0xf
	s_and_saveexec_b32 s17, s8
; %bb.36:                               ;   in Loop: Header=BB3_25 Depth=2
	s_delay_alu instid0(VALU_DEP_1) | instskip(NEXT) | instid1(VALU_DEP_3)
	v_fmac_f32_e32 v9, v8, v11
	v_mul_f32_e32 v8, v8, v10
; %bb.37:                               ;   in Loop: Header=BB3_25 Depth=2
	s_or_b32 exec_lo, exec_lo, s17
	s_delay_alu instid0(VALU_DEP_1) | instskip(NEXT) | instid1(VALU_DEP_3)
	v_mov_b32_dpp v10, v8 row_shr:8 row_mask:0xf bank_mask:0xf
	v_mov_b32_dpp v11, v9 row_shr:8 row_mask:0xf bank_mask:0xf
	s_and_saveexec_b32 s17, s9
; %bb.38:                               ;   in Loop: Header=BB3_25 Depth=2
	s_delay_alu instid0(VALU_DEP_1) | instskip(NEXT) | instid1(VALU_DEP_3)
	v_fmac_f32_e32 v9, v8, v11
	v_mul_f32_e32 v8, v8, v10
; %bb.39:                               ;   in Loop: Header=BB3_25 Depth=2
	s_or_b32 exec_lo, exec_lo, s17
	ds_swizzle_b32 v11, v8 offset:swizzle(BROADCAST,32,15)
	ds_swizzle_b32 v10, v9 offset:swizzle(BROADCAST,32,15)
	s_and_saveexec_b32 s17, s10
	s_cbranch_execz .LBB3_41
; %bb.40:                               ;   in Loop: Header=BB3_25 Depth=2
	s_waitcnt lgkmcnt(1)
	v_mul_f32_e32 v11, v8, v11
	s_waitcnt lgkmcnt(0)
	s_delay_alu instid0(VALU_DEP_1)
	v_dual_fmac_f32 v9, v8, v10 :: v_dual_mov_b32 v8, v11
.LBB3_41:                               ;   in Loop: Header=BB3_25 Depth=2
	s_or_b32 exec_lo, exec_lo, s17
	s_and_saveexec_b32 s17, s1
	s_cbranch_execz .LBB3_43
; %bb.42:                               ;   in Loop: Header=BB3_25 Depth=2
	ds_store_b64 v14, v[8:9] offset:1056
.LBB3_43:                               ;   in Loop: Header=BB3_25 Depth=2
	s_or_b32 exec_lo, exec_lo, s17
	s_waitcnt vmcnt(0) lgkmcnt(0)
	s_waitcnt_vscnt null, 0x0
	s_barrier
	buffer_gl0_inv
	s_and_saveexec_b32 s17, s2
	s_cbranch_execz .LBB3_45
; %bb.44:                               ;   in Loop: Header=BB3_25 Depth=2
	ds_load_b64 v[10:11], v15 offset:1056
	s_waitcnt lgkmcnt(0)
	v_mov_b32_dpp v52, v10 row_shr:1 row_mask:0xf bank_mask:0xf
	v_mov_b32_dpp v53, v11 row_shr:1 row_mask:0xf bank_mask:0xf
	s_delay_alu instid0(VALU_DEP_2) | instskip(NEXT) | instid1(VALU_DEP_2)
	v_mul_f32_e32 v52, v10, v52
	v_fma_f32 v53, v10, v53, v11
	s_delay_alu instid0(VALU_DEP_2) | instskip(NEXT) | instid1(VALU_DEP_2)
	v_cndmask_b32_e64 v10, v52, v10, s11
	v_cndmask_b32_e64 v11, v53, v11, s11
	ds_store_b64 v15, v[10:11] offset:1056
.LBB3_45:                               ;   in Loop: Header=BB3_25 Depth=2
	s_or_b32 exec_lo, exec_lo, s17
	s_waitcnt lgkmcnt(0)
	s_barrier
	buffer_gl0_inv
                                        ; implicit-def: $vgpr11
	s_and_saveexec_b32 s17, s4
	s_cbranch_execz .LBB3_47
; %bb.46:                               ;   in Loop: Header=BB3_25 Depth=2
	ds_load_b64 v[10:11], v14 offset:1048
	s_waitcnt lgkmcnt(0)
	v_mul_f32_e32 v52, v8, v10
	v_fmac_f32_e32 v9, v8, v11
	s_delay_alu instid0(VALU_DEP_2)
	v_mov_b32_e32 v8, v52
.LBB3_47:                               ;   in Loop: Header=BB3_25 Depth=2
	s_or_b32 exec_lo, exec_lo, s17
	ds_bpermute_b32 v52, v43, v8
	ds_bpermute_b32 v53, v43, v9
	s_and_saveexec_b32 s17, s3
	s_cbranch_execz .LBB3_51
; %bb.48:                               ;   in Loop: Header=BB3_25 Depth=2
	ds_load_b64 v[8:9], v12 offset:1064
	s_and_saveexec_b32 s18, s5
	s_cbranch_execz .LBB3_50
; %bb.49:                               ;   in Loop: Header=BB3_25 Depth=2
	ds_store_b64 v12, v[6:7] offset:1064
.LBB3_50:                               ;   in Loop: Header=BB3_25 Depth=2
	s_or_b32 exec_lo, exec_lo, s18
	s_waitcnt lgkmcnt(0)
	v_dual_fmac_f32 v9, v8, v7 :: v_dual_mul_f32 v6, v6, v8
	s_delay_alu instid0(VALU_DEP_1)
	v_mov_b32_e32 v7, v9
.LBB3_51:                               ;   in Loop: Header=BB3_25 Depth=2
	s_or_b32 exec_lo, exec_lo, s17
	s_waitcnt lgkmcnt(0)
	s_barrier
	buffer_gl0_inv
	ds_load_b32 v8, v12 offset:1068
	s_and_saveexec_b32 s17, s5
	s_cbranch_execz .LBB3_24
; %bb.52:                               ;   in Loop: Header=BB3_25 Depth=2
	v_mov_b32_e32 v9, s62
	s_and_not1_b32 vcc_lo, exec_lo, s60
	ds_store_b64 v9, v[6:7]
	s_cbranch_vccnz .LBB3_24
; %bb.53:                               ;   in Loop: Header=BB3_25 Depth=2
	v_bfe_u32 v6, v7, 16, 1
	v_cmp_o_f32_e32 vcc_lo, v7, v7
	s_mov_b32 s39, s23
	s_delay_alu instid0(SALU_CYCLE_1) | instskip(NEXT) | instid1(VALU_DEP_2)
	s_lshl_b64 s[18:19], s[38:39], 1
	v_add3_u32 v6, v7, v6, 0x7fff
	s_add_u32 s18, s50, s18
	s_addc_u32 s19, s51, s19
	s_delay_alu instid0(VALU_DEP_1) | instskip(NEXT) | instid1(VALU_DEP_1)
	v_lshrrev_b32_e32 v6, 16, v6
	v_cndmask_b32_e32 v6, 0x7fc0, v6, vcc_lo
	global_store_b16 v12, v6, s[18:19]
	s_branch .LBB3_24
.LBB3_54:
	s_nop 0
	s_sendmsg sendmsg(MSG_DEALLOC_VGPRS)
	s_endpgm
	.section	.rodata,"a",@progbits
	.p2align	6, 0x0
	.amdhsa_kernel _Z25selective_scan_fwd_kernelI32Selective_Scan_fwd_kernel_traitsILi64ELi4ELi1ELb1ELb1ELb1ELb0ELb0EN3c108BFloat16EfS2_EEv13SSMParamsBase
		.amdhsa_group_segment_fixed_size 0
		.amdhsa_private_segment_fixed_size 0
		.amdhsa_kernarg_size 248
		.amdhsa_user_sgpr_count 14
		.amdhsa_user_sgpr_dispatch_ptr 0
		.amdhsa_user_sgpr_queue_ptr 0
		.amdhsa_user_sgpr_kernarg_segment_ptr 1
		.amdhsa_user_sgpr_dispatch_id 0
		.amdhsa_user_sgpr_private_segment_size 0
		.amdhsa_wavefront_size32 1
		.amdhsa_uses_dynamic_stack 0
		.amdhsa_enable_private_segment 0
		.amdhsa_system_sgpr_workgroup_id_x 1
		.amdhsa_system_sgpr_workgroup_id_y 1
		.amdhsa_system_sgpr_workgroup_id_z 0
		.amdhsa_system_sgpr_workgroup_info 0
		.amdhsa_system_vgpr_workitem_id 0
		.amdhsa_next_free_vgpr 54
		.amdhsa_next_free_sgpr 66
		.amdhsa_reserve_vcc 1
		.amdhsa_float_round_mode_32 0
		.amdhsa_float_round_mode_16_64 0
		.amdhsa_float_denorm_mode_32 3
		.amdhsa_float_denorm_mode_16_64 3
		.amdhsa_dx10_clamp 1
		.amdhsa_ieee_mode 1
		.amdhsa_fp16_overflow 0
		.amdhsa_workgroup_processor_mode 1
		.amdhsa_memory_ordered 1
		.amdhsa_forward_progress 0
		.amdhsa_shared_vgpr_count 0
		.amdhsa_exception_fp_ieee_invalid_op 0
		.amdhsa_exception_fp_denorm_src 0
		.amdhsa_exception_fp_ieee_div_zero 0
		.amdhsa_exception_fp_ieee_overflow 0
		.amdhsa_exception_fp_ieee_underflow 0
		.amdhsa_exception_fp_ieee_inexact 0
		.amdhsa_exception_int_div_zero 0
	.end_amdhsa_kernel
	.section	.text._Z25selective_scan_fwd_kernelI32Selective_Scan_fwd_kernel_traitsILi64ELi4ELi1ELb1ELb1ELb1ELb0ELb0EN3c108BFloat16EfS2_EEv13SSMParamsBase,"axG",@progbits,_Z25selective_scan_fwd_kernelI32Selective_Scan_fwd_kernel_traitsILi64ELi4ELi1ELb1ELb1ELb1ELb0ELb0EN3c108BFloat16EfS2_EEv13SSMParamsBase,comdat
.Lfunc_end3:
	.size	_Z25selective_scan_fwd_kernelI32Selective_Scan_fwd_kernel_traitsILi64ELi4ELi1ELb1ELb1ELb1ELb0ELb0EN3c108BFloat16EfS2_EEv13SSMParamsBase, .Lfunc_end3-_Z25selective_scan_fwd_kernelI32Selective_Scan_fwd_kernel_traitsILi64ELi4ELi1ELb1ELb1ELb1ELb0ELb0EN3c108BFloat16EfS2_EEv13SSMParamsBase
                                        ; -- End function
	.section	.AMDGPU.csdata,"",@progbits
; Kernel info:
; codeLenInByte = 6056
; NumSgprs: 68
; NumVgprs: 54
; ScratchSize: 0
; MemoryBound: 0
; FloatMode: 240
; IeeeMode: 1
; LDSByteSize: 0 bytes/workgroup (compile time only)
; SGPRBlocks: 8
; VGPRBlocks: 6
; NumSGPRsForWavesPerEU: 68
; NumVGPRsForWavesPerEU: 54
; Occupancy: 16
; WaveLimiterHint : 0
; COMPUTE_PGM_RSRC2:SCRATCH_EN: 0
; COMPUTE_PGM_RSRC2:USER_SGPR: 14
; COMPUTE_PGM_RSRC2:TRAP_HANDLER: 0
; COMPUTE_PGM_RSRC2:TGID_X_EN: 1
; COMPUTE_PGM_RSRC2:TGID_Y_EN: 1
; COMPUTE_PGM_RSRC2:TGID_Z_EN: 0
; COMPUTE_PGM_RSRC2:TIDIG_COMP_CNT: 0
	.section	.text._Z25selective_scan_fwd_kernelI32Selective_Scan_fwd_kernel_traitsILi64ELi4ELi1ELb0ELb1ELb1ELb1ELb1EN3c108BFloat16EfS2_EEv13SSMParamsBase,"axG",@progbits,_Z25selective_scan_fwd_kernelI32Selective_Scan_fwd_kernel_traitsILi64ELi4ELi1ELb0ELb1ELb1ELb1ELb1EN3c108BFloat16EfS2_EEv13SSMParamsBase,comdat
	.protected	_Z25selective_scan_fwd_kernelI32Selective_Scan_fwd_kernel_traitsILi64ELi4ELi1ELb0ELb1ELb1ELb1ELb1EN3c108BFloat16EfS2_EEv13SSMParamsBase ; -- Begin function _Z25selective_scan_fwd_kernelI32Selective_Scan_fwd_kernel_traitsILi64ELi4ELi1ELb0ELb1ELb1ELb1ELb1EN3c108BFloat16EfS2_EEv13SSMParamsBase
	.globl	_Z25selective_scan_fwd_kernelI32Selective_Scan_fwd_kernel_traitsILi64ELi4ELi1ELb0ELb1ELb1ELb1ELb1EN3c108BFloat16EfS2_EEv13SSMParamsBase
	.p2align	8
	.type	_Z25selective_scan_fwd_kernelI32Selective_Scan_fwd_kernel_traitsILi64ELi4ELi1ELb0ELb1ELb1ELb1ELb1EN3c108BFloat16EfS2_EEv13SSMParamsBase,@function
_Z25selective_scan_fwd_kernelI32Selective_Scan_fwd_kernel_traitsILi64ELi4ELi1ELb0ELb1ELb1ELb1ELb1EN3c108BFloat16EfS2_EEv13SSMParamsBase: ; @_Z25selective_scan_fwd_kernelI32Selective_Scan_fwd_kernel_traitsILi64ELi4ELi1ELb0ELb1ELb1ELb1ELb1EN3c108BFloat16EfS2_EEv13SSMParamsBase
; %bb.0:
	s_clause 0x2
	s_load_b32 s11, s[0:1], 0x18
	s_load_b256 s[52:59], s[0:1], 0xc8
	s_load_b128 s[4:7], s[0:1], 0xe8
	s_mov_b32 s12, s15
	s_ashr_i32 s15, s14, 31
	s_mov_b32 s33, 0
	s_lshl_b64 s[8:9], s[14:15], 2
	s_waitcnt lgkmcnt(0)
	s_abs_i32 s10, s11
	s_add_u32 s2, s58, s8
	v_cvt_f32_u32_e32 v1, s10
	s_addc_u32 s3, s59, s9
	s_cmp_eq_u64 s[6:7], 0
	s_delay_alu instid0(VALU_DEP_1) | instskip(SKIP_2) | instid1(VALU_DEP_1)
	v_rcp_iflag_f32_e32 v1, v1
	s_waitcnt_depctr 0xfff
	v_mul_f32_e32 v1, 0x4f7ffffe, v1
	v_cvt_u32_f32_e32 v1, v1
	s_delay_alu instid0(VALU_DEP_1)
	v_readfirstlane_b32 s60, v1
	s_cbranch_scc1 .LBB4_2
; %bb.1:
	v_mov_b32_e32 v1, 0
	s_add_u32 s6, s6, s14
	s_addc_u32 s7, s7, s15
	global_load_u8 v1, v1, s[6:7]
	s_waitcnt vmcnt(0)
	v_and_b32_e32 v1, 1, v1
	s_delay_alu instid0(VALU_DEP_1)
	v_cmp_eq_u32_e64 s33, 1, v1
.LBB4_2:
	s_load_b64 s[6:7], s[0:1], 0x20
	s_cmp_eq_u64 s[4:5], 0
	s_cbranch_scc1 .LBB4_4
; %bb.3:
	s_add_u32 s4, s4, s8
	s_addc_u32 s5, s5, s9
	s_load_b32 s14, s[4:5], 0x0
	s_waitcnt lgkmcnt(0)
	s_ashr_i32 s15, s14, 31
.LBB4_4:
	s_waitcnt lgkmcnt(0)
	s_cmp_eq_u64 s[6:7], s[14:15]
	s_cbranch_scc1 .LBB4_108
; %bb.5:
	s_load_b512 s[16:31], s[0:1], 0x88
	s_load_b64 s[34:35], s[2:3], 0x0
	s_mov_b32 s58, 0
	s_mov_b32 s59, 0
	s_waitcnt lgkmcnt(0)
	s_cmp_eq_u64 s[22:23], 0
	s_cbranch_scc1 .LBB4_7
; %bb.6:
	s_ashr_i32 s13, s12, 31
	s_delay_alu instid0(SALU_CYCLE_1) | instskip(NEXT) | instid1(SALU_CYCLE_1)
	s_lshl_b64 s[2:3], s[12:13], 2
	s_add_u32 s2, s22, s2
	s_addc_u32 s3, s23, s3
	s_load_b32 s59, s[2:3], 0x0
.LBB4_7:
	s_cmp_eq_u64 s[28:29], 0
	s_cbranch_scc1 .LBB4_9
; %bb.8:
	s_ashr_i32 s13, s12, 31
	s_delay_alu instid0(SALU_CYCLE_1) | instskip(NEXT) | instid1(SALU_CYCLE_1)
	s_lshl_b64 s[2:3], s[12:13], 2
	s_add_u32 s2, s28, s2
	s_addc_u32 s3, s29, s3
	s_load_b32 s58, s[2:3], 0x0
.LBB4_9:
	s_sub_i32 s23, s35, s34
	s_delay_alu instid0(SALU_CYCLE_1)
	s_cmp_lt_i32 s23, 1
	s_cbranch_scc1 .LBB4_108
; %bb.10:
	s_sub_i32 s2, 0, s10
	s_load_b256 s[36:43], s[0:1], 0x4c
	s_mul_i32 s2, s2, s60
	s_abs_i32 s3, s12
	s_mul_hi_u32 s2, s60, s2
	s_ashr_i32 s5, s11, 31
	s_add_i32 s60, s60, s2
	s_ashr_i32 s2, s12, 31
	s_mul_hi_u32 s4, s3, s60
	s_xor_b32 s5, s2, s5
	s_mul_i32 s6, s4, s10
	s_load_b256 s[44:51], s[0:1], 0x2c
	s_sub_i32 s2, s3, s6
	s_add_i32 s3, s4, 1
	s_sub_i32 s6, s2, s10
	s_cmp_ge_u32 s2, s10
	s_mov_b32 s29, 0
	s_cselect_b32 s3, s3, s4
	s_cselect_b32 s2, s6, s2
	s_add_i32 s4, s3, 1
	s_cmp_ge_u32 s2, s10
	s_waitcnt lgkmcnt(0)
	s_mul_i32 s28, s34, s38
	s_cselect_b32 s4, s4, s3
	s_lshl_b64 s[2:3], s[28:29], 1
	s_xor_b32 s4, s4, s5
	s_mul_i32 s28, s39, s12
	s_sub_i32 s6, s4, s5
	s_add_u32 s4, s24, s2
	s_addc_u32 s5, s25, s3
	s_lshl_b64 s[2:3], s[28:29], 1
	s_mul_i32 s28, s34, s40
	s_add_u32 s38, s4, s2
	s_addc_u32 s39, s5, s3
	s_lshl_b64 s[2:3], s[28:29], 1
	s_mul_i32 s28, s41, s12
	;; [unrolled: 4-line block ×3, first 2 shown]
	s_add_u32 s40, s4, s2
	s_addc_u32 s41, s5, s3
	s_load_b64 s[4:5], s[0:1], 0x7c
	s_lshl_b64 s[2:3], s[28:29], 2
	v_lshlrev_b32_e32 v8, 2, v0
	s_mul_i32 s28, s34, s46
	s_add_u32 s44, s16, s2
	s_addc_u32 s46, s17, s3
	s_lshl_b64 s[2:3], s[28:29], 1
	s_mul_i32 s28, s6, s49
	s_add_u32 s7, s18, s2
	v_mbcnt_lo_u32_b32 v1, -1, 0
	v_and_b32_e32 v2, 0x80, v8
	v_dual_mov_b32 v12, 0 :: v_dual_and_b32 v3, 32, v0
	s_addc_u32 s8, s19, s3
	s_lshl_b64 s[2:3], s[28:29], 1
	s_mul_i32 s28, s34, s50
	s_add_u32 s47, s7, s2
	s_addc_u32 s49, s8, s3
	s_lshl_b64 s[2:3], s[28:29], 1
	s_mul_i32 s28, s6, s37
	s_clause 0x1
	s_load_b32 s37, s[0:1], 0xc
	s_load_b32 s8, s[0:1], 0x28
	v_or_b32_e32 v9, v1, v2
	v_or_b32_e32 v4, v1, v3
	s_add_u32 s7, s20, s2
	s_load_b128 s[16:19], s[0:1], 0x6c
	s_addc_u32 s6, s21, s3
	v_or_b32_e32 v11, 0x60, v9
	v_lshrrev_b32_e32 v14, 3, v4
	s_lshl_b64 s[2:3], s[28:29], 1
	s_waitcnt lgkmcnt(0)
	s_mul_i32 s28, s14, s4
	s_add_u32 s51, s7, s2
	s_load_b32 s50, s[0:1], 0x84
	s_addc_u32 s60, s6, s3
	s_lshl_b64 s[0:1], s[28:29], 1
	v_or_b32_e32 v10, 64, v9
	v_lshrrev_b32_e32 v7, 5, v11
	v_and_b32_e32 v16, 6, v14
	s_mul_i32 s28, s5, s12
	s_add_u32 s2, s52, s0
	s_addc_u32 s3, s53, s1
	s_lshl_b64 s[0:1], s[28:29], 1
	v_lshrrev_b32_e32 v5, 5, v2
	s_add_u32 s52, s2, s0
	v_lshrrev_b32_e32 v6, 5, v10
	v_and_b32_e32 v7, 6, v7
	v_lshl_add_u32 v4, v4, 2, v16
	s_addc_u32 s53, s3, s1
	s_add_i32 s0, s23, 0x7ff
	v_add_lshl_u32 v5, v5, v9, 1
	s_lshr_b32 s61, s0, 11
	s_bitcmp1_b32 s8, 0
	v_add_lshl_u32 v6, v6, v9, 1
	v_add_lshl_u32 v7, v7, v9, 1
	v_lshl_add_u32 v17, v4, 1, 0
	v_and_b32_e32 v4, 15, v1
	s_cselect_b32 s62, -1, 0
	s_cmp_gt_i32 s37, 0
	s_mul_i32 s28, s34, s16
	s_cselect_b32 s63, -1, 0
	s_add_i32 s0, 0, 0x210
	s_and_b32 s1, s23, 0xff
	v_add_nc_u32_e32 v18, s0, v5
	v_add_nc_u32_e32 v19, s0, v6
	s_cmp_eq_u32 s1, 0
	v_add_nc_u32_e32 v20, s0, v7
	v_cmp_ne_u32_e64 s0, 0, v4
	v_cmp_lt_u32_e64 s1, 1, v4
	v_cmp_lt_u32_e64 s2, 3, v4
	;; [unrolled: 1-line block ×3, first 2 shown]
	v_add_nc_u32_e32 v4, -1, v1
	v_or_b32_e32 v3, 31, v3
	s_cselect_b32 s64, -1, 0
	s_lshl_b64 s[14:15], s[28:29], 1
	s_add_i32 s65, s61, -1
	v_cmp_gt_i32_e32 vcc_lo, 0, v4
	s_mul_i32 s28, s17, s12
	v_add_nc_u32_e32 v14, 0, v5
	v_lshrrev_b32_e32 v5, 2, v0
	s_add_u32 s13, s30, s14
	v_cndmask_b32_e32 v4, v4, v1, vcc_lo
	s_addc_u32 s16, s31, s15
	s_lshl_b64 s[14:15], s[28:29], 1
	v_cmp_eq_u32_e64 s5, v3, v0
	v_and_b32_e32 v3, 1, v1
	v_cmp_gt_u32_e64 s6, 2, v0
	v_lshl_add_u32 v22, v0, 3, 0
	v_cmp_gt_u32_e64 s8, 32, v0
	v_cmp_lt_u32_e64 s9, 31, v0
	v_cmp_eq_u32_e64 s10, 0, v0
	s_mul_i32 s28, s34, s42
	v_lshlrev_b32_e32 v0, 1, v1
	s_add_u32 s13, s13, s14
	s_addc_u32 s16, s16, s15
	s_lshl_b64 s[14:15], s[28:29], 1
	v_and_b32_e32 v5, 8, v5
	s_mul_i32 s28, s43, s12
	s_add_u32 s17, s54, s14
	v_cmp_eq_u32_e64 s7, 0, v3
	s_addc_u32 s20, s55, s15
	s_lshl_b64 s[14:15], s[28:29], 1
	v_add_co_u32 v3, s13, s13, v0
	s_mul_i32 s28, s34, s18
	v_lshlrev_b32_e32 v23, 2, v4
	v_add_co_ci_u32_e64 v4, null, s16, 0, s13
	s_add_u32 s16, s17, s14
	v_add_nc_u32_e32 v21, 0, v5
	s_addc_u32 s17, s20, s15
	s_lshl_b64 s[14:15], s[28:29], 1
	v_lshlrev_b32_e32 v5, 1, v2
	s_mul_i32 s28, s19, s12
	s_add_u32 s14, s56, s14
	s_addc_u32 s15, s57, s15
	s_lshl_b64 s[12:13], s[28:29], 1
	v_add_nc_u32_e32 v15, 0, v6
	v_and_b32_e32 v6, 16, v1
	v_add_co_u32 v24, vcc_lo, v3, v5
	s_add_u32 s12, s14, s12
	v_add_co_u32 v3, s14, s16, v0
	v_add_co_ci_u32_e32 v25, vcc_lo, 0, v4, vcc_lo
	v_add_co_ci_u32_e64 v4, null, s17, 0, s14
	s_addc_u32 s13, s15, s13
	v_add_co_u32 v0, s12, s12, v0
	v_cmp_ne_u32_e64 s4, 0, v6
	v_add_co_ci_u32_e64 v6, null, s13, 0, s12
	v_add_co_u32 v26, vcc_lo, v3, v5
	v_add_co_ci_u32_e32 v27, vcc_lo, 0, v4, vcc_lo
	v_add_co_u32 v28, vcc_lo, v0, v5
	v_or_b32_e32 v13, 32, v9
	v_add_nc_u32_e32 v16, 0, v7
	v_cmp_eq_u32_e64 s11, 0, v1
	v_add_co_ci_u32_e32 v29, vcc_lo, 0, v6, vcc_lo
	v_or_b32_e32 v30, 1, v8
	v_or_b32_e32 v31, 2, v8
	;; [unrolled: 1-line block ×3, first 2 shown]
	v_lshlrev_b32_e32 v33, 1, v1
	v_lshlrev_b32_e32 v34, 1, v2
	s_mov_b32 s42, 0x3e9b6dac
	s_add_i32 s43, 0, 0x430
	s_mov_b32 s54, 0
	s_branch .LBB4_12
.LBB4_11:                               ;   in Loop: Header=BB4_12 Depth=1
	s_or_b32 exec_lo, exec_lo, s12
	s_add_u32 s40, s40, 0x200
	s_addc_u32 s41, s41, 0
	s_add_u32 s38, s38, 0x200
	s_addc_u32 s39, s39, 0
	;; [unrolled: 2-line block ×4, first 2 shown]
	s_add_i32 s54, s54, 1
	s_delay_alu instid0(SALU_CYCLE_1)
	s_cmp_lg_u32 s54, s61
	s_cbranch_scc0 .LBB4_108
.LBB4_12:                               ; =>This Loop Header: Depth=1
                                        ;     Child Loop BB4_37 Depth 2
	v_add_co_u32 v0, s12, s38, v33
	s_delay_alu instid0(VALU_DEP_1) | instskip(SKIP_1) | instid1(VALU_DEP_2)
	v_add_co_ci_u32_e64 v1, null, s39, 0, s12
	s_lshl_b32 s24, s54, 8
	v_add_co_u32 v0, vcc_lo, v0, v34
	s_sub_i32 s19, s23, s24
	s_delay_alu instid0(VALU_DEP_2)
	v_add_co_ci_u32_e32 v1, vcc_lo, 0, v1, vcc_lo
	v_cmp_gt_u32_e64 s12, s19, v9
	s_waitcnt lgkmcnt(0)
	v_mov_b32_e32 v2, 0
	s_waitcnt lgkmcnt(0)
	s_waitcnt_vscnt null, 0x0
	s_barrier
	buffer_gl0_inv
	s_and_saveexec_b32 s13, s12
	s_cbranch_execz .LBB4_14
; %bb.13:                               ;   in Loop: Header=BB4_12 Depth=1
	global_load_u16 v2, v[0:1], off
.LBB4_14:                               ;   in Loop: Header=BB4_12 Depth=1
	s_or_b32 exec_lo, exec_lo, s13
	v_cmp_gt_u32_e64 s13, s19, v13
	v_mov_b32_e32 v3, 0
	v_mov_b32_e32 v5, 0
	s_delay_alu instid0(VALU_DEP_3)
	s_and_saveexec_b32 s14, s13
	s_cbranch_execz .LBB4_16
; %bb.15:                               ;   in Loop: Header=BB4_12 Depth=1
	global_load_u16 v5, v[0:1], off offset:64
.LBB4_16:                               ;   in Loop: Header=BB4_12 Depth=1
	s_or_b32 exec_lo, exec_lo, s14
	v_cmp_gt_u32_e64 s14, s19, v10
	s_delay_alu instid0(VALU_DEP_1)
	s_and_saveexec_b32 s15, s14
	s_cbranch_execz .LBB4_18
; %bb.17:                               ;   in Loop: Header=BB4_12 Depth=1
	global_load_u16 v3, v[0:1], off offset:128
.LBB4_18:                               ;   in Loop: Header=BB4_12 Depth=1
	s_or_b32 exec_lo, exec_lo, s15
	v_cmp_gt_u32_e64 s15, s19, v11
	v_mov_b32_e32 v4, 0
	v_mov_b32_e32 v6, 0
	s_delay_alu instid0(VALU_DEP_3)
	s_and_saveexec_b32 s16, s15
	s_cbranch_execz .LBB4_20
; %bb.19:                               ;   in Loop: Header=BB4_12 Depth=1
	global_load_u16 v6, v[0:1], off offset:192
.LBB4_20:                               ;   in Loop: Header=BB4_12 Depth=1
	s_or_b32 exec_lo, exec_lo, s16
	s_waitcnt vmcnt(0)
	ds_store_b16 v14, v2
	ds_store_b16 v14, v5 offset:64
	ds_store_b16 v15, v3 offset:128
	;; [unrolled: 1-line block ×3, first 2 shown]
	; wave barrier
	ds_load_b64 v[0:1], v17
	v_add_co_u32 v2, s16, s40, v33
	s_delay_alu instid0(VALU_DEP_1) | instskip(SKIP_1) | instid1(VALU_DEP_2)
	v_add_co_ci_u32_e64 v3, null, s41, 0, s16
	s_waitcnt lgkmcnt(0)
	v_add_co_u32 v2, vcc_lo, v2, v34
	s_delay_alu instid0(VALU_DEP_2)
	v_add_co_ci_u32_e32 v3, vcc_lo, 0, v3, vcc_lo
	s_barrier
	buffer_gl0_inv
	s_and_saveexec_b32 s16, s12
	s_cbranch_execz .LBB4_22
; %bb.21:                               ;   in Loop: Header=BB4_12 Depth=1
	global_load_u16 v4, v[2:3], off
.LBB4_22:                               ;   in Loop: Header=BB4_12 Depth=1
	s_or_b32 exec_lo, exec_lo, s16
	v_dual_mov_b32 v5, 0 :: v_dual_mov_b32 v6, 0
	s_and_saveexec_b32 s16, s13
	s_cbranch_execnz .LBB4_99
; %bb.23:                               ;   in Loop: Header=BB4_12 Depth=1
	s_or_b32 exec_lo, exec_lo, s16
	s_and_saveexec_b32 s16, s14
	s_cbranch_execnz .LBB4_100
.LBB4_24:                               ;   in Loop: Header=BB4_12 Depth=1
	s_or_b32 exec_lo, exec_lo, s16
	v_mov_b32_e32 v7, 0
	s_and_saveexec_b32 s16, s15
	s_cbranch_execz .LBB4_26
.LBB4_25:                               ;   in Loop: Header=BB4_12 Depth=1
	global_load_u16 v7, v[2:3], off offset:192
.LBB4_26:                               ;   in Loop: Header=BB4_12 Depth=1
	s_or_b32 exec_lo, exec_lo, s16
	s_waitcnt vmcnt(0)
	ds_store_b16 v14, v4
	ds_store_b16 v14, v6 offset:64
	ds_store_b16 v15, v5 offset:128
	;; [unrolled: 1-line block ×3, first 2 shown]
	; wave barrier
	ds_load_b64 v[2:3], v17
	s_waitcnt lgkmcnt(0)
	v_lshlrev_b32_e32 v4, 16, v2
	s_delay_alu instid0(VALU_DEP_1) | instskip(NEXT) | instid1(VALU_DEP_1)
	v_add_f32_e32 v35, s58, v4
	v_cmp_ge_f32_e32 vcc_lo, 0x41a00000, v35
	s_and_b32 s16, s62, vcc_lo
	s_delay_alu instid0(SALU_CYCLE_1)
	s_and_saveexec_b32 s17, s16
	s_cbranch_execz .LBB4_28
; %bb.27:                               ;   in Loop: Header=BB4_12 Depth=1
	v_mul_f32_e32 v4, 0x3fb8aa3b, v35
	v_cmp_ngt_f32_e32 vcc_lo, 0xc2ce8ed0, v35
	s_delay_alu instid0(VALU_DEP_2) | instskip(SKIP_1) | instid1(VALU_DEP_2)
	v_rndne_f32_e32 v5, v4
	v_fma_f32 v6, 0x3fb8aa3b, v35, -v4
	v_sub_f32_e32 v4, v4, v5
	s_delay_alu instid0(VALU_DEP_2) | instskip(SKIP_1) | instid1(VALU_DEP_2)
	v_fmac_f32_e32 v6, 0x32a5705f, v35
	v_cvt_i32_f32_e32 v5, v5
	v_add_f32_e32 v4, v4, v6
	s_delay_alu instid0(VALU_DEP_1) | instskip(SKIP_2) | instid1(VALU_DEP_1)
	v_exp_f32_e32 v4, v4
	s_waitcnt_depctr 0xfff
	v_ldexp_f32 v4, v4, v5
	v_cndmask_b32_e32 v4, 0, v4, vcc_lo
	v_cmp_nlt_f32_e32 vcc_lo, 0x42b17218, v35
	s_delay_alu instid0(VALU_DEP_2) | instskip(NEXT) | instid1(VALU_DEP_1)
	v_cndmask_b32_e32 v6, 0x7f800000, v4, vcc_lo
	v_add_f32_e32 v7, 1.0, v6
	s_delay_alu instid0(VALU_DEP_1) | instskip(NEXT) | instid1(VALU_DEP_1)
	v_cvt_f64_f32_e32 v[4:5], v7
	v_frexp_exp_i32_f64_e32 v4, v[4:5]
	v_frexp_mant_f32_e32 v5, v7
	s_delay_alu instid0(VALU_DEP_1) | instskip(SKIP_1) | instid1(VALU_DEP_1)
	v_cmp_gt_f32_e32 vcc_lo, 0x3f2aaaab, v5
	v_add_f32_e32 v5, -1.0, v7
	v_dual_sub_f32 v36, v5, v7 :: v_dual_sub_f32 v5, v6, v5
	s_delay_alu instid0(VALU_DEP_1) | instskip(NEXT) | instid1(VALU_DEP_1)
	v_add_f32_e32 v36, 1.0, v36
	v_add_f32_e32 v5, v5, v36
	v_subrev_co_ci_u32_e32 v4, vcc_lo, 0, v4, vcc_lo
	s_delay_alu instid0(VALU_DEP_1) | instskip(SKIP_1) | instid1(VALU_DEP_2)
	v_sub_nc_u32_e32 v35, 0, v4
	v_cvt_f32_i32_e32 v4, v4
	v_ldexp_f32 v7, v7, v35
	v_ldexp_f32 v5, v5, v35
	s_delay_alu instid0(VALU_DEP_2) | instskip(SKIP_3) | instid1(VALU_DEP_4)
	v_add_f32_e32 v37, 1.0, v7
	v_add_f32_e32 v35, -1.0, v7
	v_cmp_eq_f32_e32 vcc_lo, 0x7f800000, v6
	v_cmp_gt_f32_e64 s16, 0x33800000, v6
	v_add_f32_e32 v36, -1.0, v37
	s_delay_alu instid0(VALU_DEP_4) | instskip(NEXT) | instid1(VALU_DEP_3)
	v_add_f32_e32 v38, 1.0, v35
	s_or_b32 vcc_lo, s16, vcc_lo
	s_delay_alu instid0(VALU_DEP_2) | instskip(NEXT) | instid1(VALU_DEP_1)
	v_sub_f32_e32 v36, v7, v36
	v_dual_sub_f32 v7, v7, v38 :: v_dual_add_f32 v36, v5, v36
	s_delay_alu instid0(VALU_DEP_1) | instskip(NEXT) | instid1(VALU_DEP_1)
	v_add_f32_e32 v5, v5, v7
	v_dual_add_f32 v39, v35, v5 :: v_dual_add_f32 v38, v37, v36
	s_delay_alu instid0(VALU_DEP_1) | instskip(NEXT) | instid1(VALU_DEP_2)
	v_sub_f32_e32 v35, v35, v39
	v_rcp_f32_e32 v7, v38
	v_sub_f32_e32 v37, v37, v38
	s_delay_alu instid0(VALU_DEP_1) | instskip(SKIP_2) | instid1(VALU_DEP_1)
	v_dual_add_f32 v5, v5, v35 :: v_dual_add_f32 v36, v36, v37
	s_waitcnt_depctr 0xfff
	v_mul_f32_e32 v40, v39, v7
	v_mul_f32_e32 v41, v38, v40
	s_delay_alu instid0(VALU_DEP_1) | instskip(NEXT) | instid1(VALU_DEP_1)
	v_fma_f32 v37, v40, v38, -v41
	v_fmac_f32_e32 v37, v40, v36
	s_delay_alu instid0(VALU_DEP_1) | instskip(NEXT) | instid1(VALU_DEP_1)
	v_add_f32_e32 v42, v41, v37
	v_sub_f32_e32 v43, v39, v42
	s_delay_alu instid0(VALU_DEP_1) | instskip(SKIP_1) | instid1(VALU_DEP_2)
	v_sub_f32_e32 v39, v39, v43
	v_sub_f32_e32 v35, v42, v41
	;; [unrolled: 1-line block ×3, first 2 shown]
	s_delay_alu instid0(VALU_DEP_2) | instskip(NEXT) | instid1(VALU_DEP_2)
	v_sub_f32_e32 v35, v35, v37
	v_add_f32_e32 v5, v5, v39
	s_delay_alu instid0(VALU_DEP_1) | instskip(NEXT) | instid1(VALU_DEP_1)
	v_add_f32_e32 v5, v35, v5
	v_add_f32_e32 v35, v43, v5
	s_delay_alu instid0(VALU_DEP_1) | instskip(NEXT) | instid1(VALU_DEP_1)
	v_mul_f32_e32 v37, v7, v35
	v_dual_sub_f32 v42, v43, v35 :: v_dual_mul_f32 v39, v38, v37
	s_delay_alu instid0(VALU_DEP_1) | instskip(NEXT) | instid1(VALU_DEP_2)
	v_add_f32_e32 v5, v5, v42
	v_fma_f32 v38, v37, v38, -v39
	s_delay_alu instid0(VALU_DEP_1) | instskip(NEXT) | instid1(VALU_DEP_1)
	v_fmac_f32_e32 v38, v37, v36
	v_add_f32_e32 v36, v39, v38
	s_delay_alu instid0(VALU_DEP_1) | instskip(SKIP_1) | instid1(VALU_DEP_2)
	v_sub_f32_e32 v41, v35, v36
	v_sub_f32_e32 v39, v36, v39
	;; [unrolled: 1-line block ×3, first 2 shown]
	s_delay_alu instid0(VALU_DEP_1) | instskip(NEXT) | instid1(VALU_DEP_1)
	v_sub_f32_e32 v35, v35, v36
	v_dual_sub_f32 v36, v39, v38 :: v_dual_add_f32 v5, v5, v35
	v_add_f32_e32 v35, v40, v37
	s_delay_alu instid0(VALU_DEP_1) | instskip(NEXT) | instid1(VALU_DEP_1)
	v_dual_add_f32 v5, v36, v5 :: v_dual_sub_f32 v36, v35, v40
	v_add_f32_e32 v5, v41, v5
	s_delay_alu instid0(VALU_DEP_1) | instskip(NEXT) | instid1(VALU_DEP_1)
	v_dual_sub_f32 v36, v37, v36 :: v_dual_mul_f32 v5, v7, v5
	v_add_f32_e32 v5, v36, v5
	s_delay_alu instid0(VALU_DEP_1) | instskip(NEXT) | instid1(VALU_DEP_1)
	v_add_f32_e32 v7, v35, v5
	v_mul_f32_e32 v36, v7, v7
	s_delay_alu instid0(VALU_DEP_1) | instskip(SKIP_1) | instid1(VALU_DEP_2)
	v_fmaak_f32 v37, s42, v36, 0x3ecc95a3
	v_mul_f32_e32 v38, v7, v36
	v_fmaak_f32 v36, v36, v37, 0x3f2aaada
	v_ldexp_f32 v37, v7, 1
	s_delay_alu instid0(VALU_DEP_2) | instskip(NEXT) | instid1(VALU_DEP_1)
	v_dual_sub_f32 v7, v7, v35 :: v_dual_mul_f32 v36, v38, v36
	v_dual_mul_f32 v38, 0x3f317218, v4 :: v_dual_sub_f32 v5, v5, v7
	s_delay_alu instid0(VALU_DEP_2) | instskip(NEXT) | instid1(VALU_DEP_2)
	v_add_f32_e32 v35, v37, v36
	v_ldexp_f32 v5, v5, 1
	s_delay_alu instid0(VALU_DEP_2) | instskip(NEXT) | instid1(VALU_DEP_4)
	v_sub_f32_e32 v7, v35, v37
	v_fma_f32 v37, 0x3f317218, v4, -v38
	s_delay_alu instid0(VALU_DEP_2) | instskip(NEXT) | instid1(VALU_DEP_1)
	v_sub_f32_e32 v7, v36, v7
	v_dual_fmac_f32 v37, 0xb102e308, v4 :: v_dual_add_f32 v4, v5, v7
	s_delay_alu instid0(VALU_DEP_1) | instskip(NEXT) | instid1(VALU_DEP_1)
	v_add_f32_e32 v5, v38, v37
	v_dual_add_f32 v7, v35, v4 :: v_dual_sub_f32 v38, v5, v38
	s_delay_alu instid0(VALU_DEP_1) | instskip(SKIP_1) | instid1(VALU_DEP_3)
	v_add_f32_e32 v36, v5, v7
	v_sub_f32_e32 v35, v7, v35
	v_sub_f32_e32 v37, v37, v38
	s_delay_alu instid0(VALU_DEP_3) | instskip(NEXT) | instid1(VALU_DEP_3)
	v_sub_f32_e32 v39, v36, v5
	v_sub_f32_e32 v4, v4, v35
	s_delay_alu instid0(VALU_DEP_2) | instskip(SKIP_1) | instid1(VALU_DEP_3)
	v_sub_f32_e32 v40, v36, v39
	v_sub_f32_e32 v7, v7, v39
	v_add_f32_e32 v35, v37, v4
	s_delay_alu instid0(VALU_DEP_3) | instskip(NEXT) | instid1(VALU_DEP_1)
	v_sub_f32_e32 v5, v5, v40
	v_add_f32_e32 v5, v7, v5
	s_delay_alu instid0(VALU_DEP_3) | instskip(NEXT) | instid1(VALU_DEP_1)
	v_sub_f32_e32 v7, v35, v37
	v_dual_add_f32 v5, v35, v5 :: v_dual_sub_f32 v4, v4, v7
	s_delay_alu instid0(VALU_DEP_1) | instskip(NEXT) | instid1(VALU_DEP_1)
	v_dual_sub_f32 v35, v35, v7 :: v_dual_add_f32 v38, v36, v5
	v_sub_f32_e32 v35, v37, v35
	s_delay_alu instid0(VALU_DEP_1) | instskip(NEXT) | instid1(VALU_DEP_1)
	v_dual_sub_f32 v7, v38, v36 :: v_dual_add_f32 v4, v4, v35
	v_sub_f32_e32 v5, v5, v7
	s_delay_alu instid0(VALU_DEP_1) | instskip(NEXT) | instid1(VALU_DEP_1)
	v_add_f32_e32 v4, v4, v5
	v_add_f32_e32 v4, v38, v4
	s_delay_alu instid0(VALU_DEP_1)
	v_cndmask_b32_e32 v35, v4, v6, vcc_lo
.LBB4_28:                               ;   in Loop: Header=BB4_12 Depth=1
	s_or_b32 exec_lo, exec_lo, s17
	v_and_b32_e32 v2, 0xffff0000, v2
	s_delay_alu instid0(VALU_DEP_1) | instskip(NEXT) | instid1(VALU_DEP_1)
	v_add_f32_e32 v36, s58, v2
	v_cmp_ge_f32_e32 vcc_lo, 0x41a00000, v36
	s_and_b32 s16, s62, vcc_lo
	s_delay_alu instid0(SALU_CYCLE_1)
	s_and_saveexec_b32 s17, s16
	s_cbranch_execz .LBB4_30
; %bb.29:                               ;   in Loop: Header=BB4_12 Depth=1
	v_mul_f32_e32 v2, 0x3fb8aa3b, v36
	v_cmp_ngt_f32_e32 vcc_lo, 0xc2ce8ed0, v36
	s_delay_alu instid0(VALU_DEP_2) | instskip(SKIP_1) | instid1(VALU_DEP_2)
	v_rndne_f32_e32 v4, v2
	v_fma_f32 v5, 0x3fb8aa3b, v36, -v2
	v_sub_f32_e32 v2, v2, v4
	s_delay_alu instid0(VALU_DEP_2) | instskip(SKIP_1) | instid1(VALU_DEP_2)
	v_fmac_f32_e32 v5, 0x32a5705f, v36
	v_cvt_i32_f32_e32 v4, v4
	v_add_f32_e32 v2, v2, v5
	s_delay_alu instid0(VALU_DEP_1) | instskip(SKIP_2) | instid1(VALU_DEP_1)
	v_exp_f32_e32 v2, v2
	s_waitcnt_depctr 0xfff
	v_ldexp_f32 v2, v2, v4
	v_cndmask_b32_e32 v2, 0, v2, vcc_lo
	v_cmp_nlt_f32_e32 vcc_lo, 0x42b17218, v36
	s_delay_alu instid0(VALU_DEP_2) | instskip(NEXT) | instid1(VALU_DEP_1)
	v_cndmask_b32_e32 v2, 0x7f800000, v2, vcc_lo
	v_add_f32_e32 v6, 1.0, v2
	s_delay_alu instid0(VALU_DEP_1) | instskip(NEXT) | instid1(VALU_DEP_1)
	v_cvt_f64_f32_e32 v[4:5], v6
	v_frexp_exp_i32_f64_e32 v4, v[4:5]
	v_frexp_mant_f32_e32 v5, v6
	s_delay_alu instid0(VALU_DEP_1) | instskip(SKIP_1) | instid1(VALU_DEP_1)
	v_cmp_gt_f32_e32 vcc_lo, 0x3f2aaaab, v5
	v_add_f32_e32 v5, -1.0, v6
	v_dual_sub_f32 v36, v5, v6 :: v_dual_sub_f32 v5, v2, v5
	v_subrev_co_ci_u32_e32 v4, vcc_lo, 0, v4, vcc_lo
	s_delay_alu instid0(VALU_DEP_1) | instskip(SKIP_1) | instid1(VALU_DEP_2)
	v_sub_nc_u32_e32 v7, 0, v4
	v_cvt_f32_i32_e32 v4, v4
	v_ldexp_f32 v6, v6, v7
	s_delay_alu instid0(VALU_DEP_1) | instskip(NEXT) | instid1(VALU_DEP_1)
	v_dual_add_f32 v36, 1.0, v36 :: v_dual_add_f32 v37, 1.0, v6
	v_add_f32_e32 v5, v5, v36
	s_delay_alu instid0(VALU_DEP_1) | instskip(NEXT) | instid1(VALU_DEP_3)
	v_ldexp_f32 v5, v5, v7
	v_dual_add_f32 v7, -1.0, v6 :: v_dual_add_f32 v36, -1.0, v37
	s_delay_alu instid0(VALU_DEP_1) | instskip(NEXT) | instid1(VALU_DEP_2)
	v_add_f32_e32 v38, 1.0, v7
	v_sub_f32_e32 v36, v6, v36
	s_delay_alu instid0(VALU_DEP_2) | instskip(NEXT) | instid1(VALU_DEP_2)
	v_sub_f32_e32 v6, v6, v38
	v_add_f32_e32 v36, v5, v36
	s_delay_alu instid0(VALU_DEP_2) | instskip(NEXT) | instid1(VALU_DEP_1)
	v_add_f32_e32 v5, v5, v6
	v_dual_add_f32 v39, v7, v5 :: v_dual_add_f32 v38, v37, v36
	v_cmp_eq_f32_e32 vcc_lo, 0x7f800000, v2
	v_cmp_gt_f32_e64 s16, 0x33800000, v2
	s_delay_alu instid0(VALU_DEP_3) | instskip(NEXT) | instid1(VALU_DEP_4)
	v_sub_f32_e32 v7, v7, v39
	v_rcp_f32_e32 v6, v38
	v_sub_f32_e32 v37, v37, v38
	s_delay_alu instid0(VALU_DEP_3) | instskip(NEXT) | instid1(VALU_DEP_1)
	s_or_b32 vcc_lo, s16, vcc_lo
	v_dual_add_f32 v5, v5, v7 :: v_dual_add_f32 v36, v36, v37
	s_waitcnt_depctr 0xfff
	v_mul_f32_e32 v40, v39, v6
	s_delay_alu instid0(VALU_DEP_1) | instskip(NEXT) | instid1(VALU_DEP_1)
	v_mul_f32_e32 v41, v38, v40
	v_fma_f32 v37, v40, v38, -v41
	s_delay_alu instid0(VALU_DEP_1) | instskip(NEXT) | instid1(VALU_DEP_1)
	v_fmac_f32_e32 v37, v40, v36
	v_add_f32_e32 v42, v41, v37
	s_delay_alu instid0(VALU_DEP_1) | instskip(NEXT) | instid1(VALU_DEP_1)
	v_sub_f32_e32 v43, v39, v42
	v_sub_f32_e32 v39, v39, v43
	s_delay_alu instid0(VALU_DEP_1) | instskip(SKIP_1) | instid1(VALU_DEP_2)
	v_sub_f32_e32 v39, v39, v42
	v_sub_f32_e32 v7, v42, v41
	v_add_f32_e32 v5, v5, v39
	s_delay_alu instid0(VALU_DEP_2) | instskip(NEXT) | instid1(VALU_DEP_1)
	v_sub_f32_e32 v7, v7, v37
	v_add_f32_e32 v5, v7, v5
	s_delay_alu instid0(VALU_DEP_1) | instskip(NEXT) | instid1(VALU_DEP_1)
	v_add_f32_e32 v7, v43, v5
	v_mul_f32_e32 v37, v6, v7
	s_delay_alu instid0(VALU_DEP_1) | instskip(NEXT) | instid1(VALU_DEP_1)
	v_dual_sub_f32 v42, v43, v7 :: v_dual_mul_f32 v39, v38, v37
	v_add_f32_e32 v5, v5, v42
	s_delay_alu instid0(VALU_DEP_2) | instskip(NEXT) | instid1(VALU_DEP_1)
	v_fma_f32 v38, v37, v38, -v39
	v_fmac_f32_e32 v38, v37, v36
	s_delay_alu instid0(VALU_DEP_1) | instskip(NEXT) | instid1(VALU_DEP_1)
	v_add_f32_e32 v36, v39, v38
	v_sub_f32_e32 v41, v7, v36
	s_delay_alu instid0(VALU_DEP_1) | instskip(NEXT) | instid1(VALU_DEP_1)
	v_sub_f32_e32 v7, v7, v41
	v_sub_f32_e32 v7, v7, v36
	s_delay_alu instid0(VALU_DEP_1) | instskip(SKIP_2) | instid1(VALU_DEP_1)
	v_add_f32_e32 v5, v5, v7
	v_add_f32_e32 v7, v40, v37
	v_sub_f32_e32 v39, v36, v39
	v_sub_f32_e32 v36, v39, v38
	s_delay_alu instid0(VALU_DEP_1) | instskip(NEXT) | instid1(VALU_DEP_1)
	v_dual_add_f32 v5, v36, v5 :: v_dual_sub_f32 v36, v7, v40
	v_add_f32_e32 v5, v41, v5
	s_delay_alu instid0(VALU_DEP_1) | instskip(NEXT) | instid1(VALU_DEP_1)
	v_dual_sub_f32 v36, v37, v36 :: v_dual_mul_f32 v5, v6, v5
	v_add_f32_e32 v5, v36, v5
	s_delay_alu instid0(VALU_DEP_1) | instskip(NEXT) | instid1(VALU_DEP_1)
	v_add_f32_e32 v6, v7, v5
	v_mul_f32_e32 v36, v6, v6
	s_delay_alu instid0(VALU_DEP_1) | instskip(SKIP_1) | instid1(VALU_DEP_2)
	v_fmaak_f32 v37, s42, v36, 0x3ecc95a3
	v_mul_f32_e32 v38, v6, v36
	v_fmaak_f32 v36, v36, v37, 0x3f2aaada
	v_ldexp_f32 v37, v6, 1
	v_sub_f32_e32 v6, v6, v7
	s_delay_alu instid0(VALU_DEP_3) | instskip(SKIP_1) | instid1(VALU_DEP_2)
	v_mul_f32_e32 v36, v38, v36
	v_mul_f32_e32 v38, 0x3f317218, v4
	v_add_f32_e32 v7, v37, v36
	s_delay_alu instid0(VALU_DEP_1) | instskip(NEXT) | instid1(VALU_DEP_3)
	v_dual_sub_f32 v5, v5, v6 :: v_dual_sub_f32 v6, v7, v37
	v_fma_f32 v37, 0x3f317218, v4, -v38
	s_delay_alu instid0(VALU_DEP_2) | instskip(NEXT) | instid1(VALU_DEP_2)
	v_ldexp_f32 v5, v5, 1
	v_dual_sub_f32 v6, v36, v6 :: v_dual_fmac_f32 v37, 0xb102e308, v4
	s_delay_alu instid0(VALU_DEP_1) | instskip(NEXT) | instid1(VALU_DEP_1)
	v_dual_add_f32 v4, v5, v6 :: v_dual_add_f32 v5, v38, v37
	v_add_f32_e32 v6, v7, v4
	s_delay_alu instid0(VALU_DEP_1) | instskip(NEXT) | instid1(VALU_DEP_1)
	v_add_f32_e32 v36, v5, v6
	v_sub_f32_e32 v39, v36, v5
	s_delay_alu instid0(VALU_DEP_1) | instskip(SKIP_2) | instid1(VALU_DEP_2)
	v_sub_f32_e32 v40, v36, v39
	v_sub_f32_e32 v7, v6, v7
	;; [unrolled: 1-line block ×5, first 2 shown]
	s_delay_alu instid0(VALU_DEP_1) | instskip(NEXT) | instid1(VALU_DEP_1)
	v_sub_f32_e32 v37, v37, v38
	v_add_f32_e32 v7, v37, v4
	v_sub_f32_e32 v5, v5, v40
	s_delay_alu instid0(VALU_DEP_1) | instskip(NEXT) | instid1(VALU_DEP_3)
	v_add_f32_e32 v5, v6, v5
	v_sub_f32_e32 v6, v7, v37
	s_delay_alu instid0(VALU_DEP_1) | instskip(NEXT) | instid1(VALU_DEP_1)
	v_dual_sub_f32 v4, v4, v6 :: v_dual_add_f32 v5, v7, v5
	v_dual_sub_f32 v7, v7, v6 :: v_dual_add_f32 v38, v36, v5
	s_delay_alu instid0(VALU_DEP_1) | instskip(NEXT) | instid1(VALU_DEP_1)
	v_dual_sub_f32 v7, v37, v7 :: v_dual_sub_f32 v6, v38, v36
	v_dual_add_f32 v4, v4, v7 :: v_dual_sub_f32 v5, v5, v6
	s_delay_alu instid0(VALU_DEP_1) | instskip(NEXT) | instid1(VALU_DEP_1)
	v_add_f32_e32 v4, v4, v5
	v_add_f32_e32 v4, v38, v4
	s_delay_alu instid0(VALU_DEP_1)
	v_cndmask_b32_e32 v36, v4, v2, vcc_lo
.LBB4_30:                               ;   in Loop: Header=BB4_12 Depth=1
	s_or_b32 exec_lo, exec_lo, s17
	v_lshlrev_b32_e32 v2, 16, v3
	s_delay_alu instid0(VALU_DEP_1) | instskip(NEXT) | instid1(VALU_DEP_1)
	v_add_f32_e32 v41, s58, v2
	v_cmp_ge_f32_e32 vcc_lo, 0x41a00000, v41
	s_and_b32 s16, s62, vcc_lo
	s_delay_alu instid0(SALU_CYCLE_1)
	s_and_saveexec_b32 s17, s16
	s_cbranch_execz .LBB4_32
; %bb.31:                               ;   in Loop: Header=BB4_12 Depth=1
	v_mul_f32_e32 v2, 0x3fb8aa3b, v41
	v_cmp_ngt_f32_e32 vcc_lo, 0xc2ce8ed0, v41
	s_delay_alu instid0(VALU_DEP_2) | instskip(SKIP_1) | instid1(VALU_DEP_1)
	v_rndne_f32_e32 v4, v2
	v_fma_f32 v5, 0x3fb8aa3b, v41, -v2
	v_dual_sub_f32 v2, v2, v4 :: v_dual_fmac_f32 v5, 0x32a5705f, v41
	v_cvt_i32_f32_e32 v4, v4
	s_delay_alu instid0(VALU_DEP_2) | instskip(NEXT) | instid1(VALU_DEP_1)
	v_add_f32_e32 v2, v2, v5
	v_exp_f32_e32 v2, v2
	s_waitcnt_depctr 0xfff
	v_ldexp_f32 v2, v2, v4
	s_delay_alu instid0(VALU_DEP_1) | instskip(SKIP_1) | instid1(VALU_DEP_2)
	v_cndmask_b32_e32 v2, 0, v2, vcc_lo
	v_cmp_nlt_f32_e32 vcc_lo, 0x42b17218, v41
	v_cndmask_b32_e32 v2, 0x7f800000, v2, vcc_lo
	s_delay_alu instid0(VALU_DEP_1) | instskip(NEXT) | instid1(VALU_DEP_1)
	v_add_f32_e32 v6, 1.0, v2
	v_cvt_f64_f32_e32 v[4:5], v6
	s_delay_alu instid0(VALU_DEP_1) | instskip(SKIP_1) | instid1(VALU_DEP_1)
	v_frexp_exp_i32_f64_e32 v4, v[4:5]
	v_frexp_mant_f32_e32 v5, v6
	v_cmp_gt_f32_e32 vcc_lo, 0x3f2aaaab, v5
	v_add_f32_e32 v5, -1.0, v6
	s_delay_alu instid0(VALU_DEP_1) | instskip(SKIP_1) | instid1(VALU_DEP_2)
	v_sub_f32_e32 v37, v5, v6
	v_sub_f32_e32 v5, v2, v5
	v_add_f32_e32 v37, 1.0, v37
	s_delay_alu instid0(VALU_DEP_1) | instskip(SKIP_3) | instid1(VALU_DEP_2)
	v_add_f32_e32 v5, v5, v37
	v_cmp_gt_f32_e64 s16, 0x33800000, v2
	v_subrev_co_ci_u32_e32 v4, vcc_lo, 0, v4, vcc_lo
	v_cmp_eq_f32_e32 vcc_lo, 0x7f800000, v2
	v_sub_nc_u32_e32 v7, 0, v4
	v_cvt_f32_i32_e32 v4, v4
	s_or_b32 vcc_lo, s16, vcc_lo
	s_delay_alu instid0(VALU_DEP_2) | instskip(SKIP_1) | instid1(VALU_DEP_2)
	v_ldexp_f32 v6, v6, v7
	v_ldexp_f32 v5, v5, v7
	v_add_f32_e32 v38, 1.0, v6
	v_add_f32_e32 v7, -1.0, v6
	s_delay_alu instid0(VALU_DEP_1) | instskip(NEXT) | instid1(VALU_DEP_3)
	v_add_f32_e32 v39, 1.0, v7
	v_add_f32_e32 v37, -1.0, v38
	s_delay_alu instid0(VALU_DEP_1) | instskip(NEXT) | instid1(VALU_DEP_1)
	v_sub_f32_e32 v37, v6, v37
	v_dual_sub_f32 v6, v6, v39 :: v_dual_add_f32 v37, v5, v37
	s_delay_alu instid0(VALU_DEP_1) | instskip(NEXT) | instid1(VALU_DEP_2)
	v_add_f32_e32 v39, v38, v37
	v_add_f32_e32 v5, v5, v6
	s_delay_alu instid0(VALU_DEP_2) | instskip(SKIP_1) | instid1(VALU_DEP_1)
	v_rcp_f32_e32 v6, v39
	v_sub_f32_e32 v38, v38, v39
	v_dual_add_f32 v40, v7, v5 :: v_dual_add_f32 v37, v37, v38
	s_delay_alu instid0(VALU_DEP_1) | instskip(SKIP_2) | instid1(VALU_DEP_1)
	v_sub_f32_e32 v7, v7, v40
	s_waitcnt_depctr 0xfff
	v_mul_f32_e32 v41, v40, v6
	v_mul_f32_e32 v42, v39, v41
	s_delay_alu instid0(VALU_DEP_1) | instskip(NEXT) | instid1(VALU_DEP_1)
	v_fma_f32 v38, v41, v39, -v42
	v_fmac_f32_e32 v38, v41, v37
	s_delay_alu instid0(VALU_DEP_1) | instskip(NEXT) | instid1(VALU_DEP_1)
	v_add_f32_e32 v43, v42, v38
	v_sub_f32_e32 v44, v40, v43
	s_delay_alu instid0(VALU_DEP_1) | instskip(NEXT) | instid1(VALU_DEP_1)
	v_dual_sub_f32 v40, v40, v44 :: v_dual_add_f32 v5, v5, v7
	v_dual_sub_f32 v7, v43, v42 :: v_dual_sub_f32 v40, v40, v43
	s_delay_alu instid0(VALU_DEP_1) | instskip(NEXT) | instid1(VALU_DEP_2)
	v_sub_f32_e32 v7, v7, v38
	v_add_f32_e32 v5, v5, v40
	s_delay_alu instid0(VALU_DEP_1) | instskip(NEXT) | instid1(VALU_DEP_1)
	v_add_f32_e32 v5, v7, v5
	v_add_f32_e32 v7, v44, v5
	s_delay_alu instid0(VALU_DEP_1) | instskip(NEXT) | instid1(VALU_DEP_1)
	v_mul_f32_e32 v38, v6, v7
	v_dual_sub_f32 v43, v44, v7 :: v_dual_mul_f32 v40, v39, v38
	s_delay_alu instid0(VALU_DEP_1) | instskip(NEXT) | instid1(VALU_DEP_2)
	v_add_f32_e32 v5, v5, v43
	v_fma_f32 v39, v38, v39, -v40
	s_delay_alu instid0(VALU_DEP_1) | instskip(NEXT) | instid1(VALU_DEP_1)
	v_fmac_f32_e32 v39, v38, v37
	v_add_f32_e32 v37, v40, v39
	s_delay_alu instid0(VALU_DEP_1) | instskip(NEXT) | instid1(VALU_DEP_1)
	v_sub_f32_e32 v42, v7, v37
	v_dual_sub_f32 v40, v37, v40 :: v_dual_sub_f32 v7, v7, v42
	s_delay_alu instid0(VALU_DEP_1) | instskip(NEXT) | instid1(VALU_DEP_2)
	v_sub_f32_e32 v7, v7, v37
	v_sub_f32_e32 v37, v40, v39
	s_delay_alu instid0(VALU_DEP_2) | instskip(SKIP_1) | instid1(VALU_DEP_2)
	v_add_f32_e32 v5, v5, v7
	v_add_f32_e32 v7, v41, v38
	;; [unrolled: 1-line block ×3, first 2 shown]
	s_delay_alu instid0(VALU_DEP_2) | instskip(NEXT) | instid1(VALU_DEP_2)
	v_sub_f32_e32 v37, v7, v41
	v_add_f32_e32 v5, v42, v5
	s_delay_alu instid0(VALU_DEP_2) | instskip(NEXT) | instid1(VALU_DEP_2)
	v_sub_f32_e32 v37, v38, v37
	v_mul_f32_e32 v5, v6, v5
	s_delay_alu instid0(VALU_DEP_1) | instskip(NEXT) | instid1(VALU_DEP_1)
	v_add_f32_e32 v5, v37, v5
	v_add_f32_e32 v6, v7, v5
	s_delay_alu instid0(VALU_DEP_1) | instskip(NEXT) | instid1(VALU_DEP_1)
	v_mul_f32_e32 v37, v6, v6
	v_fmaak_f32 v38, s42, v37, 0x3ecc95a3
	v_mul_f32_e32 v39, v6, v37
	s_delay_alu instid0(VALU_DEP_2) | instskip(SKIP_1) | instid1(VALU_DEP_2)
	v_fmaak_f32 v37, v37, v38, 0x3f2aaada
	v_ldexp_f32 v38, v6, 1
	v_dual_sub_f32 v6, v6, v7 :: v_dual_mul_f32 v37, v39, v37
	v_mul_f32_e32 v39, 0x3f317218, v4
	s_delay_alu instid0(VALU_DEP_2) | instskip(NEXT) | instid1(VALU_DEP_3)
	v_sub_f32_e32 v5, v5, v6
	v_add_f32_e32 v7, v38, v37
	s_delay_alu instid0(VALU_DEP_2) | instskip(NEXT) | instid1(VALU_DEP_2)
	v_ldexp_f32 v5, v5, 1
	v_sub_f32_e32 v6, v7, v38
	v_fma_f32 v38, 0x3f317218, v4, -v39
	s_delay_alu instid0(VALU_DEP_2) | instskip(NEXT) | instid1(VALU_DEP_2)
	v_sub_f32_e32 v6, v37, v6
	v_fmac_f32_e32 v38, 0xb102e308, v4
	s_delay_alu instid0(VALU_DEP_2) | instskip(NEXT) | instid1(VALU_DEP_2)
	v_add_f32_e32 v4, v5, v6
	v_add_f32_e32 v5, v39, v38
	s_delay_alu instid0(VALU_DEP_1) | instskip(NEXT) | instid1(VALU_DEP_1)
	v_dual_add_f32 v6, v7, v4 :: v_dual_sub_f32 v39, v5, v39
	v_add_f32_e32 v37, v5, v6
	v_sub_f32_e32 v7, v6, v7
	s_delay_alu instid0(VALU_DEP_3) | instskip(NEXT) | instid1(VALU_DEP_3)
	v_sub_f32_e32 v38, v38, v39
	v_sub_f32_e32 v40, v37, v5
	s_delay_alu instid0(VALU_DEP_1) | instskip(SKIP_1) | instid1(VALU_DEP_2)
	v_dual_sub_f32 v4, v4, v7 :: v_dual_sub_f32 v41, v37, v40
	v_sub_f32_e32 v6, v6, v40
	v_add_f32_e32 v7, v38, v4
	s_delay_alu instid0(VALU_DEP_3) | instskip(NEXT) | instid1(VALU_DEP_1)
	v_sub_f32_e32 v5, v5, v41
	v_dual_add_f32 v5, v6, v5 :: v_dual_sub_f32 v6, v7, v38
	s_delay_alu instid0(VALU_DEP_1) | instskip(NEXT) | instid1(VALU_DEP_2)
	v_add_f32_e32 v5, v7, v5
	v_sub_f32_e32 v7, v7, v6
	s_delay_alu instid0(VALU_DEP_2) | instskip(NEXT) | instid1(VALU_DEP_1)
	v_dual_sub_f32 v4, v4, v6 :: v_dual_add_f32 v39, v37, v5
	v_dual_sub_f32 v7, v38, v7 :: v_dual_sub_f32 v6, v39, v37
	s_delay_alu instid0(VALU_DEP_1) | instskip(NEXT) | instid1(VALU_DEP_1)
	v_dual_add_f32 v4, v4, v7 :: v_dual_sub_f32 v5, v5, v6
	v_add_f32_e32 v4, v4, v5
	s_delay_alu instid0(VALU_DEP_1) | instskip(NEXT) | instid1(VALU_DEP_1)
	v_add_f32_e32 v4, v39, v4
	v_cndmask_b32_e32 v41, v4, v2, vcc_lo
.LBB4_32:                               ;   in Loop: Header=BB4_12 Depth=1
	s_or_b32 exec_lo, exec_lo, s17
	v_and_b32_e32 v2, 0xffff0000, v3
	s_delay_alu instid0(VALU_DEP_1) | instskip(NEXT) | instid1(VALU_DEP_1)
	v_add_f32_e32 v42, s58, v2
	v_cmp_ge_f32_e32 vcc_lo, 0x41a00000, v42
	s_and_b32 s16, s62, vcc_lo
	s_delay_alu instid0(SALU_CYCLE_1)
	s_and_saveexec_b32 s17, s16
	s_cbranch_execz .LBB4_34
; %bb.33:                               ;   in Loop: Header=BB4_12 Depth=1
	v_mul_f32_e32 v2, 0x3fb8aa3b, v42
	v_cmp_ngt_f32_e32 vcc_lo, 0xc2ce8ed0, v42
	s_delay_alu instid0(VALU_DEP_2) | instskip(SKIP_1) | instid1(VALU_DEP_2)
	v_rndne_f32_e32 v3, v2
	v_fma_f32 v4, 0x3fb8aa3b, v42, -v2
	v_sub_f32_e32 v2, v2, v3
	s_delay_alu instid0(VALU_DEP_2) | instskip(SKIP_1) | instid1(VALU_DEP_2)
	v_fmac_f32_e32 v4, 0x32a5705f, v42
	v_cvt_i32_f32_e32 v3, v3
	v_add_f32_e32 v2, v2, v4
	s_delay_alu instid0(VALU_DEP_1) | instskip(SKIP_2) | instid1(VALU_DEP_1)
	v_exp_f32_e32 v2, v2
	s_waitcnt_depctr 0xfff
	v_ldexp_f32 v2, v2, v3
	v_cndmask_b32_e32 v2, 0, v2, vcc_lo
	v_cmp_nlt_f32_e32 vcc_lo, 0x42b17218, v42
	s_delay_alu instid0(VALU_DEP_2) | instskip(NEXT) | instid1(VALU_DEP_1)
	v_cndmask_b32_e32 v4, 0x7f800000, v2, vcc_lo
	v_add_f32_e32 v5, 1.0, v4
	s_delay_alu instid0(VALU_DEP_1) | instskip(NEXT) | instid1(VALU_DEP_1)
	v_cvt_f64_f32_e32 v[2:3], v5
	v_frexp_exp_i32_f64_e32 v2, v[2:3]
	v_frexp_mant_f32_e32 v3, v5
	s_delay_alu instid0(VALU_DEP_1) | instskip(SKIP_1) | instid1(VALU_DEP_1)
	v_cmp_gt_f32_e32 vcc_lo, 0x3f2aaaab, v3
	v_add_f32_e32 v3, -1.0, v5
	v_sub_f32_e32 v7, v3, v5
	s_delay_alu instid0(VALU_DEP_1) | instskip(SKIP_1) | instid1(VALU_DEP_1)
	v_add_f32_e32 v7, 1.0, v7
	v_subrev_co_ci_u32_e32 v2, vcc_lo, 0, v2, vcc_lo
	v_sub_nc_u32_e32 v6, 0, v2
	v_cvt_f32_i32_e32 v2, v2
	s_delay_alu instid0(VALU_DEP_2) | instskip(NEXT) | instid1(VALU_DEP_1)
	v_ldexp_f32 v5, v5, v6
	v_add_f32_e32 v37, 1.0, v5
	v_sub_f32_e32 v3, v4, v3
	v_cmp_eq_f32_e32 vcc_lo, 0x7f800000, v4
	v_cmp_gt_f32_e64 s16, 0x33800000, v4
	s_delay_alu instid0(VALU_DEP_3) | instskip(NEXT) | instid1(VALU_DEP_2)
	v_add_f32_e32 v3, v3, v7
	s_or_b32 vcc_lo, s16, vcc_lo
	s_delay_alu instid0(VALU_DEP_1) | instskip(SKIP_1) | instid1(VALU_DEP_1)
	v_ldexp_f32 v3, v3, v6
	v_add_f32_e32 v6, -1.0, v5
	v_dual_add_f32 v7, -1.0, v37 :: v_dual_add_f32 v38, 1.0, v6
	s_delay_alu instid0(VALU_DEP_1) | instskip(NEXT) | instid1(VALU_DEP_2)
	v_sub_f32_e32 v7, v5, v7
	v_sub_f32_e32 v5, v5, v38
	s_delay_alu instid0(VALU_DEP_2) | instskip(NEXT) | instid1(VALU_DEP_1)
	v_add_f32_e32 v7, v3, v7
	v_dual_add_f32 v3, v3, v5 :: v_dual_add_f32 v38, v37, v7
	s_delay_alu instid0(VALU_DEP_1) | instskip(NEXT) | instid1(VALU_DEP_2)
	v_add_f32_e32 v39, v6, v3
	v_rcp_f32_e32 v5, v38
	s_delay_alu instid0(VALU_DEP_1) | instskip(NEXT) | instid1(VALU_DEP_1)
	v_dual_sub_f32 v37, v37, v38 :: v_dual_sub_f32 v6, v6, v39
	v_add_f32_e32 v3, v3, v6
	s_waitcnt_depctr 0xfff
	v_mul_f32_e32 v40, v39, v5
	s_delay_alu instid0(VALU_DEP_1) | instskip(NEXT) | instid1(VALU_DEP_1)
	v_dual_mul_f32 v42, v38, v40 :: v_dual_add_f32 v7, v7, v37
	v_fma_f32 v37, v40, v38, -v42
	s_delay_alu instid0(VALU_DEP_1) | instskip(NEXT) | instid1(VALU_DEP_1)
	v_fmac_f32_e32 v37, v40, v7
	v_add_f32_e32 v43, v42, v37
	s_delay_alu instid0(VALU_DEP_1) | instskip(SKIP_1) | instid1(VALU_DEP_1)
	v_sub_f32_e32 v6, v43, v42
	v_sub_f32_e32 v44, v39, v43
	v_dual_sub_f32 v6, v6, v37 :: v_dual_sub_f32 v39, v39, v44
	s_delay_alu instid0(VALU_DEP_1) | instskip(NEXT) | instid1(VALU_DEP_1)
	v_sub_f32_e32 v39, v39, v43
	v_add_f32_e32 v3, v3, v39
	s_delay_alu instid0(VALU_DEP_1) | instskip(NEXT) | instid1(VALU_DEP_1)
	v_add_f32_e32 v3, v6, v3
	v_add_f32_e32 v6, v44, v3
	s_delay_alu instid0(VALU_DEP_1) | instskip(SKIP_1) | instid1(VALU_DEP_2)
	v_mul_f32_e32 v37, v5, v6
	v_sub_f32_e32 v43, v44, v6
	v_mul_f32_e32 v39, v38, v37
	s_delay_alu instid0(VALU_DEP_2) | instskip(NEXT) | instid1(VALU_DEP_2)
	v_add_f32_e32 v3, v3, v43
	v_fma_f32 v38, v37, v38, -v39
	s_delay_alu instid0(VALU_DEP_1) | instskip(NEXT) | instid1(VALU_DEP_1)
	v_fmac_f32_e32 v38, v37, v7
	v_add_f32_e32 v7, v39, v38
	s_delay_alu instid0(VALU_DEP_1) | instskip(NEXT) | instid1(VALU_DEP_1)
	v_sub_f32_e32 v42, v6, v7
	v_dual_sub_f32 v39, v7, v39 :: v_dual_sub_f32 v6, v6, v42
	s_delay_alu instid0(VALU_DEP_1) | instskip(NEXT) | instid1(VALU_DEP_1)
	v_dual_sub_f32 v6, v6, v7 :: v_dual_sub_f32 v7, v39, v38
	v_dual_add_f32 v3, v3, v6 :: v_dual_add_f32 v6, v40, v37
	s_delay_alu instid0(VALU_DEP_1) | instskip(NEXT) | instid1(VALU_DEP_2)
	v_add_f32_e32 v3, v7, v3
	v_sub_f32_e32 v7, v6, v40
	s_delay_alu instid0(VALU_DEP_2) | instskip(NEXT) | instid1(VALU_DEP_2)
	v_add_f32_e32 v3, v42, v3
	v_sub_f32_e32 v7, v37, v7
	s_delay_alu instid0(VALU_DEP_2) | instskip(NEXT) | instid1(VALU_DEP_1)
	v_mul_f32_e32 v3, v5, v3
	v_add_f32_e32 v3, v7, v3
	s_delay_alu instid0(VALU_DEP_1) | instskip(NEXT) | instid1(VALU_DEP_1)
	v_add_f32_e32 v5, v6, v3
	v_mul_f32_e32 v7, v5, v5
	s_delay_alu instid0(VALU_DEP_1) | instskip(NEXT) | instid1(VALU_DEP_1)
	v_fmaak_f32 v37, s42, v7, 0x3ecc95a3
	v_dual_mul_f32 v38, v5, v7 :: v_dual_fmaak_f32 v7, v7, v37, 0x3f2aaada
	v_ldexp_f32 v37, v5, 1
	v_sub_f32_e32 v5, v5, v6
	s_delay_alu instid0(VALU_DEP_3) | instskip(NEXT) | instid1(VALU_DEP_1)
	v_dual_mul_f32 v7, v38, v7 :: v_dual_mul_f32 v38, 0x3f317218, v2
	v_dual_sub_f32 v3, v3, v5 :: v_dual_add_f32 v6, v37, v7
	s_delay_alu instid0(VALU_DEP_1) | instskip(NEXT) | instid1(VALU_DEP_2)
	v_ldexp_f32 v3, v3, 1
	v_sub_f32_e32 v5, v6, v37
	s_delay_alu instid0(VALU_DEP_4) | instskip(NEXT) | instid1(VALU_DEP_2)
	v_fma_f32 v37, 0x3f317218, v2, -v38
	v_sub_f32_e32 v5, v7, v5
	s_delay_alu instid0(VALU_DEP_1) | instskip(NEXT) | instid1(VALU_DEP_1)
	v_dual_fmac_f32 v37, 0xb102e308, v2 :: v_dual_add_f32 v2, v3, v5
	v_add_f32_e32 v3, v38, v37
	s_delay_alu instid0(VALU_DEP_2) | instskip(NEXT) | instid1(VALU_DEP_2)
	v_add_f32_e32 v5, v6, v2
	v_sub_f32_e32 v38, v3, v38
	s_delay_alu instid0(VALU_DEP_2) | instskip(NEXT) | instid1(VALU_DEP_2)
	v_dual_add_f32 v7, v3, v5 :: v_dual_sub_f32 v6, v5, v6
	v_sub_f32_e32 v37, v37, v38
	s_delay_alu instid0(VALU_DEP_2) | instskip(NEXT) | instid1(VALU_DEP_1)
	v_dual_sub_f32 v39, v7, v3 :: v_dual_sub_f32 v2, v2, v6
	v_sub_f32_e32 v40, v7, v39
	v_sub_f32_e32 v5, v5, v39
	s_delay_alu instid0(VALU_DEP_2) | instskip(NEXT) | instid1(VALU_DEP_1)
	v_dual_add_f32 v6, v37, v2 :: v_dual_sub_f32 v3, v3, v40
	v_add_f32_e32 v3, v5, v3
	s_delay_alu instid0(VALU_DEP_2) | instskip(NEXT) | instid1(VALU_DEP_2)
	v_sub_f32_e32 v5, v6, v37
	v_add_f32_e32 v3, v6, v3
	s_delay_alu instid0(VALU_DEP_2) | instskip(SKIP_1) | instid1(VALU_DEP_3)
	v_sub_f32_e32 v6, v6, v5
	v_sub_f32_e32 v2, v2, v5
	v_add_f32_e32 v38, v7, v3
	s_delay_alu instid0(VALU_DEP_1) | instskip(NEXT) | instid1(VALU_DEP_1)
	v_dual_sub_f32 v6, v37, v6 :: v_dual_sub_f32 v5, v38, v7
	v_dual_add_f32 v2, v2, v6 :: v_dual_sub_f32 v3, v3, v5
	s_delay_alu instid0(VALU_DEP_1) | instskip(NEXT) | instid1(VALU_DEP_1)
	v_add_f32_e32 v2, v2, v3
	v_add_f32_e32 v2, v38, v2
	s_delay_alu instid0(VALU_DEP_1)
	v_cndmask_b32_e32 v42, v2, v4, vcc_lo
.LBB4_34:                               ;   in Loop: Header=BB4_12 Depth=1
	s_or_b32 exec_lo, exec_lo, s17
	v_lshlrev_b32_e32 v2, 16, v1
	v_and_b32_e32 v3, 0xffff0000, v0
	v_lshlrev_b32_e32 v0, 16, v0
	v_and_b32_e32 v1, 0xffff0000, v1
	s_and_b32 vcc_lo, exec_lo, s63
	s_delay_alu instid0(VALU_DEP_3) | instskip(NEXT) | instid1(VALU_DEP_2)
	v_dual_mul_f32 v37, s59, v2 :: v_dual_mul_f32 v40, s59, v3
	v_dual_mul_f32 v38, s59, v0 :: v_dual_mul_f32 v39, s59, v1
	s_barrier
	buffer_gl0_inv
	s_cbranch_vccz .LBB4_82
; %bb.35:                               ;   in Loop: Header=BB4_12 Depth=1
	v_dual_mul_f32 v43, v42, v1 :: v_dual_mul_f32 v48, v41, v2
	v_add_co_u32 v1, s16, s47, v33
	s_delay_alu instid0(VALU_DEP_1) | instskip(SKIP_1) | instid1(VALU_DEP_1)
	v_add_co_ci_u32_e64 v4, null, s49, 0, s16
	v_add_co_u32 v5, s16, s51, v33
	v_add_co_ci_u32_e64 v6, null, s60, 0, s16
	s_delay_alu instid0(VALU_DEP_4) | instskip(NEXT) | instid1(VALU_DEP_4)
	v_add_co_u32 v44, vcc_lo, v1, v34
	v_add_co_ci_u32_e32 v45, vcc_lo, 0, v4, vcc_lo
	s_delay_alu instid0(VALU_DEP_4) | instskip(NEXT) | instid1(VALU_DEP_4)
	v_add_co_u32 v46, vcc_lo, v5, v34
	v_add_co_ci_u32_e32 v47, vcc_lo, 0, v6, vcc_lo
	v_cmp_gt_u32_e32 vcc_lo, s19, v8
	v_cmp_gt_u32_e64 s17, s19, v30
	v_cmp_gt_u32_e64 s18, s19, v31
	;; [unrolled: 1-line block ×3, first 2 shown]
	s_cmp_lg_u32 s54, 0
	v_dual_mul_f32 v49, v36, v3 :: v_dual_mul_f32 v50, v35, v0
	s_mov_b32 s28, 0
	s_cselect_b32 s25, -1, 0
	s_cmp_eq_u32 s54, s65
	s_mov_b32 s26, s28
	s_cselect_b32 s55, -1, 0
	s_or_b32 s16, s64, vcc_lo
	s_or_b32 s17, s64, s17
	s_or_b32 s18, s64, s18
	;; [unrolled: 1-line block ×3, first 2 shown]
	s_mov_b32 s30, s28
	s_mov_b32 s34, s28
	;; [unrolled: 1-line block ×4, first 2 shown]
	s_branch .LBB4_37
.LBB4_36:                               ;   in Loop: Header=BB4_37 Depth=2
	s_or_b32 exec_lo, exec_lo, s20
	v_cndmask_b32_e64 v2, v60, v7, s11
	v_cndmask_b32_e64 v3, v59, v6, s11
	s_add_i32 s56, s56, -1
	s_add_i32 s57, s57, 8
	s_add_i32 s34, s34, s50
	v_fma_f32 v2, v2, v58, v56
	v_mul_f32_e32 v3, v3, v58
	s_add_i32 s30, s30, s36
	s_add_i32 s26, s26, s48
	;; [unrolled: 1-line block ×3, first 2 shown]
	v_cndmask_b32_e64 v2, v2, v56, s10
	v_cndmask_b32_e64 v3, v3, v58, s10
	s_cmp_eq_u32 s56, 0
	s_waitcnt lgkmcnt(0)
	s_delay_alu instid0(VALU_DEP_1) | instskip(NEXT) | instid1(VALU_DEP_1)
	v_dual_fmac_f32 v2, v4, v3 :: v_dual_and_b32 v3, 0xffff0000, v0
	v_dual_fmac_f32 v51, v2, v57 :: v_dual_lshlrev_b32 v0, 16, v0
	s_delay_alu instid0(VALU_DEP_1) | instskip(SKIP_1) | instid1(VALU_DEP_3)
	v_fmac_f32_e32 v52, v51, v55
	v_and_b32_e32 v4, 0xffff0000, v1
	v_dual_fmac_f32 v38, v2, v0 :: v_dual_lshlrev_b32 v1, 16, v1
	s_delay_alu instid0(VALU_DEP_3) | instskip(NEXT) | instid1(VALU_DEP_2)
	v_dual_fmac_f32 v53, v52, v54 :: v_dual_fmac_f32 v40, v51, v3
	v_fmac_f32_e32 v37, v52, v1
	s_delay_alu instid0(VALU_DEP_2)
	v_fmac_f32_e32 v39, v53, v4
	s_cbranch_scc1 .LBB4_82
.LBB4_37:                               ;   Parent Loop BB4_12 Depth=1
                                        ; =>  This Inner Loop Header: Depth=2
	s_lshl_b64 s[20:21], s[28:29], 2
	s_mov_b32 s27, s29
	s_add_u32 s20, s44, s20
	s_addc_u32 s21, s46, s21
	v_dual_mov_b32 v2, 0 :: v_dual_mov_b32 v3, 0
	global_load_b32 v6, v12, s[20:21]
	s_lshl_b64 s[20:21], s[26:27], 1
	s_delay_alu instid0(SALU_CYCLE_1)
	v_add_co_u32 v0, vcc_lo, v44, s20
	v_add_co_ci_u32_e32 v1, vcc_lo, s21, v45, vcc_lo
	s_and_saveexec_b32 s20, s12
	s_cbranch_execz .LBB4_39
; %bb.38:                               ;   in Loop: Header=BB4_37 Depth=2
	global_load_u16 v3, v[0:1], off
.LBB4_39:                               ;   in Loop: Header=BB4_37 Depth=2
	s_or_b32 exec_lo, exec_lo, s20
	s_and_saveexec_b32 s20, s13
	s_cbranch_execz .LBB4_41
; %bb.40:                               ;   in Loop: Header=BB4_37 Depth=2
	global_load_u16 v2, v[0:1], off offset:64
.LBB4_41:                               ;   in Loop: Header=BB4_37 Depth=2
	s_or_b32 exec_lo, exec_lo, s20
	v_dual_mov_b32 v4, 0 :: v_dual_mov_b32 v5, 0
	s_and_saveexec_b32 s20, s14
	s_cbranch_execz .LBB4_43
; %bb.42:                               ;   in Loop: Header=BB4_37 Depth=2
	global_load_u16 v5, v[0:1], off offset:128
.LBB4_43:                               ;   in Loop: Header=BB4_37 Depth=2
	s_or_b32 exec_lo, exec_lo, s20
	s_and_saveexec_b32 s20, s15
	s_cbranch_execz .LBB4_45
; %bb.44:                               ;   in Loop: Header=BB4_37 Depth=2
	global_load_u16 v4, v[0:1], off offset:192
.LBB4_45:                               ;   in Loop: Header=BB4_37 Depth=2
	s_or_b32 exec_lo, exec_lo, s20
	s_waitcnt vmcnt(0)
	ds_store_b16 v14, v3
	ds_store_b16 v14, v2 offset:64
	ds_store_b16 v15, v5 offset:128
	;; [unrolled: 1-line block ×3, first 2 shown]
	; wave barrier
	ds_load_b64 v[4:5], v17
	s_mov_b32 s31, s29
	v_dual_mov_b32 v2, 0 :: v_dual_mov_b32 v3, 0
	s_lshl_b64 s[20:21], s[30:31], 1
	s_delay_alu instid0(SALU_CYCLE_1)
	v_add_co_u32 v0, vcc_lo, v46, s20
	v_add_co_ci_u32_e32 v1, vcc_lo, s21, v47, vcc_lo
	s_and_saveexec_b32 s20, s12
	s_cbranch_execz .LBB4_47
; %bb.46:                               ;   in Loop: Header=BB4_37 Depth=2
	global_load_u16 v3, v[0:1], off
.LBB4_47:                               ;   in Loop: Header=BB4_37 Depth=2
	s_or_b32 exec_lo, exec_lo, s20
	s_and_saveexec_b32 s20, s13
	s_cbranch_execz .LBB4_49
; %bb.48:                               ;   in Loop: Header=BB4_37 Depth=2
	global_load_u16 v2, v[0:1], off offset:64
.LBB4_49:                               ;   in Loop: Header=BB4_37 Depth=2
	s_or_b32 exec_lo, exec_lo, s20
	v_mov_b32_e32 v7, 0
	v_mov_b32_e32 v51, 0
	s_and_saveexec_b32 s20, s14
	s_cbranch_execz .LBB4_51
; %bb.50:                               ;   in Loop: Header=BB4_37 Depth=2
	global_load_u16 v51, v[0:1], off offset:128
.LBB4_51:                               ;   in Loop: Header=BB4_37 Depth=2
	s_or_b32 exec_lo, exec_lo, s20
	s_and_saveexec_b32 s20, s15
	s_cbranch_execz .LBB4_53
; %bb.52:                               ;   in Loop: Header=BB4_37 Depth=2
	global_load_u16 v7, v[0:1], off offset:192
.LBB4_53:                               ;   in Loop: Header=BB4_37 Depth=2
	s_or_b32 exec_lo, exec_lo, s20
	s_waitcnt vmcnt(0)
	ds_store_b16 v14, v3 offset:528
	ds_store_b16 v18, v2 offset:64
	;; [unrolled: 1-line block ×4, first 2 shown]
	; wave barrier
	ds_load_b64 v[0:1], v17 offset:528
	s_and_not1_b32 vcc_lo, exec_lo, s25
	s_cbranch_vccnz .LBB4_55
; %bb.54:                               ;   in Loop: Header=BB4_37 Depth=2
	v_mov_b32_e32 v2, s57
	ds_load_b64 v[2:3], v2
	s_cbranch_execz .LBB4_56
	s_branch .LBB4_59
.LBB4_55:                               ;   in Loop: Header=BB4_37 Depth=2
                                        ; implicit-def: $vgpr2
.LBB4_56:                               ;   in Loop: Header=BB4_37 Depth=2
	s_waitcnt lgkmcnt(0)
	v_mov_b32_e32 v3, 0
	s_and_not1_b32 vcc_lo, exec_lo, s33
	s_cbranch_vccnz .LBB4_58
; %bb.57:                               ;   in Loop: Header=BB4_37 Depth=2
	s_mov_b32 s35, s29
	s_delay_alu instid0(SALU_CYCLE_1) | instskip(NEXT) | instid1(SALU_CYCLE_1)
	s_lshl_b64 s[20:21], s[34:35], 1
	s_add_u32 s20, s52, s20
	s_addc_u32 s21, s53, s21
	global_load_u16 v2, v12, s[20:21]
	s_waitcnt vmcnt(0)
	v_lshlrev_b32_e32 v3, 16, v2
.LBB4_58:                               ;   in Loop: Header=BB4_37 Depth=2
	v_mov_b32_e32 v2, 1.0
.LBB4_59:                               ;   in Loop: Header=BB4_37 Depth=2
	s_waitcnt lgkmcnt(5)
	v_dual_mul_f32 v6, 0x3fb8aa3b, v6 :: v_dual_lshlrev_b32 v7, 16, v4
	v_lshlrev_b32_e32 v51, 16, v5
	v_and_b32_e32 v4, 0xffff0000, v4
	s_delay_alu instid0(VALU_DEP_3) | instskip(NEXT) | instid1(VALU_DEP_4)
	v_mul_f32_e32 v52, v6, v35
	v_mul_f32_e32 v7, v50, v7
	s_delay_alu instid0(VALU_DEP_3) | instskip(SKIP_1) | instid1(VALU_DEP_4)
	v_dual_mul_f32 v55, v6, v42 :: v_dual_mul_f32 v4, v49, v4
	v_dual_mul_f32 v54, v6, v41 :: v_dual_mul_f32 v59, v48, v51
	v_cmp_gt_f32_e32 vcc_lo, 0xc2fc0000, v52
	s_delay_alu instid0(VALU_DEP_3) | instskip(NEXT) | instid1(VALU_DEP_3)
	v_cmp_gt_f32_e64 s22, 0xc2fc0000, v55
	v_cmp_gt_f32_e64 s21, 0xc2fc0000, v54
	v_cndmask_b32_e64 v52, 0, 0x42800000, vcc_lo
	v_and_b32_e32 v5, 0xffff0000, v5
	s_delay_alu instid0(VALU_DEP_4) | instskip(SKIP_4) | instid1(VALU_DEP_3)
	v_cndmask_b32_e64 v55, 0, 0x42800000, s22
	v_cndmask_b32_e64 v56, 1.0, 0x1f800000, vcc_lo
	v_cndmask_b32_e64 v54, 0, 0x42800000, s21
	v_fmac_f32_e32 v52, v6, v35
	v_cndmask_b32_e64 v51, 1.0, 0x1f800000, s21
	v_fmac_f32_e32 v54, v6, v41
	s_delay_alu instid0(VALU_DEP_3) | instskip(SKIP_1) | instid1(VALU_DEP_2)
	v_exp_f32_e32 v52, v52
	v_fmac_f32_e32 v55, v6, v42
	v_exp_f32_e32 v54, v54
	s_waitcnt_depctr 0xfff
	v_mul_f32_e32 v52, v52, v56
	v_cndmask_b32_e64 v56, 0, v7, s16
	v_exp_f32_e32 v7, v55
	s_delay_alu instid0(VALU_DEP_2) | instskip(SKIP_2) | instid1(VALU_DEP_2)
	v_cndmask_b32_e64 v58, 1.0, v52, s16
	v_mul_f32_e32 v53, v6, v36
	v_cndmask_b32_e64 v52, 0, v59, s18
	v_cmp_gt_f32_e64 s20, 0xc2fc0000, v53
	s_delay_alu instid0(VALU_DEP_1) | instskip(NEXT) | instid1(VALU_DEP_1)
	v_cndmask_b32_e64 v53, 0, 0x42800000, s20
	v_fmac_f32_e32 v53, v6, v36
	v_cndmask_b32_e64 v6, 1.0, 0x1f800000, s20
	s_delay_alu instid0(VALU_DEP_2) | instskip(SKIP_4) | instid1(VALU_DEP_3)
	v_exp_f32_e32 v53, v53
	s_waitcnt_depctr 0xfff
	v_dual_mul_f32 v6, v53, v6 :: v_dual_mul_f32 v53, v54, v51
	v_cndmask_b32_e64 v51, 0, v4, s17
	v_cndmask_b32_e64 v4, 1.0, 0x1f800000, s22
	v_cndmask_b32_e64 v57, 1.0, v6, s17
	s_delay_alu instid0(VALU_DEP_4) | instskip(NEXT) | instid1(VALU_DEP_3)
	v_cndmask_b32_e64 v55, 1.0, v53, s18
	v_mul_f32_e32 v4, v7, v4
	s_delay_alu instid0(VALU_DEP_3) | instskip(SKIP_1) | instid1(VALU_DEP_3)
	v_dual_mul_f32 v6, v57, v58 :: v_dual_mul_f32 v5, v43, v5
	v_fma_f32 v7, v57, v56, v51
	v_cndmask_b32_e64 v54, 1.0, v4, s19
	s_delay_alu instid0(VALU_DEP_3) | instskip(NEXT) | instid1(VALU_DEP_4)
	v_mul_f32_e32 v4, v6, v55
	v_cndmask_b32_e64 v53, 0, v5, s19
	s_delay_alu instid0(VALU_DEP_4) | instskip(NEXT) | instid1(VALU_DEP_3)
	v_fma_f32 v5, v7, v55, v52
	v_mul_f32_e32 v4, v4, v54
	s_delay_alu instid0(VALU_DEP_2) | instskip(NEXT) | instid1(VALU_DEP_2)
	v_fma_f32 v5, v5, v54, v53
	v_mov_b32_dpp v7, v4 row_shr:1 row_mask:0xf bank_mask:0xf
	s_delay_alu instid0(VALU_DEP_2)
	v_mov_b32_dpp v6, v5 row_shr:1 row_mask:0xf bank_mask:0xf
	s_and_saveexec_b32 s20, s0
; %bb.60:                               ;   in Loop: Header=BB4_37 Depth=2
	s_delay_alu instid0(VALU_DEP_2) | instskip(NEXT) | instid1(VALU_DEP_1)
	v_mul_f32_e32 v7, v4, v7
	v_dual_fmac_f32 v5, v4, v6 :: v_dual_mov_b32 v4, v7
; %bb.61:                               ;   in Loop: Header=BB4_37 Depth=2
	s_or_b32 exec_lo, exec_lo, s20
	s_delay_alu instid0(VALU_DEP_1) | instskip(NEXT) | instid1(VALU_DEP_2)
	v_mov_b32_dpp v6, v4 row_shr:2 row_mask:0xf bank_mask:0xf
	v_mov_b32_dpp v7, v5 row_shr:2 row_mask:0xf bank_mask:0xf
	s_and_saveexec_b32 s20, s1
; %bb.62:                               ;   in Loop: Header=BB4_37 Depth=2
	s_delay_alu instid0(VALU_DEP_1) | instskip(NEXT) | instid1(VALU_DEP_3)
	v_fmac_f32_e32 v5, v4, v7
	v_mul_f32_e32 v4, v4, v6
; %bb.63:                               ;   in Loop: Header=BB4_37 Depth=2
	s_or_b32 exec_lo, exec_lo, s20
	s_delay_alu instid0(VALU_DEP_1) | instskip(NEXT) | instid1(VALU_DEP_3)
	v_mov_b32_dpp v6, v4 row_shr:4 row_mask:0xf bank_mask:0xf
	v_mov_b32_dpp v7, v5 row_shr:4 row_mask:0xf bank_mask:0xf
	s_and_saveexec_b32 s20, s2
; %bb.64:                               ;   in Loop: Header=BB4_37 Depth=2
	s_delay_alu instid0(VALU_DEP_1) | instskip(NEXT) | instid1(VALU_DEP_3)
	v_fmac_f32_e32 v5, v4, v7
	v_mul_f32_e32 v4, v4, v6
; %bb.65:                               ;   in Loop: Header=BB4_37 Depth=2
	s_or_b32 exec_lo, exec_lo, s20
	s_delay_alu instid0(VALU_DEP_1) | instskip(NEXT) | instid1(VALU_DEP_3)
	v_mov_b32_dpp v6, v4 row_shr:8 row_mask:0xf bank_mask:0xf
	v_mov_b32_dpp v7, v5 row_shr:8 row_mask:0xf bank_mask:0xf
	s_and_saveexec_b32 s20, s3
; %bb.66:                               ;   in Loop: Header=BB4_37 Depth=2
	s_delay_alu instid0(VALU_DEP_1) | instskip(NEXT) | instid1(VALU_DEP_3)
	v_fmac_f32_e32 v5, v4, v7
	v_mul_f32_e32 v4, v4, v6
; %bb.67:                               ;   in Loop: Header=BB4_37 Depth=2
	s_or_b32 exec_lo, exec_lo, s20
	ds_swizzle_b32 v7, v4 offset:swizzle(BROADCAST,32,15)
	ds_swizzle_b32 v6, v5 offset:swizzle(BROADCAST,32,15)
	s_and_saveexec_b32 s20, s4
	s_cbranch_execz .LBB4_69
; %bb.68:                               ;   in Loop: Header=BB4_37 Depth=2
	s_waitcnt lgkmcnt(1)
	v_mul_f32_e32 v7, v4, v7
	s_waitcnt lgkmcnt(0)
	s_delay_alu instid0(VALU_DEP_1)
	v_dual_fmac_f32 v5, v4, v6 :: v_dual_mov_b32 v4, v7
.LBB4_69:                               ;   in Loop: Header=BB4_37 Depth=2
	s_or_b32 exec_lo, exec_lo, s20
	s_and_saveexec_b32 s20, s5
	s_cbranch_execz .LBB4_71
; %bb.70:                               ;   in Loop: Header=BB4_37 Depth=2
	ds_store_b64 v21, v[4:5] offset:1056
.LBB4_71:                               ;   in Loop: Header=BB4_37 Depth=2
	s_or_b32 exec_lo, exec_lo, s20
	s_waitcnt lgkmcnt(0)
	s_waitcnt_vscnt null, 0x0
	s_barrier
	buffer_gl0_inv
	s_and_saveexec_b32 s20, s6
	s_cbranch_execz .LBB4_73
; %bb.72:                               ;   in Loop: Header=BB4_37 Depth=2
	ds_load_b64 v[6:7], v22 offset:1056
	s_waitcnt lgkmcnt(0)
	v_mov_b32_dpp v59, v6 row_shr:1 row_mask:0xf bank_mask:0xf
	v_mov_b32_dpp v60, v7 row_shr:1 row_mask:0xf bank_mask:0xf
	s_delay_alu instid0(VALU_DEP_2) | instskip(NEXT) | instid1(VALU_DEP_2)
	v_mul_f32_e32 v59, v6, v59
	v_fma_f32 v60, v6, v60, v7
	s_delay_alu instid0(VALU_DEP_2) | instskip(NEXT) | instid1(VALU_DEP_2)
	v_cndmask_b32_e64 v6, v59, v6, s7
	v_cndmask_b32_e64 v7, v60, v7, s7
	ds_store_b64 v22, v[6:7] offset:1056
.LBB4_73:                               ;   in Loop: Header=BB4_37 Depth=2
	s_or_b32 exec_lo, exec_lo, s20
	s_waitcnt lgkmcnt(0)
	s_barrier
	buffer_gl0_inv
                                        ; implicit-def: $vgpr7
	s_and_saveexec_b32 s20, s9
	s_cbranch_execz .LBB4_75
; %bb.74:                               ;   in Loop: Header=BB4_37 Depth=2
	ds_load_b64 v[6:7], v21 offset:1048
	s_waitcnt lgkmcnt(0)
	v_mul_f32_e32 v59, v4, v6
	s_delay_alu instid0(VALU_DEP_1)
	v_dual_fmac_f32 v5, v4, v7 :: v_dual_mov_b32 v4, v59
.LBB4_75:                               ;   in Loop: Header=BB4_37 Depth=2
	s_or_b32 exec_lo, exec_lo, s20
	ds_bpermute_b32 v59, v23, v4
	ds_bpermute_b32 v60, v23, v5
	s_and_saveexec_b32 s20, s8
	s_cbranch_execz .LBB4_79
; %bb.76:                               ;   in Loop: Header=BB4_37 Depth=2
	ds_load_b64 v[4:5], v12 offset:1064
	s_and_saveexec_b32 s21, s10
	s_cbranch_execz .LBB4_78
; %bb.77:                               ;   in Loop: Header=BB4_37 Depth=2
	ds_store_b64 v12, v[2:3] offset:1064
.LBB4_78:                               ;   in Loop: Header=BB4_37 Depth=2
	s_or_b32 exec_lo, exec_lo, s21
	s_waitcnt lgkmcnt(0)
	v_dual_fmac_f32 v5, v4, v3 :: v_dual_mul_f32 v2, v2, v4
	s_delay_alu instid0(VALU_DEP_1)
	v_mov_b32_e32 v3, v5
.LBB4_79:                               ;   in Loop: Header=BB4_37 Depth=2
	s_or_b32 exec_lo, exec_lo, s20
	s_waitcnt lgkmcnt(0)
	s_barrier
	buffer_gl0_inv
	ds_load_b32 v4, v12 offset:1068
	s_and_saveexec_b32 s20, s10
	s_cbranch_execz .LBB4_36
; %bb.80:                               ;   in Loop: Header=BB4_37 Depth=2
	v_mov_b32_e32 v5, s57
	s_and_not1_b32 vcc_lo, exec_lo, s55
	ds_store_b64 v5, v[2:3]
	s_cbranch_vccnz .LBB4_36
; %bb.81:                               ;   in Loop: Header=BB4_37 Depth=2
	v_bfe_u32 v2, v3, 16, 1
	v_cmp_o_f32_e32 vcc_lo, v3, v3
	s_mov_b32 s35, s29
	s_delay_alu instid0(SALU_CYCLE_1) | instskip(NEXT) | instid1(VALU_DEP_2)
	s_lshl_b64 s[66:67], s[34:35], 1
	v_add3_u32 v2, v3, v2, 0x7fff
	s_add_u32 s66, s52, s66
	s_addc_u32 s67, s53, s67
	s_delay_alu instid0(VALU_DEP_1) | instskip(NEXT) | instid1(VALU_DEP_1)
	v_lshrrev_b32_e32 v2, 16, v2
	v_cndmask_b32_e32 v2, 0x7fc0, v2, vcc_lo
	global_store_b16 v12, v2, s[66:67]
	s_branch .LBB4_36
.LBB4_82:                               ;   in Loop: Header=BB4_12 Depth=1
	v_bfe_u32 v0, v38, 16, 1
	s_delay_alu instid0(VALU_DEP_3) | instskip(NEXT) | instid1(VALU_DEP_3)
	v_bfe_u32 v2, v37, 16, 1
	v_bfe_u32 v3, v39, 16, 1
	v_cmp_o_f32_e32 vcc_lo, v38, v38
	v_bfe_u32 v1, v40, 16, 1
	v_add3_u32 v0, v38, v0, 0x7fff
	v_add3_u32 v2, v37, v2, 0x7fff
	;; [unrolled: 1-line block ×3, first 2 shown]
	s_waitcnt_vscnt null, 0x0
	v_add3_u32 v1, v40, v1, 0x7fff
	v_lshrrev_b32_e32 v0, 16, v0
	v_lshrrev_b32_e32 v2, 16, v2
	;; [unrolled: 1-line block ×3, first 2 shown]
	s_barrier
	v_lshrrev_b32_e32 v1, 16, v1
	v_cndmask_b32_e32 v0, 0x7fc0, v0, vcc_lo
	v_cmp_o_f32_e32 vcc_lo, v37, v37
	buffer_gl0_inv
	s_mov_b32 s25, s29
	s_delay_alu instid0(SALU_CYCLE_1)
	s_lshl_b64 s[20:21], s[24:25], 1
	v_cndmask_b32_e32 v2, 0x7fc0, v2, vcc_lo
	v_cmp_o_f32_e32 vcc_lo, v39, v39
	v_cndmask_b32_e32 v3, 0x7fc0, v3, vcc_lo
	v_cmp_o_f32_e32 vcc_lo, v40, v40
	v_cndmask_b32_e32 v4, 0x7fc0, v1, vcc_lo
	s_delay_alu instid0(VALU_DEP_3) | instskip(NEXT) | instid1(VALU_DEP_2)
	v_perm_b32 v1, v3, v2, 0x5040100
	v_perm_b32 v0, v4, v0, 0x5040100
	ds_store_b64 v17, v[0:1]
	; wave barrier
	ds_load_u16 v4, v14 offset:64
	ds_load_u16 v3, v15 offset:128
	;; [unrolled: 1-line block ×3, first 2 shown]
	v_add_co_u32 v0, vcc_lo, v24, s20
	v_add_co_ci_u32_e32 v1, vcc_lo, s21, v25, vcc_lo
	s_and_saveexec_b32 s16, s12
	s_cbranch_execnz .LBB4_101
; %bb.83:                               ;   in Loop: Header=BB4_12 Depth=1
	s_or_b32 exec_lo, exec_lo, s16
	s_and_saveexec_b32 s16, s13
	s_cbranch_execnz .LBB4_102
.LBB4_84:                               ;   in Loop: Header=BB4_12 Depth=1
	s_or_b32 exec_lo, exec_lo, s16
	s_and_saveexec_b32 s16, s14
	s_cbranch_execnz .LBB4_103
.LBB4_85:                               ;   in Loop: Header=BB4_12 Depth=1
	s_or_b32 exec_lo, exec_lo, s16
	s_and_saveexec_b32 s16, s15
	s_cbranch_execz .LBB4_87
.LBB4_86:                               ;   in Loop: Header=BB4_12 Depth=1
	s_waitcnt lgkmcnt(0)
	global_store_b16 v[0:1], v2, off offset:192
.LBB4_87:                               ;   in Loop: Header=BB4_12 Depth=1
	s_or_b32 exec_lo, exec_lo, s16
	v_add_co_u32 v0, vcc_lo, v26, s20
	v_add_co_ci_u32_e32 v1, vcc_lo, s21, v27, vcc_lo
	s_waitcnt lgkmcnt(0)
	v_dual_mov_b32 v2, 0 :: v_dual_mov_b32 v3, 0
	s_waitcnt_vscnt null, 0x0
	s_barrier
	buffer_gl0_inv
	s_and_saveexec_b32 s16, s12
	s_cbranch_execz .LBB4_89
; %bb.88:                               ;   in Loop: Header=BB4_12 Depth=1
	global_load_u16 v3, v[0:1], off
.LBB4_89:                               ;   in Loop: Header=BB4_12 Depth=1
	s_or_b32 exec_lo, exec_lo, s16
	s_and_saveexec_b32 s16, s13
	s_cbranch_execz .LBB4_91
; %bb.90:                               ;   in Loop: Header=BB4_12 Depth=1
	global_load_u16 v2, v[0:1], off offset:64
.LBB4_91:                               ;   in Loop: Header=BB4_12 Depth=1
	s_or_b32 exec_lo, exec_lo, s16
	v_dual_mov_b32 v4, 0 :: v_dual_mov_b32 v5, 0
	s_and_saveexec_b32 s16, s14
	s_cbranch_execz .LBB4_93
; %bb.92:                               ;   in Loop: Header=BB4_12 Depth=1
	global_load_u16 v5, v[0:1], off offset:128
.LBB4_93:                               ;   in Loop: Header=BB4_12 Depth=1
	s_or_b32 exec_lo, exec_lo, s16
	s_and_saveexec_b32 s16, s15
	s_cbranch_execz .LBB4_95
; %bb.94:                               ;   in Loop: Header=BB4_12 Depth=1
	global_load_u16 v4, v[0:1], off offset:192
.LBB4_95:                               ;   in Loop: Header=BB4_12 Depth=1
	s_or_b32 exec_lo, exec_lo, s16
	s_waitcnt vmcnt(0)
	ds_store_b16 v14, v3
	ds_store_b16 v14, v2 offset:64
	ds_store_b16 v15, v5 offset:128
	;; [unrolled: 1-line block ×3, first 2 shown]
	; wave barrier
	ds_load_b64 v[0:1], v17
	s_waitcnt lgkmcnt(0)
	s_barrier
	buffer_gl0_inv
	v_and_b32_e32 v2, 0xffff0000, v0
	v_and_b32_e32 v3, 0xffff0000, v1
	v_lshlrev_b32_e32 v1, 16, v1
	s_delay_alu instid0(VALU_DEP_1) | instskip(NEXT) | instid1(VALU_DEP_1)
	v_dual_mul_f32 v7, 0xbfb8aa3b, v1 :: v_dual_lshlrev_b32 v0, 16, v0
	v_mul_f32_e32 v5, 0xbfb8aa3b, v0
	s_delay_alu instid0(VALU_DEP_2) | instskip(NEXT) | instid1(VALU_DEP_2)
	v_rndne_f32_e32 v45, v7
	v_rndne_f32_e32 v41, v5
	v_fma_f32 v42, 0xbfb8aa3b, v0, -v5
	s_delay_alu instid0(VALU_DEP_2) | instskip(SKIP_2) | instid1(VALU_DEP_4)
	v_dual_sub_f32 v5, v5, v41 :: v_dual_mul_f32 v4, 0xbfb8aa3b, v2
	v_fma_f32 v46, 0xbfb8aa3b, v1, -v7
	v_cmp_nlt_f32_e32 vcc_lo, 0x42ce8ed0, v2
	v_fmac_f32_e32 v42, 0xb2a5705f, v0
	s_delay_alu instid0(VALU_DEP_4) | instskip(SKIP_1) | instid1(VALU_DEP_3)
	v_fma_f32 v35, 0xbfb8aa3b, v2, -v4
	v_rndne_f32_e32 v36, v4
	v_dual_fmac_f32 v46, 0xb2a5705f, v1 :: v_dual_add_f32 v5, v5, v42
	v_cvt_i32_f32_e32 v42, v45
	s_delay_alu instid0(VALU_DEP_3) | instskip(SKIP_1) | instid1(VALU_DEP_4)
	v_dual_fmac_f32 v35, 0xb2a5705f, v2 :: v_dual_sub_f32 v4, v4, v36
	v_dual_mul_f32 v6, 0xbfb8aa3b, v3 :: v_dual_sub_f32 v7, v7, v45
	v_exp_f32_e32 v5, v5
	s_delay_alu instid0(VALU_DEP_2) | instskip(NEXT) | instid1(VALU_DEP_2)
	v_add_f32_e32 v4, v4, v35
	v_fma_f32 v43, 0xbfb8aa3b, v3, -v6
	v_rndne_f32_e32 v44, v6
	v_cvt_i32_f32_e32 v35, v36
	v_add_f32_e32 v7, v7, v46
	v_exp_f32_e32 v4, v4
	s_delay_alu instid0(VALU_DEP_3) | instskip(SKIP_1) | instid1(VALU_DEP_3)
	v_dual_fmac_f32 v43, 0xb2a5705f, v3 :: v_dual_sub_f32 v6, v6, v44
	v_cvt_i32_f32_e32 v36, v41
	v_exp_f32_e32 v7, v7
	v_cvt_i32_f32_e32 v41, v44
	s_delay_alu instid0(VALU_DEP_3) | instskip(NEXT) | instid1(VALU_DEP_3)
	v_add_f32_e32 v6, v6, v43
	v_ldexp_f32 v5, v5, v36
	s_delay_alu instid0(TRANS32_DEP_2) | instskip(NEXT) | instid1(VALU_DEP_3)
	v_ldexp_f32 v4, v4, v35
	v_exp_f32_e32 v6, v6
	s_waitcnt_depctr 0xfff
	v_ldexp_f32 v7, v7, v42
	v_cndmask_b32_e32 v4, 0, v4, vcc_lo
	v_cmp_nlt_f32_e32 vcc_lo, 0x42ce8ed0, v0
	v_cndmask_b32_e32 v5, 0, v5, vcc_lo
	v_ldexp_f32 v6, v6, v41
	v_cmp_nlt_f32_e32 vcc_lo, 0x42ce8ed0, v3
	s_delay_alu instid0(VALU_DEP_2)
	v_cndmask_b32_e32 v6, 0, v6, vcc_lo
	v_cmp_nlt_f32_e32 vcc_lo, 0x42ce8ed0, v1
	v_cndmask_b32_e32 v7, 0, v7, vcc_lo
	v_cmp_ngt_f32_e32 vcc_lo, 0xc2b17218, v2
	v_cndmask_b32_e32 v4, 0x7f800000, v4, vcc_lo
	v_cmp_ngt_f32_e32 vcc_lo, 0xc2b17218, v0
	;; [unrolled: 2-line block ×3, first 2 shown]
	s_delay_alu instid0(VALU_DEP_2) | instskip(SKIP_2) | instid1(VALU_DEP_3)
	v_dual_add_f32 v5, 1.0, v5 :: v_dual_add_f32 v4, 1.0, v4
	v_cndmask_b32_e32 v6, 0x7f800000, v6, vcc_lo
	v_cmp_ngt_f32_e32 vcc_lo, 0xc2b17218, v1
	v_div_scale_f32 v36, null, v5, v5, v0
	s_delay_alu instid0(VALU_DEP_4) | instskip(SKIP_1) | instid1(VALU_DEP_3)
	v_div_scale_f32 v35, null, v4, v4, v2
	v_cndmask_b32_e32 v7, 0x7f800000, v7, vcc_lo
	v_rcp_f32_e32 v44, v36
	v_div_scale_f32 v47, vcc_lo, v2, v4, v2
	s_delay_alu instid0(VALU_DEP_3) | instskip(NEXT) | instid1(VALU_DEP_2)
	v_rcp_f32_e32 v43, v35
	v_dual_add_f32 v7, 1.0, v7 :: v_dual_add_f32 v6, 1.0, v6
	v_div_scale_f32 v48, s16, v0, v5, v0
	s_delay_alu instid0(VALU_DEP_2) | instskip(NEXT) | instid1(VALU_DEP_3)
	v_div_scale_f32 v42, null, v7, v7, v1
	v_div_scale_f32 v41, null, v6, v6, v3
	s_waitcnt_depctr 0xfff
	v_fma_f32 v50, -v35, v43, 1.0
	v_rcp_f32_e32 v46, v42
	v_fma_f32 v51, -v36, v44, 1.0
	v_rcp_f32_e32 v45, v41
	v_div_scale_f32 v49, s17, v3, v6, v3
	s_delay_alu instid0(VALU_DEP_2)
	v_dual_fmac_f32 v43, v50, v43 :: v_dual_fmac_f32 v44, v51, v44
	v_div_scale_f32 v54, s18, v1, v7, v1
	s_waitcnt_depctr 0xfff
	v_fma_f32 v53, -v42, v46, 1.0
	v_dual_mul_f32 v50, v47, v43 :: v_dual_mul_f32 v51, v48, v44
	v_fma_f32 v52, -v41, v45, 1.0
	s_delay_alu instid0(VALU_DEP_3) | instskip(NEXT) | instid1(VALU_DEP_3)
	v_fmac_f32_e32 v46, v53, v46
	v_fma_f32 v55, -v35, v50, v47
	s_delay_alu instid0(VALU_DEP_4) | instskip(NEXT) | instid1(VALU_DEP_4)
	v_fma_f32 v56, -v36, v51, v48
	v_fmac_f32_e32 v45, v52, v45
	s_delay_alu instid0(VALU_DEP_3) | instskip(NEXT) | instid1(VALU_DEP_2)
	v_dual_mul_f32 v53, v54, v46 :: v_dual_fmac_f32 v50, v55, v43
	v_dual_fmac_f32 v51, v56, v44 :: v_dual_mul_f32 v52, v49, v45
	s_delay_alu instid0(VALU_DEP_2) | instskip(NEXT) | instid1(VALU_DEP_3)
	v_fma_f32 v58, -v42, v53, v54
	v_fma_f32 v35, -v35, v50, v47
	s_delay_alu instid0(VALU_DEP_3) | instskip(NEXT) | instid1(VALU_DEP_4)
	v_fma_f32 v36, -v36, v51, v48
	v_fma_f32 v57, -v41, v52, v49
	s_delay_alu instid0(VALU_DEP_4) | instskip(NEXT) | instid1(VALU_DEP_4)
	v_fmac_f32_e32 v53, v58, v46
	v_div_fmas_f32 v35, v35, v43, v50
	s_mov_b32 vcc_lo, s16
	s_delay_alu instid0(VALU_DEP_3)
	v_fmac_f32_e32 v52, v57, v45
	v_div_fmas_f32 v36, v36, v44, v51
	s_mov_b32 vcc_lo, s17
	v_fma_f32 v42, -v42, v53, v54
	v_div_fixup_f32 v2, v35, v4, v2
	v_fma_f32 v41, -v41, v52, v49
	v_div_fixup_f32 v0, v36, v5, v0
	s_delay_alu instid0(VALU_DEP_2) | instskip(SKIP_2) | instid1(VALU_DEP_2)
	v_div_fmas_f32 v41, v41, v45, v52
	s_mov_b32 vcc_lo, s18
	v_div_fmas_f32 v4, v42, v46, v53
	v_div_fixup_f32 v3, v41, v6, v3
	v_mul_f32_e32 v2, v40, v2
	s_delay_alu instid0(VALU_DEP_3) | instskip(NEXT) | instid1(VALU_DEP_3)
	v_div_fixup_f32 v1, v4, v7, v1
	v_dual_mul_f32 v0, v38, v0 :: v_dual_mul_f32 v3, v39, v3
	s_delay_alu instid0(VALU_DEP_3) | instskip(SKIP_1) | instid1(VALU_DEP_4)
	v_bfe_u32 v4, v2, 16, 1
	v_cmp_o_f32_e32 vcc_lo, v2, v2
	v_mul_f32_e32 v1, v37, v1
	s_delay_alu instid0(VALU_DEP_4) | instskip(SKIP_2) | instid1(VALU_DEP_4)
	v_bfe_u32 v5, v0, 16, 1
	v_bfe_u32 v6, v3, 16, 1
	v_add3_u32 v4, v2, v4, 0x7fff
	v_bfe_u32 v7, v1, 16, 1
	s_delay_alu instid0(VALU_DEP_4) | instskip(NEXT) | instid1(VALU_DEP_4)
	v_add3_u32 v5, v0, v5, 0x7fff
	v_add3_u32 v6, v3, v6, 0x7fff
	s_delay_alu instid0(VALU_DEP_4) | instskip(NEXT) | instid1(VALU_DEP_4)
	v_lshrrev_b32_e32 v4, 16, v4
	v_add3_u32 v7, v1, v7, 0x7fff
	s_delay_alu instid0(VALU_DEP_4) | instskip(NEXT) | instid1(VALU_DEP_4)
	v_lshrrev_b32_e32 v5, 16, v5
	v_lshrrev_b32_e32 v6, 16, v6
	s_delay_alu instid0(VALU_DEP_4) | instskip(SKIP_4) | instid1(VALU_DEP_2)
	v_cndmask_b32_e32 v2, 0x7fc0, v4, vcc_lo
	v_cmp_o_f32_e32 vcc_lo, v0, v0
	v_lshrrev_b32_e32 v4, 16, v7
	v_cndmask_b32_e32 v0, 0x7fc0, v5, vcc_lo
	v_cmp_o_f32_e32 vcc_lo, v3, v3
	v_perm_b32 v0, v2, v0, 0x5040100
	v_cndmask_b32_e32 v3, 0x7fc0, v6, vcc_lo
	v_cmp_o_f32_e32 vcc_lo, v1, v1
	v_cndmask_b32_e32 v1, 0x7fc0, v4, vcc_lo
	s_delay_alu instid0(VALU_DEP_1)
	v_perm_b32 v1, v3, v1, 0x5040100
	ds_store_b64 v17, v[0:1]
	; wave barrier
	ds_load_u16 v4, v14 offset:64
	ds_load_u16 v3, v15 offset:128
	;; [unrolled: 1-line block ×3, first 2 shown]
	v_add_co_u32 v0, vcc_lo, v28, s20
	v_add_co_ci_u32_e32 v1, vcc_lo, s21, v29, vcc_lo
	s_and_saveexec_b32 s16, s12
	s_cbranch_execnz .LBB4_104
; %bb.96:                               ;   in Loop: Header=BB4_12 Depth=1
	s_or_b32 exec_lo, exec_lo, s16
	s_and_saveexec_b32 s12, s13
	s_cbranch_execnz .LBB4_105
.LBB4_97:                               ;   in Loop: Header=BB4_12 Depth=1
	s_or_b32 exec_lo, exec_lo, s12
	s_and_saveexec_b32 s12, s14
	s_cbranch_execnz .LBB4_106
.LBB4_98:                               ;   in Loop: Header=BB4_12 Depth=1
	s_or_b32 exec_lo, exec_lo, s12
	s_and_saveexec_b32 s12, s15
	s_cbranch_execz .LBB4_11
	s_branch .LBB4_107
.LBB4_99:                               ;   in Loop: Header=BB4_12 Depth=1
	global_load_u16 v6, v[2:3], off offset:64
	s_or_b32 exec_lo, exec_lo, s16
	s_and_saveexec_b32 s16, s14
	s_cbranch_execz .LBB4_24
.LBB4_100:                              ;   in Loop: Header=BB4_12 Depth=1
	global_load_u16 v5, v[2:3], off offset:128
	s_or_b32 exec_lo, exec_lo, s16
	v_mov_b32_e32 v7, 0
	s_and_saveexec_b32 s16, s15
	s_cbranch_execnz .LBB4_25
	s_branch .LBB4_26
.LBB4_101:                              ;   in Loop: Header=BB4_12 Depth=1
	ds_load_u16 v5, v14
	s_waitcnt lgkmcnt(0)
	global_store_b16 v[0:1], v5, off
	s_or_b32 exec_lo, exec_lo, s16
	s_and_saveexec_b32 s16, s13
	s_cbranch_execz .LBB4_84
.LBB4_102:                              ;   in Loop: Header=BB4_12 Depth=1
	s_waitcnt lgkmcnt(2)
	global_store_b16 v[0:1], v4, off offset:64
	s_or_b32 exec_lo, exec_lo, s16
	s_and_saveexec_b32 s16, s14
	s_cbranch_execz .LBB4_85
.LBB4_103:                              ;   in Loop: Header=BB4_12 Depth=1
	s_waitcnt lgkmcnt(1)
	global_store_b16 v[0:1], v3, off offset:128
	s_or_b32 exec_lo, exec_lo, s16
	s_and_saveexec_b32 s16, s15
	s_cbranch_execnz .LBB4_86
	s_branch .LBB4_87
.LBB4_104:                              ;   in Loop: Header=BB4_12 Depth=1
	ds_load_u16 v5, v14
	s_waitcnt lgkmcnt(0)
	global_store_b16 v[0:1], v5, off
	s_or_b32 exec_lo, exec_lo, s16
	s_and_saveexec_b32 s12, s13
	s_cbranch_execz .LBB4_97
.LBB4_105:                              ;   in Loop: Header=BB4_12 Depth=1
	s_waitcnt lgkmcnt(2)
	global_store_b16 v[0:1], v4, off offset:64
	s_or_b32 exec_lo, exec_lo, s12
	s_and_saveexec_b32 s12, s14
	s_cbranch_execz .LBB4_98
.LBB4_106:                              ;   in Loop: Header=BB4_12 Depth=1
	s_waitcnt lgkmcnt(1)
	global_store_b16 v[0:1], v3, off offset:128
	s_or_b32 exec_lo, exec_lo, s12
	s_and_saveexec_b32 s12, s15
	s_cbranch_execz .LBB4_11
.LBB4_107:                              ;   in Loop: Header=BB4_12 Depth=1
	s_waitcnt lgkmcnt(0)
	global_store_b16 v[0:1], v2, off offset:192
	s_branch .LBB4_11
.LBB4_108:
	s_nop 0
	s_sendmsg sendmsg(MSG_DEALLOC_VGPRS)
	s_endpgm
	.section	.rodata,"a",@progbits
	.p2align	6, 0x0
	.amdhsa_kernel _Z25selective_scan_fwd_kernelI32Selective_Scan_fwd_kernel_traitsILi64ELi4ELi1ELb0ELb1ELb1ELb1ELb1EN3c108BFloat16EfS2_EEv13SSMParamsBase
		.amdhsa_group_segment_fixed_size 0
		.amdhsa_private_segment_fixed_size 0
		.amdhsa_kernarg_size 248
		.amdhsa_user_sgpr_count 14
		.amdhsa_user_sgpr_dispatch_ptr 0
		.amdhsa_user_sgpr_queue_ptr 0
		.amdhsa_user_sgpr_kernarg_segment_ptr 1
		.amdhsa_user_sgpr_dispatch_id 0
		.amdhsa_user_sgpr_private_segment_size 0
		.amdhsa_wavefront_size32 1
		.amdhsa_uses_dynamic_stack 0
		.amdhsa_enable_private_segment 0
		.amdhsa_system_sgpr_workgroup_id_x 1
		.amdhsa_system_sgpr_workgroup_id_y 1
		.amdhsa_system_sgpr_workgroup_id_z 0
		.amdhsa_system_sgpr_workgroup_info 0
		.amdhsa_system_vgpr_workitem_id 0
		.amdhsa_next_free_vgpr 61
		.amdhsa_next_free_sgpr 68
		.amdhsa_reserve_vcc 1
		.amdhsa_float_round_mode_32 0
		.amdhsa_float_round_mode_16_64 0
		.amdhsa_float_denorm_mode_32 3
		.amdhsa_float_denorm_mode_16_64 3
		.amdhsa_dx10_clamp 1
		.amdhsa_ieee_mode 1
		.amdhsa_fp16_overflow 0
		.amdhsa_workgroup_processor_mode 1
		.amdhsa_memory_ordered 1
		.amdhsa_forward_progress 0
		.amdhsa_shared_vgpr_count 0
		.amdhsa_exception_fp_ieee_invalid_op 0
		.amdhsa_exception_fp_denorm_src 0
		.amdhsa_exception_fp_ieee_div_zero 0
		.amdhsa_exception_fp_ieee_overflow 0
		.amdhsa_exception_fp_ieee_underflow 0
		.amdhsa_exception_fp_ieee_inexact 0
		.amdhsa_exception_int_div_zero 0
	.end_amdhsa_kernel
	.section	.text._Z25selective_scan_fwd_kernelI32Selective_Scan_fwd_kernel_traitsILi64ELi4ELi1ELb0ELb1ELb1ELb1ELb1EN3c108BFloat16EfS2_EEv13SSMParamsBase,"axG",@progbits,_Z25selective_scan_fwd_kernelI32Selective_Scan_fwd_kernel_traitsILi64ELi4ELi1ELb0ELb1ELb1ELb1ELb1EN3c108BFloat16EfS2_EEv13SSMParamsBase,comdat
.Lfunc_end4:
	.size	_Z25selective_scan_fwd_kernelI32Selective_Scan_fwd_kernel_traitsILi64ELi4ELi1ELb0ELb1ELb1ELb1ELb1EN3c108BFloat16EfS2_EEv13SSMParamsBase, .Lfunc_end4-_Z25selective_scan_fwd_kernelI32Selective_Scan_fwd_kernel_traitsILi64ELi4ELi1ELb0ELb1ELb1ELb1ELb1EN3c108BFloat16EfS2_EEv13SSMParamsBase
                                        ; -- End function
	.section	.AMDGPU.csdata,"",@progbits
; Kernel info:
; codeLenInByte = 8564
; NumSgprs: 70
; NumVgprs: 61
; ScratchSize: 0
; MemoryBound: 0
; FloatMode: 240
; IeeeMode: 1
; LDSByteSize: 0 bytes/workgroup (compile time only)
; SGPRBlocks: 8
; VGPRBlocks: 7
; NumSGPRsForWavesPerEU: 70
; NumVGPRsForWavesPerEU: 61
; Occupancy: 16
; WaveLimiterHint : 1
; COMPUTE_PGM_RSRC2:SCRATCH_EN: 0
; COMPUTE_PGM_RSRC2:USER_SGPR: 14
; COMPUTE_PGM_RSRC2:TRAP_HANDLER: 0
; COMPUTE_PGM_RSRC2:TGID_X_EN: 1
; COMPUTE_PGM_RSRC2:TGID_Y_EN: 1
; COMPUTE_PGM_RSRC2:TGID_Z_EN: 0
; COMPUTE_PGM_RSRC2:TIDIG_COMP_CNT: 0
	.section	.text._Z25selective_scan_fwd_kernelI32Selective_Scan_fwd_kernel_traitsILi64ELi4ELi1ELb0ELb1ELb1ELb1ELb0EN3c108BFloat16EfS2_EEv13SSMParamsBase,"axG",@progbits,_Z25selective_scan_fwd_kernelI32Selective_Scan_fwd_kernel_traitsILi64ELi4ELi1ELb0ELb1ELb1ELb1ELb0EN3c108BFloat16EfS2_EEv13SSMParamsBase,comdat
	.protected	_Z25selective_scan_fwd_kernelI32Selective_Scan_fwd_kernel_traitsILi64ELi4ELi1ELb0ELb1ELb1ELb1ELb0EN3c108BFloat16EfS2_EEv13SSMParamsBase ; -- Begin function _Z25selective_scan_fwd_kernelI32Selective_Scan_fwd_kernel_traitsILi64ELi4ELi1ELb0ELb1ELb1ELb1ELb0EN3c108BFloat16EfS2_EEv13SSMParamsBase
	.globl	_Z25selective_scan_fwd_kernelI32Selective_Scan_fwd_kernel_traitsILi64ELi4ELi1ELb0ELb1ELb1ELb1ELb0EN3c108BFloat16EfS2_EEv13SSMParamsBase
	.p2align	8
	.type	_Z25selective_scan_fwd_kernelI32Selective_Scan_fwd_kernel_traitsILi64ELi4ELi1ELb0ELb1ELb1ELb1ELb0EN3c108BFloat16EfS2_EEv13SSMParamsBase,@function
_Z25selective_scan_fwd_kernelI32Selective_Scan_fwd_kernel_traitsILi64ELi4ELi1ELb0ELb1ELb1ELb1ELb0EN3c108BFloat16EfS2_EEv13SSMParamsBase: ; @_Z25selective_scan_fwd_kernelI32Selective_Scan_fwd_kernel_traitsILi64ELi4ELi1ELb0ELb1ELb1ELb1ELb0EN3c108BFloat16EfS2_EEv13SSMParamsBase
; %bb.0:
	s_clause 0x1
	s_load_b32 s9, s[0:1], 0x18
	s_load_b128 s[4:7], s[0:1], 0xe8
	s_mov_b32 s12, s15
	s_mov_b32 s33, 0
	s_waitcnt lgkmcnt(0)
	s_abs_i32 s8, s9
	s_cmp_eq_u64 s[6:7], 0
	v_cvt_f32_u32_e32 v1, s8
	s_delay_alu instid0(VALU_DEP_1) | instskip(SKIP_2) | instid1(VALU_DEP_1)
	v_rcp_iflag_f32_e32 v1, v1
	s_waitcnt_depctr 0xfff
	v_mul_f32_e32 v1, 0x4f7ffffe, v1
	v_cvt_u32_f32_e32 v1, v1
	s_delay_alu instid0(VALU_DEP_1)
	v_readfirstlane_b32 s10, v1
	s_cbranch_scc1 .LBB5_2
; %bb.1:
	v_mov_b32_e32 v1, 0
	s_ashr_i32 s3, s14, 31
	s_add_u32 s2, s6, s14
	s_addc_u32 s3, s7, s3
	global_load_u8 v1, v1, s[2:3]
	s_waitcnt vmcnt(0)
	v_and_b32_e32 v1, 1, v1
	s_delay_alu instid0(VALU_DEP_1)
	v_cmp_eq_u32_e64 s33, 1, v1
.LBB5_2:
	s_load_b64 s[6:7], s[0:1], 0x20
	s_cmp_eq_u64 s[4:5], 0
	s_cbranch_scc1 .LBB5_4
; %bb.3:
	s_ashr_i32 s15, s14, 31
	s_delay_alu instid0(SALU_CYCLE_1) | instskip(NEXT) | instid1(SALU_CYCLE_1)
	s_lshl_b64 s[2:3], s[14:15], 2
	s_add_u32 s2, s4, s2
	s_addc_u32 s3, s5, s3
	s_load_b32 s2, s[2:3], 0x0
	s_waitcnt lgkmcnt(0)
	s_ashr_i32 s3, s2, 31
	s_delay_alu instid0(SALU_CYCLE_1)
	s_cmp_eq_u64 s[6:7], s[2:3]
	s_cbranch_scc0 .LBB5_5
	s_branch .LBB5_108
.LBB5_4:
	s_mov_b32 s2, s14
	s_delay_alu instid0(SALU_CYCLE_1)
	s_ashr_i32 s3, s2, 31
	s_waitcnt lgkmcnt(0)
	s_cmp_eq_u64 s[6:7], s[2:3]
	s_cbranch_scc1 .LBB5_108
.LBB5_5:
	s_clause 0x1
	s_load_b512 s[16:31], s[0:1], 0x88
	s_load_b64 s[34:35], s[0:1], 0x8
	s_mov_b32 s52, 0
	s_mov_b32 s53, 0
	s_waitcnt lgkmcnt(0)
	s_cmp_eq_u64 s[22:23], 0
	s_cbranch_scc1 .LBB5_7
; %bb.6:
	s_ashr_i32 s13, s12, 31
	s_delay_alu instid0(SALU_CYCLE_1) | instskip(NEXT) | instid1(SALU_CYCLE_1)
	s_lshl_b64 s[4:5], s[12:13], 2
	s_add_u32 s4, s22, s4
	s_addc_u32 s5, s23, s5
	s_load_b32 s53, s[4:5], 0x0
.LBB5_7:
	s_cmp_eq_u64 s[28:29], 0
	s_cbranch_scc1 .LBB5_9
; %bb.8:
	s_ashr_i32 s13, s12, 31
	s_delay_alu instid0(SALU_CYCLE_1) | instskip(NEXT) | instid1(SALU_CYCLE_1)
	s_lshl_b64 s[4:5], s[12:13], 2
	s_add_u32 s4, s28, s4
	s_addc_u32 s5, s29, s5
	s_load_b32 s52, s[4:5], 0x0
.LBB5_9:
	s_cmp_lt_i32 s34, 1
	s_cbranch_scc1 .LBB5_108
; %bb.10:
	s_sub_i32 s3, 0, s8
	s_load_b256 s[36:43], s[0:1], 0x4c
	s_mul_i32 s3, s3, s10
	s_abs_i32 s4, s12
	s_mul_hi_u32 s3, s10, s3
	s_ashr_i32 s6, s9, 31
	s_add_i32 s10, s10, s3
	s_ashr_i32 s3, s12, 31
	s_mul_hi_u32 s5, s4, s10
	s_xor_b32 s3, s3, s6
	s_mul_i32 s7, s5, s8
	s_add_i32 s6, s5, 1
	s_sub_i32 s4, s4, s7
	s_load_b256 s[44:51], s[0:1], 0x2c
	s_sub_i32 s7, s4, s8
	s_cmp_ge_u32 s4, s8
	s_mov_b32 s29, 0
	s_cselect_b32 s5, s6, s5
	s_cselect_b32 s4, s7, s4
	s_add_i32 s6, s5, 1
	s_cmp_ge_u32 s4, s8
	s_waitcnt lgkmcnt(0)
	s_mul_i32 s28, s38, s14
	s_cselect_b32 s6, s6, s5
	s_lshl_b64 s[4:5], s[28:29], 1
	s_xor_b32 s6, s6, s3
	s_mul_i32 s28, s39, s12
	s_sub_i32 s3, s6, s3
	s_add_u32 s6, s24, s4
	s_addc_u32 s7, s25, s5
	s_lshl_b64 s[4:5], s[28:29], 1
	s_mul_i32 s28, s40, s14
	s_add_u32 s47, s6, s4
	s_addc_u32 s40, s7, s5
	s_lshl_b64 s[4:5], s[28:29], 1
	s_mul_i32 s28, s41, s12
	;; [unrolled: 4-line block ×4, first 2 shown]
	s_add_u32 s51, s16, s4
	s_addc_u32 s46, s17, s5
	s_lshl_b64 s[4:5], s[28:29], 1
	s_clause 0x1
	s_load_b64 s[6:7], s[0:1], 0x7c
	s_load_b128 s[24:27], s[0:1], 0x6c
	v_lshlrev_b32_e32 v8, 2, v0
	s_add_u32 s8, s18, s4
	s_addc_u32 s9, s19, s5
	s_clause 0x1
	s_load_b128 s[16:19], s[0:1], 0xc8
	s_load_b64 s[22:23], s[0:1], 0xd8
	s_mul_i32 s28, s3, s49
	v_mbcnt_lo_u32_b32 v1, -1, 0
	v_and_b32_e32 v2, 0x80, v8
	v_dual_mov_b32 v12, 0 :: v_dual_and_b32 v3, 32, v0
	s_lshl_b64 s[4:5], s[28:29], 1
	s_mul_i32 s28, s50, s14
	s_add_u32 s49, s8, s4
	s_addc_u32 s50, s9, s5
	s_clause 0x1
	s_load_b32 s54, s[0:1], 0x84
	s_load_b32 s9, s[0:1], 0x28
	v_or_b32_e32 v9, v1, v2
	v_or_b32_e32 v4, v1, v3
	s_lshl_b64 s[4:5], s[28:29], 1
	s_mul_i32 s28, s3, s37
	s_add_u32 s8, s20, s4
	v_or_b32_e32 v11, 0x60, v9
	v_lshrrev_b32_e32 v14, 3, v4
	s_addc_u32 s3, s21, s5
	s_lshl_b64 s[4:5], s[28:29], 1
	s_waitcnt lgkmcnt(0)
	s_mul_i32 s28, s2, s6
	s_add_u32 s37, s8, s4
	s_addc_u32 s55, s3, s5
	s_lshl_b64 s[0:1], s[28:29], 1
	v_or_b32_e32 v10, 64, v9
	v_lshrrev_b32_e32 v7, 5, v11
	v_and_b32_e32 v16, 6, v14
	s_mul_i32 s28, s7, s12
	s_add_u32 s2, s16, s0
	s_addc_u32 s3, s17, s1
	s_lshl_b64 s[0:1], s[28:29], 1
	v_lshrrev_b32_e32 v5, 5, v2
	s_add_u32 s56, s2, s0
	v_lshrrev_b32_e32 v6, 5, v10
	v_and_b32_e32 v7, 6, v7
	v_lshl_add_u32 v4, v4, 2, v16
	s_addc_u32 s57, s3, s1
	s_add_i32 s0, s34, 0x7ff
	v_add_lshl_u32 v5, v5, v9, 1
	s_lshr_b32 s58, s0, 11
	s_bitcmp1_b32 s9, 0
	v_add_lshl_u32 v6, v6, v9, 1
	v_add_lshl_u32 v7, v7, v9, 1
	v_lshl_add_u32 v17, v4, 1, 0
	v_and_b32_e32 v4, 15, v1
	s_cselect_b32 s59, -1, 0
	s_cmp_gt_i32 s35, 0
	s_mul_i32 s28, s24, s14
	s_cselect_b32 s60, -1, 0
	s_add_i32 s0, 0, 0x210
	s_and_b32 s1, s34, 0xff
	v_add_nc_u32_e32 v18, s0, v5
	v_add_nc_u32_e32 v19, s0, v6
	s_cmp_eq_u32 s1, 0
	v_add_nc_u32_e32 v20, s0, v7
	v_cmp_ne_u32_e64 s0, 0, v4
	v_cmp_lt_u32_e64 s1, 1, v4
	v_cmp_lt_u32_e64 s2, 3, v4
	;; [unrolled: 1-line block ×3, first 2 shown]
	v_add_nc_u32_e32 v4, -1, v1
	s_cselect_b32 s61, -1, 0
	v_or_b32_e32 v3, 31, v3
	s_lshl_b64 s[16:17], s[28:29], 1
	s_add_i32 s62, s58, -1
	s_mul_i32 s28, s25, s12
	v_add_nc_u32_e32 v14, 0, v5
	v_lshrrev_b32_e32 v5, 2, v0
	v_cmp_gt_i32_e32 vcc_lo, 0, v4
	s_add_u32 s13, s30, s16
	s_addc_u32 s15, s31, s17
	s_lshl_b64 s[16:17], s[28:29], 1
	s_mul_i32 s28, s42, s14
	v_cndmask_b32_e32 v4, v4, v1, vcc_lo
	v_cmp_eq_u32_e64 s5, v3, v0
	v_and_b32_e32 v3, 1, v1
	v_cmp_gt_u32_e64 s6, 2, v0
	v_lshl_add_u32 v22, v0, 3, 0
	v_cmp_gt_u32_e64 s8, 32, v0
	v_cmp_lt_u32_e64 s9, 31, v0
	v_cmp_eq_u32_e64 s10, 0, v0
	s_add_u32 s13, s13, s16
	v_lshlrev_b32_e32 v0, 1, v1
	s_addc_u32 s15, s15, s17
	s_lshl_b64 s[16:17], s[28:29], 1
	v_and_b32_e32 v5, 8, v5
	s_mul_i32 s28, s43, s12
	s_add_u32 s18, s18, s16
	s_addc_u32 s19, s19, s17
	s_lshl_b64 s[16:17], s[28:29], 1
	v_cmp_eq_u32_e64 s7, 0, v3
	v_add_co_u32 v3, s13, s13, v0
	s_mul_i32 s28, s26, s14
	s_add_u32 s16, s18, s16
	v_add_nc_u32_e32 v21, 0, v5
	v_lshlrev_b32_e32 v23, 2, v4
	v_add_co_ci_u32_e64 v4, null, s15, 0, s13
	s_addc_u32 s17, s19, s17
	s_lshl_b64 s[14:15], s[28:29], 1
	v_lshlrev_b32_e32 v5, 1, v2
	s_mul_i32 s28, s27, s12
	s_add_u32 s14, s22, s14
	s_addc_u32 s15, s23, s15
	s_lshl_b64 s[12:13], s[28:29], 1
	v_add_nc_u32_e32 v15, 0, v6
	v_and_b32_e32 v6, 16, v1
	v_add_co_u32 v24, vcc_lo, v3, v5
	s_add_u32 s12, s14, s12
	v_add_co_u32 v3, s14, s16, v0
	v_add_co_ci_u32_e32 v25, vcc_lo, 0, v4, vcc_lo
	v_add_co_ci_u32_e64 v4, null, s17, 0, s14
	s_addc_u32 s13, s15, s13
	v_add_co_u32 v0, s12, s12, v0
	v_cmp_ne_u32_e64 s4, 0, v6
	v_add_co_ci_u32_e64 v6, null, s13, 0, s12
	v_add_co_u32 v26, vcc_lo, v3, v5
	v_add_co_ci_u32_e32 v27, vcc_lo, 0, v4, vcc_lo
	v_add_co_u32 v28, vcc_lo, v0, v5
	v_or_b32_e32 v13, 32, v9
	v_add_nc_u32_e32 v16, 0, v7
	v_cmp_eq_u32_e64 s11, 0, v1
	v_add_co_ci_u32_e32 v29, vcc_lo, 0, v6, vcc_lo
	v_or_b32_e32 v30, 1, v8
	v_or_b32_e32 v31, 2, v8
	v_or_b32_e32 v32, 3, v8
	v_lshlrev_b32_e32 v33, 1, v1
	v_lshlrev_b32_e32 v34, 1, v2
	s_mov_b32 s23, 0x3e9b6dac
	s_add_i32 s42, 0, 0x430
	s_mov_b32 s43, 0
	s_branch .LBB5_12
.LBB5_11:                               ;   in Loop: Header=BB5_12 Depth=1
	s_or_b32 exec_lo, exec_lo, s12
	s_add_u32 s41, s41, 0x200
	s_addc_u32 s44, s44, 0
	s_add_u32 s47, s47, 0x200
	s_addc_u32 s40, s40, 0
	;; [unrolled: 2-line block ×4, first 2 shown]
	s_add_i32 s43, s43, 1
	s_delay_alu instid0(SALU_CYCLE_1)
	s_cmp_lg_u32 s43, s58
	s_cbranch_scc0 .LBB5_108
.LBB5_12:                               ; =>This Loop Header: Depth=1
                                        ;     Child Loop BB5_37 Depth 2
	v_add_co_u32 v0, s12, s47, v33
	s_delay_alu instid0(VALU_DEP_1) | instskip(SKIP_1) | instid1(VALU_DEP_2)
	v_add_co_ci_u32_e64 v1, null, s40, 0, s12
	s_lshl_b32 s24, s43, 8
	v_add_co_u32 v0, vcc_lo, v0, v34
	s_sub_i32 s19, s34, s24
	s_delay_alu instid0(VALU_DEP_2)
	v_add_co_ci_u32_e32 v1, vcc_lo, 0, v1, vcc_lo
	v_cmp_gt_u32_e64 s12, s19, v9
	s_waitcnt lgkmcnt(0)
	v_mov_b32_e32 v2, 0
	s_waitcnt_vscnt null, 0x0
	s_barrier
	buffer_gl0_inv
	s_and_saveexec_b32 s13, s12
	s_cbranch_execz .LBB5_14
; %bb.13:                               ;   in Loop: Header=BB5_12 Depth=1
	global_load_u16 v2, v[0:1], off
.LBB5_14:                               ;   in Loop: Header=BB5_12 Depth=1
	s_or_b32 exec_lo, exec_lo, s13
	v_cmp_gt_u32_e64 s13, s19, v13
	v_mov_b32_e32 v3, 0
	v_mov_b32_e32 v5, 0
	s_delay_alu instid0(VALU_DEP_3)
	s_and_saveexec_b32 s14, s13
	s_cbranch_execz .LBB5_16
; %bb.15:                               ;   in Loop: Header=BB5_12 Depth=1
	global_load_u16 v5, v[0:1], off offset:64
.LBB5_16:                               ;   in Loop: Header=BB5_12 Depth=1
	s_or_b32 exec_lo, exec_lo, s14
	v_cmp_gt_u32_e64 s14, s19, v10
	s_delay_alu instid0(VALU_DEP_1)
	s_and_saveexec_b32 s15, s14
	s_cbranch_execz .LBB5_18
; %bb.17:                               ;   in Loop: Header=BB5_12 Depth=1
	global_load_u16 v3, v[0:1], off offset:128
.LBB5_18:                               ;   in Loop: Header=BB5_12 Depth=1
	s_or_b32 exec_lo, exec_lo, s15
	v_cmp_gt_u32_e64 s15, s19, v11
	v_mov_b32_e32 v4, 0
	v_mov_b32_e32 v6, 0
	s_delay_alu instid0(VALU_DEP_3)
	s_and_saveexec_b32 s16, s15
	s_cbranch_execz .LBB5_20
; %bb.19:                               ;   in Loop: Header=BB5_12 Depth=1
	global_load_u16 v6, v[0:1], off offset:192
.LBB5_20:                               ;   in Loop: Header=BB5_12 Depth=1
	s_or_b32 exec_lo, exec_lo, s16
	s_waitcnt vmcnt(0)
	ds_store_b16 v14, v2
	ds_store_b16 v14, v5 offset:64
	ds_store_b16 v15, v3 offset:128
	;; [unrolled: 1-line block ×3, first 2 shown]
	; wave barrier
	ds_load_b64 v[0:1], v17
	v_add_co_u32 v2, s16, s41, v33
	s_delay_alu instid0(VALU_DEP_1) | instskip(SKIP_1) | instid1(VALU_DEP_2)
	v_add_co_ci_u32_e64 v3, null, s44, 0, s16
	s_waitcnt lgkmcnt(0)
	v_add_co_u32 v2, vcc_lo, v2, v34
	s_delay_alu instid0(VALU_DEP_2)
	v_add_co_ci_u32_e32 v3, vcc_lo, 0, v3, vcc_lo
	s_barrier
	buffer_gl0_inv
	s_and_saveexec_b32 s16, s12
	s_cbranch_execz .LBB5_22
; %bb.21:                               ;   in Loop: Header=BB5_12 Depth=1
	global_load_u16 v4, v[2:3], off
.LBB5_22:                               ;   in Loop: Header=BB5_12 Depth=1
	s_or_b32 exec_lo, exec_lo, s16
	v_dual_mov_b32 v5, 0 :: v_dual_mov_b32 v6, 0
	s_and_saveexec_b32 s16, s13
	s_cbranch_execnz .LBB5_99
; %bb.23:                               ;   in Loop: Header=BB5_12 Depth=1
	s_or_b32 exec_lo, exec_lo, s16
	s_and_saveexec_b32 s16, s14
	s_cbranch_execnz .LBB5_100
.LBB5_24:                               ;   in Loop: Header=BB5_12 Depth=1
	s_or_b32 exec_lo, exec_lo, s16
	v_mov_b32_e32 v7, 0
	s_and_saveexec_b32 s16, s15
	s_cbranch_execz .LBB5_26
.LBB5_25:                               ;   in Loop: Header=BB5_12 Depth=1
	global_load_u16 v7, v[2:3], off offset:192
.LBB5_26:                               ;   in Loop: Header=BB5_12 Depth=1
	s_or_b32 exec_lo, exec_lo, s16
	s_waitcnt vmcnt(0)
	ds_store_b16 v14, v4
	ds_store_b16 v14, v6 offset:64
	ds_store_b16 v15, v5 offset:128
	;; [unrolled: 1-line block ×3, first 2 shown]
	; wave barrier
	ds_load_b64 v[2:3], v17
	s_waitcnt lgkmcnt(0)
	v_lshlrev_b32_e32 v4, 16, v2
	s_delay_alu instid0(VALU_DEP_1) | instskip(NEXT) | instid1(VALU_DEP_1)
	v_add_f32_e32 v35, s52, v4
	v_cmp_ge_f32_e32 vcc_lo, 0x41a00000, v35
	s_and_b32 s16, s59, vcc_lo
	s_delay_alu instid0(SALU_CYCLE_1)
	s_and_saveexec_b32 s17, s16
	s_cbranch_execz .LBB5_28
; %bb.27:                               ;   in Loop: Header=BB5_12 Depth=1
	v_mul_f32_e32 v4, 0x3fb8aa3b, v35
	v_cmp_ngt_f32_e32 vcc_lo, 0xc2ce8ed0, v35
	s_delay_alu instid0(VALU_DEP_2) | instskip(SKIP_1) | instid1(VALU_DEP_2)
	v_rndne_f32_e32 v5, v4
	v_fma_f32 v6, 0x3fb8aa3b, v35, -v4
	v_sub_f32_e32 v4, v4, v5
	s_delay_alu instid0(VALU_DEP_2) | instskip(SKIP_1) | instid1(VALU_DEP_2)
	v_fmac_f32_e32 v6, 0x32a5705f, v35
	v_cvt_i32_f32_e32 v5, v5
	v_add_f32_e32 v4, v4, v6
	s_delay_alu instid0(VALU_DEP_1) | instskip(SKIP_2) | instid1(VALU_DEP_1)
	v_exp_f32_e32 v4, v4
	s_waitcnt_depctr 0xfff
	v_ldexp_f32 v4, v4, v5
	v_cndmask_b32_e32 v4, 0, v4, vcc_lo
	v_cmp_nlt_f32_e32 vcc_lo, 0x42b17218, v35
	s_delay_alu instid0(VALU_DEP_2) | instskip(NEXT) | instid1(VALU_DEP_1)
	v_cndmask_b32_e32 v6, 0x7f800000, v4, vcc_lo
	v_add_f32_e32 v7, 1.0, v6
	s_delay_alu instid0(VALU_DEP_1) | instskip(NEXT) | instid1(VALU_DEP_1)
	v_cvt_f64_f32_e32 v[4:5], v7
	v_frexp_exp_i32_f64_e32 v4, v[4:5]
	v_frexp_mant_f32_e32 v5, v7
	s_delay_alu instid0(VALU_DEP_1) | instskip(SKIP_1) | instid1(VALU_DEP_1)
	v_cmp_gt_f32_e32 vcc_lo, 0x3f2aaaab, v5
	v_add_f32_e32 v5, -1.0, v7
	v_dual_sub_f32 v36, v5, v7 :: v_dual_sub_f32 v5, v6, v5
	s_delay_alu instid0(VALU_DEP_1) | instskip(NEXT) | instid1(VALU_DEP_1)
	v_add_f32_e32 v36, 1.0, v36
	v_add_f32_e32 v5, v5, v36
	v_subrev_co_ci_u32_e32 v4, vcc_lo, 0, v4, vcc_lo
	s_delay_alu instid0(VALU_DEP_1) | instskip(SKIP_1) | instid1(VALU_DEP_2)
	v_sub_nc_u32_e32 v35, 0, v4
	v_cvt_f32_i32_e32 v4, v4
	v_ldexp_f32 v7, v7, v35
	v_ldexp_f32 v5, v5, v35
	s_delay_alu instid0(VALU_DEP_2) | instskip(SKIP_3) | instid1(VALU_DEP_4)
	v_add_f32_e32 v37, 1.0, v7
	v_add_f32_e32 v35, -1.0, v7
	v_cmp_eq_f32_e32 vcc_lo, 0x7f800000, v6
	v_cmp_gt_f32_e64 s16, 0x33800000, v6
	v_add_f32_e32 v36, -1.0, v37
	s_delay_alu instid0(VALU_DEP_4) | instskip(NEXT) | instid1(VALU_DEP_3)
	v_add_f32_e32 v38, 1.0, v35
	s_or_b32 vcc_lo, s16, vcc_lo
	s_delay_alu instid0(VALU_DEP_2) | instskip(NEXT) | instid1(VALU_DEP_1)
	v_sub_f32_e32 v36, v7, v36
	v_dual_sub_f32 v7, v7, v38 :: v_dual_add_f32 v36, v5, v36
	s_delay_alu instid0(VALU_DEP_1) | instskip(NEXT) | instid1(VALU_DEP_1)
	v_add_f32_e32 v5, v5, v7
	v_dual_add_f32 v39, v35, v5 :: v_dual_add_f32 v38, v37, v36
	s_delay_alu instid0(VALU_DEP_1) | instskip(NEXT) | instid1(VALU_DEP_2)
	v_sub_f32_e32 v35, v35, v39
	v_rcp_f32_e32 v7, v38
	v_sub_f32_e32 v37, v37, v38
	s_delay_alu instid0(VALU_DEP_1) | instskip(SKIP_2) | instid1(VALU_DEP_1)
	v_dual_add_f32 v5, v5, v35 :: v_dual_add_f32 v36, v36, v37
	s_waitcnt_depctr 0xfff
	v_mul_f32_e32 v40, v39, v7
	v_mul_f32_e32 v41, v38, v40
	s_delay_alu instid0(VALU_DEP_1) | instskip(NEXT) | instid1(VALU_DEP_1)
	v_fma_f32 v37, v40, v38, -v41
	v_fmac_f32_e32 v37, v40, v36
	s_delay_alu instid0(VALU_DEP_1) | instskip(NEXT) | instid1(VALU_DEP_1)
	v_add_f32_e32 v42, v41, v37
	v_sub_f32_e32 v43, v39, v42
	s_delay_alu instid0(VALU_DEP_1) | instskip(SKIP_1) | instid1(VALU_DEP_2)
	v_sub_f32_e32 v39, v39, v43
	v_sub_f32_e32 v35, v42, v41
	;; [unrolled: 1-line block ×3, first 2 shown]
	s_delay_alu instid0(VALU_DEP_2) | instskip(NEXT) | instid1(VALU_DEP_2)
	v_sub_f32_e32 v35, v35, v37
	v_add_f32_e32 v5, v5, v39
	s_delay_alu instid0(VALU_DEP_1) | instskip(NEXT) | instid1(VALU_DEP_1)
	v_add_f32_e32 v5, v35, v5
	v_add_f32_e32 v35, v43, v5
	s_delay_alu instid0(VALU_DEP_1) | instskip(NEXT) | instid1(VALU_DEP_1)
	v_mul_f32_e32 v37, v7, v35
	v_dual_sub_f32 v42, v43, v35 :: v_dual_mul_f32 v39, v38, v37
	s_delay_alu instid0(VALU_DEP_1) | instskip(NEXT) | instid1(VALU_DEP_2)
	v_add_f32_e32 v5, v5, v42
	v_fma_f32 v38, v37, v38, -v39
	s_delay_alu instid0(VALU_DEP_1) | instskip(NEXT) | instid1(VALU_DEP_1)
	v_fmac_f32_e32 v38, v37, v36
	v_add_f32_e32 v36, v39, v38
	s_delay_alu instid0(VALU_DEP_1) | instskip(SKIP_1) | instid1(VALU_DEP_2)
	v_sub_f32_e32 v41, v35, v36
	v_sub_f32_e32 v39, v36, v39
	;; [unrolled: 1-line block ×3, first 2 shown]
	s_delay_alu instid0(VALU_DEP_1) | instskip(NEXT) | instid1(VALU_DEP_1)
	v_sub_f32_e32 v35, v35, v36
	v_dual_sub_f32 v36, v39, v38 :: v_dual_add_f32 v5, v5, v35
	v_add_f32_e32 v35, v40, v37
	s_delay_alu instid0(VALU_DEP_1) | instskip(NEXT) | instid1(VALU_DEP_1)
	v_dual_add_f32 v5, v36, v5 :: v_dual_sub_f32 v36, v35, v40
	v_add_f32_e32 v5, v41, v5
	s_delay_alu instid0(VALU_DEP_1) | instskip(NEXT) | instid1(VALU_DEP_1)
	v_dual_sub_f32 v36, v37, v36 :: v_dual_mul_f32 v5, v7, v5
	v_add_f32_e32 v5, v36, v5
	s_delay_alu instid0(VALU_DEP_1) | instskip(NEXT) | instid1(VALU_DEP_1)
	v_add_f32_e32 v7, v35, v5
	v_mul_f32_e32 v36, v7, v7
	s_delay_alu instid0(VALU_DEP_1) | instskip(SKIP_1) | instid1(VALU_DEP_2)
	v_fmaak_f32 v37, s23, v36, 0x3ecc95a3
	v_mul_f32_e32 v38, v7, v36
	v_fmaak_f32 v36, v36, v37, 0x3f2aaada
	v_ldexp_f32 v37, v7, 1
	s_delay_alu instid0(VALU_DEP_2) | instskip(NEXT) | instid1(VALU_DEP_1)
	v_dual_sub_f32 v7, v7, v35 :: v_dual_mul_f32 v36, v38, v36
	v_dual_mul_f32 v38, 0x3f317218, v4 :: v_dual_sub_f32 v5, v5, v7
	s_delay_alu instid0(VALU_DEP_2) | instskip(NEXT) | instid1(VALU_DEP_2)
	v_add_f32_e32 v35, v37, v36
	v_ldexp_f32 v5, v5, 1
	s_delay_alu instid0(VALU_DEP_2) | instskip(NEXT) | instid1(VALU_DEP_4)
	v_sub_f32_e32 v7, v35, v37
	v_fma_f32 v37, 0x3f317218, v4, -v38
	s_delay_alu instid0(VALU_DEP_2) | instskip(NEXT) | instid1(VALU_DEP_1)
	v_sub_f32_e32 v7, v36, v7
	v_dual_fmac_f32 v37, 0xb102e308, v4 :: v_dual_add_f32 v4, v5, v7
	s_delay_alu instid0(VALU_DEP_1) | instskip(NEXT) | instid1(VALU_DEP_1)
	v_add_f32_e32 v5, v38, v37
	v_dual_add_f32 v7, v35, v4 :: v_dual_sub_f32 v38, v5, v38
	s_delay_alu instid0(VALU_DEP_1) | instskip(SKIP_1) | instid1(VALU_DEP_3)
	v_add_f32_e32 v36, v5, v7
	v_sub_f32_e32 v35, v7, v35
	v_sub_f32_e32 v37, v37, v38
	s_delay_alu instid0(VALU_DEP_3) | instskip(NEXT) | instid1(VALU_DEP_3)
	v_sub_f32_e32 v39, v36, v5
	v_sub_f32_e32 v4, v4, v35
	s_delay_alu instid0(VALU_DEP_2) | instskip(SKIP_1) | instid1(VALU_DEP_3)
	v_sub_f32_e32 v40, v36, v39
	v_sub_f32_e32 v7, v7, v39
	v_add_f32_e32 v35, v37, v4
	s_delay_alu instid0(VALU_DEP_3) | instskip(NEXT) | instid1(VALU_DEP_1)
	v_sub_f32_e32 v5, v5, v40
	v_add_f32_e32 v5, v7, v5
	s_delay_alu instid0(VALU_DEP_3) | instskip(NEXT) | instid1(VALU_DEP_1)
	v_sub_f32_e32 v7, v35, v37
	v_dual_add_f32 v5, v35, v5 :: v_dual_sub_f32 v4, v4, v7
	s_delay_alu instid0(VALU_DEP_1) | instskip(NEXT) | instid1(VALU_DEP_1)
	v_dual_sub_f32 v35, v35, v7 :: v_dual_add_f32 v38, v36, v5
	v_sub_f32_e32 v35, v37, v35
	s_delay_alu instid0(VALU_DEP_1) | instskip(NEXT) | instid1(VALU_DEP_1)
	v_dual_sub_f32 v7, v38, v36 :: v_dual_add_f32 v4, v4, v35
	v_sub_f32_e32 v5, v5, v7
	s_delay_alu instid0(VALU_DEP_1) | instskip(NEXT) | instid1(VALU_DEP_1)
	v_add_f32_e32 v4, v4, v5
	v_add_f32_e32 v4, v38, v4
	s_delay_alu instid0(VALU_DEP_1)
	v_cndmask_b32_e32 v35, v4, v6, vcc_lo
.LBB5_28:                               ;   in Loop: Header=BB5_12 Depth=1
	s_or_b32 exec_lo, exec_lo, s17
	v_and_b32_e32 v2, 0xffff0000, v2
	s_delay_alu instid0(VALU_DEP_1) | instskip(NEXT) | instid1(VALU_DEP_1)
	v_add_f32_e32 v36, s52, v2
	v_cmp_ge_f32_e32 vcc_lo, 0x41a00000, v36
	s_and_b32 s16, s59, vcc_lo
	s_delay_alu instid0(SALU_CYCLE_1)
	s_and_saveexec_b32 s17, s16
	s_cbranch_execz .LBB5_30
; %bb.29:                               ;   in Loop: Header=BB5_12 Depth=1
	v_mul_f32_e32 v2, 0x3fb8aa3b, v36
	v_cmp_ngt_f32_e32 vcc_lo, 0xc2ce8ed0, v36
	s_delay_alu instid0(VALU_DEP_2) | instskip(SKIP_1) | instid1(VALU_DEP_2)
	v_rndne_f32_e32 v4, v2
	v_fma_f32 v5, 0x3fb8aa3b, v36, -v2
	v_sub_f32_e32 v2, v2, v4
	s_delay_alu instid0(VALU_DEP_2) | instskip(SKIP_1) | instid1(VALU_DEP_2)
	v_fmac_f32_e32 v5, 0x32a5705f, v36
	v_cvt_i32_f32_e32 v4, v4
	v_add_f32_e32 v2, v2, v5
	s_delay_alu instid0(VALU_DEP_1) | instskip(SKIP_2) | instid1(VALU_DEP_1)
	v_exp_f32_e32 v2, v2
	s_waitcnt_depctr 0xfff
	v_ldexp_f32 v2, v2, v4
	v_cndmask_b32_e32 v2, 0, v2, vcc_lo
	v_cmp_nlt_f32_e32 vcc_lo, 0x42b17218, v36
	s_delay_alu instid0(VALU_DEP_2) | instskip(NEXT) | instid1(VALU_DEP_1)
	v_cndmask_b32_e32 v2, 0x7f800000, v2, vcc_lo
	v_add_f32_e32 v6, 1.0, v2
	s_delay_alu instid0(VALU_DEP_1) | instskip(NEXT) | instid1(VALU_DEP_1)
	v_cvt_f64_f32_e32 v[4:5], v6
	v_frexp_exp_i32_f64_e32 v4, v[4:5]
	v_frexp_mant_f32_e32 v5, v6
	s_delay_alu instid0(VALU_DEP_1) | instskip(SKIP_1) | instid1(VALU_DEP_1)
	v_cmp_gt_f32_e32 vcc_lo, 0x3f2aaaab, v5
	v_add_f32_e32 v5, -1.0, v6
	v_dual_sub_f32 v36, v5, v6 :: v_dual_sub_f32 v5, v2, v5
	v_subrev_co_ci_u32_e32 v4, vcc_lo, 0, v4, vcc_lo
	s_delay_alu instid0(VALU_DEP_1) | instskip(SKIP_1) | instid1(VALU_DEP_2)
	v_sub_nc_u32_e32 v7, 0, v4
	v_cvt_f32_i32_e32 v4, v4
	v_ldexp_f32 v6, v6, v7
	s_delay_alu instid0(VALU_DEP_1) | instskip(NEXT) | instid1(VALU_DEP_1)
	v_dual_add_f32 v36, 1.0, v36 :: v_dual_add_f32 v37, 1.0, v6
	v_add_f32_e32 v5, v5, v36
	s_delay_alu instid0(VALU_DEP_1) | instskip(NEXT) | instid1(VALU_DEP_3)
	v_ldexp_f32 v5, v5, v7
	v_dual_add_f32 v7, -1.0, v6 :: v_dual_add_f32 v36, -1.0, v37
	s_delay_alu instid0(VALU_DEP_1) | instskip(NEXT) | instid1(VALU_DEP_2)
	v_add_f32_e32 v38, 1.0, v7
	v_sub_f32_e32 v36, v6, v36
	s_delay_alu instid0(VALU_DEP_2) | instskip(NEXT) | instid1(VALU_DEP_2)
	v_sub_f32_e32 v6, v6, v38
	v_add_f32_e32 v36, v5, v36
	s_delay_alu instid0(VALU_DEP_2) | instskip(NEXT) | instid1(VALU_DEP_1)
	v_add_f32_e32 v5, v5, v6
	v_dual_add_f32 v39, v7, v5 :: v_dual_add_f32 v38, v37, v36
	v_cmp_eq_f32_e32 vcc_lo, 0x7f800000, v2
	v_cmp_gt_f32_e64 s16, 0x33800000, v2
	s_delay_alu instid0(VALU_DEP_3) | instskip(NEXT) | instid1(VALU_DEP_4)
	v_sub_f32_e32 v7, v7, v39
	v_rcp_f32_e32 v6, v38
	v_sub_f32_e32 v37, v37, v38
	s_delay_alu instid0(VALU_DEP_3) | instskip(NEXT) | instid1(VALU_DEP_1)
	s_or_b32 vcc_lo, s16, vcc_lo
	v_dual_add_f32 v5, v5, v7 :: v_dual_add_f32 v36, v36, v37
	s_waitcnt_depctr 0xfff
	v_mul_f32_e32 v40, v39, v6
	s_delay_alu instid0(VALU_DEP_1) | instskip(NEXT) | instid1(VALU_DEP_1)
	v_mul_f32_e32 v41, v38, v40
	v_fma_f32 v37, v40, v38, -v41
	s_delay_alu instid0(VALU_DEP_1) | instskip(NEXT) | instid1(VALU_DEP_1)
	v_fmac_f32_e32 v37, v40, v36
	v_add_f32_e32 v42, v41, v37
	s_delay_alu instid0(VALU_DEP_1) | instskip(NEXT) | instid1(VALU_DEP_1)
	v_sub_f32_e32 v43, v39, v42
	v_sub_f32_e32 v39, v39, v43
	s_delay_alu instid0(VALU_DEP_1) | instskip(SKIP_1) | instid1(VALU_DEP_2)
	v_sub_f32_e32 v39, v39, v42
	v_sub_f32_e32 v7, v42, v41
	v_add_f32_e32 v5, v5, v39
	s_delay_alu instid0(VALU_DEP_2) | instskip(NEXT) | instid1(VALU_DEP_1)
	v_sub_f32_e32 v7, v7, v37
	v_add_f32_e32 v5, v7, v5
	s_delay_alu instid0(VALU_DEP_1) | instskip(NEXT) | instid1(VALU_DEP_1)
	v_add_f32_e32 v7, v43, v5
	v_mul_f32_e32 v37, v6, v7
	s_delay_alu instid0(VALU_DEP_1) | instskip(NEXT) | instid1(VALU_DEP_1)
	v_dual_sub_f32 v42, v43, v7 :: v_dual_mul_f32 v39, v38, v37
	v_add_f32_e32 v5, v5, v42
	s_delay_alu instid0(VALU_DEP_2) | instskip(NEXT) | instid1(VALU_DEP_1)
	v_fma_f32 v38, v37, v38, -v39
	v_fmac_f32_e32 v38, v37, v36
	s_delay_alu instid0(VALU_DEP_1) | instskip(NEXT) | instid1(VALU_DEP_1)
	v_add_f32_e32 v36, v39, v38
	v_sub_f32_e32 v41, v7, v36
	s_delay_alu instid0(VALU_DEP_1) | instskip(NEXT) | instid1(VALU_DEP_1)
	v_sub_f32_e32 v7, v7, v41
	v_sub_f32_e32 v7, v7, v36
	s_delay_alu instid0(VALU_DEP_1) | instskip(SKIP_2) | instid1(VALU_DEP_1)
	v_add_f32_e32 v5, v5, v7
	v_add_f32_e32 v7, v40, v37
	v_sub_f32_e32 v39, v36, v39
	v_sub_f32_e32 v36, v39, v38
	s_delay_alu instid0(VALU_DEP_1) | instskip(NEXT) | instid1(VALU_DEP_1)
	v_dual_add_f32 v5, v36, v5 :: v_dual_sub_f32 v36, v7, v40
	v_add_f32_e32 v5, v41, v5
	s_delay_alu instid0(VALU_DEP_1) | instskip(NEXT) | instid1(VALU_DEP_1)
	v_dual_sub_f32 v36, v37, v36 :: v_dual_mul_f32 v5, v6, v5
	v_add_f32_e32 v5, v36, v5
	s_delay_alu instid0(VALU_DEP_1) | instskip(NEXT) | instid1(VALU_DEP_1)
	v_add_f32_e32 v6, v7, v5
	v_mul_f32_e32 v36, v6, v6
	s_delay_alu instid0(VALU_DEP_1) | instskip(SKIP_1) | instid1(VALU_DEP_2)
	v_fmaak_f32 v37, s23, v36, 0x3ecc95a3
	v_mul_f32_e32 v38, v6, v36
	v_fmaak_f32 v36, v36, v37, 0x3f2aaada
	v_ldexp_f32 v37, v6, 1
	v_sub_f32_e32 v6, v6, v7
	s_delay_alu instid0(VALU_DEP_3) | instskip(SKIP_1) | instid1(VALU_DEP_2)
	v_mul_f32_e32 v36, v38, v36
	v_mul_f32_e32 v38, 0x3f317218, v4
	v_add_f32_e32 v7, v37, v36
	s_delay_alu instid0(VALU_DEP_1) | instskip(NEXT) | instid1(VALU_DEP_3)
	v_dual_sub_f32 v5, v5, v6 :: v_dual_sub_f32 v6, v7, v37
	v_fma_f32 v37, 0x3f317218, v4, -v38
	s_delay_alu instid0(VALU_DEP_2) | instskip(NEXT) | instid1(VALU_DEP_2)
	v_ldexp_f32 v5, v5, 1
	v_dual_sub_f32 v6, v36, v6 :: v_dual_fmac_f32 v37, 0xb102e308, v4
	s_delay_alu instid0(VALU_DEP_1) | instskip(NEXT) | instid1(VALU_DEP_1)
	v_dual_add_f32 v4, v5, v6 :: v_dual_add_f32 v5, v38, v37
	v_add_f32_e32 v6, v7, v4
	s_delay_alu instid0(VALU_DEP_1) | instskip(NEXT) | instid1(VALU_DEP_1)
	v_add_f32_e32 v36, v5, v6
	v_sub_f32_e32 v39, v36, v5
	s_delay_alu instid0(VALU_DEP_1) | instskip(SKIP_2) | instid1(VALU_DEP_2)
	v_sub_f32_e32 v40, v36, v39
	v_sub_f32_e32 v7, v6, v7
	;; [unrolled: 1-line block ×5, first 2 shown]
	s_delay_alu instid0(VALU_DEP_1) | instskip(NEXT) | instid1(VALU_DEP_1)
	v_sub_f32_e32 v37, v37, v38
	v_add_f32_e32 v7, v37, v4
	v_sub_f32_e32 v5, v5, v40
	s_delay_alu instid0(VALU_DEP_1) | instskip(NEXT) | instid1(VALU_DEP_3)
	v_add_f32_e32 v5, v6, v5
	v_sub_f32_e32 v6, v7, v37
	s_delay_alu instid0(VALU_DEP_1) | instskip(NEXT) | instid1(VALU_DEP_1)
	v_dual_sub_f32 v4, v4, v6 :: v_dual_add_f32 v5, v7, v5
	v_dual_sub_f32 v7, v7, v6 :: v_dual_add_f32 v38, v36, v5
	s_delay_alu instid0(VALU_DEP_1) | instskip(NEXT) | instid1(VALU_DEP_1)
	v_dual_sub_f32 v7, v37, v7 :: v_dual_sub_f32 v6, v38, v36
	v_dual_add_f32 v4, v4, v7 :: v_dual_sub_f32 v5, v5, v6
	s_delay_alu instid0(VALU_DEP_1) | instskip(NEXT) | instid1(VALU_DEP_1)
	v_add_f32_e32 v4, v4, v5
	v_add_f32_e32 v4, v38, v4
	s_delay_alu instid0(VALU_DEP_1)
	v_cndmask_b32_e32 v36, v4, v2, vcc_lo
.LBB5_30:                               ;   in Loop: Header=BB5_12 Depth=1
	s_or_b32 exec_lo, exec_lo, s17
	v_lshlrev_b32_e32 v2, 16, v3
	s_delay_alu instid0(VALU_DEP_1) | instskip(NEXT) | instid1(VALU_DEP_1)
	v_add_f32_e32 v41, s52, v2
	v_cmp_ge_f32_e32 vcc_lo, 0x41a00000, v41
	s_and_b32 s16, s59, vcc_lo
	s_delay_alu instid0(SALU_CYCLE_1)
	s_and_saveexec_b32 s17, s16
	s_cbranch_execz .LBB5_32
; %bb.31:                               ;   in Loop: Header=BB5_12 Depth=1
	v_mul_f32_e32 v2, 0x3fb8aa3b, v41
	v_cmp_ngt_f32_e32 vcc_lo, 0xc2ce8ed0, v41
	s_delay_alu instid0(VALU_DEP_2) | instskip(SKIP_1) | instid1(VALU_DEP_1)
	v_rndne_f32_e32 v4, v2
	v_fma_f32 v5, 0x3fb8aa3b, v41, -v2
	v_dual_sub_f32 v2, v2, v4 :: v_dual_fmac_f32 v5, 0x32a5705f, v41
	v_cvt_i32_f32_e32 v4, v4
	s_delay_alu instid0(VALU_DEP_2) | instskip(NEXT) | instid1(VALU_DEP_1)
	v_add_f32_e32 v2, v2, v5
	v_exp_f32_e32 v2, v2
	s_waitcnt_depctr 0xfff
	v_ldexp_f32 v2, v2, v4
	s_delay_alu instid0(VALU_DEP_1) | instskip(SKIP_1) | instid1(VALU_DEP_2)
	v_cndmask_b32_e32 v2, 0, v2, vcc_lo
	v_cmp_nlt_f32_e32 vcc_lo, 0x42b17218, v41
	v_cndmask_b32_e32 v2, 0x7f800000, v2, vcc_lo
	s_delay_alu instid0(VALU_DEP_1) | instskip(NEXT) | instid1(VALU_DEP_1)
	v_add_f32_e32 v6, 1.0, v2
	v_cvt_f64_f32_e32 v[4:5], v6
	s_delay_alu instid0(VALU_DEP_1) | instskip(SKIP_1) | instid1(VALU_DEP_1)
	v_frexp_exp_i32_f64_e32 v4, v[4:5]
	v_frexp_mant_f32_e32 v5, v6
	v_cmp_gt_f32_e32 vcc_lo, 0x3f2aaaab, v5
	v_add_f32_e32 v5, -1.0, v6
	s_delay_alu instid0(VALU_DEP_1) | instskip(SKIP_1) | instid1(VALU_DEP_2)
	v_sub_f32_e32 v37, v5, v6
	v_sub_f32_e32 v5, v2, v5
	v_add_f32_e32 v37, 1.0, v37
	s_delay_alu instid0(VALU_DEP_1) | instskip(SKIP_3) | instid1(VALU_DEP_2)
	v_add_f32_e32 v5, v5, v37
	v_cmp_gt_f32_e64 s16, 0x33800000, v2
	v_subrev_co_ci_u32_e32 v4, vcc_lo, 0, v4, vcc_lo
	v_cmp_eq_f32_e32 vcc_lo, 0x7f800000, v2
	v_sub_nc_u32_e32 v7, 0, v4
	v_cvt_f32_i32_e32 v4, v4
	s_or_b32 vcc_lo, s16, vcc_lo
	s_delay_alu instid0(VALU_DEP_2) | instskip(SKIP_1) | instid1(VALU_DEP_2)
	v_ldexp_f32 v6, v6, v7
	v_ldexp_f32 v5, v5, v7
	v_add_f32_e32 v38, 1.0, v6
	v_add_f32_e32 v7, -1.0, v6
	s_delay_alu instid0(VALU_DEP_1) | instskip(NEXT) | instid1(VALU_DEP_3)
	v_add_f32_e32 v39, 1.0, v7
	v_add_f32_e32 v37, -1.0, v38
	s_delay_alu instid0(VALU_DEP_1) | instskip(NEXT) | instid1(VALU_DEP_1)
	v_sub_f32_e32 v37, v6, v37
	v_dual_sub_f32 v6, v6, v39 :: v_dual_add_f32 v37, v5, v37
	s_delay_alu instid0(VALU_DEP_1) | instskip(NEXT) | instid1(VALU_DEP_2)
	v_add_f32_e32 v39, v38, v37
	v_add_f32_e32 v5, v5, v6
	s_delay_alu instid0(VALU_DEP_2) | instskip(SKIP_1) | instid1(VALU_DEP_1)
	v_rcp_f32_e32 v6, v39
	v_sub_f32_e32 v38, v38, v39
	v_dual_add_f32 v40, v7, v5 :: v_dual_add_f32 v37, v37, v38
	s_delay_alu instid0(VALU_DEP_1) | instskip(SKIP_2) | instid1(VALU_DEP_1)
	v_sub_f32_e32 v7, v7, v40
	s_waitcnt_depctr 0xfff
	v_mul_f32_e32 v41, v40, v6
	v_mul_f32_e32 v42, v39, v41
	s_delay_alu instid0(VALU_DEP_1) | instskip(NEXT) | instid1(VALU_DEP_1)
	v_fma_f32 v38, v41, v39, -v42
	v_fmac_f32_e32 v38, v41, v37
	s_delay_alu instid0(VALU_DEP_1) | instskip(NEXT) | instid1(VALU_DEP_1)
	v_add_f32_e32 v43, v42, v38
	v_sub_f32_e32 v44, v40, v43
	s_delay_alu instid0(VALU_DEP_1) | instskip(NEXT) | instid1(VALU_DEP_1)
	v_dual_sub_f32 v40, v40, v44 :: v_dual_add_f32 v5, v5, v7
	v_dual_sub_f32 v7, v43, v42 :: v_dual_sub_f32 v40, v40, v43
	s_delay_alu instid0(VALU_DEP_1) | instskip(NEXT) | instid1(VALU_DEP_2)
	v_sub_f32_e32 v7, v7, v38
	v_add_f32_e32 v5, v5, v40
	s_delay_alu instid0(VALU_DEP_1) | instskip(NEXT) | instid1(VALU_DEP_1)
	v_add_f32_e32 v5, v7, v5
	v_add_f32_e32 v7, v44, v5
	s_delay_alu instid0(VALU_DEP_1) | instskip(NEXT) | instid1(VALU_DEP_1)
	v_mul_f32_e32 v38, v6, v7
	v_dual_sub_f32 v43, v44, v7 :: v_dual_mul_f32 v40, v39, v38
	s_delay_alu instid0(VALU_DEP_1) | instskip(NEXT) | instid1(VALU_DEP_2)
	v_add_f32_e32 v5, v5, v43
	v_fma_f32 v39, v38, v39, -v40
	s_delay_alu instid0(VALU_DEP_1) | instskip(NEXT) | instid1(VALU_DEP_1)
	v_fmac_f32_e32 v39, v38, v37
	v_add_f32_e32 v37, v40, v39
	s_delay_alu instid0(VALU_DEP_1) | instskip(NEXT) | instid1(VALU_DEP_1)
	v_sub_f32_e32 v42, v7, v37
	v_dual_sub_f32 v40, v37, v40 :: v_dual_sub_f32 v7, v7, v42
	s_delay_alu instid0(VALU_DEP_1) | instskip(NEXT) | instid1(VALU_DEP_2)
	v_sub_f32_e32 v7, v7, v37
	v_sub_f32_e32 v37, v40, v39
	s_delay_alu instid0(VALU_DEP_2) | instskip(SKIP_1) | instid1(VALU_DEP_2)
	v_add_f32_e32 v5, v5, v7
	v_add_f32_e32 v7, v41, v38
	;; [unrolled: 1-line block ×3, first 2 shown]
	s_delay_alu instid0(VALU_DEP_2) | instskip(NEXT) | instid1(VALU_DEP_2)
	v_sub_f32_e32 v37, v7, v41
	v_add_f32_e32 v5, v42, v5
	s_delay_alu instid0(VALU_DEP_2) | instskip(NEXT) | instid1(VALU_DEP_2)
	v_sub_f32_e32 v37, v38, v37
	v_mul_f32_e32 v5, v6, v5
	s_delay_alu instid0(VALU_DEP_1) | instskip(NEXT) | instid1(VALU_DEP_1)
	v_add_f32_e32 v5, v37, v5
	v_add_f32_e32 v6, v7, v5
	s_delay_alu instid0(VALU_DEP_1) | instskip(NEXT) | instid1(VALU_DEP_1)
	v_mul_f32_e32 v37, v6, v6
	v_fmaak_f32 v38, s23, v37, 0x3ecc95a3
	v_mul_f32_e32 v39, v6, v37
	s_delay_alu instid0(VALU_DEP_2) | instskip(SKIP_1) | instid1(VALU_DEP_2)
	v_fmaak_f32 v37, v37, v38, 0x3f2aaada
	v_ldexp_f32 v38, v6, 1
	v_dual_sub_f32 v6, v6, v7 :: v_dual_mul_f32 v37, v39, v37
	v_mul_f32_e32 v39, 0x3f317218, v4
	s_delay_alu instid0(VALU_DEP_2) | instskip(NEXT) | instid1(VALU_DEP_3)
	v_sub_f32_e32 v5, v5, v6
	v_add_f32_e32 v7, v38, v37
	s_delay_alu instid0(VALU_DEP_2) | instskip(NEXT) | instid1(VALU_DEP_2)
	v_ldexp_f32 v5, v5, 1
	v_sub_f32_e32 v6, v7, v38
	v_fma_f32 v38, 0x3f317218, v4, -v39
	s_delay_alu instid0(VALU_DEP_2) | instskip(NEXT) | instid1(VALU_DEP_2)
	v_sub_f32_e32 v6, v37, v6
	v_fmac_f32_e32 v38, 0xb102e308, v4
	s_delay_alu instid0(VALU_DEP_2) | instskip(NEXT) | instid1(VALU_DEP_2)
	v_add_f32_e32 v4, v5, v6
	v_add_f32_e32 v5, v39, v38
	s_delay_alu instid0(VALU_DEP_1) | instskip(NEXT) | instid1(VALU_DEP_1)
	v_dual_add_f32 v6, v7, v4 :: v_dual_sub_f32 v39, v5, v39
	v_add_f32_e32 v37, v5, v6
	v_sub_f32_e32 v7, v6, v7
	s_delay_alu instid0(VALU_DEP_3) | instskip(NEXT) | instid1(VALU_DEP_3)
	v_sub_f32_e32 v38, v38, v39
	v_sub_f32_e32 v40, v37, v5
	s_delay_alu instid0(VALU_DEP_1) | instskip(SKIP_1) | instid1(VALU_DEP_2)
	v_dual_sub_f32 v4, v4, v7 :: v_dual_sub_f32 v41, v37, v40
	v_sub_f32_e32 v6, v6, v40
	v_add_f32_e32 v7, v38, v4
	s_delay_alu instid0(VALU_DEP_3) | instskip(NEXT) | instid1(VALU_DEP_1)
	v_sub_f32_e32 v5, v5, v41
	v_dual_add_f32 v5, v6, v5 :: v_dual_sub_f32 v6, v7, v38
	s_delay_alu instid0(VALU_DEP_1) | instskip(NEXT) | instid1(VALU_DEP_2)
	v_add_f32_e32 v5, v7, v5
	v_sub_f32_e32 v7, v7, v6
	s_delay_alu instid0(VALU_DEP_2) | instskip(NEXT) | instid1(VALU_DEP_1)
	v_dual_sub_f32 v4, v4, v6 :: v_dual_add_f32 v39, v37, v5
	v_dual_sub_f32 v7, v38, v7 :: v_dual_sub_f32 v6, v39, v37
	s_delay_alu instid0(VALU_DEP_1) | instskip(NEXT) | instid1(VALU_DEP_1)
	v_dual_add_f32 v4, v4, v7 :: v_dual_sub_f32 v5, v5, v6
	v_add_f32_e32 v4, v4, v5
	s_delay_alu instid0(VALU_DEP_1) | instskip(NEXT) | instid1(VALU_DEP_1)
	v_add_f32_e32 v4, v39, v4
	v_cndmask_b32_e32 v41, v4, v2, vcc_lo
.LBB5_32:                               ;   in Loop: Header=BB5_12 Depth=1
	s_or_b32 exec_lo, exec_lo, s17
	v_and_b32_e32 v2, 0xffff0000, v3
	s_delay_alu instid0(VALU_DEP_1) | instskip(NEXT) | instid1(VALU_DEP_1)
	v_add_f32_e32 v42, s52, v2
	v_cmp_ge_f32_e32 vcc_lo, 0x41a00000, v42
	s_and_b32 s16, s59, vcc_lo
	s_delay_alu instid0(SALU_CYCLE_1)
	s_and_saveexec_b32 s17, s16
	s_cbranch_execz .LBB5_34
; %bb.33:                               ;   in Loop: Header=BB5_12 Depth=1
	v_mul_f32_e32 v2, 0x3fb8aa3b, v42
	v_cmp_ngt_f32_e32 vcc_lo, 0xc2ce8ed0, v42
	s_delay_alu instid0(VALU_DEP_2) | instskip(SKIP_1) | instid1(VALU_DEP_2)
	v_rndne_f32_e32 v3, v2
	v_fma_f32 v4, 0x3fb8aa3b, v42, -v2
	v_sub_f32_e32 v2, v2, v3
	s_delay_alu instid0(VALU_DEP_2) | instskip(SKIP_1) | instid1(VALU_DEP_2)
	v_fmac_f32_e32 v4, 0x32a5705f, v42
	v_cvt_i32_f32_e32 v3, v3
	v_add_f32_e32 v2, v2, v4
	s_delay_alu instid0(VALU_DEP_1) | instskip(SKIP_2) | instid1(VALU_DEP_1)
	v_exp_f32_e32 v2, v2
	s_waitcnt_depctr 0xfff
	v_ldexp_f32 v2, v2, v3
	v_cndmask_b32_e32 v2, 0, v2, vcc_lo
	v_cmp_nlt_f32_e32 vcc_lo, 0x42b17218, v42
	s_delay_alu instid0(VALU_DEP_2) | instskip(NEXT) | instid1(VALU_DEP_1)
	v_cndmask_b32_e32 v4, 0x7f800000, v2, vcc_lo
	v_add_f32_e32 v5, 1.0, v4
	s_delay_alu instid0(VALU_DEP_1) | instskip(NEXT) | instid1(VALU_DEP_1)
	v_cvt_f64_f32_e32 v[2:3], v5
	v_frexp_exp_i32_f64_e32 v2, v[2:3]
	v_frexp_mant_f32_e32 v3, v5
	s_delay_alu instid0(VALU_DEP_1) | instskip(SKIP_1) | instid1(VALU_DEP_1)
	v_cmp_gt_f32_e32 vcc_lo, 0x3f2aaaab, v3
	v_add_f32_e32 v3, -1.0, v5
	v_sub_f32_e32 v7, v3, v5
	s_delay_alu instid0(VALU_DEP_1) | instskip(SKIP_1) | instid1(VALU_DEP_1)
	v_add_f32_e32 v7, 1.0, v7
	v_subrev_co_ci_u32_e32 v2, vcc_lo, 0, v2, vcc_lo
	v_sub_nc_u32_e32 v6, 0, v2
	v_cvt_f32_i32_e32 v2, v2
	s_delay_alu instid0(VALU_DEP_2) | instskip(NEXT) | instid1(VALU_DEP_1)
	v_ldexp_f32 v5, v5, v6
	v_add_f32_e32 v37, 1.0, v5
	v_sub_f32_e32 v3, v4, v3
	v_cmp_eq_f32_e32 vcc_lo, 0x7f800000, v4
	v_cmp_gt_f32_e64 s16, 0x33800000, v4
	s_delay_alu instid0(VALU_DEP_3) | instskip(NEXT) | instid1(VALU_DEP_2)
	v_add_f32_e32 v3, v3, v7
	s_or_b32 vcc_lo, s16, vcc_lo
	s_delay_alu instid0(VALU_DEP_1) | instskip(SKIP_1) | instid1(VALU_DEP_1)
	v_ldexp_f32 v3, v3, v6
	v_add_f32_e32 v6, -1.0, v5
	v_dual_add_f32 v7, -1.0, v37 :: v_dual_add_f32 v38, 1.0, v6
	s_delay_alu instid0(VALU_DEP_1) | instskip(NEXT) | instid1(VALU_DEP_2)
	v_sub_f32_e32 v7, v5, v7
	v_sub_f32_e32 v5, v5, v38
	s_delay_alu instid0(VALU_DEP_2) | instskip(NEXT) | instid1(VALU_DEP_1)
	v_add_f32_e32 v7, v3, v7
	v_dual_add_f32 v3, v3, v5 :: v_dual_add_f32 v38, v37, v7
	s_delay_alu instid0(VALU_DEP_1) | instskip(NEXT) | instid1(VALU_DEP_2)
	v_add_f32_e32 v39, v6, v3
	v_rcp_f32_e32 v5, v38
	s_delay_alu instid0(VALU_DEP_1) | instskip(NEXT) | instid1(VALU_DEP_1)
	v_dual_sub_f32 v37, v37, v38 :: v_dual_sub_f32 v6, v6, v39
	v_add_f32_e32 v3, v3, v6
	s_waitcnt_depctr 0xfff
	v_mul_f32_e32 v40, v39, v5
	s_delay_alu instid0(VALU_DEP_1) | instskip(NEXT) | instid1(VALU_DEP_1)
	v_dual_mul_f32 v42, v38, v40 :: v_dual_add_f32 v7, v7, v37
	v_fma_f32 v37, v40, v38, -v42
	s_delay_alu instid0(VALU_DEP_1) | instskip(NEXT) | instid1(VALU_DEP_1)
	v_fmac_f32_e32 v37, v40, v7
	v_add_f32_e32 v43, v42, v37
	s_delay_alu instid0(VALU_DEP_1) | instskip(SKIP_1) | instid1(VALU_DEP_1)
	v_sub_f32_e32 v6, v43, v42
	v_sub_f32_e32 v44, v39, v43
	v_dual_sub_f32 v6, v6, v37 :: v_dual_sub_f32 v39, v39, v44
	s_delay_alu instid0(VALU_DEP_1) | instskip(NEXT) | instid1(VALU_DEP_1)
	v_sub_f32_e32 v39, v39, v43
	v_add_f32_e32 v3, v3, v39
	s_delay_alu instid0(VALU_DEP_1) | instskip(NEXT) | instid1(VALU_DEP_1)
	v_add_f32_e32 v3, v6, v3
	v_add_f32_e32 v6, v44, v3
	s_delay_alu instid0(VALU_DEP_1) | instskip(SKIP_1) | instid1(VALU_DEP_2)
	v_mul_f32_e32 v37, v5, v6
	v_sub_f32_e32 v43, v44, v6
	v_mul_f32_e32 v39, v38, v37
	s_delay_alu instid0(VALU_DEP_2) | instskip(NEXT) | instid1(VALU_DEP_2)
	v_add_f32_e32 v3, v3, v43
	v_fma_f32 v38, v37, v38, -v39
	s_delay_alu instid0(VALU_DEP_1) | instskip(NEXT) | instid1(VALU_DEP_1)
	v_fmac_f32_e32 v38, v37, v7
	v_add_f32_e32 v7, v39, v38
	s_delay_alu instid0(VALU_DEP_1) | instskip(NEXT) | instid1(VALU_DEP_1)
	v_sub_f32_e32 v42, v6, v7
	v_dual_sub_f32 v39, v7, v39 :: v_dual_sub_f32 v6, v6, v42
	s_delay_alu instid0(VALU_DEP_1) | instskip(NEXT) | instid1(VALU_DEP_1)
	v_dual_sub_f32 v6, v6, v7 :: v_dual_sub_f32 v7, v39, v38
	v_dual_add_f32 v3, v3, v6 :: v_dual_add_f32 v6, v40, v37
	s_delay_alu instid0(VALU_DEP_1) | instskip(NEXT) | instid1(VALU_DEP_2)
	v_add_f32_e32 v3, v7, v3
	v_sub_f32_e32 v7, v6, v40
	s_delay_alu instid0(VALU_DEP_2) | instskip(NEXT) | instid1(VALU_DEP_2)
	v_add_f32_e32 v3, v42, v3
	v_sub_f32_e32 v7, v37, v7
	s_delay_alu instid0(VALU_DEP_2) | instskip(NEXT) | instid1(VALU_DEP_1)
	v_mul_f32_e32 v3, v5, v3
	v_add_f32_e32 v3, v7, v3
	s_delay_alu instid0(VALU_DEP_1) | instskip(NEXT) | instid1(VALU_DEP_1)
	v_add_f32_e32 v5, v6, v3
	v_mul_f32_e32 v7, v5, v5
	s_delay_alu instid0(VALU_DEP_1) | instskip(NEXT) | instid1(VALU_DEP_1)
	v_fmaak_f32 v37, s23, v7, 0x3ecc95a3
	v_dual_mul_f32 v38, v5, v7 :: v_dual_fmaak_f32 v7, v7, v37, 0x3f2aaada
	v_ldexp_f32 v37, v5, 1
	v_sub_f32_e32 v5, v5, v6
	s_delay_alu instid0(VALU_DEP_3) | instskip(NEXT) | instid1(VALU_DEP_1)
	v_dual_mul_f32 v7, v38, v7 :: v_dual_mul_f32 v38, 0x3f317218, v2
	v_dual_sub_f32 v3, v3, v5 :: v_dual_add_f32 v6, v37, v7
	s_delay_alu instid0(VALU_DEP_1) | instskip(NEXT) | instid1(VALU_DEP_2)
	v_ldexp_f32 v3, v3, 1
	v_sub_f32_e32 v5, v6, v37
	s_delay_alu instid0(VALU_DEP_4) | instskip(NEXT) | instid1(VALU_DEP_2)
	v_fma_f32 v37, 0x3f317218, v2, -v38
	v_sub_f32_e32 v5, v7, v5
	s_delay_alu instid0(VALU_DEP_1) | instskip(NEXT) | instid1(VALU_DEP_1)
	v_dual_fmac_f32 v37, 0xb102e308, v2 :: v_dual_add_f32 v2, v3, v5
	v_add_f32_e32 v3, v38, v37
	s_delay_alu instid0(VALU_DEP_2) | instskip(NEXT) | instid1(VALU_DEP_2)
	v_add_f32_e32 v5, v6, v2
	v_sub_f32_e32 v38, v3, v38
	s_delay_alu instid0(VALU_DEP_2) | instskip(NEXT) | instid1(VALU_DEP_2)
	v_dual_add_f32 v7, v3, v5 :: v_dual_sub_f32 v6, v5, v6
	v_sub_f32_e32 v37, v37, v38
	s_delay_alu instid0(VALU_DEP_2) | instskip(NEXT) | instid1(VALU_DEP_1)
	v_dual_sub_f32 v39, v7, v3 :: v_dual_sub_f32 v2, v2, v6
	v_sub_f32_e32 v40, v7, v39
	v_sub_f32_e32 v5, v5, v39
	s_delay_alu instid0(VALU_DEP_2) | instskip(NEXT) | instid1(VALU_DEP_1)
	v_dual_add_f32 v6, v37, v2 :: v_dual_sub_f32 v3, v3, v40
	v_add_f32_e32 v3, v5, v3
	s_delay_alu instid0(VALU_DEP_2) | instskip(NEXT) | instid1(VALU_DEP_2)
	v_sub_f32_e32 v5, v6, v37
	v_add_f32_e32 v3, v6, v3
	s_delay_alu instid0(VALU_DEP_2) | instskip(SKIP_1) | instid1(VALU_DEP_3)
	v_sub_f32_e32 v6, v6, v5
	v_sub_f32_e32 v2, v2, v5
	v_add_f32_e32 v38, v7, v3
	s_delay_alu instid0(VALU_DEP_1) | instskip(NEXT) | instid1(VALU_DEP_1)
	v_dual_sub_f32 v6, v37, v6 :: v_dual_sub_f32 v5, v38, v7
	v_dual_add_f32 v2, v2, v6 :: v_dual_sub_f32 v3, v3, v5
	s_delay_alu instid0(VALU_DEP_1) | instskip(NEXT) | instid1(VALU_DEP_1)
	v_add_f32_e32 v2, v2, v3
	v_add_f32_e32 v2, v38, v2
	s_delay_alu instid0(VALU_DEP_1)
	v_cndmask_b32_e32 v42, v2, v4, vcc_lo
.LBB5_34:                               ;   in Loop: Header=BB5_12 Depth=1
	s_or_b32 exec_lo, exec_lo, s17
	v_lshlrev_b32_e32 v2, 16, v1
	v_and_b32_e32 v3, 0xffff0000, v0
	v_lshlrev_b32_e32 v0, 16, v0
	v_and_b32_e32 v1, 0xffff0000, v1
	s_and_b32 vcc_lo, exec_lo, s60
	s_delay_alu instid0(VALU_DEP_3) | instskip(NEXT) | instid1(VALU_DEP_2)
	v_dual_mul_f32 v37, s53, v2 :: v_dual_mul_f32 v40, s53, v3
	v_dual_mul_f32 v38, s53, v0 :: v_dual_mul_f32 v39, s53, v1
	s_barrier
	buffer_gl0_inv
	s_cbranch_vccz .LBB5_82
; %bb.35:                               ;   in Loop: Header=BB5_12 Depth=1
	v_dual_mul_f32 v43, v42, v1 :: v_dual_mul_f32 v48, v41, v2
	v_add_co_u32 v1, s16, s49, v33
	s_delay_alu instid0(VALU_DEP_1) | instskip(SKIP_1) | instid1(VALU_DEP_1)
	v_add_co_ci_u32_e64 v4, null, s50, 0, s16
	v_add_co_u32 v5, s16, s37, v33
	v_add_co_ci_u32_e64 v6, null, s55, 0, s16
	s_delay_alu instid0(VALU_DEP_4) | instskip(NEXT) | instid1(VALU_DEP_4)
	v_add_co_u32 v44, vcc_lo, v1, v34
	v_add_co_ci_u32_e32 v45, vcc_lo, 0, v4, vcc_lo
	s_delay_alu instid0(VALU_DEP_4) | instskip(NEXT) | instid1(VALU_DEP_4)
	v_add_co_u32 v46, vcc_lo, v5, v34
	v_add_co_ci_u32_e32 v47, vcc_lo, 0, v6, vcc_lo
	v_cmp_gt_u32_e32 vcc_lo, s19, v8
	v_cmp_gt_u32_e64 s17, s19, v30
	v_cmp_gt_u32_e64 s18, s19, v31
	;; [unrolled: 1-line block ×3, first 2 shown]
	s_cmp_lg_u32 s43, 0
	v_dual_mul_f32 v49, v36, v3 :: v_dual_mul_f32 v50, v35, v0
	s_mov_b32 s28, 0
	s_cselect_b32 s25, -1, 0
	s_cmp_eq_u32 s43, s62
	s_mov_b32 s26, s28
	s_cselect_b32 s63, -1, 0
	s_or_b32 s16, s61, vcc_lo
	s_or_b32 s17, s61, s17
	s_or_b32 s18, s61, s18
	;; [unrolled: 1-line block ×3, first 2 shown]
	s_mov_b32 s30, s28
	s_mov_b32 s38, s28
	;; [unrolled: 1-line block ×4, first 2 shown]
	s_branch .LBB5_37
.LBB5_36:                               ;   in Loop: Header=BB5_37 Depth=2
	s_or_b32 exec_lo, exec_lo, s20
	v_cndmask_b32_e64 v2, v60, v7, s11
	v_cndmask_b32_e64 v3, v59, v6, s11
	s_add_i32 s64, s64, -1
	s_add_i32 s65, s65, 8
	s_add_i32 s38, s38, s54
	v_fma_f32 v2, v2, v58, v56
	v_mul_f32_e32 v3, v3, v58
	s_add_i32 s30, s30, s36
	s_add_i32 s26, s26, s48
	;; [unrolled: 1-line block ×3, first 2 shown]
	v_cndmask_b32_e64 v2, v2, v56, s10
	v_cndmask_b32_e64 v3, v3, v58, s10
	s_cmp_eq_u32 s64, 0
	s_waitcnt lgkmcnt(0)
	s_delay_alu instid0(VALU_DEP_1) | instskip(NEXT) | instid1(VALU_DEP_1)
	v_dual_fmac_f32 v2, v4, v3 :: v_dual_and_b32 v3, 0xffff0000, v0
	v_dual_fmac_f32 v51, v2, v57 :: v_dual_lshlrev_b32 v0, 16, v0
	s_delay_alu instid0(VALU_DEP_1) | instskip(SKIP_1) | instid1(VALU_DEP_3)
	v_fmac_f32_e32 v52, v51, v55
	v_and_b32_e32 v4, 0xffff0000, v1
	v_dual_fmac_f32 v38, v2, v0 :: v_dual_lshlrev_b32 v1, 16, v1
	s_delay_alu instid0(VALU_DEP_3) | instskip(NEXT) | instid1(VALU_DEP_2)
	v_dual_fmac_f32 v53, v52, v54 :: v_dual_fmac_f32 v40, v51, v3
	v_fmac_f32_e32 v37, v52, v1
	s_delay_alu instid0(VALU_DEP_2)
	v_fmac_f32_e32 v39, v53, v4
	s_cbranch_scc1 .LBB5_82
.LBB5_37:                               ;   Parent Loop BB5_12 Depth=1
                                        ; =>  This Inner Loop Header: Depth=2
	s_lshl_b64 s[20:21], s[28:29], 2
	s_mov_b32 s27, s29
	s_add_u32 s20, s51, s20
	s_addc_u32 s21, s46, s21
	v_dual_mov_b32 v2, 0 :: v_dual_mov_b32 v3, 0
	global_load_b32 v6, v12, s[20:21]
	s_lshl_b64 s[20:21], s[26:27], 1
	s_delay_alu instid0(SALU_CYCLE_1)
	v_add_co_u32 v0, vcc_lo, v44, s20
	v_add_co_ci_u32_e32 v1, vcc_lo, s21, v45, vcc_lo
	s_and_saveexec_b32 s20, s12
	s_cbranch_execz .LBB5_39
; %bb.38:                               ;   in Loop: Header=BB5_37 Depth=2
	global_load_u16 v3, v[0:1], off
.LBB5_39:                               ;   in Loop: Header=BB5_37 Depth=2
	s_or_b32 exec_lo, exec_lo, s20
	s_and_saveexec_b32 s20, s13
	s_cbranch_execz .LBB5_41
; %bb.40:                               ;   in Loop: Header=BB5_37 Depth=2
	global_load_u16 v2, v[0:1], off offset:64
.LBB5_41:                               ;   in Loop: Header=BB5_37 Depth=2
	s_or_b32 exec_lo, exec_lo, s20
	v_dual_mov_b32 v4, 0 :: v_dual_mov_b32 v5, 0
	s_and_saveexec_b32 s20, s14
	s_cbranch_execz .LBB5_43
; %bb.42:                               ;   in Loop: Header=BB5_37 Depth=2
	global_load_u16 v5, v[0:1], off offset:128
.LBB5_43:                               ;   in Loop: Header=BB5_37 Depth=2
	s_or_b32 exec_lo, exec_lo, s20
	s_and_saveexec_b32 s20, s15
	s_cbranch_execz .LBB5_45
; %bb.44:                               ;   in Loop: Header=BB5_37 Depth=2
	global_load_u16 v4, v[0:1], off offset:192
.LBB5_45:                               ;   in Loop: Header=BB5_37 Depth=2
	s_or_b32 exec_lo, exec_lo, s20
	s_waitcnt vmcnt(0)
	ds_store_b16 v14, v3
	ds_store_b16 v14, v2 offset:64
	ds_store_b16 v15, v5 offset:128
	;; [unrolled: 1-line block ×3, first 2 shown]
	; wave barrier
	ds_load_b64 v[4:5], v17
	s_mov_b32 s31, s29
	v_dual_mov_b32 v2, 0 :: v_dual_mov_b32 v3, 0
	s_lshl_b64 s[20:21], s[30:31], 1
	s_delay_alu instid0(SALU_CYCLE_1)
	v_add_co_u32 v0, vcc_lo, v46, s20
	v_add_co_ci_u32_e32 v1, vcc_lo, s21, v47, vcc_lo
	s_and_saveexec_b32 s20, s12
	s_cbranch_execz .LBB5_47
; %bb.46:                               ;   in Loop: Header=BB5_37 Depth=2
	global_load_u16 v3, v[0:1], off
.LBB5_47:                               ;   in Loop: Header=BB5_37 Depth=2
	s_or_b32 exec_lo, exec_lo, s20
	s_and_saveexec_b32 s20, s13
	s_cbranch_execz .LBB5_49
; %bb.48:                               ;   in Loop: Header=BB5_37 Depth=2
	global_load_u16 v2, v[0:1], off offset:64
.LBB5_49:                               ;   in Loop: Header=BB5_37 Depth=2
	s_or_b32 exec_lo, exec_lo, s20
	v_mov_b32_e32 v7, 0
	v_mov_b32_e32 v51, 0
	s_and_saveexec_b32 s20, s14
	s_cbranch_execz .LBB5_51
; %bb.50:                               ;   in Loop: Header=BB5_37 Depth=2
	global_load_u16 v51, v[0:1], off offset:128
.LBB5_51:                               ;   in Loop: Header=BB5_37 Depth=2
	s_or_b32 exec_lo, exec_lo, s20
	s_and_saveexec_b32 s20, s15
	s_cbranch_execz .LBB5_53
; %bb.52:                               ;   in Loop: Header=BB5_37 Depth=2
	global_load_u16 v7, v[0:1], off offset:192
.LBB5_53:                               ;   in Loop: Header=BB5_37 Depth=2
	s_or_b32 exec_lo, exec_lo, s20
	s_waitcnt vmcnt(0)
	ds_store_b16 v14, v3 offset:528
	ds_store_b16 v18, v2 offset:64
	;; [unrolled: 1-line block ×4, first 2 shown]
	; wave barrier
	ds_load_b64 v[0:1], v17 offset:528
	s_and_not1_b32 vcc_lo, exec_lo, s25
	s_cbranch_vccnz .LBB5_55
; %bb.54:                               ;   in Loop: Header=BB5_37 Depth=2
	v_mov_b32_e32 v2, s65
	ds_load_b64 v[2:3], v2
	s_cbranch_execz .LBB5_56
	s_branch .LBB5_59
.LBB5_55:                               ;   in Loop: Header=BB5_37 Depth=2
                                        ; implicit-def: $vgpr2
.LBB5_56:                               ;   in Loop: Header=BB5_37 Depth=2
	s_waitcnt lgkmcnt(0)
	v_mov_b32_e32 v3, 0
	s_and_not1_b32 vcc_lo, exec_lo, s33
	s_cbranch_vccnz .LBB5_58
; %bb.57:                               ;   in Loop: Header=BB5_37 Depth=2
	s_mov_b32 s39, s29
	s_delay_alu instid0(SALU_CYCLE_1) | instskip(NEXT) | instid1(SALU_CYCLE_1)
	s_lshl_b64 s[20:21], s[38:39], 1
	s_add_u32 s20, s56, s20
	s_addc_u32 s21, s57, s21
	global_load_u16 v2, v12, s[20:21]
	s_waitcnt vmcnt(0)
	v_lshlrev_b32_e32 v3, 16, v2
.LBB5_58:                               ;   in Loop: Header=BB5_37 Depth=2
	v_mov_b32_e32 v2, 1.0
.LBB5_59:                               ;   in Loop: Header=BB5_37 Depth=2
	s_waitcnt lgkmcnt(5)
	v_dual_mul_f32 v6, 0x3fb8aa3b, v6 :: v_dual_lshlrev_b32 v7, 16, v4
	v_lshlrev_b32_e32 v51, 16, v5
	v_and_b32_e32 v4, 0xffff0000, v4
	s_delay_alu instid0(VALU_DEP_3) | instskip(NEXT) | instid1(VALU_DEP_4)
	v_mul_f32_e32 v52, v6, v35
	v_mul_f32_e32 v7, v50, v7
	s_delay_alu instid0(VALU_DEP_3) | instskip(SKIP_1) | instid1(VALU_DEP_4)
	v_dual_mul_f32 v55, v6, v42 :: v_dual_mul_f32 v4, v49, v4
	v_dual_mul_f32 v54, v6, v41 :: v_dual_mul_f32 v59, v48, v51
	v_cmp_gt_f32_e32 vcc_lo, 0xc2fc0000, v52
	s_delay_alu instid0(VALU_DEP_3) | instskip(NEXT) | instid1(VALU_DEP_3)
	v_cmp_gt_f32_e64 s22, 0xc2fc0000, v55
	v_cmp_gt_f32_e64 s21, 0xc2fc0000, v54
	v_cndmask_b32_e64 v52, 0, 0x42800000, vcc_lo
	v_and_b32_e32 v5, 0xffff0000, v5
	s_delay_alu instid0(VALU_DEP_4) | instskip(SKIP_4) | instid1(VALU_DEP_3)
	v_cndmask_b32_e64 v55, 0, 0x42800000, s22
	v_cndmask_b32_e64 v56, 1.0, 0x1f800000, vcc_lo
	v_cndmask_b32_e64 v54, 0, 0x42800000, s21
	v_fmac_f32_e32 v52, v6, v35
	v_cndmask_b32_e64 v51, 1.0, 0x1f800000, s21
	v_fmac_f32_e32 v54, v6, v41
	s_delay_alu instid0(VALU_DEP_3) | instskip(SKIP_1) | instid1(VALU_DEP_2)
	v_exp_f32_e32 v52, v52
	v_fmac_f32_e32 v55, v6, v42
	v_exp_f32_e32 v54, v54
	s_waitcnt_depctr 0xfff
	v_mul_f32_e32 v52, v52, v56
	v_cndmask_b32_e64 v56, 0, v7, s16
	v_exp_f32_e32 v7, v55
	s_delay_alu instid0(VALU_DEP_2) | instskip(SKIP_2) | instid1(VALU_DEP_2)
	v_cndmask_b32_e64 v58, 1.0, v52, s16
	v_mul_f32_e32 v53, v6, v36
	v_cndmask_b32_e64 v52, 0, v59, s18
	v_cmp_gt_f32_e64 s20, 0xc2fc0000, v53
	s_delay_alu instid0(VALU_DEP_1) | instskip(NEXT) | instid1(VALU_DEP_1)
	v_cndmask_b32_e64 v53, 0, 0x42800000, s20
	v_fmac_f32_e32 v53, v6, v36
	v_cndmask_b32_e64 v6, 1.0, 0x1f800000, s20
	s_delay_alu instid0(VALU_DEP_2) | instskip(SKIP_4) | instid1(VALU_DEP_3)
	v_exp_f32_e32 v53, v53
	s_waitcnt_depctr 0xfff
	v_dual_mul_f32 v6, v53, v6 :: v_dual_mul_f32 v53, v54, v51
	v_cndmask_b32_e64 v51, 0, v4, s17
	v_cndmask_b32_e64 v4, 1.0, 0x1f800000, s22
	v_cndmask_b32_e64 v57, 1.0, v6, s17
	s_delay_alu instid0(VALU_DEP_4) | instskip(NEXT) | instid1(VALU_DEP_3)
	v_cndmask_b32_e64 v55, 1.0, v53, s18
	v_mul_f32_e32 v4, v7, v4
	s_delay_alu instid0(VALU_DEP_3) | instskip(SKIP_1) | instid1(VALU_DEP_3)
	v_dual_mul_f32 v6, v57, v58 :: v_dual_mul_f32 v5, v43, v5
	v_fma_f32 v7, v57, v56, v51
	v_cndmask_b32_e64 v54, 1.0, v4, s19
	s_delay_alu instid0(VALU_DEP_3) | instskip(NEXT) | instid1(VALU_DEP_4)
	v_mul_f32_e32 v4, v6, v55
	v_cndmask_b32_e64 v53, 0, v5, s19
	s_delay_alu instid0(VALU_DEP_4) | instskip(NEXT) | instid1(VALU_DEP_3)
	v_fma_f32 v5, v7, v55, v52
	v_mul_f32_e32 v4, v4, v54
	s_delay_alu instid0(VALU_DEP_2) | instskip(NEXT) | instid1(VALU_DEP_2)
	v_fma_f32 v5, v5, v54, v53
	v_mov_b32_dpp v7, v4 row_shr:1 row_mask:0xf bank_mask:0xf
	s_delay_alu instid0(VALU_DEP_2)
	v_mov_b32_dpp v6, v5 row_shr:1 row_mask:0xf bank_mask:0xf
	s_and_saveexec_b32 s20, s0
; %bb.60:                               ;   in Loop: Header=BB5_37 Depth=2
	s_delay_alu instid0(VALU_DEP_2) | instskip(NEXT) | instid1(VALU_DEP_1)
	v_mul_f32_e32 v7, v4, v7
	v_dual_fmac_f32 v5, v4, v6 :: v_dual_mov_b32 v4, v7
; %bb.61:                               ;   in Loop: Header=BB5_37 Depth=2
	s_or_b32 exec_lo, exec_lo, s20
	s_delay_alu instid0(VALU_DEP_1) | instskip(NEXT) | instid1(VALU_DEP_2)
	v_mov_b32_dpp v6, v4 row_shr:2 row_mask:0xf bank_mask:0xf
	v_mov_b32_dpp v7, v5 row_shr:2 row_mask:0xf bank_mask:0xf
	s_and_saveexec_b32 s20, s1
; %bb.62:                               ;   in Loop: Header=BB5_37 Depth=2
	s_delay_alu instid0(VALU_DEP_1) | instskip(NEXT) | instid1(VALU_DEP_3)
	v_fmac_f32_e32 v5, v4, v7
	v_mul_f32_e32 v4, v4, v6
; %bb.63:                               ;   in Loop: Header=BB5_37 Depth=2
	s_or_b32 exec_lo, exec_lo, s20
	s_delay_alu instid0(VALU_DEP_1) | instskip(NEXT) | instid1(VALU_DEP_3)
	v_mov_b32_dpp v6, v4 row_shr:4 row_mask:0xf bank_mask:0xf
	v_mov_b32_dpp v7, v5 row_shr:4 row_mask:0xf bank_mask:0xf
	s_and_saveexec_b32 s20, s2
; %bb.64:                               ;   in Loop: Header=BB5_37 Depth=2
	s_delay_alu instid0(VALU_DEP_1) | instskip(NEXT) | instid1(VALU_DEP_3)
	v_fmac_f32_e32 v5, v4, v7
	v_mul_f32_e32 v4, v4, v6
; %bb.65:                               ;   in Loop: Header=BB5_37 Depth=2
	s_or_b32 exec_lo, exec_lo, s20
	s_delay_alu instid0(VALU_DEP_1) | instskip(NEXT) | instid1(VALU_DEP_3)
	v_mov_b32_dpp v6, v4 row_shr:8 row_mask:0xf bank_mask:0xf
	v_mov_b32_dpp v7, v5 row_shr:8 row_mask:0xf bank_mask:0xf
	s_and_saveexec_b32 s20, s3
; %bb.66:                               ;   in Loop: Header=BB5_37 Depth=2
	s_delay_alu instid0(VALU_DEP_1) | instskip(NEXT) | instid1(VALU_DEP_3)
	v_fmac_f32_e32 v5, v4, v7
	v_mul_f32_e32 v4, v4, v6
; %bb.67:                               ;   in Loop: Header=BB5_37 Depth=2
	s_or_b32 exec_lo, exec_lo, s20
	ds_swizzle_b32 v7, v4 offset:swizzle(BROADCAST,32,15)
	ds_swizzle_b32 v6, v5 offset:swizzle(BROADCAST,32,15)
	s_and_saveexec_b32 s20, s4
	s_cbranch_execz .LBB5_69
; %bb.68:                               ;   in Loop: Header=BB5_37 Depth=2
	s_waitcnt lgkmcnt(1)
	v_mul_f32_e32 v7, v4, v7
	s_waitcnt lgkmcnt(0)
	s_delay_alu instid0(VALU_DEP_1)
	v_dual_fmac_f32 v5, v4, v6 :: v_dual_mov_b32 v4, v7
.LBB5_69:                               ;   in Loop: Header=BB5_37 Depth=2
	s_or_b32 exec_lo, exec_lo, s20
	s_and_saveexec_b32 s20, s5
	s_cbranch_execz .LBB5_71
; %bb.70:                               ;   in Loop: Header=BB5_37 Depth=2
	ds_store_b64 v21, v[4:5] offset:1056
.LBB5_71:                               ;   in Loop: Header=BB5_37 Depth=2
	s_or_b32 exec_lo, exec_lo, s20
	s_waitcnt lgkmcnt(0)
	s_waitcnt_vscnt null, 0x0
	s_barrier
	buffer_gl0_inv
	s_and_saveexec_b32 s20, s6
	s_cbranch_execz .LBB5_73
; %bb.72:                               ;   in Loop: Header=BB5_37 Depth=2
	ds_load_b64 v[6:7], v22 offset:1056
	s_waitcnt lgkmcnt(0)
	v_mov_b32_dpp v59, v6 row_shr:1 row_mask:0xf bank_mask:0xf
	v_mov_b32_dpp v60, v7 row_shr:1 row_mask:0xf bank_mask:0xf
	s_delay_alu instid0(VALU_DEP_2) | instskip(NEXT) | instid1(VALU_DEP_2)
	v_mul_f32_e32 v59, v6, v59
	v_fma_f32 v60, v6, v60, v7
	s_delay_alu instid0(VALU_DEP_2) | instskip(NEXT) | instid1(VALU_DEP_2)
	v_cndmask_b32_e64 v6, v59, v6, s7
	v_cndmask_b32_e64 v7, v60, v7, s7
	ds_store_b64 v22, v[6:7] offset:1056
.LBB5_73:                               ;   in Loop: Header=BB5_37 Depth=2
	s_or_b32 exec_lo, exec_lo, s20
	s_waitcnt lgkmcnt(0)
	s_barrier
	buffer_gl0_inv
                                        ; implicit-def: $vgpr7
	s_and_saveexec_b32 s20, s9
	s_cbranch_execz .LBB5_75
; %bb.74:                               ;   in Loop: Header=BB5_37 Depth=2
	ds_load_b64 v[6:7], v21 offset:1048
	s_waitcnt lgkmcnt(0)
	v_mul_f32_e32 v59, v4, v6
	s_delay_alu instid0(VALU_DEP_1)
	v_dual_fmac_f32 v5, v4, v7 :: v_dual_mov_b32 v4, v59
.LBB5_75:                               ;   in Loop: Header=BB5_37 Depth=2
	s_or_b32 exec_lo, exec_lo, s20
	ds_bpermute_b32 v59, v23, v4
	ds_bpermute_b32 v60, v23, v5
	s_and_saveexec_b32 s20, s8
	s_cbranch_execz .LBB5_79
; %bb.76:                               ;   in Loop: Header=BB5_37 Depth=2
	ds_load_b64 v[4:5], v12 offset:1064
	s_and_saveexec_b32 s21, s10
	s_cbranch_execz .LBB5_78
; %bb.77:                               ;   in Loop: Header=BB5_37 Depth=2
	ds_store_b64 v12, v[2:3] offset:1064
.LBB5_78:                               ;   in Loop: Header=BB5_37 Depth=2
	s_or_b32 exec_lo, exec_lo, s21
	s_waitcnt lgkmcnt(0)
	v_dual_fmac_f32 v5, v4, v3 :: v_dual_mul_f32 v2, v2, v4
	s_delay_alu instid0(VALU_DEP_1)
	v_mov_b32_e32 v3, v5
.LBB5_79:                               ;   in Loop: Header=BB5_37 Depth=2
	s_or_b32 exec_lo, exec_lo, s20
	s_waitcnt lgkmcnt(0)
	s_barrier
	buffer_gl0_inv
	ds_load_b32 v4, v12 offset:1068
	s_and_saveexec_b32 s20, s10
	s_cbranch_execz .LBB5_36
; %bb.80:                               ;   in Loop: Header=BB5_37 Depth=2
	v_mov_b32_e32 v5, s65
	s_and_not1_b32 vcc_lo, exec_lo, s63
	ds_store_b64 v5, v[2:3]
	s_cbranch_vccnz .LBB5_36
; %bb.81:                               ;   in Loop: Header=BB5_37 Depth=2
	v_bfe_u32 v2, v3, 16, 1
	v_cmp_o_f32_e32 vcc_lo, v3, v3
	s_mov_b32 s39, s29
	s_delay_alu instid0(SALU_CYCLE_1) | instskip(NEXT) | instid1(VALU_DEP_2)
	s_lshl_b64 s[66:67], s[38:39], 1
	v_add3_u32 v2, v3, v2, 0x7fff
	s_add_u32 s66, s56, s66
	s_addc_u32 s67, s57, s67
	s_delay_alu instid0(VALU_DEP_1) | instskip(NEXT) | instid1(VALU_DEP_1)
	v_lshrrev_b32_e32 v2, 16, v2
	v_cndmask_b32_e32 v2, 0x7fc0, v2, vcc_lo
	global_store_b16 v12, v2, s[66:67]
	s_branch .LBB5_36
.LBB5_82:                               ;   in Loop: Header=BB5_12 Depth=1
	v_bfe_u32 v0, v38, 16, 1
	s_delay_alu instid0(VALU_DEP_3) | instskip(NEXT) | instid1(VALU_DEP_3)
	v_bfe_u32 v2, v37, 16, 1
	v_bfe_u32 v3, v39, 16, 1
	v_cmp_o_f32_e32 vcc_lo, v38, v38
	v_bfe_u32 v1, v40, 16, 1
	v_add3_u32 v0, v38, v0, 0x7fff
	v_add3_u32 v2, v37, v2, 0x7fff
	;; [unrolled: 1-line block ×3, first 2 shown]
	s_waitcnt_vscnt null, 0x0
	v_add3_u32 v1, v40, v1, 0x7fff
	v_lshrrev_b32_e32 v0, 16, v0
	v_lshrrev_b32_e32 v2, 16, v2
	;; [unrolled: 1-line block ×3, first 2 shown]
	s_barrier
	v_lshrrev_b32_e32 v1, 16, v1
	v_cndmask_b32_e32 v0, 0x7fc0, v0, vcc_lo
	v_cmp_o_f32_e32 vcc_lo, v37, v37
	buffer_gl0_inv
	s_mov_b32 s25, s29
	s_delay_alu instid0(SALU_CYCLE_1)
	s_lshl_b64 s[20:21], s[24:25], 1
	v_cndmask_b32_e32 v2, 0x7fc0, v2, vcc_lo
	v_cmp_o_f32_e32 vcc_lo, v39, v39
	v_cndmask_b32_e32 v3, 0x7fc0, v3, vcc_lo
	v_cmp_o_f32_e32 vcc_lo, v40, v40
	v_cndmask_b32_e32 v4, 0x7fc0, v1, vcc_lo
	s_delay_alu instid0(VALU_DEP_3) | instskip(NEXT) | instid1(VALU_DEP_2)
	v_perm_b32 v1, v3, v2, 0x5040100
	v_perm_b32 v0, v4, v0, 0x5040100
	ds_store_b64 v17, v[0:1]
	; wave barrier
	ds_load_u16 v4, v14 offset:64
	ds_load_u16 v3, v15 offset:128
	;; [unrolled: 1-line block ×3, first 2 shown]
	v_add_co_u32 v0, vcc_lo, v24, s20
	v_add_co_ci_u32_e32 v1, vcc_lo, s21, v25, vcc_lo
	s_and_saveexec_b32 s16, s12
	s_cbranch_execnz .LBB5_101
; %bb.83:                               ;   in Loop: Header=BB5_12 Depth=1
	s_or_b32 exec_lo, exec_lo, s16
	s_and_saveexec_b32 s16, s13
	s_cbranch_execnz .LBB5_102
.LBB5_84:                               ;   in Loop: Header=BB5_12 Depth=1
	s_or_b32 exec_lo, exec_lo, s16
	s_and_saveexec_b32 s16, s14
	s_cbranch_execnz .LBB5_103
.LBB5_85:                               ;   in Loop: Header=BB5_12 Depth=1
	s_or_b32 exec_lo, exec_lo, s16
	s_and_saveexec_b32 s16, s15
	s_cbranch_execz .LBB5_87
.LBB5_86:                               ;   in Loop: Header=BB5_12 Depth=1
	s_waitcnt lgkmcnt(0)
	global_store_b16 v[0:1], v2, off offset:192
.LBB5_87:                               ;   in Loop: Header=BB5_12 Depth=1
	s_or_b32 exec_lo, exec_lo, s16
	v_add_co_u32 v0, vcc_lo, v26, s20
	v_add_co_ci_u32_e32 v1, vcc_lo, s21, v27, vcc_lo
	s_waitcnt lgkmcnt(0)
	v_dual_mov_b32 v2, 0 :: v_dual_mov_b32 v3, 0
	s_waitcnt_vscnt null, 0x0
	s_barrier
	buffer_gl0_inv
	s_and_saveexec_b32 s16, s12
	s_cbranch_execz .LBB5_89
; %bb.88:                               ;   in Loop: Header=BB5_12 Depth=1
	global_load_u16 v3, v[0:1], off
.LBB5_89:                               ;   in Loop: Header=BB5_12 Depth=1
	s_or_b32 exec_lo, exec_lo, s16
	s_and_saveexec_b32 s16, s13
	s_cbranch_execz .LBB5_91
; %bb.90:                               ;   in Loop: Header=BB5_12 Depth=1
	global_load_u16 v2, v[0:1], off offset:64
.LBB5_91:                               ;   in Loop: Header=BB5_12 Depth=1
	s_or_b32 exec_lo, exec_lo, s16
	v_dual_mov_b32 v4, 0 :: v_dual_mov_b32 v5, 0
	s_and_saveexec_b32 s16, s14
	s_cbranch_execz .LBB5_93
; %bb.92:                               ;   in Loop: Header=BB5_12 Depth=1
	global_load_u16 v5, v[0:1], off offset:128
.LBB5_93:                               ;   in Loop: Header=BB5_12 Depth=1
	s_or_b32 exec_lo, exec_lo, s16
	s_and_saveexec_b32 s16, s15
	s_cbranch_execz .LBB5_95
; %bb.94:                               ;   in Loop: Header=BB5_12 Depth=1
	global_load_u16 v4, v[0:1], off offset:192
.LBB5_95:                               ;   in Loop: Header=BB5_12 Depth=1
	s_or_b32 exec_lo, exec_lo, s16
	s_waitcnt vmcnt(0)
	ds_store_b16 v14, v3
	ds_store_b16 v14, v2 offset:64
	ds_store_b16 v15, v5 offset:128
	;; [unrolled: 1-line block ×3, first 2 shown]
	; wave barrier
	ds_load_b64 v[0:1], v17
	s_waitcnt lgkmcnt(0)
	s_barrier
	buffer_gl0_inv
	v_and_b32_e32 v2, 0xffff0000, v0
	v_and_b32_e32 v3, 0xffff0000, v1
	v_lshlrev_b32_e32 v1, 16, v1
	s_delay_alu instid0(VALU_DEP_1) | instskip(NEXT) | instid1(VALU_DEP_1)
	v_dual_mul_f32 v7, 0xbfb8aa3b, v1 :: v_dual_lshlrev_b32 v0, 16, v0
	v_mul_f32_e32 v5, 0xbfb8aa3b, v0
	s_delay_alu instid0(VALU_DEP_2) | instskip(NEXT) | instid1(VALU_DEP_2)
	v_rndne_f32_e32 v45, v7
	v_rndne_f32_e32 v41, v5
	v_fma_f32 v42, 0xbfb8aa3b, v0, -v5
	s_delay_alu instid0(VALU_DEP_2) | instskip(SKIP_2) | instid1(VALU_DEP_4)
	v_dual_sub_f32 v5, v5, v41 :: v_dual_mul_f32 v4, 0xbfb8aa3b, v2
	v_fma_f32 v46, 0xbfb8aa3b, v1, -v7
	v_cmp_nlt_f32_e32 vcc_lo, 0x42ce8ed0, v2
	v_fmac_f32_e32 v42, 0xb2a5705f, v0
	s_delay_alu instid0(VALU_DEP_4) | instskip(SKIP_1) | instid1(VALU_DEP_3)
	v_fma_f32 v35, 0xbfb8aa3b, v2, -v4
	v_rndne_f32_e32 v36, v4
	v_dual_fmac_f32 v46, 0xb2a5705f, v1 :: v_dual_add_f32 v5, v5, v42
	v_cvt_i32_f32_e32 v42, v45
	s_delay_alu instid0(VALU_DEP_3) | instskip(SKIP_1) | instid1(VALU_DEP_4)
	v_dual_fmac_f32 v35, 0xb2a5705f, v2 :: v_dual_sub_f32 v4, v4, v36
	v_dual_mul_f32 v6, 0xbfb8aa3b, v3 :: v_dual_sub_f32 v7, v7, v45
	v_exp_f32_e32 v5, v5
	s_delay_alu instid0(VALU_DEP_2) | instskip(NEXT) | instid1(VALU_DEP_2)
	v_add_f32_e32 v4, v4, v35
	v_fma_f32 v43, 0xbfb8aa3b, v3, -v6
	v_rndne_f32_e32 v44, v6
	v_cvt_i32_f32_e32 v35, v36
	v_add_f32_e32 v7, v7, v46
	v_exp_f32_e32 v4, v4
	s_delay_alu instid0(VALU_DEP_3) | instskip(SKIP_1) | instid1(VALU_DEP_3)
	v_dual_fmac_f32 v43, 0xb2a5705f, v3 :: v_dual_sub_f32 v6, v6, v44
	v_cvt_i32_f32_e32 v36, v41
	v_exp_f32_e32 v7, v7
	v_cvt_i32_f32_e32 v41, v44
	s_delay_alu instid0(VALU_DEP_3) | instskip(NEXT) | instid1(VALU_DEP_3)
	v_add_f32_e32 v6, v6, v43
	v_ldexp_f32 v5, v5, v36
	s_delay_alu instid0(TRANS32_DEP_2) | instskip(NEXT) | instid1(VALU_DEP_3)
	v_ldexp_f32 v4, v4, v35
	v_exp_f32_e32 v6, v6
	s_waitcnt_depctr 0xfff
	v_ldexp_f32 v7, v7, v42
	v_cndmask_b32_e32 v4, 0, v4, vcc_lo
	v_cmp_nlt_f32_e32 vcc_lo, 0x42ce8ed0, v0
	v_cndmask_b32_e32 v5, 0, v5, vcc_lo
	v_ldexp_f32 v6, v6, v41
	v_cmp_nlt_f32_e32 vcc_lo, 0x42ce8ed0, v3
	s_delay_alu instid0(VALU_DEP_2)
	v_cndmask_b32_e32 v6, 0, v6, vcc_lo
	v_cmp_nlt_f32_e32 vcc_lo, 0x42ce8ed0, v1
	v_cndmask_b32_e32 v7, 0, v7, vcc_lo
	v_cmp_ngt_f32_e32 vcc_lo, 0xc2b17218, v2
	v_cndmask_b32_e32 v4, 0x7f800000, v4, vcc_lo
	v_cmp_ngt_f32_e32 vcc_lo, 0xc2b17218, v0
	;; [unrolled: 2-line block ×3, first 2 shown]
	s_delay_alu instid0(VALU_DEP_2) | instskip(SKIP_2) | instid1(VALU_DEP_3)
	v_dual_add_f32 v5, 1.0, v5 :: v_dual_add_f32 v4, 1.0, v4
	v_cndmask_b32_e32 v6, 0x7f800000, v6, vcc_lo
	v_cmp_ngt_f32_e32 vcc_lo, 0xc2b17218, v1
	v_div_scale_f32 v36, null, v5, v5, v0
	s_delay_alu instid0(VALU_DEP_4) | instskip(SKIP_1) | instid1(VALU_DEP_3)
	v_div_scale_f32 v35, null, v4, v4, v2
	v_cndmask_b32_e32 v7, 0x7f800000, v7, vcc_lo
	v_rcp_f32_e32 v44, v36
	v_div_scale_f32 v47, vcc_lo, v2, v4, v2
	s_delay_alu instid0(VALU_DEP_3) | instskip(NEXT) | instid1(VALU_DEP_2)
	v_rcp_f32_e32 v43, v35
	v_dual_add_f32 v7, 1.0, v7 :: v_dual_add_f32 v6, 1.0, v6
	v_div_scale_f32 v48, s16, v0, v5, v0
	s_delay_alu instid0(VALU_DEP_2) | instskip(NEXT) | instid1(VALU_DEP_3)
	v_div_scale_f32 v42, null, v7, v7, v1
	v_div_scale_f32 v41, null, v6, v6, v3
	s_waitcnt_depctr 0xfff
	v_fma_f32 v50, -v35, v43, 1.0
	v_rcp_f32_e32 v46, v42
	v_fma_f32 v51, -v36, v44, 1.0
	v_rcp_f32_e32 v45, v41
	v_div_scale_f32 v49, s17, v3, v6, v3
	s_delay_alu instid0(VALU_DEP_2)
	v_dual_fmac_f32 v43, v50, v43 :: v_dual_fmac_f32 v44, v51, v44
	v_div_scale_f32 v54, s18, v1, v7, v1
	s_waitcnt_depctr 0xfff
	v_fma_f32 v53, -v42, v46, 1.0
	v_dual_mul_f32 v50, v47, v43 :: v_dual_mul_f32 v51, v48, v44
	v_fma_f32 v52, -v41, v45, 1.0
	s_delay_alu instid0(VALU_DEP_3) | instskip(NEXT) | instid1(VALU_DEP_3)
	v_fmac_f32_e32 v46, v53, v46
	v_fma_f32 v55, -v35, v50, v47
	s_delay_alu instid0(VALU_DEP_4) | instskip(NEXT) | instid1(VALU_DEP_4)
	v_fma_f32 v56, -v36, v51, v48
	v_fmac_f32_e32 v45, v52, v45
	s_delay_alu instid0(VALU_DEP_3) | instskip(NEXT) | instid1(VALU_DEP_2)
	v_dual_mul_f32 v53, v54, v46 :: v_dual_fmac_f32 v50, v55, v43
	v_dual_fmac_f32 v51, v56, v44 :: v_dual_mul_f32 v52, v49, v45
	s_delay_alu instid0(VALU_DEP_2) | instskip(NEXT) | instid1(VALU_DEP_3)
	v_fma_f32 v58, -v42, v53, v54
	v_fma_f32 v35, -v35, v50, v47
	s_delay_alu instid0(VALU_DEP_3) | instskip(NEXT) | instid1(VALU_DEP_4)
	v_fma_f32 v36, -v36, v51, v48
	v_fma_f32 v57, -v41, v52, v49
	s_delay_alu instid0(VALU_DEP_4) | instskip(NEXT) | instid1(VALU_DEP_4)
	v_fmac_f32_e32 v53, v58, v46
	v_div_fmas_f32 v35, v35, v43, v50
	s_mov_b32 vcc_lo, s16
	s_delay_alu instid0(VALU_DEP_3)
	v_fmac_f32_e32 v52, v57, v45
	v_div_fmas_f32 v36, v36, v44, v51
	s_mov_b32 vcc_lo, s17
	v_fma_f32 v42, -v42, v53, v54
	v_div_fixup_f32 v2, v35, v4, v2
	v_fma_f32 v41, -v41, v52, v49
	v_div_fixup_f32 v0, v36, v5, v0
	s_delay_alu instid0(VALU_DEP_2) | instskip(SKIP_2) | instid1(VALU_DEP_2)
	v_div_fmas_f32 v41, v41, v45, v52
	s_mov_b32 vcc_lo, s18
	v_div_fmas_f32 v4, v42, v46, v53
	v_div_fixup_f32 v3, v41, v6, v3
	v_mul_f32_e32 v2, v40, v2
	s_delay_alu instid0(VALU_DEP_3) | instskip(NEXT) | instid1(VALU_DEP_3)
	v_div_fixup_f32 v1, v4, v7, v1
	v_dual_mul_f32 v0, v38, v0 :: v_dual_mul_f32 v3, v39, v3
	s_delay_alu instid0(VALU_DEP_3) | instskip(SKIP_1) | instid1(VALU_DEP_4)
	v_bfe_u32 v4, v2, 16, 1
	v_cmp_o_f32_e32 vcc_lo, v2, v2
	v_mul_f32_e32 v1, v37, v1
	s_delay_alu instid0(VALU_DEP_4) | instskip(SKIP_2) | instid1(VALU_DEP_4)
	v_bfe_u32 v5, v0, 16, 1
	v_bfe_u32 v6, v3, 16, 1
	v_add3_u32 v4, v2, v4, 0x7fff
	v_bfe_u32 v7, v1, 16, 1
	s_delay_alu instid0(VALU_DEP_4) | instskip(NEXT) | instid1(VALU_DEP_4)
	v_add3_u32 v5, v0, v5, 0x7fff
	v_add3_u32 v6, v3, v6, 0x7fff
	s_delay_alu instid0(VALU_DEP_4) | instskip(NEXT) | instid1(VALU_DEP_4)
	v_lshrrev_b32_e32 v4, 16, v4
	v_add3_u32 v7, v1, v7, 0x7fff
	s_delay_alu instid0(VALU_DEP_4) | instskip(NEXT) | instid1(VALU_DEP_4)
	v_lshrrev_b32_e32 v5, 16, v5
	v_lshrrev_b32_e32 v6, 16, v6
	s_delay_alu instid0(VALU_DEP_4) | instskip(SKIP_4) | instid1(VALU_DEP_2)
	v_cndmask_b32_e32 v2, 0x7fc0, v4, vcc_lo
	v_cmp_o_f32_e32 vcc_lo, v0, v0
	v_lshrrev_b32_e32 v4, 16, v7
	v_cndmask_b32_e32 v0, 0x7fc0, v5, vcc_lo
	v_cmp_o_f32_e32 vcc_lo, v3, v3
	v_perm_b32 v0, v2, v0, 0x5040100
	v_cndmask_b32_e32 v3, 0x7fc0, v6, vcc_lo
	v_cmp_o_f32_e32 vcc_lo, v1, v1
	v_cndmask_b32_e32 v1, 0x7fc0, v4, vcc_lo
	s_delay_alu instid0(VALU_DEP_1)
	v_perm_b32 v1, v3, v1, 0x5040100
	ds_store_b64 v17, v[0:1]
	; wave barrier
	ds_load_u16 v4, v14 offset:64
	ds_load_u16 v3, v15 offset:128
	;; [unrolled: 1-line block ×3, first 2 shown]
	v_add_co_u32 v0, vcc_lo, v28, s20
	v_add_co_ci_u32_e32 v1, vcc_lo, s21, v29, vcc_lo
	s_and_saveexec_b32 s16, s12
	s_cbranch_execnz .LBB5_104
; %bb.96:                               ;   in Loop: Header=BB5_12 Depth=1
	s_or_b32 exec_lo, exec_lo, s16
	s_and_saveexec_b32 s12, s13
	s_cbranch_execnz .LBB5_105
.LBB5_97:                               ;   in Loop: Header=BB5_12 Depth=1
	s_or_b32 exec_lo, exec_lo, s12
	s_and_saveexec_b32 s12, s14
	s_cbranch_execnz .LBB5_106
.LBB5_98:                               ;   in Loop: Header=BB5_12 Depth=1
	s_or_b32 exec_lo, exec_lo, s12
	s_and_saveexec_b32 s12, s15
	s_cbranch_execz .LBB5_11
	s_branch .LBB5_107
.LBB5_99:                               ;   in Loop: Header=BB5_12 Depth=1
	global_load_u16 v6, v[2:3], off offset:64
	s_or_b32 exec_lo, exec_lo, s16
	s_and_saveexec_b32 s16, s14
	s_cbranch_execz .LBB5_24
.LBB5_100:                              ;   in Loop: Header=BB5_12 Depth=1
	global_load_u16 v5, v[2:3], off offset:128
	s_or_b32 exec_lo, exec_lo, s16
	v_mov_b32_e32 v7, 0
	s_and_saveexec_b32 s16, s15
	s_cbranch_execnz .LBB5_25
	s_branch .LBB5_26
.LBB5_101:                              ;   in Loop: Header=BB5_12 Depth=1
	ds_load_u16 v5, v14
	s_waitcnt lgkmcnt(0)
	global_store_b16 v[0:1], v5, off
	s_or_b32 exec_lo, exec_lo, s16
	s_and_saveexec_b32 s16, s13
	s_cbranch_execz .LBB5_84
.LBB5_102:                              ;   in Loop: Header=BB5_12 Depth=1
	s_waitcnt lgkmcnt(2)
	global_store_b16 v[0:1], v4, off offset:64
	s_or_b32 exec_lo, exec_lo, s16
	s_and_saveexec_b32 s16, s14
	s_cbranch_execz .LBB5_85
.LBB5_103:                              ;   in Loop: Header=BB5_12 Depth=1
	s_waitcnt lgkmcnt(1)
	global_store_b16 v[0:1], v3, off offset:128
	s_or_b32 exec_lo, exec_lo, s16
	s_and_saveexec_b32 s16, s15
	s_cbranch_execnz .LBB5_86
	s_branch .LBB5_87
.LBB5_104:                              ;   in Loop: Header=BB5_12 Depth=1
	ds_load_u16 v5, v14
	s_waitcnt lgkmcnt(0)
	global_store_b16 v[0:1], v5, off
	s_or_b32 exec_lo, exec_lo, s16
	s_and_saveexec_b32 s12, s13
	s_cbranch_execz .LBB5_97
.LBB5_105:                              ;   in Loop: Header=BB5_12 Depth=1
	s_waitcnt lgkmcnt(2)
	global_store_b16 v[0:1], v4, off offset:64
	s_or_b32 exec_lo, exec_lo, s12
	s_and_saveexec_b32 s12, s14
	s_cbranch_execz .LBB5_98
.LBB5_106:                              ;   in Loop: Header=BB5_12 Depth=1
	s_waitcnt lgkmcnt(1)
	global_store_b16 v[0:1], v3, off offset:128
	s_or_b32 exec_lo, exec_lo, s12
	s_and_saveexec_b32 s12, s15
	s_cbranch_execz .LBB5_11
.LBB5_107:                              ;   in Loop: Header=BB5_12 Depth=1
	s_waitcnt lgkmcnt(0)
	global_store_b16 v[0:1], v2, off offset:192
	s_branch .LBB5_11
.LBB5_108:
	s_nop 0
	s_sendmsg sendmsg(MSG_DEALLOC_VGPRS)
	s_endpgm
	.section	.rodata,"a",@progbits
	.p2align	6, 0x0
	.amdhsa_kernel _Z25selective_scan_fwd_kernelI32Selective_Scan_fwd_kernel_traitsILi64ELi4ELi1ELb0ELb1ELb1ELb1ELb0EN3c108BFloat16EfS2_EEv13SSMParamsBase
		.amdhsa_group_segment_fixed_size 0
		.amdhsa_private_segment_fixed_size 0
		.amdhsa_kernarg_size 248
		.amdhsa_user_sgpr_count 14
		.amdhsa_user_sgpr_dispatch_ptr 0
		.amdhsa_user_sgpr_queue_ptr 0
		.amdhsa_user_sgpr_kernarg_segment_ptr 1
		.amdhsa_user_sgpr_dispatch_id 0
		.amdhsa_user_sgpr_private_segment_size 0
		.amdhsa_wavefront_size32 1
		.amdhsa_uses_dynamic_stack 0
		.amdhsa_enable_private_segment 0
		.amdhsa_system_sgpr_workgroup_id_x 1
		.amdhsa_system_sgpr_workgroup_id_y 1
		.amdhsa_system_sgpr_workgroup_id_z 0
		.amdhsa_system_sgpr_workgroup_info 0
		.amdhsa_system_vgpr_workitem_id 0
		.amdhsa_next_free_vgpr 61
		.amdhsa_next_free_sgpr 68
		.amdhsa_reserve_vcc 1
		.amdhsa_float_round_mode_32 0
		.amdhsa_float_round_mode_16_64 0
		.amdhsa_float_denorm_mode_32 3
		.amdhsa_float_denorm_mode_16_64 3
		.amdhsa_dx10_clamp 1
		.amdhsa_ieee_mode 1
		.amdhsa_fp16_overflow 0
		.amdhsa_workgroup_processor_mode 1
		.amdhsa_memory_ordered 1
		.amdhsa_forward_progress 0
		.amdhsa_shared_vgpr_count 0
		.amdhsa_exception_fp_ieee_invalid_op 0
		.amdhsa_exception_fp_denorm_src 0
		.amdhsa_exception_fp_ieee_div_zero 0
		.amdhsa_exception_fp_ieee_overflow 0
		.amdhsa_exception_fp_ieee_underflow 0
		.amdhsa_exception_fp_ieee_inexact 0
		.amdhsa_exception_int_div_zero 0
	.end_amdhsa_kernel
	.section	.text._Z25selective_scan_fwd_kernelI32Selective_Scan_fwd_kernel_traitsILi64ELi4ELi1ELb0ELb1ELb1ELb1ELb0EN3c108BFloat16EfS2_EEv13SSMParamsBase,"axG",@progbits,_Z25selective_scan_fwd_kernelI32Selective_Scan_fwd_kernel_traitsILi64ELi4ELi1ELb0ELb1ELb1ELb1ELb0EN3c108BFloat16EfS2_EEv13SSMParamsBase,comdat
.Lfunc_end5:
	.size	_Z25selective_scan_fwd_kernelI32Selective_Scan_fwd_kernel_traitsILi64ELi4ELi1ELb0ELb1ELb1ELb1ELb0EN3c108BFloat16EfS2_EEv13SSMParamsBase, .Lfunc_end5-_Z25selective_scan_fwd_kernelI32Selective_Scan_fwd_kernel_traitsILi64ELi4ELi1ELb0ELb1ELb1ELb1ELb0EN3c108BFloat16EfS2_EEv13SSMParamsBase
                                        ; -- End function
	.section	.AMDGPU.csdata,"",@progbits
; Kernel info:
; codeLenInByte = 8592
; NumSgprs: 70
; NumVgprs: 61
; ScratchSize: 0
; MemoryBound: 0
; FloatMode: 240
; IeeeMode: 1
; LDSByteSize: 0 bytes/workgroup (compile time only)
; SGPRBlocks: 8
; VGPRBlocks: 7
; NumSGPRsForWavesPerEU: 70
; NumVGPRsForWavesPerEU: 61
; Occupancy: 16
; WaveLimiterHint : 0
; COMPUTE_PGM_RSRC2:SCRATCH_EN: 0
; COMPUTE_PGM_RSRC2:USER_SGPR: 14
; COMPUTE_PGM_RSRC2:TRAP_HANDLER: 0
; COMPUTE_PGM_RSRC2:TGID_X_EN: 1
; COMPUTE_PGM_RSRC2:TGID_Y_EN: 1
; COMPUTE_PGM_RSRC2:TGID_Z_EN: 0
; COMPUTE_PGM_RSRC2:TIDIG_COMP_CNT: 0
	.section	.text._Z25selective_scan_fwd_kernelI32Selective_Scan_fwd_kernel_traitsILi64ELi4ELi1ELb0ELb1ELb1ELb0ELb1EN3c108BFloat16EfS2_EEv13SSMParamsBase,"axG",@progbits,_Z25selective_scan_fwd_kernelI32Selective_Scan_fwd_kernel_traitsILi64ELi4ELi1ELb0ELb1ELb1ELb0ELb1EN3c108BFloat16EfS2_EEv13SSMParamsBase,comdat
	.protected	_Z25selective_scan_fwd_kernelI32Selective_Scan_fwd_kernel_traitsILi64ELi4ELi1ELb0ELb1ELb1ELb0ELb1EN3c108BFloat16EfS2_EEv13SSMParamsBase ; -- Begin function _Z25selective_scan_fwd_kernelI32Selective_Scan_fwd_kernel_traitsILi64ELi4ELi1ELb0ELb1ELb1ELb0ELb1EN3c108BFloat16EfS2_EEv13SSMParamsBase
	.globl	_Z25selective_scan_fwd_kernelI32Selective_Scan_fwd_kernel_traitsILi64ELi4ELi1ELb0ELb1ELb1ELb0ELb1EN3c108BFloat16EfS2_EEv13SSMParamsBase
	.p2align	8
	.type	_Z25selective_scan_fwd_kernelI32Selective_Scan_fwd_kernel_traitsILi64ELi4ELi1ELb0ELb1ELb1ELb0ELb1EN3c108BFloat16EfS2_EEv13SSMParamsBase,@function
_Z25selective_scan_fwd_kernelI32Selective_Scan_fwd_kernel_traitsILi64ELi4ELi1ELb0ELb1ELb1ELb0ELb1EN3c108BFloat16EfS2_EEv13SSMParamsBase: ; @_Z25selective_scan_fwd_kernelI32Selective_Scan_fwd_kernel_traitsILi64ELi4ELi1ELb0ELb1ELb1ELb0ELb1EN3c108BFloat16EfS2_EEv13SSMParamsBase
; %bb.0:
	s_clause 0x2
	s_load_b32 s35, s[0:1], 0x18
	s_load_b128 s[4:7], s[0:1], 0xe0
	s_load_b64 s[10:11], s[0:1], 0xf0
	s_mov_b32 s12, s15
	s_ashr_i32 s15, s14, 31
	s_mov_b32 s33, 0
	s_lshl_b64 s[8:9], s[14:15], 2
	s_waitcnt lgkmcnt(0)
	s_abs_i32 s34, s35
	s_add_u32 s2, s4, s8
	v_cvt_f32_u32_e32 v1, s34
	s_addc_u32 s3, s5, s9
	s_cmp_eq_u64 s[10:11], 0
	s_delay_alu instid0(VALU_DEP_1) | instskip(SKIP_2) | instid1(VALU_DEP_1)
	v_rcp_iflag_f32_e32 v1, v1
	s_waitcnt_depctr 0xfff
	v_mul_f32_e32 v1, 0x4f7ffffe, v1
	v_cvt_u32_f32_e32 v1, v1
	s_delay_alu instid0(VALU_DEP_1)
	v_readfirstlane_b32 s36, v1
	s_cbranch_scc1 .LBB6_2
; %bb.1:
	v_mov_b32_e32 v1, 0
	s_add_u32 s4, s10, s14
	s_addc_u32 s5, s11, s15
	global_load_u8 v1, v1, s[4:5]
	s_waitcnt vmcnt(0)
	v_and_b32_e32 v1, 1, v1
	s_delay_alu instid0(VALU_DEP_1)
	v_cmp_eq_u32_e64 s33, 1, v1
.LBB6_2:
	s_load_b64 s[4:5], s[0:1], 0x20
	s_cmp_eq_u64 s[6:7], 0
	s_cbranch_scc1 .LBB6_4
; %bb.3:
	s_add_u32 s6, s6, s8
	s_addc_u32 s7, s7, s9
	s_load_b32 s14, s[6:7], 0x0
	s_waitcnt lgkmcnt(0)
	s_ashr_i32 s15, s14, 31
.LBB6_4:
	s_waitcnt lgkmcnt(0)
	s_cmp_eq_u64 s[4:5], s[14:15]
	s_cbranch_scc1 .LBB6_92
; %bb.5:
	s_load_b512 s[16:31], s[0:1], 0x88
	s_load_b64 s[10:11], s[2:3], 0x0
	s_mov_b32 s48, 0
	s_mov_b32 s49, 0
	s_waitcnt lgkmcnt(0)
	s_cmp_eq_u64 s[22:23], 0
	s_cbranch_scc1 .LBB6_7
; %bb.6:
	s_ashr_i32 s13, s12, 31
	s_delay_alu instid0(SALU_CYCLE_1) | instskip(NEXT) | instid1(SALU_CYCLE_1)
	s_lshl_b64 s[2:3], s[12:13], 2
	s_add_u32 s2, s22, s2
	s_addc_u32 s3, s23, s3
	s_load_b32 s49, s[2:3], 0x0
.LBB6_7:
	s_cmp_eq_u64 s[28:29], 0
	s_cbranch_scc1 .LBB6_9
; %bb.8:
	s_ashr_i32 s13, s12, 31
	s_delay_alu instid0(SALU_CYCLE_1) | instskip(NEXT) | instid1(SALU_CYCLE_1)
	s_lshl_b64 s[2:3], s[12:13], 2
	s_add_u32 s2, s28, s2
	s_addc_u32 s3, s29, s3
	s_load_b32 s48, s[2:3], 0x0
.LBB6_9:
	s_sub_i32 s23, s11, s10
	s_delay_alu instid0(SALU_CYCLE_1)
	s_cmp_lt_i32 s23, 1
	s_cbranch_scc1 .LBB6_92
; %bb.10:
	s_sub_i32 s2, 0, s34
	s_abs_i32 s5, s12
	s_mul_i32 s4, s2, s36
	s_clause 0x1
	s_load_b64 s[2:3], s[0:1], 0x5c
	s_load_b128 s[44:47], s[0:1], 0x4c
	s_mul_hi_u32 s4, s36, s4
	s_ashr_i32 s7, s35, 31
	s_add_i32 s36, s36, s4
	s_ashr_i32 s4, s12, 31
	s_mul_hi_u32 s6, s5, s36
	s_xor_b32 s7, s4, s7
	s_mul_i32 s8, s6, s34
	s_load_b256 s[36:43], s[0:1], 0x2c
	s_sub_i32 s4, s5, s8
	s_add_i32 s5, s6, 1
	s_sub_i32 s8, s4, s34
	s_cmp_ge_u32 s4, s34
	s_mov_b32 s29, 0
	s_cselect_b32 s5, s5, s6
	s_cselect_b32 s4, s8, s4
	s_add_i32 s6, s5, 1
	s_cmp_ge_u32 s4, s34
	v_lshlrev_b32_e32 v8, 2, v0
	s_cselect_b32 s4, s6, s5
	s_waitcnt lgkmcnt(0)
	s_mul_i32 s28, s10, s46
	s_xor_b32 s6, s4, s7
	s_lshl_b64 s[4:5], s[28:29], 1
	s_sub_i32 s6, s6, s7
	s_mul_i32 s28, s47, s12
	s_add_u32 s7, s24, s4
	s_addc_u32 s8, s25, s5
	s_lshl_b64 s[4:5], s[28:29], 1
	s_mul_i32 s28, s10, s2
	s_add_u32 s43, s7, s4
	s_addc_u32 s46, s8, s5
	s_lshl_b64 s[4:5], s[28:29], 1
	s_mul_i32 s28, s3, s12
	s_add_u32 s4, s26, s4
	s_addc_u32 s5, s27, s5
	s_lshl_b64 s[2:3], s[28:29], 1
	s_mul_i32 s28, s36, s12
	s_add_u32 s47, s4, s2
	s_addc_u32 s36, s5, s3
	s_clause 0x1
	s_load_b128 s[24:27], s[0:1], 0x7c
	s_load_b64 s[4:5], s[0:1], 0xc8
	s_lshl_b64 s[2:3], s[28:29], 2
	s_mul_i32 s28, s10, s38
	s_add_u32 s50, s16, s2
	s_addc_u32 s51, s17, s3
	s_lshl_b64 s[2:3], s[28:29], 1
	s_mul_i32 s28, s6, s41
	s_add_u32 s7, s18, s2
	v_mbcnt_lo_u32_b32 v1, -1, 0
	v_and_b32_e32 v2, 0x80, v8
	v_dual_mov_b32 v12, 0 :: v_dual_and_b32 v3, 32, v0
	s_addc_u32 s8, s19, s3
	s_lshl_b64 s[2:3], s[28:29], 1
	s_mul_i32 s28, s10, s42
	s_waitcnt lgkmcnt(0)
	s_add_u32 s27, s7, s2
	s_addc_u32 s41, s8, s3
	s_clause 0x1
	s_load_b32 s42, s[0:1], 0xc
	s_load_b32 s8, s[0:1], 0x28
	v_or_b32_e32 v9, v1, v2
	v_or_b32_e32 v4, v1, v3
	s_lshl_b64 s[2:3], s[28:29], 1
	s_mul_i32 s28, s6, s45
	s_add_u32 s7, s20, s2
	v_or_b32_e32 v11, 0x60, v9
	v_lshrrev_b32_e32 v14, 3, v4
	s_addc_u32 s6, s21, s3
	s_lshl_b64 s[2:3], s[28:29], 1
	s_mul_i32 s28, s14, s24
	s_load_b64 s[16:17], s[0:1], 0x6c
	s_add_u32 s45, s7, s2
	s_addc_u32 s52, s6, s3
	s_lshl_b64 s[0:1], s[28:29], 1
	v_or_b32_e32 v10, 64, v9
	v_lshrrev_b32_e32 v7, 5, v11
	v_and_b32_e32 v16, 6, v14
	s_mul_i32 s28, s25, s12
	s_add_u32 s2, s4, s0
	s_addc_u32 s3, s5, s1
	s_lshl_b64 s[0:1], s[28:29], 1
	v_lshrrev_b32_e32 v5, 5, v2
	s_add_u32 s53, s2, s0
	v_lshrrev_b32_e32 v6, 5, v10
	v_and_b32_e32 v7, 6, v7
	v_lshl_add_u32 v4, v4, 2, v16
	s_addc_u32 s54, s3, s1
	s_add_i32 s0, s23, 0x7ff
	v_add_lshl_u32 v5, v5, v9, 1
	s_lshr_b32 s55, s0, 11
	s_waitcnt lgkmcnt(0)
	s_bitcmp1_b32 s8, 0
	v_add_lshl_u32 v6, v6, v9, 1
	v_add_lshl_u32 v7, v7, v9, 1
	v_lshl_add_u32 v17, v4, 1, 0
	v_and_b32_e32 v4, 15, v1
	s_cselect_b32 s56, -1, 0
	s_cmp_gt_i32 s42, 0
	v_or_b32_e32 v3, 31, v3
	s_cselect_b32 s57, -1, 0
	s_add_i32 s0, 0, 0x210
	s_and_b32 s1, s23, 0xff
	v_add_nc_u32_e32 v18, s0, v5
	v_add_nc_u32_e32 v19, s0, v6
	s_cmp_eq_u32 s1, 0
	v_add_nc_u32_e32 v20, s0, v7
	v_cmp_ne_u32_e64 s0, 0, v4
	v_cmp_lt_u32_e64 s1, 1, v4
	v_cmp_lt_u32_e64 s2, 3, v4
	;; [unrolled: 1-line block ×3, first 2 shown]
	v_add_nc_u32_e32 v4, -1, v1
	s_mul_i32 s28, s10, s16
	s_cselect_b32 s58, -1, 0
	s_lshl_b64 s[14:15], s[28:29], 1
	s_add_i32 s59, s55, -1
	v_cmp_gt_i32_e32 vcc_lo, 0, v4
	s_mul_i32 s28, s17, s12
	v_add_nc_u32_e32 v14, 0, v5
	v_lshrrev_b32_e32 v5, 2, v0
	v_cmp_eq_u32_e64 s5, v3, v0
	v_cndmask_b32_e32 v4, v4, v1, vcc_lo
	v_and_b32_e32 v3, 1, v1
	v_cmp_gt_u32_e64 s6, 2, v0
	v_lshl_add_u32 v22, v0, 3, 0
	v_cmp_gt_u32_e64 s8, 32, v0
	v_cmp_lt_u32_e64 s9, 31, v0
	v_cmp_eq_u32_e64 s10, 0, v0
	s_add_u32 s11, s30, s14
	v_lshlrev_b32_e32 v0, 1, v1
	s_addc_u32 s14, s31, s15
	s_lshl_b64 s[12:13], s[28:29], 1
	v_cmp_eq_u32_e64 s7, 0, v3
	s_add_u32 s11, s11, s12
	s_addc_u32 s12, s14, s13
	v_lshlrev_b32_e32 v3, 1, v2
	v_add_co_u32 v0, s11, s11, v0
	v_add_nc_u32_e32 v15, 0, v6
	v_and_b32_e32 v6, 16, v1
	v_and_b32_e32 v5, 8, v5
	v_lshlrev_b32_e32 v23, 2, v4
	v_add_co_ci_u32_e64 v4, null, s12, 0, s11
	v_add_co_u32 v24, vcc_lo, v0, v3
	v_or_b32_e32 v13, 32, v9
	v_add_nc_u32_e32 v16, 0, v7
	v_cmp_ne_u32_e64 s4, 0, v6
	v_add_nc_u32_e32 v21, 0, v5
	v_cmp_eq_u32_e64 s11, 0, v1
	v_add_co_ci_u32_e32 v25, vcc_lo, 0, v4, vcc_lo
	v_or_b32_e32 v26, 1, v8
	v_or_b32_e32 v27, 2, v8
	v_or_b32_e32 v28, 3, v8
	v_lshlrev_b32_e32 v29, 1, v1
	v_lshlrev_b32_e32 v30, 1, v2
	s_mov_b32 s60, 0x3e9b6dac
	s_add_i32 s61, 0, 0x430
	s_mov_b32 s62, 0
	s_branch .LBB6_12
.LBB6_11:                               ;   in Loop: Header=BB6_12 Depth=1
	s_or_b32 exec_lo, exec_lo, s12
	s_add_u32 s47, s47, 0x200
	s_addc_u32 s36, s36, 0
	s_add_u32 s43, s43, 0x200
	s_addc_u32 s46, s46, 0
	;; [unrolled: 2-line block ×4, first 2 shown]
	s_add_i32 s62, s62, 1
	s_delay_alu instid0(SALU_CYCLE_1)
	s_cmp_eq_u32 s62, s55
	s_cbranch_scc1 .LBB6_92
.LBB6_12:                               ; =>This Loop Header: Depth=1
                                        ;     Child Loop BB6_37 Depth 2
	v_add_co_u32 v0, s12, s43, v29
	s_delay_alu instid0(VALU_DEP_1) | instskip(SKIP_1) | instid1(VALU_DEP_2)
	v_add_co_ci_u32_e64 v1, null, s46, 0, s12
	s_lshl_b32 s24, s62, 8
	v_add_co_u32 v0, vcc_lo, v0, v30
	s_sub_i32 s19, s23, s24
	s_delay_alu instid0(VALU_DEP_2)
	v_add_co_ci_u32_e32 v1, vcc_lo, 0, v1, vcc_lo
	v_cmp_gt_u32_e64 s12, s19, v9
	s_waitcnt lgkmcnt(0)
	v_mov_b32_e32 v2, 0
	s_waitcnt_vscnt null, 0x0
	s_barrier
	buffer_gl0_inv
	s_and_saveexec_b32 s13, s12
	s_cbranch_execz .LBB6_14
; %bb.13:                               ;   in Loop: Header=BB6_12 Depth=1
	global_load_u16 v2, v[0:1], off
.LBB6_14:                               ;   in Loop: Header=BB6_12 Depth=1
	s_or_b32 exec_lo, exec_lo, s13
	v_cmp_gt_u32_e64 s13, s19, v13
	v_mov_b32_e32 v3, 0
	v_mov_b32_e32 v5, 0
	s_delay_alu instid0(VALU_DEP_3)
	s_and_saveexec_b32 s14, s13
	s_cbranch_execz .LBB6_16
; %bb.15:                               ;   in Loop: Header=BB6_12 Depth=1
	global_load_u16 v5, v[0:1], off offset:64
.LBB6_16:                               ;   in Loop: Header=BB6_12 Depth=1
	s_or_b32 exec_lo, exec_lo, s14
	v_cmp_gt_u32_e64 s14, s19, v10
	s_delay_alu instid0(VALU_DEP_1)
	s_and_saveexec_b32 s15, s14
	s_cbranch_execz .LBB6_18
; %bb.17:                               ;   in Loop: Header=BB6_12 Depth=1
	global_load_u16 v3, v[0:1], off offset:128
.LBB6_18:                               ;   in Loop: Header=BB6_12 Depth=1
	s_or_b32 exec_lo, exec_lo, s15
	v_cmp_gt_u32_e64 s15, s19, v11
	v_mov_b32_e32 v4, 0
	v_mov_b32_e32 v6, 0
	s_delay_alu instid0(VALU_DEP_3)
	s_and_saveexec_b32 s16, s15
	s_cbranch_execz .LBB6_20
; %bb.19:                               ;   in Loop: Header=BB6_12 Depth=1
	global_load_u16 v6, v[0:1], off offset:192
.LBB6_20:                               ;   in Loop: Header=BB6_12 Depth=1
	s_or_b32 exec_lo, exec_lo, s16
	s_waitcnt vmcnt(0)
	ds_store_b16 v14, v2
	ds_store_b16 v14, v5 offset:64
	ds_store_b16 v15, v3 offset:128
	;; [unrolled: 1-line block ×3, first 2 shown]
	; wave barrier
	ds_load_b64 v[0:1], v17
	v_add_co_u32 v2, s16, s47, v29
	s_delay_alu instid0(VALU_DEP_1) | instskip(SKIP_1) | instid1(VALU_DEP_2)
	v_add_co_ci_u32_e64 v3, null, s36, 0, s16
	s_waitcnt lgkmcnt(0)
	v_add_co_u32 v2, vcc_lo, v2, v30
	s_delay_alu instid0(VALU_DEP_2)
	v_add_co_ci_u32_e32 v3, vcc_lo, 0, v3, vcc_lo
	s_barrier
	buffer_gl0_inv
	s_and_saveexec_b32 s16, s12
	s_cbranch_execz .LBB6_22
; %bb.21:                               ;   in Loop: Header=BB6_12 Depth=1
	global_load_u16 v4, v[2:3], off
.LBB6_22:                               ;   in Loop: Header=BB6_12 Depth=1
	s_or_b32 exec_lo, exec_lo, s16
	v_dual_mov_b32 v5, 0 :: v_dual_mov_b32 v6, 0
	s_and_saveexec_b32 s16, s13
	s_cbranch_execnz .LBB6_86
; %bb.23:                               ;   in Loop: Header=BB6_12 Depth=1
	s_or_b32 exec_lo, exec_lo, s16
	s_and_saveexec_b32 s16, s14
	s_cbranch_execnz .LBB6_87
.LBB6_24:                               ;   in Loop: Header=BB6_12 Depth=1
	s_or_b32 exec_lo, exec_lo, s16
	v_mov_b32_e32 v7, 0
	s_and_saveexec_b32 s16, s15
	s_cbranch_execz .LBB6_26
.LBB6_25:                               ;   in Loop: Header=BB6_12 Depth=1
	global_load_u16 v7, v[2:3], off offset:192
.LBB6_26:                               ;   in Loop: Header=BB6_12 Depth=1
	s_or_b32 exec_lo, exec_lo, s16
	s_waitcnt vmcnt(0)
	ds_store_b16 v14, v4
	ds_store_b16 v14, v6 offset:64
	ds_store_b16 v15, v5 offset:128
	;; [unrolled: 1-line block ×3, first 2 shown]
	; wave barrier
	ds_load_b64 v[2:3], v17
	s_waitcnt lgkmcnt(0)
	v_lshlrev_b32_e32 v4, 16, v2
	s_delay_alu instid0(VALU_DEP_1) | instskip(NEXT) | instid1(VALU_DEP_1)
	v_add_f32_e32 v31, s48, v4
	v_cmp_ge_f32_e32 vcc_lo, 0x41a00000, v31
	s_and_b32 s16, s56, vcc_lo
	s_delay_alu instid0(SALU_CYCLE_1)
	s_and_saveexec_b32 s17, s16
	s_cbranch_execz .LBB6_28
; %bb.27:                               ;   in Loop: Header=BB6_12 Depth=1
	v_mul_f32_e32 v4, 0x3fb8aa3b, v31
	v_cmp_ngt_f32_e32 vcc_lo, 0xc2ce8ed0, v31
	s_delay_alu instid0(VALU_DEP_2) | instskip(SKIP_1) | instid1(VALU_DEP_2)
	v_rndne_f32_e32 v5, v4
	v_fma_f32 v6, 0x3fb8aa3b, v31, -v4
	v_sub_f32_e32 v4, v4, v5
	s_delay_alu instid0(VALU_DEP_2) | instskip(SKIP_1) | instid1(VALU_DEP_2)
	v_fmac_f32_e32 v6, 0x32a5705f, v31
	v_cvt_i32_f32_e32 v5, v5
	v_add_f32_e32 v4, v4, v6
	s_delay_alu instid0(VALU_DEP_1) | instskip(SKIP_2) | instid1(VALU_DEP_1)
	v_exp_f32_e32 v4, v4
	s_waitcnt_depctr 0xfff
	v_ldexp_f32 v4, v4, v5
	v_cndmask_b32_e32 v4, 0, v4, vcc_lo
	v_cmp_nlt_f32_e32 vcc_lo, 0x42b17218, v31
	s_delay_alu instid0(VALU_DEP_2) | instskip(NEXT) | instid1(VALU_DEP_1)
	v_cndmask_b32_e32 v6, 0x7f800000, v4, vcc_lo
	v_add_f32_e32 v7, 1.0, v6
	s_delay_alu instid0(VALU_DEP_1) | instskip(NEXT) | instid1(VALU_DEP_1)
	v_cvt_f64_f32_e32 v[4:5], v7
	v_frexp_exp_i32_f64_e32 v4, v[4:5]
	v_frexp_mant_f32_e32 v5, v7
	s_delay_alu instid0(VALU_DEP_1) | instskip(SKIP_1) | instid1(VALU_DEP_1)
	v_cmp_gt_f32_e32 vcc_lo, 0x3f2aaaab, v5
	v_add_f32_e32 v5, -1.0, v7
	v_dual_sub_f32 v32, v5, v7 :: v_dual_sub_f32 v5, v6, v5
	s_delay_alu instid0(VALU_DEP_1) | instskip(NEXT) | instid1(VALU_DEP_1)
	v_add_f32_e32 v32, 1.0, v32
	v_add_f32_e32 v5, v5, v32
	v_subrev_co_ci_u32_e32 v4, vcc_lo, 0, v4, vcc_lo
	s_delay_alu instid0(VALU_DEP_1) | instskip(SKIP_1) | instid1(VALU_DEP_2)
	v_sub_nc_u32_e32 v31, 0, v4
	v_cvt_f32_i32_e32 v4, v4
	v_ldexp_f32 v7, v7, v31
	v_ldexp_f32 v5, v5, v31
	s_delay_alu instid0(VALU_DEP_2) | instskip(SKIP_3) | instid1(VALU_DEP_4)
	v_add_f32_e32 v33, 1.0, v7
	v_add_f32_e32 v31, -1.0, v7
	v_cmp_eq_f32_e32 vcc_lo, 0x7f800000, v6
	v_cmp_gt_f32_e64 s16, 0x33800000, v6
	v_add_f32_e32 v32, -1.0, v33
	s_delay_alu instid0(VALU_DEP_4) | instskip(NEXT) | instid1(VALU_DEP_3)
	v_add_f32_e32 v34, 1.0, v31
	s_or_b32 vcc_lo, s16, vcc_lo
	s_delay_alu instid0(VALU_DEP_2) | instskip(NEXT) | instid1(VALU_DEP_1)
	v_sub_f32_e32 v32, v7, v32
	v_dual_sub_f32 v7, v7, v34 :: v_dual_add_f32 v32, v5, v32
	s_delay_alu instid0(VALU_DEP_1) | instskip(NEXT) | instid1(VALU_DEP_1)
	v_add_f32_e32 v5, v5, v7
	v_dual_add_f32 v35, v31, v5 :: v_dual_add_f32 v34, v33, v32
	s_delay_alu instid0(VALU_DEP_1) | instskip(NEXT) | instid1(VALU_DEP_2)
	v_sub_f32_e32 v31, v31, v35
	v_rcp_f32_e32 v7, v34
	v_sub_f32_e32 v33, v33, v34
	s_delay_alu instid0(VALU_DEP_1) | instskip(SKIP_2) | instid1(VALU_DEP_1)
	v_dual_add_f32 v5, v5, v31 :: v_dual_add_f32 v32, v32, v33
	s_waitcnt_depctr 0xfff
	v_mul_f32_e32 v36, v35, v7
	v_mul_f32_e32 v37, v34, v36
	s_delay_alu instid0(VALU_DEP_1) | instskip(NEXT) | instid1(VALU_DEP_1)
	v_fma_f32 v33, v36, v34, -v37
	v_fmac_f32_e32 v33, v36, v32
	s_delay_alu instid0(VALU_DEP_1) | instskip(NEXT) | instid1(VALU_DEP_1)
	v_add_f32_e32 v38, v37, v33
	v_sub_f32_e32 v39, v35, v38
	s_delay_alu instid0(VALU_DEP_1) | instskip(SKIP_1) | instid1(VALU_DEP_2)
	v_sub_f32_e32 v35, v35, v39
	v_sub_f32_e32 v31, v38, v37
	;; [unrolled: 1-line block ×3, first 2 shown]
	s_delay_alu instid0(VALU_DEP_2) | instskip(NEXT) | instid1(VALU_DEP_2)
	v_sub_f32_e32 v31, v31, v33
	v_add_f32_e32 v5, v5, v35
	s_delay_alu instid0(VALU_DEP_1) | instskip(NEXT) | instid1(VALU_DEP_1)
	v_add_f32_e32 v5, v31, v5
	v_add_f32_e32 v31, v39, v5
	s_delay_alu instid0(VALU_DEP_1) | instskip(NEXT) | instid1(VALU_DEP_1)
	v_mul_f32_e32 v33, v7, v31
	v_dual_sub_f32 v38, v39, v31 :: v_dual_mul_f32 v35, v34, v33
	s_delay_alu instid0(VALU_DEP_1) | instskip(NEXT) | instid1(VALU_DEP_2)
	v_add_f32_e32 v5, v5, v38
	v_fma_f32 v34, v33, v34, -v35
	s_delay_alu instid0(VALU_DEP_1) | instskip(NEXT) | instid1(VALU_DEP_1)
	v_fmac_f32_e32 v34, v33, v32
	v_add_f32_e32 v32, v35, v34
	s_delay_alu instid0(VALU_DEP_1) | instskip(SKIP_1) | instid1(VALU_DEP_2)
	v_sub_f32_e32 v37, v31, v32
	v_sub_f32_e32 v35, v32, v35
	;; [unrolled: 1-line block ×3, first 2 shown]
	s_delay_alu instid0(VALU_DEP_1) | instskip(NEXT) | instid1(VALU_DEP_1)
	v_sub_f32_e32 v31, v31, v32
	v_dual_sub_f32 v32, v35, v34 :: v_dual_add_f32 v5, v5, v31
	v_add_f32_e32 v31, v36, v33
	s_delay_alu instid0(VALU_DEP_1) | instskip(NEXT) | instid1(VALU_DEP_1)
	v_dual_add_f32 v5, v32, v5 :: v_dual_sub_f32 v32, v31, v36
	v_add_f32_e32 v5, v37, v5
	s_delay_alu instid0(VALU_DEP_1) | instskip(NEXT) | instid1(VALU_DEP_1)
	v_dual_sub_f32 v32, v33, v32 :: v_dual_mul_f32 v5, v7, v5
	v_add_f32_e32 v5, v32, v5
	s_delay_alu instid0(VALU_DEP_1) | instskip(NEXT) | instid1(VALU_DEP_1)
	v_add_f32_e32 v7, v31, v5
	v_mul_f32_e32 v32, v7, v7
	s_delay_alu instid0(VALU_DEP_1) | instskip(SKIP_1) | instid1(VALU_DEP_2)
	v_fmaak_f32 v33, s60, v32, 0x3ecc95a3
	v_mul_f32_e32 v34, v7, v32
	v_fmaak_f32 v32, v32, v33, 0x3f2aaada
	v_ldexp_f32 v33, v7, 1
	s_delay_alu instid0(VALU_DEP_2) | instskip(NEXT) | instid1(VALU_DEP_1)
	v_dual_sub_f32 v7, v7, v31 :: v_dual_mul_f32 v32, v34, v32
	v_dual_mul_f32 v34, 0x3f317218, v4 :: v_dual_sub_f32 v5, v5, v7
	s_delay_alu instid0(VALU_DEP_2) | instskip(NEXT) | instid1(VALU_DEP_2)
	v_add_f32_e32 v31, v33, v32
	v_ldexp_f32 v5, v5, 1
	s_delay_alu instid0(VALU_DEP_2) | instskip(NEXT) | instid1(VALU_DEP_4)
	v_sub_f32_e32 v7, v31, v33
	v_fma_f32 v33, 0x3f317218, v4, -v34
	s_delay_alu instid0(VALU_DEP_2) | instskip(NEXT) | instid1(VALU_DEP_1)
	v_sub_f32_e32 v7, v32, v7
	v_dual_fmac_f32 v33, 0xb102e308, v4 :: v_dual_add_f32 v4, v5, v7
	s_delay_alu instid0(VALU_DEP_1) | instskip(NEXT) | instid1(VALU_DEP_1)
	v_add_f32_e32 v5, v34, v33
	v_dual_add_f32 v7, v31, v4 :: v_dual_sub_f32 v34, v5, v34
	s_delay_alu instid0(VALU_DEP_1) | instskip(SKIP_1) | instid1(VALU_DEP_3)
	v_add_f32_e32 v32, v5, v7
	v_sub_f32_e32 v31, v7, v31
	v_sub_f32_e32 v33, v33, v34
	s_delay_alu instid0(VALU_DEP_3) | instskip(NEXT) | instid1(VALU_DEP_3)
	v_sub_f32_e32 v35, v32, v5
	v_sub_f32_e32 v4, v4, v31
	s_delay_alu instid0(VALU_DEP_2) | instskip(SKIP_1) | instid1(VALU_DEP_3)
	v_sub_f32_e32 v36, v32, v35
	v_sub_f32_e32 v7, v7, v35
	v_add_f32_e32 v31, v33, v4
	s_delay_alu instid0(VALU_DEP_3) | instskip(NEXT) | instid1(VALU_DEP_1)
	v_sub_f32_e32 v5, v5, v36
	v_add_f32_e32 v5, v7, v5
	s_delay_alu instid0(VALU_DEP_3) | instskip(NEXT) | instid1(VALU_DEP_1)
	v_sub_f32_e32 v7, v31, v33
	v_dual_add_f32 v5, v31, v5 :: v_dual_sub_f32 v4, v4, v7
	s_delay_alu instid0(VALU_DEP_1) | instskip(NEXT) | instid1(VALU_DEP_1)
	v_dual_sub_f32 v31, v31, v7 :: v_dual_add_f32 v34, v32, v5
	v_sub_f32_e32 v31, v33, v31
	s_delay_alu instid0(VALU_DEP_1) | instskip(NEXT) | instid1(VALU_DEP_1)
	v_dual_sub_f32 v7, v34, v32 :: v_dual_add_f32 v4, v4, v31
	v_sub_f32_e32 v5, v5, v7
	s_delay_alu instid0(VALU_DEP_1) | instskip(NEXT) | instid1(VALU_DEP_1)
	v_add_f32_e32 v4, v4, v5
	v_add_f32_e32 v4, v34, v4
	s_delay_alu instid0(VALU_DEP_1)
	v_cndmask_b32_e32 v31, v4, v6, vcc_lo
.LBB6_28:                               ;   in Loop: Header=BB6_12 Depth=1
	s_or_b32 exec_lo, exec_lo, s17
	v_and_b32_e32 v2, 0xffff0000, v2
	s_delay_alu instid0(VALU_DEP_1) | instskip(NEXT) | instid1(VALU_DEP_1)
	v_add_f32_e32 v32, s48, v2
	v_cmp_ge_f32_e32 vcc_lo, 0x41a00000, v32
	s_and_b32 s16, s56, vcc_lo
	s_delay_alu instid0(SALU_CYCLE_1)
	s_and_saveexec_b32 s17, s16
	s_cbranch_execz .LBB6_30
; %bb.29:                               ;   in Loop: Header=BB6_12 Depth=1
	v_mul_f32_e32 v2, 0x3fb8aa3b, v32
	v_cmp_ngt_f32_e32 vcc_lo, 0xc2ce8ed0, v32
	s_delay_alu instid0(VALU_DEP_2) | instskip(SKIP_1) | instid1(VALU_DEP_2)
	v_rndne_f32_e32 v4, v2
	v_fma_f32 v5, 0x3fb8aa3b, v32, -v2
	v_sub_f32_e32 v2, v2, v4
	s_delay_alu instid0(VALU_DEP_2) | instskip(SKIP_1) | instid1(VALU_DEP_2)
	v_fmac_f32_e32 v5, 0x32a5705f, v32
	v_cvt_i32_f32_e32 v4, v4
	v_add_f32_e32 v2, v2, v5
	s_delay_alu instid0(VALU_DEP_1) | instskip(SKIP_2) | instid1(VALU_DEP_1)
	v_exp_f32_e32 v2, v2
	s_waitcnt_depctr 0xfff
	v_ldexp_f32 v2, v2, v4
	v_cndmask_b32_e32 v2, 0, v2, vcc_lo
	v_cmp_nlt_f32_e32 vcc_lo, 0x42b17218, v32
	s_delay_alu instid0(VALU_DEP_2) | instskip(NEXT) | instid1(VALU_DEP_1)
	v_cndmask_b32_e32 v2, 0x7f800000, v2, vcc_lo
	v_add_f32_e32 v6, 1.0, v2
	s_delay_alu instid0(VALU_DEP_1) | instskip(NEXT) | instid1(VALU_DEP_1)
	v_cvt_f64_f32_e32 v[4:5], v6
	v_frexp_exp_i32_f64_e32 v4, v[4:5]
	v_frexp_mant_f32_e32 v5, v6
	s_delay_alu instid0(VALU_DEP_1) | instskip(SKIP_1) | instid1(VALU_DEP_1)
	v_cmp_gt_f32_e32 vcc_lo, 0x3f2aaaab, v5
	v_add_f32_e32 v5, -1.0, v6
	v_dual_sub_f32 v32, v5, v6 :: v_dual_sub_f32 v5, v2, v5
	v_subrev_co_ci_u32_e32 v4, vcc_lo, 0, v4, vcc_lo
	s_delay_alu instid0(VALU_DEP_1) | instskip(SKIP_1) | instid1(VALU_DEP_2)
	v_sub_nc_u32_e32 v7, 0, v4
	v_cvt_f32_i32_e32 v4, v4
	v_ldexp_f32 v6, v6, v7
	s_delay_alu instid0(VALU_DEP_1) | instskip(NEXT) | instid1(VALU_DEP_1)
	v_dual_add_f32 v32, 1.0, v32 :: v_dual_add_f32 v33, 1.0, v6
	v_add_f32_e32 v5, v5, v32
	s_delay_alu instid0(VALU_DEP_1) | instskip(NEXT) | instid1(VALU_DEP_3)
	v_ldexp_f32 v5, v5, v7
	v_dual_add_f32 v7, -1.0, v6 :: v_dual_add_f32 v32, -1.0, v33
	s_delay_alu instid0(VALU_DEP_1) | instskip(NEXT) | instid1(VALU_DEP_2)
	v_add_f32_e32 v34, 1.0, v7
	v_sub_f32_e32 v32, v6, v32
	s_delay_alu instid0(VALU_DEP_2) | instskip(NEXT) | instid1(VALU_DEP_2)
	v_sub_f32_e32 v6, v6, v34
	v_add_f32_e32 v32, v5, v32
	s_delay_alu instid0(VALU_DEP_2) | instskip(NEXT) | instid1(VALU_DEP_1)
	v_add_f32_e32 v5, v5, v6
	v_dual_add_f32 v35, v7, v5 :: v_dual_add_f32 v34, v33, v32
	v_cmp_eq_f32_e32 vcc_lo, 0x7f800000, v2
	v_cmp_gt_f32_e64 s16, 0x33800000, v2
	s_delay_alu instid0(VALU_DEP_3) | instskip(NEXT) | instid1(VALU_DEP_4)
	v_sub_f32_e32 v7, v7, v35
	v_rcp_f32_e32 v6, v34
	v_sub_f32_e32 v33, v33, v34
	s_delay_alu instid0(VALU_DEP_3) | instskip(NEXT) | instid1(VALU_DEP_1)
	s_or_b32 vcc_lo, s16, vcc_lo
	v_dual_add_f32 v5, v5, v7 :: v_dual_add_f32 v32, v32, v33
	s_waitcnt_depctr 0xfff
	v_mul_f32_e32 v36, v35, v6
	s_delay_alu instid0(VALU_DEP_1) | instskip(NEXT) | instid1(VALU_DEP_1)
	v_mul_f32_e32 v37, v34, v36
	v_fma_f32 v33, v36, v34, -v37
	s_delay_alu instid0(VALU_DEP_1) | instskip(NEXT) | instid1(VALU_DEP_1)
	v_fmac_f32_e32 v33, v36, v32
	v_add_f32_e32 v38, v37, v33
	s_delay_alu instid0(VALU_DEP_1) | instskip(NEXT) | instid1(VALU_DEP_1)
	v_sub_f32_e32 v39, v35, v38
	v_sub_f32_e32 v35, v35, v39
	s_delay_alu instid0(VALU_DEP_1) | instskip(SKIP_1) | instid1(VALU_DEP_2)
	v_sub_f32_e32 v35, v35, v38
	v_sub_f32_e32 v7, v38, v37
	v_add_f32_e32 v5, v5, v35
	s_delay_alu instid0(VALU_DEP_2) | instskip(NEXT) | instid1(VALU_DEP_1)
	v_sub_f32_e32 v7, v7, v33
	v_add_f32_e32 v5, v7, v5
	s_delay_alu instid0(VALU_DEP_1) | instskip(NEXT) | instid1(VALU_DEP_1)
	v_add_f32_e32 v7, v39, v5
	v_mul_f32_e32 v33, v6, v7
	s_delay_alu instid0(VALU_DEP_1) | instskip(NEXT) | instid1(VALU_DEP_1)
	v_dual_sub_f32 v38, v39, v7 :: v_dual_mul_f32 v35, v34, v33
	v_add_f32_e32 v5, v5, v38
	s_delay_alu instid0(VALU_DEP_2) | instskip(NEXT) | instid1(VALU_DEP_1)
	v_fma_f32 v34, v33, v34, -v35
	v_fmac_f32_e32 v34, v33, v32
	s_delay_alu instid0(VALU_DEP_1) | instskip(NEXT) | instid1(VALU_DEP_1)
	v_add_f32_e32 v32, v35, v34
	v_sub_f32_e32 v37, v7, v32
	s_delay_alu instid0(VALU_DEP_1) | instskip(NEXT) | instid1(VALU_DEP_1)
	v_sub_f32_e32 v7, v7, v37
	v_sub_f32_e32 v7, v7, v32
	s_delay_alu instid0(VALU_DEP_1) | instskip(SKIP_2) | instid1(VALU_DEP_1)
	v_add_f32_e32 v5, v5, v7
	v_add_f32_e32 v7, v36, v33
	v_sub_f32_e32 v35, v32, v35
	v_sub_f32_e32 v32, v35, v34
	s_delay_alu instid0(VALU_DEP_1) | instskip(NEXT) | instid1(VALU_DEP_1)
	v_dual_add_f32 v5, v32, v5 :: v_dual_sub_f32 v32, v7, v36
	v_add_f32_e32 v5, v37, v5
	s_delay_alu instid0(VALU_DEP_1) | instskip(NEXT) | instid1(VALU_DEP_1)
	v_dual_sub_f32 v32, v33, v32 :: v_dual_mul_f32 v5, v6, v5
	v_add_f32_e32 v5, v32, v5
	s_delay_alu instid0(VALU_DEP_1) | instskip(NEXT) | instid1(VALU_DEP_1)
	v_add_f32_e32 v6, v7, v5
	v_mul_f32_e32 v32, v6, v6
	s_delay_alu instid0(VALU_DEP_1) | instskip(SKIP_1) | instid1(VALU_DEP_2)
	v_fmaak_f32 v33, s60, v32, 0x3ecc95a3
	v_mul_f32_e32 v34, v6, v32
	v_fmaak_f32 v32, v32, v33, 0x3f2aaada
	v_ldexp_f32 v33, v6, 1
	v_sub_f32_e32 v6, v6, v7
	s_delay_alu instid0(VALU_DEP_3) | instskip(SKIP_1) | instid1(VALU_DEP_2)
	v_mul_f32_e32 v32, v34, v32
	v_mul_f32_e32 v34, 0x3f317218, v4
	v_add_f32_e32 v7, v33, v32
	s_delay_alu instid0(VALU_DEP_1) | instskip(NEXT) | instid1(VALU_DEP_3)
	v_dual_sub_f32 v5, v5, v6 :: v_dual_sub_f32 v6, v7, v33
	v_fma_f32 v33, 0x3f317218, v4, -v34
	s_delay_alu instid0(VALU_DEP_2) | instskip(NEXT) | instid1(VALU_DEP_2)
	v_ldexp_f32 v5, v5, 1
	v_dual_sub_f32 v6, v32, v6 :: v_dual_fmac_f32 v33, 0xb102e308, v4
	s_delay_alu instid0(VALU_DEP_1) | instskip(NEXT) | instid1(VALU_DEP_1)
	v_dual_add_f32 v4, v5, v6 :: v_dual_add_f32 v5, v34, v33
	v_add_f32_e32 v6, v7, v4
	s_delay_alu instid0(VALU_DEP_1) | instskip(NEXT) | instid1(VALU_DEP_1)
	v_add_f32_e32 v32, v5, v6
	v_sub_f32_e32 v35, v32, v5
	s_delay_alu instid0(VALU_DEP_1) | instskip(SKIP_2) | instid1(VALU_DEP_2)
	v_sub_f32_e32 v36, v32, v35
	v_sub_f32_e32 v7, v6, v7
	v_sub_f32_e32 v6, v6, v35
	v_sub_f32_e32 v4, v4, v7
	v_sub_f32_e32 v34, v5, v34
	s_delay_alu instid0(VALU_DEP_1) | instskip(NEXT) | instid1(VALU_DEP_1)
	v_sub_f32_e32 v33, v33, v34
	v_add_f32_e32 v7, v33, v4
	v_sub_f32_e32 v5, v5, v36
	s_delay_alu instid0(VALU_DEP_1) | instskip(NEXT) | instid1(VALU_DEP_3)
	v_add_f32_e32 v5, v6, v5
	v_sub_f32_e32 v6, v7, v33
	s_delay_alu instid0(VALU_DEP_1) | instskip(NEXT) | instid1(VALU_DEP_1)
	v_dual_sub_f32 v4, v4, v6 :: v_dual_add_f32 v5, v7, v5
	v_dual_sub_f32 v7, v7, v6 :: v_dual_add_f32 v34, v32, v5
	s_delay_alu instid0(VALU_DEP_1) | instskip(NEXT) | instid1(VALU_DEP_1)
	v_dual_sub_f32 v7, v33, v7 :: v_dual_sub_f32 v6, v34, v32
	v_dual_add_f32 v4, v4, v7 :: v_dual_sub_f32 v5, v5, v6
	s_delay_alu instid0(VALU_DEP_1) | instskip(NEXT) | instid1(VALU_DEP_1)
	v_add_f32_e32 v4, v4, v5
	v_add_f32_e32 v4, v34, v4
	s_delay_alu instid0(VALU_DEP_1)
	v_cndmask_b32_e32 v32, v4, v2, vcc_lo
.LBB6_30:                               ;   in Loop: Header=BB6_12 Depth=1
	s_or_b32 exec_lo, exec_lo, s17
	v_lshlrev_b32_e32 v2, 16, v3
	s_delay_alu instid0(VALU_DEP_1) | instskip(NEXT) | instid1(VALU_DEP_1)
	v_add_f32_e32 v33, s48, v2
	v_cmp_ge_f32_e32 vcc_lo, 0x41a00000, v33
	s_and_b32 s16, s56, vcc_lo
	s_delay_alu instid0(SALU_CYCLE_1)
	s_and_saveexec_b32 s17, s16
	s_cbranch_execz .LBB6_32
; %bb.31:                               ;   in Loop: Header=BB6_12 Depth=1
	v_mul_f32_e32 v2, 0x3fb8aa3b, v33
	v_cmp_ngt_f32_e32 vcc_lo, 0xc2ce8ed0, v33
	s_delay_alu instid0(VALU_DEP_2) | instskip(SKIP_1) | instid1(VALU_DEP_1)
	v_rndne_f32_e32 v4, v2
	v_fma_f32 v5, 0x3fb8aa3b, v33, -v2
	v_dual_sub_f32 v2, v2, v4 :: v_dual_fmac_f32 v5, 0x32a5705f, v33
	v_cvt_i32_f32_e32 v4, v4
	s_delay_alu instid0(VALU_DEP_2) | instskip(NEXT) | instid1(VALU_DEP_1)
	v_add_f32_e32 v2, v2, v5
	v_exp_f32_e32 v2, v2
	s_waitcnt_depctr 0xfff
	v_ldexp_f32 v2, v2, v4
	s_delay_alu instid0(VALU_DEP_1) | instskip(SKIP_1) | instid1(VALU_DEP_2)
	v_cndmask_b32_e32 v2, 0, v2, vcc_lo
	v_cmp_nlt_f32_e32 vcc_lo, 0x42b17218, v33
	v_cndmask_b32_e32 v2, 0x7f800000, v2, vcc_lo
	s_delay_alu instid0(VALU_DEP_1) | instskip(NEXT) | instid1(VALU_DEP_1)
	v_add_f32_e32 v6, 1.0, v2
	v_cvt_f64_f32_e32 v[4:5], v6
	s_delay_alu instid0(VALU_DEP_1) | instskip(SKIP_1) | instid1(VALU_DEP_1)
	v_frexp_exp_i32_f64_e32 v4, v[4:5]
	v_frexp_mant_f32_e32 v5, v6
	v_cmp_gt_f32_e32 vcc_lo, 0x3f2aaaab, v5
	v_add_f32_e32 v5, -1.0, v6
	s_delay_alu instid0(VALU_DEP_1) | instskip(SKIP_1) | instid1(VALU_DEP_2)
	v_sub_f32_e32 v33, v5, v6
	v_sub_f32_e32 v5, v2, v5
	v_add_f32_e32 v33, 1.0, v33
	s_delay_alu instid0(VALU_DEP_1) | instskip(SKIP_3) | instid1(VALU_DEP_2)
	v_add_f32_e32 v5, v5, v33
	v_cmp_gt_f32_e64 s16, 0x33800000, v2
	v_subrev_co_ci_u32_e32 v4, vcc_lo, 0, v4, vcc_lo
	v_cmp_eq_f32_e32 vcc_lo, 0x7f800000, v2
	v_sub_nc_u32_e32 v7, 0, v4
	v_cvt_f32_i32_e32 v4, v4
	s_or_b32 vcc_lo, s16, vcc_lo
	s_delay_alu instid0(VALU_DEP_2) | instskip(SKIP_1) | instid1(VALU_DEP_2)
	v_ldexp_f32 v6, v6, v7
	v_ldexp_f32 v5, v5, v7
	v_add_f32_e32 v34, 1.0, v6
	v_add_f32_e32 v7, -1.0, v6
	s_delay_alu instid0(VALU_DEP_1) | instskip(NEXT) | instid1(VALU_DEP_3)
	v_add_f32_e32 v35, 1.0, v7
	v_add_f32_e32 v33, -1.0, v34
	s_delay_alu instid0(VALU_DEP_1) | instskip(NEXT) | instid1(VALU_DEP_1)
	v_sub_f32_e32 v33, v6, v33
	v_dual_sub_f32 v6, v6, v35 :: v_dual_add_f32 v33, v5, v33
	s_delay_alu instid0(VALU_DEP_1) | instskip(NEXT) | instid1(VALU_DEP_2)
	v_add_f32_e32 v35, v34, v33
	v_add_f32_e32 v5, v5, v6
	s_delay_alu instid0(VALU_DEP_2) | instskip(SKIP_1) | instid1(VALU_DEP_1)
	v_rcp_f32_e32 v6, v35
	v_sub_f32_e32 v34, v34, v35
	v_dual_add_f32 v36, v7, v5 :: v_dual_add_f32 v33, v33, v34
	s_delay_alu instid0(VALU_DEP_1) | instskip(SKIP_2) | instid1(VALU_DEP_1)
	v_sub_f32_e32 v7, v7, v36
	s_waitcnt_depctr 0xfff
	v_mul_f32_e32 v37, v36, v6
	v_mul_f32_e32 v38, v35, v37
	s_delay_alu instid0(VALU_DEP_1) | instskip(NEXT) | instid1(VALU_DEP_1)
	v_fma_f32 v34, v37, v35, -v38
	v_fmac_f32_e32 v34, v37, v33
	s_delay_alu instid0(VALU_DEP_1) | instskip(NEXT) | instid1(VALU_DEP_1)
	v_add_f32_e32 v39, v38, v34
	v_sub_f32_e32 v40, v36, v39
	s_delay_alu instid0(VALU_DEP_1) | instskip(NEXT) | instid1(VALU_DEP_1)
	v_dual_sub_f32 v36, v36, v40 :: v_dual_add_f32 v5, v5, v7
	v_dual_sub_f32 v7, v39, v38 :: v_dual_sub_f32 v36, v36, v39
	s_delay_alu instid0(VALU_DEP_1) | instskip(NEXT) | instid1(VALU_DEP_2)
	v_sub_f32_e32 v7, v7, v34
	v_add_f32_e32 v5, v5, v36
	s_delay_alu instid0(VALU_DEP_1) | instskip(NEXT) | instid1(VALU_DEP_1)
	v_add_f32_e32 v5, v7, v5
	v_add_f32_e32 v7, v40, v5
	s_delay_alu instid0(VALU_DEP_1) | instskip(NEXT) | instid1(VALU_DEP_1)
	v_mul_f32_e32 v34, v6, v7
	v_dual_sub_f32 v39, v40, v7 :: v_dual_mul_f32 v36, v35, v34
	s_delay_alu instid0(VALU_DEP_1) | instskip(NEXT) | instid1(VALU_DEP_2)
	v_add_f32_e32 v5, v5, v39
	v_fma_f32 v35, v34, v35, -v36
	s_delay_alu instid0(VALU_DEP_1) | instskip(NEXT) | instid1(VALU_DEP_1)
	v_fmac_f32_e32 v35, v34, v33
	v_add_f32_e32 v33, v36, v35
	s_delay_alu instid0(VALU_DEP_1) | instskip(NEXT) | instid1(VALU_DEP_1)
	v_sub_f32_e32 v38, v7, v33
	v_dual_sub_f32 v36, v33, v36 :: v_dual_sub_f32 v7, v7, v38
	s_delay_alu instid0(VALU_DEP_1) | instskip(NEXT) | instid1(VALU_DEP_2)
	v_sub_f32_e32 v7, v7, v33
	v_sub_f32_e32 v33, v36, v35
	s_delay_alu instid0(VALU_DEP_2) | instskip(SKIP_1) | instid1(VALU_DEP_2)
	v_add_f32_e32 v5, v5, v7
	v_add_f32_e32 v7, v37, v34
	;; [unrolled: 1-line block ×3, first 2 shown]
	s_delay_alu instid0(VALU_DEP_2) | instskip(NEXT) | instid1(VALU_DEP_2)
	v_sub_f32_e32 v33, v7, v37
	v_add_f32_e32 v5, v38, v5
	s_delay_alu instid0(VALU_DEP_2) | instskip(NEXT) | instid1(VALU_DEP_2)
	v_sub_f32_e32 v33, v34, v33
	v_mul_f32_e32 v5, v6, v5
	s_delay_alu instid0(VALU_DEP_1) | instskip(NEXT) | instid1(VALU_DEP_1)
	v_add_f32_e32 v5, v33, v5
	v_add_f32_e32 v6, v7, v5
	s_delay_alu instid0(VALU_DEP_1) | instskip(NEXT) | instid1(VALU_DEP_1)
	v_mul_f32_e32 v33, v6, v6
	v_fmaak_f32 v34, s60, v33, 0x3ecc95a3
	v_mul_f32_e32 v35, v6, v33
	s_delay_alu instid0(VALU_DEP_2) | instskip(SKIP_1) | instid1(VALU_DEP_2)
	v_fmaak_f32 v33, v33, v34, 0x3f2aaada
	v_ldexp_f32 v34, v6, 1
	v_dual_sub_f32 v6, v6, v7 :: v_dual_mul_f32 v33, v35, v33
	v_mul_f32_e32 v35, 0x3f317218, v4
	s_delay_alu instid0(VALU_DEP_2) | instskip(NEXT) | instid1(VALU_DEP_3)
	v_sub_f32_e32 v5, v5, v6
	v_add_f32_e32 v7, v34, v33
	s_delay_alu instid0(VALU_DEP_2) | instskip(NEXT) | instid1(VALU_DEP_2)
	v_ldexp_f32 v5, v5, 1
	v_sub_f32_e32 v6, v7, v34
	v_fma_f32 v34, 0x3f317218, v4, -v35
	s_delay_alu instid0(VALU_DEP_2) | instskip(NEXT) | instid1(VALU_DEP_2)
	v_sub_f32_e32 v6, v33, v6
	v_fmac_f32_e32 v34, 0xb102e308, v4
	s_delay_alu instid0(VALU_DEP_2) | instskip(NEXT) | instid1(VALU_DEP_2)
	v_add_f32_e32 v4, v5, v6
	v_add_f32_e32 v5, v35, v34
	s_delay_alu instid0(VALU_DEP_1) | instskip(NEXT) | instid1(VALU_DEP_1)
	v_dual_add_f32 v6, v7, v4 :: v_dual_sub_f32 v35, v5, v35
	v_add_f32_e32 v33, v5, v6
	v_sub_f32_e32 v7, v6, v7
	s_delay_alu instid0(VALU_DEP_3) | instskip(NEXT) | instid1(VALU_DEP_3)
	v_sub_f32_e32 v34, v34, v35
	v_sub_f32_e32 v36, v33, v5
	s_delay_alu instid0(VALU_DEP_1) | instskip(SKIP_1) | instid1(VALU_DEP_2)
	v_dual_sub_f32 v4, v4, v7 :: v_dual_sub_f32 v37, v33, v36
	v_sub_f32_e32 v6, v6, v36
	v_add_f32_e32 v7, v34, v4
	s_delay_alu instid0(VALU_DEP_3) | instskip(NEXT) | instid1(VALU_DEP_1)
	v_sub_f32_e32 v5, v5, v37
	v_dual_add_f32 v5, v6, v5 :: v_dual_sub_f32 v6, v7, v34
	s_delay_alu instid0(VALU_DEP_1) | instskip(NEXT) | instid1(VALU_DEP_2)
	v_add_f32_e32 v5, v7, v5
	v_sub_f32_e32 v7, v7, v6
	s_delay_alu instid0(VALU_DEP_2) | instskip(NEXT) | instid1(VALU_DEP_1)
	v_dual_sub_f32 v4, v4, v6 :: v_dual_add_f32 v35, v33, v5
	v_dual_sub_f32 v7, v34, v7 :: v_dual_sub_f32 v6, v35, v33
	s_delay_alu instid0(VALU_DEP_1) | instskip(NEXT) | instid1(VALU_DEP_1)
	v_dual_add_f32 v4, v4, v7 :: v_dual_sub_f32 v5, v5, v6
	v_add_f32_e32 v4, v4, v5
	s_delay_alu instid0(VALU_DEP_1) | instskip(NEXT) | instid1(VALU_DEP_1)
	v_add_f32_e32 v4, v35, v4
	v_cndmask_b32_e32 v33, v4, v2, vcc_lo
.LBB6_32:                               ;   in Loop: Header=BB6_12 Depth=1
	s_or_b32 exec_lo, exec_lo, s17
	v_and_b32_e32 v2, 0xffff0000, v3
	s_delay_alu instid0(VALU_DEP_1) | instskip(NEXT) | instid1(VALU_DEP_1)
	v_add_f32_e32 v38, s48, v2
	v_cmp_ge_f32_e32 vcc_lo, 0x41a00000, v38
	s_and_b32 s16, s56, vcc_lo
	s_delay_alu instid0(SALU_CYCLE_1)
	s_and_saveexec_b32 s17, s16
	s_cbranch_execz .LBB6_34
; %bb.33:                               ;   in Loop: Header=BB6_12 Depth=1
	v_mul_f32_e32 v2, 0x3fb8aa3b, v38
	v_cmp_ngt_f32_e32 vcc_lo, 0xc2ce8ed0, v38
	s_delay_alu instid0(VALU_DEP_2) | instskip(SKIP_1) | instid1(VALU_DEP_2)
	v_rndne_f32_e32 v3, v2
	v_fma_f32 v4, 0x3fb8aa3b, v38, -v2
	v_sub_f32_e32 v2, v2, v3
	s_delay_alu instid0(VALU_DEP_2) | instskip(SKIP_1) | instid1(VALU_DEP_2)
	v_fmac_f32_e32 v4, 0x32a5705f, v38
	v_cvt_i32_f32_e32 v3, v3
	v_add_f32_e32 v2, v2, v4
	s_delay_alu instid0(VALU_DEP_1) | instskip(SKIP_2) | instid1(VALU_DEP_1)
	v_exp_f32_e32 v2, v2
	s_waitcnt_depctr 0xfff
	v_ldexp_f32 v2, v2, v3
	v_cndmask_b32_e32 v2, 0, v2, vcc_lo
	v_cmp_nlt_f32_e32 vcc_lo, 0x42b17218, v38
	s_delay_alu instid0(VALU_DEP_2) | instskip(NEXT) | instid1(VALU_DEP_1)
	v_cndmask_b32_e32 v4, 0x7f800000, v2, vcc_lo
	v_add_f32_e32 v5, 1.0, v4
	s_delay_alu instid0(VALU_DEP_1) | instskip(NEXT) | instid1(VALU_DEP_1)
	v_cvt_f64_f32_e32 v[2:3], v5
	v_frexp_exp_i32_f64_e32 v2, v[2:3]
	v_frexp_mant_f32_e32 v3, v5
	s_delay_alu instid0(VALU_DEP_1) | instskip(SKIP_1) | instid1(VALU_DEP_1)
	v_cmp_gt_f32_e32 vcc_lo, 0x3f2aaaab, v3
	v_add_f32_e32 v3, -1.0, v5
	v_sub_f32_e32 v7, v3, v5
	v_sub_f32_e32 v3, v4, v3
	s_delay_alu instid0(VALU_DEP_2) | instskip(NEXT) | instid1(VALU_DEP_1)
	v_add_f32_e32 v7, 1.0, v7
	v_add_f32_e32 v3, v3, v7
	v_cmp_gt_f32_e64 s16, 0x33800000, v4
	v_subrev_co_ci_u32_e32 v2, vcc_lo, 0, v2, vcc_lo
	v_cmp_eq_f32_e32 vcc_lo, 0x7f800000, v4
	s_delay_alu instid0(VALU_DEP_2) | instskip(SKIP_2) | instid1(VALU_DEP_2)
	v_sub_nc_u32_e32 v6, 0, v2
	v_cvt_f32_i32_e32 v2, v2
	s_or_b32 vcc_lo, s16, vcc_lo
	v_ldexp_f32 v5, v5, v6
	v_ldexp_f32 v3, v3, v6
	s_delay_alu instid0(VALU_DEP_2) | instskip(NEXT) | instid1(VALU_DEP_1)
	v_add_f32_e32 v34, 1.0, v5
	v_dual_add_f32 v6, -1.0, v5 :: v_dual_add_f32 v7, -1.0, v34
	s_delay_alu instid0(VALU_DEP_1) | instskip(NEXT) | instid1(VALU_DEP_2)
	v_add_f32_e32 v35, 1.0, v6
	v_sub_f32_e32 v7, v5, v7
	s_delay_alu instid0(VALU_DEP_2) | instskip(NEXT) | instid1(VALU_DEP_2)
	v_sub_f32_e32 v5, v5, v35
	v_add_f32_e32 v7, v3, v7
	s_delay_alu instid0(VALU_DEP_2) | instskip(NEXT) | instid1(VALU_DEP_1)
	v_add_f32_e32 v3, v3, v5
	v_add_f32_e32 v36, v6, v3
	s_delay_alu instid0(VALU_DEP_1) | instskip(NEXT) | instid1(VALU_DEP_4)
	v_sub_f32_e32 v6, v6, v36
	v_add_f32_e32 v35, v34, v7
	s_delay_alu instid0(VALU_DEP_1) | instskip(NEXT) | instid1(VALU_DEP_2)
	v_rcp_f32_e32 v5, v35
	v_dual_sub_f32 v34, v34, v35 :: v_dual_add_f32 v3, v3, v6
	s_delay_alu instid0(VALU_DEP_1) | instskip(SKIP_2) | instid1(VALU_DEP_1)
	v_add_f32_e32 v7, v7, v34
	s_waitcnt_depctr 0xfff
	v_mul_f32_e32 v37, v36, v5
	v_mul_f32_e32 v38, v35, v37
	s_delay_alu instid0(VALU_DEP_1) | instskip(NEXT) | instid1(VALU_DEP_1)
	v_fma_f32 v34, v37, v35, -v38
	v_fmac_f32_e32 v34, v37, v7
	s_delay_alu instid0(VALU_DEP_1) | instskip(NEXT) | instid1(VALU_DEP_1)
	v_add_f32_e32 v39, v38, v34
	v_sub_f32_e32 v40, v36, v39
	v_sub_f32_e32 v6, v39, v38
	s_delay_alu instid0(VALU_DEP_2) | instskip(NEXT) | instid1(VALU_DEP_1)
	v_sub_f32_e32 v36, v36, v40
	v_sub_f32_e32 v36, v36, v39
	s_delay_alu instid0(VALU_DEP_1) | instskip(NEXT) | instid1(VALU_DEP_1)
	v_dual_sub_f32 v6, v6, v34 :: v_dual_add_f32 v3, v3, v36
	v_add_f32_e32 v3, v6, v3
	s_delay_alu instid0(VALU_DEP_1) | instskip(NEXT) | instid1(VALU_DEP_1)
	v_add_f32_e32 v6, v40, v3
	v_mul_f32_e32 v34, v5, v6
	v_sub_f32_e32 v39, v40, v6
	s_delay_alu instid0(VALU_DEP_2) | instskip(NEXT) | instid1(VALU_DEP_2)
	v_mul_f32_e32 v36, v35, v34
	v_add_f32_e32 v3, v3, v39
	s_delay_alu instid0(VALU_DEP_2) | instskip(NEXT) | instid1(VALU_DEP_1)
	v_fma_f32 v35, v34, v35, -v36
	v_fmac_f32_e32 v35, v34, v7
	s_delay_alu instid0(VALU_DEP_1) | instskip(NEXT) | instid1(VALU_DEP_1)
	v_add_f32_e32 v7, v36, v35
	v_sub_f32_e32 v38, v6, v7
	s_delay_alu instid0(VALU_DEP_1) | instskip(NEXT) | instid1(VALU_DEP_1)
	v_sub_f32_e32 v6, v6, v38
	v_sub_f32_e32 v6, v6, v7
	s_delay_alu instid0(VALU_DEP_1) | instskip(SKIP_2) | instid1(VALU_DEP_1)
	v_add_f32_e32 v3, v3, v6
	v_add_f32_e32 v6, v37, v34
	v_sub_f32_e32 v36, v7, v36
	v_sub_f32_e32 v7, v36, v35
	s_delay_alu instid0(VALU_DEP_1) | instskip(NEXT) | instid1(VALU_DEP_4)
	v_add_f32_e32 v3, v7, v3
	v_sub_f32_e32 v7, v6, v37
	s_delay_alu instid0(VALU_DEP_2) | instskip(NEXT) | instid1(VALU_DEP_2)
	v_add_f32_e32 v3, v38, v3
	v_sub_f32_e32 v7, v34, v7
	s_delay_alu instid0(VALU_DEP_2) | instskip(NEXT) | instid1(VALU_DEP_1)
	v_mul_f32_e32 v3, v5, v3
	v_add_f32_e32 v3, v7, v3
	s_delay_alu instid0(VALU_DEP_1) | instskip(NEXT) | instid1(VALU_DEP_1)
	v_add_f32_e32 v5, v6, v3
	v_mul_f32_e32 v7, v5, v5
	s_delay_alu instid0(VALU_DEP_1) | instskip(SKIP_1) | instid1(VALU_DEP_2)
	v_fmaak_f32 v34, s60, v7, 0x3ecc95a3
	v_mul_f32_e32 v35, v5, v7
	v_fmaak_f32 v7, v7, v34, 0x3f2aaada
	v_ldexp_f32 v34, v5, 1
	v_sub_f32_e32 v5, v5, v6
	s_delay_alu instid0(VALU_DEP_3) | instskip(SKIP_1) | instid1(VALU_DEP_2)
	v_mul_f32_e32 v7, v35, v7
	v_mul_f32_e32 v35, 0x3f317218, v2
	v_dual_sub_f32 v3, v3, v5 :: v_dual_add_f32 v6, v34, v7
	s_delay_alu instid0(VALU_DEP_1) | instskip(NEXT) | instid1(VALU_DEP_2)
	v_ldexp_f32 v3, v3, 1
	v_sub_f32_e32 v5, v6, v34
	s_delay_alu instid0(VALU_DEP_4) | instskip(NEXT) | instid1(VALU_DEP_1)
	v_fma_f32 v34, 0x3f317218, v2, -v35
	v_dual_sub_f32 v5, v7, v5 :: v_dual_fmac_f32 v34, 0xb102e308, v2
	s_delay_alu instid0(VALU_DEP_1) | instskip(NEXT) | instid1(VALU_DEP_1)
	v_add_f32_e32 v2, v3, v5
	v_add_f32_e32 v5, v6, v2
	s_delay_alu instid0(VALU_DEP_1) | instskip(NEXT) | instid1(VALU_DEP_1)
	v_sub_f32_e32 v6, v5, v6
	v_sub_f32_e32 v2, v2, v6
	v_add_f32_e32 v3, v35, v34
	s_delay_alu instid0(VALU_DEP_1) | instskip(SKIP_1) | instid1(VALU_DEP_2)
	v_add_f32_e32 v7, v3, v5
	v_sub_f32_e32 v35, v3, v35
	v_sub_f32_e32 v36, v7, v3
	s_delay_alu instid0(VALU_DEP_1) | instskip(NEXT) | instid1(VALU_DEP_1)
	v_dual_sub_f32 v34, v34, v35 :: v_dual_sub_f32 v37, v7, v36
	v_dual_sub_f32 v5, v5, v36 :: v_dual_add_f32 v6, v34, v2
	s_delay_alu instid0(VALU_DEP_2) | instskip(NEXT) | instid1(VALU_DEP_1)
	v_sub_f32_e32 v3, v3, v37
	v_add_f32_e32 v3, v5, v3
	s_delay_alu instid0(VALU_DEP_3) | instskip(NEXT) | instid1(VALU_DEP_2)
	v_sub_f32_e32 v5, v6, v34
	v_add_f32_e32 v3, v6, v3
	s_delay_alu instid0(VALU_DEP_2) | instskip(NEXT) | instid1(VALU_DEP_2)
	v_sub_f32_e32 v6, v6, v5
	v_dual_sub_f32 v2, v2, v5 :: v_dual_add_f32 v35, v7, v3
	s_delay_alu instid0(VALU_DEP_1) | instskip(NEXT) | instid1(VALU_DEP_1)
	v_dual_sub_f32 v6, v34, v6 :: v_dual_sub_f32 v5, v35, v7
	v_dual_add_f32 v2, v2, v6 :: v_dual_sub_f32 v3, v3, v5
	s_delay_alu instid0(VALU_DEP_1) | instskip(NEXT) | instid1(VALU_DEP_1)
	v_add_f32_e32 v2, v2, v3
	v_add_f32_e32 v2, v35, v2
	s_delay_alu instid0(VALU_DEP_1)
	v_cndmask_b32_e32 v38, v2, v4, vcc_lo
.LBB6_34:                               ;   in Loop: Header=BB6_12 Depth=1
	s_or_b32 exec_lo, exec_lo, s17
	v_and_b32_e32 v3, 0xffff0000, v0
	v_lshlrev_b32_e32 v0, 16, v0
	v_lshlrev_b32_e32 v2, 16, v1
	v_and_b32_e32 v1, 0xffff0000, v1
	s_and_b32 vcc_lo, exec_lo, s57
	s_delay_alu instid0(VALU_DEP_3) | instskip(NEXT) | instid1(VALU_DEP_2)
	v_mul_f32_e32 v37, s49, v0
	v_dual_mul_f32 v35, s49, v2 :: v_dual_mul_f32 v36, s49, v1
	v_mul_f32_e32 v34, s49, v3
	s_barrier
	buffer_gl0_inv
	s_cbranch_vccz .LBB6_82
; %bb.35:                               ;   in Loop: Header=BB6_12 Depth=1
	v_dual_mul_f32 v39, v38, v1 :: v_dual_mul_f32 v44, v33, v2
	v_add_co_u32 v1, s16, s27, v29
	s_delay_alu instid0(VALU_DEP_1) | instskip(SKIP_1) | instid1(VALU_DEP_1)
	v_add_co_ci_u32_e64 v4, null, s41, 0, s16
	v_add_co_u32 v5, s16, s45, v29
	v_add_co_ci_u32_e64 v6, null, s52, 0, s16
	s_delay_alu instid0(VALU_DEP_4) | instskip(NEXT) | instid1(VALU_DEP_4)
	v_add_co_u32 v40, vcc_lo, v1, v30
	v_add_co_ci_u32_e32 v41, vcc_lo, 0, v4, vcc_lo
	s_delay_alu instid0(VALU_DEP_4) | instskip(NEXT) | instid1(VALU_DEP_4)
	v_add_co_u32 v42, vcc_lo, v5, v30
	v_add_co_ci_u32_e32 v43, vcc_lo, 0, v6, vcc_lo
	v_cmp_gt_u32_e32 vcc_lo, s19, v8
	v_cmp_gt_u32_e64 s17, s19, v26
	v_cmp_gt_u32_e64 s18, s19, v27
	;; [unrolled: 1-line block ×3, first 2 shown]
	s_cmp_lg_u32 s62, 0
	v_dual_mul_f32 v45, v32, v3 :: v_dual_mul_f32 v46, v31, v0
	s_mov_b32 s28, 0
	s_cselect_b32 s25, -1, 0
	s_cmp_eq_u32 s62, s59
	s_mov_b32 s30, s28
	s_cselect_b32 s63, -1, 0
	s_or_b32 s16, s58, vcc_lo
	s_or_b32 s17, s58, s17
	s_or_b32 s18, s58, s18
	;; [unrolled: 1-line block ×3, first 2 shown]
	s_mov_b32 s34, s28
	s_mov_b32 s38, s28
	;; [unrolled: 1-line block ×4, first 2 shown]
	s_branch .LBB6_37
.LBB6_36:                               ;   in Loop: Header=BB6_37 Depth=2
	s_or_b32 exec_lo, exec_lo, s20
	v_cndmask_b32_e64 v2, v56, v7, s11
	v_cndmask_b32_e64 v3, v55, v6, s11
	s_add_i32 s64, s64, -1
	s_add_i32 s65, s65, 8
	s_add_i32 s38, s38, s26
	v_fma_f32 v2, v2, v54, v52
	v_mul_f32_e32 v3, v3, v54
	s_add_i32 s34, s34, s44
	s_add_i32 s30, s30, s40
	s_add_i32 s28, s28, s37
	v_cndmask_b32_e64 v2, v2, v52, s10
	v_cndmask_b32_e64 v3, v3, v54, s10
	s_cmp_eq_u32 s64, 0
	s_waitcnt lgkmcnt(0)
	s_delay_alu instid0(VALU_DEP_1) | instskip(SKIP_3) | instid1(VALU_DEP_4)
	v_dual_fmac_f32 v2, v4, v3 :: v_dual_and_b32 v3, 0xffff0000, v0
	v_and_b32_e32 v4, 0xffff0000, v1
	v_lshlrev_b32_e32 v0, 16, v0
	v_lshlrev_b32_e32 v1, 16, v1
	v_fmac_f32_e32 v47, v2, v53
	s_delay_alu instid0(VALU_DEP_1) | instskip(NEXT) | instid1(VALU_DEP_1)
	v_fmac_f32_e32 v48, v47, v51
	v_fmac_f32_e32 v49, v48, v50
	s_delay_alu instid0(VALU_DEP_1)
	v_dual_fmac_f32 v35, v48, v1 :: v_dual_fmac_f32 v36, v49, v4
	v_dual_fmac_f32 v37, v2, v0 :: v_dual_fmac_f32 v34, v47, v3
	s_cbranch_scc1 .LBB6_82
.LBB6_37:                               ;   Parent Loop BB6_12 Depth=1
                                        ; =>  This Inner Loop Header: Depth=2
	s_lshl_b64 s[20:21], s[28:29], 2
	s_mov_b32 s31, s29
	s_add_u32 s20, s50, s20
	s_addc_u32 s21, s51, s21
	v_dual_mov_b32 v2, 0 :: v_dual_mov_b32 v3, 0
	global_load_b32 v6, v12, s[20:21]
	s_lshl_b64 s[20:21], s[30:31], 1
	s_delay_alu instid0(SALU_CYCLE_1)
	v_add_co_u32 v0, vcc_lo, v40, s20
	v_add_co_ci_u32_e32 v1, vcc_lo, s21, v41, vcc_lo
	s_and_saveexec_b32 s20, s12
	s_cbranch_execz .LBB6_39
; %bb.38:                               ;   in Loop: Header=BB6_37 Depth=2
	global_load_u16 v3, v[0:1], off
.LBB6_39:                               ;   in Loop: Header=BB6_37 Depth=2
	s_or_b32 exec_lo, exec_lo, s20
	s_and_saveexec_b32 s20, s13
	s_cbranch_execz .LBB6_41
; %bb.40:                               ;   in Loop: Header=BB6_37 Depth=2
	global_load_u16 v2, v[0:1], off offset:64
.LBB6_41:                               ;   in Loop: Header=BB6_37 Depth=2
	s_or_b32 exec_lo, exec_lo, s20
	v_dual_mov_b32 v4, 0 :: v_dual_mov_b32 v5, 0
	s_and_saveexec_b32 s20, s14
	s_cbranch_execz .LBB6_43
; %bb.42:                               ;   in Loop: Header=BB6_37 Depth=2
	global_load_u16 v5, v[0:1], off offset:128
.LBB6_43:                               ;   in Loop: Header=BB6_37 Depth=2
	s_or_b32 exec_lo, exec_lo, s20
	s_and_saveexec_b32 s20, s15
	s_cbranch_execz .LBB6_45
; %bb.44:                               ;   in Loop: Header=BB6_37 Depth=2
	global_load_u16 v4, v[0:1], off offset:192
.LBB6_45:                               ;   in Loop: Header=BB6_37 Depth=2
	s_or_b32 exec_lo, exec_lo, s20
	s_waitcnt vmcnt(0)
	ds_store_b16 v14, v3
	ds_store_b16 v14, v2 offset:64
	ds_store_b16 v15, v5 offset:128
	;; [unrolled: 1-line block ×3, first 2 shown]
	; wave barrier
	ds_load_b64 v[4:5], v17
	s_mov_b32 s35, s29
	v_dual_mov_b32 v2, 0 :: v_dual_mov_b32 v3, 0
	s_lshl_b64 s[20:21], s[34:35], 1
	s_delay_alu instid0(SALU_CYCLE_1)
	v_add_co_u32 v0, vcc_lo, v42, s20
	v_add_co_ci_u32_e32 v1, vcc_lo, s21, v43, vcc_lo
	s_and_saveexec_b32 s20, s12
	s_cbranch_execz .LBB6_47
; %bb.46:                               ;   in Loop: Header=BB6_37 Depth=2
	global_load_u16 v3, v[0:1], off
.LBB6_47:                               ;   in Loop: Header=BB6_37 Depth=2
	s_or_b32 exec_lo, exec_lo, s20
	s_and_saveexec_b32 s20, s13
	s_cbranch_execz .LBB6_49
; %bb.48:                               ;   in Loop: Header=BB6_37 Depth=2
	global_load_u16 v2, v[0:1], off offset:64
.LBB6_49:                               ;   in Loop: Header=BB6_37 Depth=2
	s_or_b32 exec_lo, exec_lo, s20
	v_mov_b32_e32 v7, 0
	v_mov_b32_e32 v47, 0
	s_and_saveexec_b32 s20, s14
	s_cbranch_execz .LBB6_51
; %bb.50:                               ;   in Loop: Header=BB6_37 Depth=2
	global_load_u16 v47, v[0:1], off offset:128
.LBB6_51:                               ;   in Loop: Header=BB6_37 Depth=2
	s_or_b32 exec_lo, exec_lo, s20
	s_and_saveexec_b32 s20, s15
	s_cbranch_execz .LBB6_53
; %bb.52:                               ;   in Loop: Header=BB6_37 Depth=2
	global_load_u16 v7, v[0:1], off offset:192
.LBB6_53:                               ;   in Loop: Header=BB6_37 Depth=2
	s_or_b32 exec_lo, exec_lo, s20
	s_waitcnt vmcnt(0)
	ds_store_b16 v14, v3 offset:528
	ds_store_b16 v18, v2 offset:64
	;; [unrolled: 1-line block ×4, first 2 shown]
	; wave barrier
	ds_load_b64 v[0:1], v17 offset:528
	s_and_not1_b32 vcc_lo, exec_lo, s25
	s_cbranch_vccnz .LBB6_55
; %bb.54:                               ;   in Loop: Header=BB6_37 Depth=2
	v_mov_b32_e32 v2, s65
	ds_load_b64 v[2:3], v2
	s_cbranch_execz .LBB6_56
	s_branch .LBB6_59
.LBB6_55:                               ;   in Loop: Header=BB6_37 Depth=2
                                        ; implicit-def: $vgpr2
.LBB6_56:                               ;   in Loop: Header=BB6_37 Depth=2
	s_waitcnt lgkmcnt(0)
	v_mov_b32_e32 v3, 0
	s_and_not1_b32 vcc_lo, exec_lo, s33
	s_cbranch_vccnz .LBB6_58
; %bb.57:                               ;   in Loop: Header=BB6_37 Depth=2
	s_mov_b32 s39, s29
	s_delay_alu instid0(SALU_CYCLE_1) | instskip(NEXT) | instid1(SALU_CYCLE_1)
	s_lshl_b64 s[20:21], s[38:39], 1
	s_add_u32 s20, s53, s20
	s_addc_u32 s21, s54, s21
	global_load_u16 v2, v12, s[20:21]
	s_waitcnt vmcnt(0)
	v_lshlrev_b32_e32 v3, 16, v2
.LBB6_58:                               ;   in Loop: Header=BB6_37 Depth=2
	v_mov_b32_e32 v2, 1.0
.LBB6_59:                               ;   in Loop: Header=BB6_37 Depth=2
	s_waitcnt lgkmcnt(5)
	v_dual_mul_f32 v6, 0x3fb8aa3b, v6 :: v_dual_lshlrev_b32 v7, 16, v4
	v_lshlrev_b32_e32 v47, 16, v5
	v_and_b32_e32 v4, 0xffff0000, v4
	s_delay_alu instid0(VALU_DEP_3) | instskip(NEXT) | instid1(VALU_DEP_4)
	v_mul_f32_e32 v48, v6, v31
	v_mul_f32_e32 v7, v46, v7
	s_delay_alu instid0(VALU_DEP_3) | instskip(SKIP_1) | instid1(VALU_DEP_4)
	v_dual_mul_f32 v51, v6, v38 :: v_dual_mul_f32 v4, v45, v4
	v_dual_mul_f32 v50, v6, v33 :: v_dual_mul_f32 v55, v44, v47
	v_cmp_gt_f32_e32 vcc_lo, 0xc2fc0000, v48
	s_delay_alu instid0(VALU_DEP_3) | instskip(NEXT) | instid1(VALU_DEP_3)
	v_cmp_gt_f32_e64 s22, 0xc2fc0000, v51
	v_cmp_gt_f32_e64 s21, 0xc2fc0000, v50
	v_cndmask_b32_e64 v48, 0, 0x42800000, vcc_lo
	v_and_b32_e32 v5, 0xffff0000, v5
	s_delay_alu instid0(VALU_DEP_4) | instskip(SKIP_4) | instid1(VALU_DEP_3)
	v_cndmask_b32_e64 v51, 0, 0x42800000, s22
	v_cndmask_b32_e64 v52, 1.0, 0x1f800000, vcc_lo
	v_cndmask_b32_e64 v50, 0, 0x42800000, s21
	v_fmac_f32_e32 v48, v6, v31
	v_cndmask_b32_e64 v47, 1.0, 0x1f800000, s21
	v_fmac_f32_e32 v50, v6, v33
	s_delay_alu instid0(VALU_DEP_3) | instskip(SKIP_1) | instid1(VALU_DEP_2)
	v_exp_f32_e32 v48, v48
	v_fmac_f32_e32 v51, v6, v38
	v_exp_f32_e32 v50, v50
	s_waitcnt_depctr 0xfff
	v_mul_f32_e32 v48, v48, v52
	v_cndmask_b32_e64 v52, 0, v7, s16
	v_exp_f32_e32 v7, v51
	s_delay_alu instid0(VALU_DEP_2) | instskip(SKIP_2) | instid1(VALU_DEP_2)
	v_cndmask_b32_e64 v54, 1.0, v48, s16
	v_mul_f32_e32 v49, v6, v32
	v_cndmask_b32_e64 v48, 0, v55, s18
	v_cmp_gt_f32_e64 s20, 0xc2fc0000, v49
	s_delay_alu instid0(VALU_DEP_1) | instskip(NEXT) | instid1(VALU_DEP_1)
	v_cndmask_b32_e64 v49, 0, 0x42800000, s20
	v_fmac_f32_e32 v49, v6, v32
	v_cndmask_b32_e64 v6, 1.0, 0x1f800000, s20
	s_delay_alu instid0(VALU_DEP_2) | instskip(SKIP_4) | instid1(VALU_DEP_3)
	v_exp_f32_e32 v49, v49
	s_waitcnt_depctr 0xfff
	v_dual_mul_f32 v6, v49, v6 :: v_dual_mul_f32 v49, v50, v47
	v_cndmask_b32_e64 v47, 0, v4, s17
	v_cndmask_b32_e64 v4, 1.0, 0x1f800000, s22
	v_cndmask_b32_e64 v53, 1.0, v6, s17
	s_delay_alu instid0(VALU_DEP_4) | instskip(NEXT) | instid1(VALU_DEP_3)
	v_cndmask_b32_e64 v51, 1.0, v49, s18
	v_mul_f32_e32 v4, v7, v4
	s_delay_alu instid0(VALU_DEP_3) | instskip(SKIP_1) | instid1(VALU_DEP_3)
	v_dual_mul_f32 v6, v53, v54 :: v_dual_mul_f32 v5, v39, v5
	v_fma_f32 v7, v53, v52, v47
	v_cndmask_b32_e64 v50, 1.0, v4, s19
	s_delay_alu instid0(VALU_DEP_3) | instskip(NEXT) | instid1(VALU_DEP_4)
	v_mul_f32_e32 v4, v6, v51
	v_cndmask_b32_e64 v49, 0, v5, s19
	s_delay_alu instid0(VALU_DEP_4) | instskip(NEXT) | instid1(VALU_DEP_3)
	v_fma_f32 v5, v7, v51, v48
	v_mul_f32_e32 v4, v4, v50
	s_delay_alu instid0(VALU_DEP_2) | instskip(NEXT) | instid1(VALU_DEP_2)
	v_fma_f32 v5, v5, v50, v49
	v_mov_b32_dpp v7, v4 row_shr:1 row_mask:0xf bank_mask:0xf
	s_delay_alu instid0(VALU_DEP_2)
	v_mov_b32_dpp v6, v5 row_shr:1 row_mask:0xf bank_mask:0xf
	s_and_saveexec_b32 s20, s0
; %bb.60:                               ;   in Loop: Header=BB6_37 Depth=2
	s_delay_alu instid0(VALU_DEP_2) | instskip(NEXT) | instid1(VALU_DEP_1)
	v_mul_f32_e32 v7, v4, v7
	v_dual_fmac_f32 v5, v4, v6 :: v_dual_mov_b32 v4, v7
; %bb.61:                               ;   in Loop: Header=BB6_37 Depth=2
	s_or_b32 exec_lo, exec_lo, s20
	s_delay_alu instid0(VALU_DEP_1) | instskip(NEXT) | instid1(VALU_DEP_2)
	v_mov_b32_dpp v6, v4 row_shr:2 row_mask:0xf bank_mask:0xf
	v_mov_b32_dpp v7, v5 row_shr:2 row_mask:0xf bank_mask:0xf
	s_and_saveexec_b32 s20, s1
; %bb.62:                               ;   in Loop: Header=BB6_37 Depth=2
	s_delay_alu instid0(VALU_DEP_1) | instskip(NEXT) | instid1(VALU_DEP_3)
	v_fmac_f32_e32 v5, v4, v7
	v_mul_f32_e32 v4, v4, v6
; %bb.63:                               ;   in Loop: Header=BB6_37 Depth=2
	s_or_b32 exec_lo, exec_lo, s20
	s_delay_alu instid0(VALU_DEP_1) | instskip(NEXT) | instid1(VALU_DEP_3)
	v_mov_b32_dpp v6, v4 row_shr:4 row_mask:0xf bank_mask:0xf
	v_mov_b32_dpp v7, v5 row_shr:4 row_mask:0xf bank_mask:0xf
	s_and_saveexec_b32 s20, s2
; %bb.64:                               ;   in Loop: Header=BB6_37 Depth=2
	s_delay_alu instid0(VALU_DEP_1) | instskip(NEXT) | instid1(VALU_DEP_3)
	v_fmac_f32_e32 v5, v4, v7
	v_mul_f32_e32 v4, v4, v6
; %bb.65:                               ;   in Loop: Header=BB6_37 Depth=2
	s_or_b32 exec_lo, exec_lo, s20
	s_delay_alu instid0(VALU_DEP_1) | instskip(NEXT) | instid1(VALU_DEP_3)
	v_mov_b32_dpp v6, v4 row_shr:8 row_mask:0xf bank_mask:0xf
	v_mov_b32_dpp v7, v5 row_shr:8 row_mask:0xf bank_mask:0xf
	s_and_saveexec_b32 s20, s3
; %bb.66:                               ;   in Loop: Header=BB6_37 Depth=2
	s_delay_alu instid0(VALU_DEP_1) | instskip(NEXT) | instid1(VALU_DEP_3)
	v_fmac_f32_e32 v5, v4, v7
	v_mul_f32_e32 v4, v4, v6
; %bb.67:                               ;   in Loop: Header=BB6_37 Depth=2
	s_or_b32 exec_lo, exec_lo, s20
	ds_swizzle_b32 v7, v4 offset:swizzle(BROADCAST,32,15)
	ds_swizzle_b32 v6, v5 offset:swizzle(BROADCAST,32,15)
	s_and_saveexec_b32 s20, s4
	s_cbranch_execz .LBB6_69
; %bb.68:                               ;   in Loop: Header=BB6_37 Depth=2
	s_waitcnt lgkmcnt(1)
	v_mul_f32_e32 v7, v4, v7
	s_waitcnt lgkmcnt(0)
	s_delay_alu instid0(VALU_DEP_1)
	v_dual_fmac_f32 v5, v4, v6 :: v_dual_mov_b32 v4, v7
.LBB6_69:                               ;   in Loop: Header=BB6_37 Depth=2
	s_or_b32 exec_lo, exec_lo, s20
	s_and_saveexec_b32 s20, s5
	s_cbranch_execz .LBB6_71
; %bb.70:                               ;   in Loop: Header=BB6_37 Depth=2
	ds_store_b64 v21, v[4:5] offset:1056
.LBB6_71:                               ;   in Loop: Header=BB6_37 Depth=2
	s_or_b32 exec_lo, exec_lo, s20
	s_waitcnt lgkmcnt(0)
	s_waitcnt_vscnt null, 0x0
	s_barrier
	buffer_gl0_inv
	s_and_saveexec_b32 s20, s6
	s_cbranch_execz .LBB6_73
; %bb.72:                               ;   in Loop: Header=BB6_37 Depth=2
	ds_load_b64 v[6:7], v22 offset:1056
	s_waitcnt lgkmcnt(0)
	v_mov_b32_dpp v55, v6 row_shr:1 row_mask:0xf bank_mask:0xf
	v_mov_b32_dpp v56, v7 row_shr:1 row_mask:0xf bank_mask:0xf
	s_delay_alu instid0(VALU_DEP_2) | instskip(NEXT) | instid1(VALU_DEP_2)
	v_mul_f32_e32 v55, v6, v55
	v_fma_f32 v56, v6, v56, v7
	s_delay_alu instid0(VALU_DEP_2) | instskip(NEXT) | instid1(VALU_DEP_2)
	v_cndmask_b32_e64 v6, v55, v6, s7
	v_cndmask_b32_e64 v7, v56, v7, s7
	ds_store_b64 v22, v[6:7] offset:1056
.LBB6_73:                               ;   in Loop: Header=BB6_37 Depth=2
	s_or_b32 exec_lo, exec_lo, s20
	s_waitcnt lgkmcnt(0)
	s_barrier
	buffer_gl0_inv
                                        ; implicit-def: $vgpr7
	s_and_saveexec_b32 s20, s9
	s_cbranch_execz .LBB6_75
; %bb.74:                               ;   in Loop: Header=BB6_37 Depth=2
	ds_load_b64 v[6:7], v21 offset:1048
	s_waitcnt lgkmcnt(0)
	v_mul_f32_e32 v55, v4, v6
	s_delay_alu instid0(VALU_DEP_1)
	v_dual_fmac_f32 v5, v4, v7 :: v_dual_mov_b32 v4, v55
.LBB6_75:                               ;   in Loop: Header=BB6_37 Depth=2
	s_or_b32 exec_lo, exec_lo, s20
	ds_bpermute_b32 v55, v23, v4
	ds_bpermute_b32 v56, v23, v5
	s_and_saveexec_b32 s20, s8
	s_cbranch_execz .LBB6_79
; %bb.76:                               ;   in Loop: Header=BB6_37 Depth=2
	ds_load_b64 v[4:5], v12 offset:1064
	s_and_saveexec_b32 s21, s10
	s_cbranch_execz .LBB6_78
; %bb.77:                               ;   in Loop: Header=BB6_37 Depth=2
	ds_store_b64 v12, v[2:3] offset:1064
.LBB6_78:                               ;   in Loop: Header=BB6_37 Depth=2
	s_or_b32 exec_lo, exec_lo, s21
	s_waitcnt lgkmcnt(0)
	v_dual_fmac_f32 v5, v4, v3 :: v_dual_mul_f32 v2, v2, v4
	s_delay_alu instid0(VALU_DEP_1)
	v_mov_b32_e32 v3, v5
.LBB6_79:                               ;   in Loop: Header=BB6_37 Depth=2
	s_or_b32 exec_lo, exec_lo, s20
	s_waitcnt lgkmcnt(0)
	s_barrier
	buffer_gl0_inv
	ds_load_b32 v4, v12 offset:1068
	s_and_saveexec_b32 s20, s10
	s_cbranch_execz .LBB6_36
; %bb.80:                               ;   in Loop: Header=BB6_37 Depth=2
	v_mov_b32_e32 v5, s65
	s_and_not1_b32 vcc_lo, exec_lo, s63
	ds_store_b64 v5, v[2:3]
	s_cbranch_vccnz .LBB6_36
; %bb.81:                               ;   in Loop: Header=BB6_37 Depth=2
	v_bfe_u32 v2, v3, 16, 1
	v_cmp_o_f32_e32 vcc_lo, v3, v3
	s_mov_b32 s39, s29
	s_delay_alu instid0(SALU_CYCLE_1) | instskip(NEXT) | instid1(VALU_DEP_2)
	s_lshl_b64 s[66:67], s[38:39], 1
	v_add3_u32 v2, v3, v2, 0x7fff
	s_add_u32 s66, s53, s66
	s_addc_u32 s67, s54, s67
	s_delay_alu instid0(VALU_DEP_1) | instskip(NEXT) | instid1(VALU_DEP_1)
	v_lshrrev_b32_e32 v2, 16, v2
	v_cndmask_b32_e32 v2, 0x7fc0, v2, vcc_lo
	global_store_b16 v12, v2, s[66:67]
	s_branch .LBB6_36
.LBB6_82:                               ;   in Loop: Header=BB6_12 Depth=1
	s_delay_alu instid0(VALU_DEP_1) | instskip(NEXT) | instid1(VALU_DEP_3)
	v_bfe_u32 v0, v37, 16, 1
	v_bfe_u32 v2, v35, 16, 1
	;; [unrolled: 1-line block ×3, first 2 shown]
	v_cmp_o_f32_e32 vcc_lo, v37, v37
	v_bfe_u32 v1, v34, 16, 1
	v_add3_u32 v0, v37, v0, 0x7fff
	v_add3_u32 v2, v35, v2, 0x7fff
	v_add3_u32 v3, v36, v3, 0x7fff
	s_waitcnt_vscnt null, 0x0
	v_add3_u32 v1, v34, v1, 0x7fff
	v_lshrrev_b32_e32 v0, 16, v0
	v_lshrrev_b32_e32 v2, 16, v2
	;; [unrolled: 1-line block ×3, first 2 shown]
	s_barrier
	v_lshrrev_b32_e32 v1, 16, v1
	v_cndmask_b32_e32 v0, 0x7fc0, v0, vcc_lo
	v_cmp_o_f32_e32 vcc_lo, v35, v35
	buffer_gl0_inv
	s_mov_b32 s25, s29
	s_delay_alu instid0(SALU_CYCLE_1)
	s_lshl_b64 s[16:17], s[24:25], 1
	v_cndmask_b32_e32 v2, 0x7fc0, v2, vcc_lo
	v_cmp_o_f32_e32 vcc_lo, v36, v36
	v_cndmask_b32_e32 v3, 0x7fc0, v3, vcc_lo
	v_cmp_o_f32_e32 vcc_lo, v34, v34
	v_cndmask_b32_e32 v4, 0x7fc0, v1, vcc_lo
	s_delay_alu instid0(VALU_DEP_3) | instskip(NEXT) | instid1(VALU_DEP_2)
	v_perm_b32 v1, v3, v2, 0x5040100
	v_perm_b32 v0, v4, v0, 0x5040100
	ds_store_b64 v17, v[0:1]
	; wave barrier
	ds_load_u16 v4, v14 offset:64
	ds_load_u16 v3, v15 offset:128
	;; [unrolled: 1-line block ×3, first 2 shown]
	v_add_co_u32 v0, vcc_lo, v24, s16
	v_add_co_ci_u32_e32 v1, vcc_lo, s17, v25, vcc_lo
	s_and_saveexec_b32 s16, s12
	s_cbranch_execnz .LBB6_88
; %bb.83:                               ;   in Loop: Header=BB6_12 Depth=1
	s_or_b32 exec_lo, exec_lo, s16
	s_and_saveexec_b32 s12, s13
	s_cbranch_execnz .LBB6_89
.LBB6_84:                               ;   in Loop: Header=BB6_12 Depth=1
	s_or_b32 exec_lo, exec_lo, s12
	s_and_saveexec_b32 s12, s14
	s_cbranch_execnz .LBB6_90
.LBB6_85:                               ;   in Loop: Header=BB6_12 Depth=1
	s_or_b32 exec_lo, exec_lo, s12
	s_and_saveexec_b32 s12, s15
	s_cbranch_execz .LBB6_11
	s_branch .LBB6_91
.LBB6_86:                               ;   in Loop: Header=BB6_12 Depth=1
	global_load_u16 v6, v[2:3], off offset:64
	s_or_b32 exec_lo, exec_lo, s16
	s_and_saveexec_b32 s16, s14
	s_cbranch_execz .LBB6_24
.LBB6_87:                               ;   in Loop: Header=BB6_12 Depth=1
	global_load_u16 v5, v[2:3], off offset:128
	s_or_b32 exec_lo, exec_lo, s16
	v_mov_b32_e32 v7, 0
	s_and_saveexec_b32 s16, s15
	s_cbranch_execnz .LBB6_25
	s_branch .LBB6_26
.LBB6_88:                               ;   in Loop: Header=BB6_12 Depth=1
	ds_load_u16 v5, v14
	s_waitcnt lgkmcnt(0)
	global_store_b16 v[0:1], v5, off
	s_or_b32 exec_lo, exec_lo, s16
	s_and_saveexec_b32 s12, s13
	s_cbranch_execz .LBB6_84
.LBB6_89:                               ;   in Loop: Header=BB6_12 Depth=1
	s_waitcnt lgkmcnt(2)
	global_store_b16 v[0:1], v4, off offset:64
	s_or_b32 exec_lo, exec_lo, s12
	s_and_saveexec_b32 s12, s14
	s_cbranch_execz .LBB6_85
.LBB6_90:                               ;   in Loop: Header=BB6_12 Depth=1
	s_waitcnt lgkmcnt(1)
	global_store_b16 v[0:1], v3, off offset:128
	s_or_b32 exec_lo, exec_lo, s12
	s_and_saveexec_b32 s12, s15
	s_cbranch_execz .LBB6_11
.LBB6_91:                               ;   in Loop: Header=BB6_12 Depth=1
	s_waitcnt lgkmcnt(0)
	global_store_b16 v[0:1], v2, off offset:192
	s_branch .LBB6_11
.LBB6_92:
	s_nop 0
	s_sendmsg sendmsg(MSG_DEALLOC_VGPRS)
	s_endpgm
	.section	.rodata,"a",@progbits
	.p2align	6, 0x0
	.amdhsa_kernel _Z25selective_scan_fwd_kernelI32Selective_Scan_fwd_kernel_traitsILi64ELi4ELi1ELb0ELb1ELb1ELb0ELb1EN3c108BFloat16EfS2_EEv13SSMParamsBase
		.amdhsa_group_segment_fixed_size 0
		.amdhsa_private_segment_fixed_size 0
		.amdhsa_kernarg_size 248
		.amdhsa_user_sgpr_count 14
		.amdhsa_user_sgpr_dispatch_ptr 0
		.amdhsa_user_sgpr_queue_ptr 0
		.amdhsa_user_sgpr_kernarg_segment_ptr 1
		.amdhsa_user_sgpr_dispatch_id 0
		.amdhsa_user_sgpr_private_segment_size 0
		.amdhsa_wavefront_size32 1
		.amdhsa_uses_dynamic_stack 0
		.amdhsa_enable_private_segment 0
		.amdhsa_system_sgpr_workgroup_id_x 1
		.amdhsa_system_sgpr_workgroup_id_y 1
		.amdhsa_system_sgpr_workgroup_id_z 0
		.amdhsa_system_sgpr_workgroup_info 0
		.amdhsa_system_vgpr_workitem_id 0
		.amdhsa_next_free_vgpr 57
		.amdhsa_next_free_sgpr 68
		.amdhsa_reserve_vcc 1
		.amdhsa_float_round_mode_32 0
		.amdhsa_float_round_mode_16_64 0
		.amdhsa_float_denorm_mode_32 3
		.amdhsa_float_denorm_mode_16_64 3
		.amdhsa_dx10_clamp 1
		.amdhsa_ieee_mode 1
		.amdhsa_fp16_overflow 0
		.amdhsa_workgroup_processor_mode 1
		.amdhsa_memory_ordered 1
		.amdhsa_forward_progress 0
		.amdhsa_shared_vgpr_count 0
		.amdhsa_exception_fp_ieee_invalid_op 0
		.amdhsa_exception_fp_denorm_src 0
		.amdhsa_exception_fp_ieee_div_zero 0
		.amdhsa_exception_fp_ieee_overflow 0
		.amdhsa_exception_fp_ieee_underflow 0
		.amdhsa_exception_fp_ieee_inexact 0
		.amdhsa_exception_int_div_zero 0
	.end_amdhsa_kernel
	.section	.text._Z25selective_scan_fwd_kernelI32Selective_Scan_fwd_kernel_traitsILi64ELi4ELi1ELb0ELb1ELb1ELb0ELb1EN3c108BFloat16EfS2_EEv13SSMParamsBase,"axG",@progbits,_Z25selective_scan_fwd_kernelI32Selective_Scan_fwd_kernel_traitsILi64ELi4ELi1ELb0ELb1ELb1ELb0ELb1EN3c108BFloat16EfS2_EEv13SSMParamsBase,comdat
.Lfunc_end6:
	.size	_Z25selective_scan_fwd_kernelI32Selective_Scan_fwd_kernel_traitsILi64ELi4ELi1ELb0ELb1ELb1ELb0ELb1EN3c108BFloat16EfS2_EEv13SSMParamsBase, .Lfunc_end6-_Z25selective_scan_fwd_kernelI32Selective_Scan_fwd_kernel_traitsILi64ELi4ELi1ELb0ELb1ELb1ELb0ELb1EN3c108BFloat16EfS2_EEv13SSMParamsBase
                                        ; -- End function
	.section	.AMDGPU.csdata,"",@progbits
; Kernel info:
; codeLenInByte = 7088
; NumSgprs: 70
; NumVgprs: 57
; ScratchSize: 0
; MemoryBound: 0
; FloatMode: 240
; IeeeMode: 1
; LDSByteSize: 0 bytes/workgroup (compile time only)
; SGPRBlocks: 8
; VGPRBlocks: 7
; NumSGPRsForWavesPerEU: 70
; NumVGPRsForWavesPerEU: 57
; Occupancy: 16
; WaveLimiterHint : 1
; COMPUTE_PGM_RSRC2:SCRATCH_EN: 0
; COMPUTE_PGM_RSRC2:USER_SGPR: 14
; COMPUTE_PGM_RSRC2:TRAP_HANDLER: 0
; COMPUTE_PGM_RSRC2:TGID_X_EN: 1
; COMPUTE_PGM_RSRC2:TGID_Y_EN: 1
; COMPUTE_PGM_RSRC2:TGID_Z_EN: 0
; COMPUTE_PGM_RSRC2:TIDIG_COMP_CNT: 0
	.section	.text._Z25selective_scan_fwd_kernelI32Selective_Scan_fwd_kernel_traitsILi64ELi4ELi1ELb0ELb1ELb1ELb0ELb0EN3c108BFloat16EfS2_EEv13SSMParamsBase,"axG",@progbits,_Z25selective_scan_fwd_kernelI32Selective_Scan_fwd_kernel_traitsILi64ELi4ELi1ELb0ELb1ELb1ELb0ELb0EN3c108BFloat16EfS2_EEv13SSMParamsBase,comdat
	.protected	_Z25selective_scan_fwd_kernelI32Selective_Scan_fwd_kernel_traitsILi64ELi4ELi1ELb0ELb1ELb1ELb0ELb0EN3c108BFloat16EfS2_EEv13SSMParamsBase ; -- Begin function _Z25selective_scan_fwd_kernelI32Selective_Scan_fwd_kernel_traitsILi64ELi4ELi1ELb0ELb1ELb1ELb0ELb0EN3c108BFloat16EfS2_EEv13SSMParamsBase
	.globl	_Z25selective_scan_fwd_kernelI32Selective_Scan_fwd_kernel_traitsILi64ELi4ELi1ELb0ELb1ELb1ELb0ELb0EN3c108BFloat16EfS2_EEv13SSMParamsBase
	.p2align	8
	.type	_Z25selective_scan_fwd_kernelI32Selective_Scan_fwd_kernel_traitsILi64ELi4ELi1ELb0ELb1ELb1ELb0ELb0EN3c108BFloat16EfS2_EEv13SSMParamsBase,@function
_Z25selective_scan_fwd_kernelI32Selective_Scan_fwd_kernel_traitsILi64ELi4ELi1ELb0ELb1ELb1ELb0ELb0EN3c108BFloat16EfS2_EEv13SSMParamsBase: ; @_Z25selective_scan_fwd_kernelI32Selective_Scan_fwd_kernel_traitsILi64ELi4ELi1ELb0ELb1ELb1ELb0ELb0EN3c108BFloat16EfS2_EEv13SSMParamsBase
; %bb.0:
	s_clause 0x1
	s_load_b32 s9, s[0:1], 0x18
	s_load_b128 s[4:7], s[0:1], 0xe8
	s_mov_b32 s12, s15
	s_mov_b32 s33, 0
	s_waitcnt lgkmcnt(0)
	s_abs_i32 s8, s9
	s_cmp_eq_u64 s[6:7], 0
	v_cvt_f32_u32_e32 v1, s8
	s_delay_alu instid0(VALU_DEP_1) | instskip(SKIP_2) | instid1(VALU_DEP_1)
	v_rcp_iflag_f32_e32 v1, v1
	s_waitcnt_depctr 0xfff
	v_mul_f32_e32 v1, 0x4f7ffffe, v1
	v_cvt_u32_f32_e32 v1, v1
	s_delay_alu instid0(VALU_DEP_1)
	v_readfirstlane_b32 s10, v1
	s_cbranch_scc1 .LBB7_2
; %bb.1:
	v_mov_b32_e32 v1, 0
	s_ashr_i32 s3, s14, 31
	s_add_u32 s2, s6, s14
	s_addc_u32 s3, s7, s3
	global_load_u8 v1, v1, s[2:3]
	s_waitcnt vmcnt(0)
	v_and_b32_e32 v1, 1, v1
	s_delay_alu instid0(VALU_DEP_1)
	v_cmp_eq_u32_e64 s33, 1, v1
.LBB7_2:
	s_load_b64 s[6:7], s[0:1], 0x20
	s_cmp_eq_u64 s[4:5], 0
	s_cbranch_scc1 .LBB7_4
; %bb.3:
	s_ashr_i32 s15, s14, 31
	s_delay_alu instid0(SALU_CYCLE_1) | instskip(NEXT) | instid1(SALU_CYCLE_1)
	s_lshl_b64 s[2:3], s[14:15], 2
	s_add_u32 s2, s4, s2
	s_addc_u32 s3, s5, s3
	s_load_b32 s2, s[2:3], 0x0
	s_waitcnt lgkmcnt(0)
	s_ashr_i32 s3, s2, 31
	s_delay_alu instid0(SALU_CYCLE_1)
	s_cmp_eq_u64 s[6:7], s[2:3]
	s_cbranch_scc0 .LBB7_5
	s_branch .LBB7_92
.LBB7_4:
	s_mov_b32 s2, s14
	s_delay_alu instid0(SALU_CYCLE_1)
	s_ashr_i32 s3, s2, 31
	s_waitcnt lgkmcnt(0)
	s_cmp_eq_u64 s[6:7], s[2:3]
	s_cbranch_scc1 .LBB7_92
.LBB7_5:
	s_clause 0x1
	s_load_b512 s[16:31], s[0:1], 0x88
	s_load_b64 s[34:35], s[0:1], 0x8
	s_mov_b32 s48, 0
	s_mov_b32 s49, 0
	s_waitcnt lgkmcnt(0)
	s_cmp_eq_u64 s[22:23], 0
	s_cbranch_scc1 .LBB7_7
; %bb.6:
	s_ashr_i32 s13, s12, 31
	s_delay_alu instid0(SALU_CYCLE_1) | instskip(NEXT) | instid1(SALU_CYCLE_1)
	s_lshl_b64 s[4:5], s[12:13], 2
	s_add_u32 s4, s22, s4
	s_addc_u32 s5, s23, s5
	s_load_b32 s49, s[4:5], 0x0
.LBB7_7:
	s_cmp_eq_u64 s[28:29], 0
	s_cbranch_scc1 .LBB7_9
; %bb.8:
	s_ashr_i32 s13, s12, 31
	s_delay_alu instid0(SALU_CYCLE_1) | instskip(NEXT) | instid1(SALU_CYCLE_1)
	s_lshl_b64 s[4:5], s[12:13], 2
	s_add_u32 s4, s28, s4
	s_addc_u32 s5, s29, s5
	s_load_b32 s48, s[4:5], 0x0
.LBB7_9:
	s_cmp_lt_i32 s34, 1
	s_cbranch_scc1 .LBB7_92
; %bb.10:
	s_sub_i32 s3, 0, s8
	s_clause 0x1
	s_load_b64 s[4:5], s[0:1], 0x5c
	s_load_b128 s[44:47], s[0:1], 0x4c
	s_mul_i32 s3, s3, s10
	s_abs_i32 s6, s12
	s_mul_hi_u32 s3, s10, s3
	s_ashr_i32 s9, s9, 31
	s_add_i32 s10, s10, s3
	s_ashr_i32 s3, s12, 31
	s_mul_hi_u32 s7, s6, s10
	s_xor_b32 s3, s3, s9
	s_mul_i32 s10, s7, s8
	s_add_i32 s9, s7, 1
	s_sub_i32 s6, s6, s10
	s_load_b256 s[36:43], s[0:1], 0x2c
	s_sub_i32 s10, s6, s8
	s_cmp_ge_u32 s6, s8
	s_mov_b32 s29, 0
	s_cselect_b32 s7, s9, s7
	s_cselect_b32 s6, s10, s6
	s_add_i32 s9, s7, 1
	s_cmp_ge_u32 s6, s8
	s_waitcnt lgkmcnt(0)
	s_mul_i32 s28, s46, s14
	s_cselect_b32 s6, s9, s7
	v_lshlrev_b32_e32 v8, 2, v0
	s_xor_b32 s8, s6, s3
	s_lshl_b64 s[6:7], s[28:29], 1
	s_sub_i32 s3, s8, s3
	s_mul_i32 s28, s47, s12
	s_add_u32 s8, s24, s6
	s_addc_u32 s9, s25, s7
	s_lshl_b64 s[6:7], s[28:29], 1
	s_mul_i32 s28, s4, s14
	s_add_u32 s23, s8, s6
	s_addc_u32 s46, s9, s7
	s_lshl_b64 s[6:7], s[28:29], 1
	;; [unrolled: 4-line block ×3, first 2 shown]
	s_mul_i32 s28, s36, s12
	s_load_b128 s[24:27], s[0:1], 0x7c
	s_add_u32 s47, s6, s4
	s_addc_u32 s36, s7, s5
	s_load_b64 s[6:7], s[0:1], 0xc8
	s_lshl_b64 s[4:5], s[28:29], 2
	s_mul_i32 s28, s38, s14
	s_add_u32 s50, s16, s4
	s_addc_u32 s51, s17, s5
	s_lshl_b64 s[4:5], s[28:29], 1
	s_mul_i32 s28, s3, s41
	s_add_u32 s8, s18, s4
	v_mbcnt_lo_u32_b32 v1, -1, 0
	v_and_b32_e32 v2, 0x80, v8
	v_dual_mov_b32 v12, 0 :: v_dual_and_b32 v3, 32, v0
	s_addc_u32 s9, s19, s5
	s_lshl_b64 s[4:5], s[28:29], 1
	s_load_b64 s[10:11], s[0:1], 0x6c
	s_waitcnt lgkmcnt(0)
	s_add_u32 s27, s8, s4
	s_addc_u32 s41, s9, s5
	s_load_b32 s9, s[0:1], 0x28
	v_or_b32_e32 v9, v1, v2
	v_or_b32_e32 v4, v1, v3
	s_mul_i32 s28, s42, s14
	v_lshrrev_b32_e32 v5, 5, v2
	s_lshl_b64 s[4:5], s[28:29], 1
	s_mul_i32 s28, s3, s45
	v_or_b32_e32 v11, 0x60, v9
	v_lshrrev_b32_e32 v14, 3, v4
	s_add_u32 s8, s20, s4
	s_addc_u32 s3, s21, s5
	s_lshl_b64 s[4:5], s[28:29], 1
	s_mul_i32 s28, s2, s24
	s_add_u32 s45, s8, s4
	s_addc_u32 s52, s3, s5
	s_lshl_b64 s[0:1], s[28:29], 1
	v_or_b32_e32 v10, 64, v9
	v_lshrrev_b32_e32 v7, 5, v11
	v_and_b32_e32 v16, 6, v14
	s_mul_i32 s28, s25, s12
	s_add_u32 s2, s6, s0
	s_addc_u32 s3, s7, s1
	s_lshl_b64 s[0:1], s[28:29], 1
	v_lshrrev_b32_e32 v6, 5, v10
	s_add_u32 s53, s2, s0
	v_and_b32_e32 v7, 6, v7
	v_lshl_add_u32 v4, v4, 2, v16
	s_addc_u32 s54, s3, s1
	s_add_i32 s0, s34, 0x7ff
	v_add_lshl_u32 v5, v5, v9, 1
	s_lshr_b32 s55, s0, 11
	s_waitcnt lgkmcnt(0)
	s_bitcmp1_b32 s9, 0
	v_add_lshl_u32 v6, v6, v9, 1
	v_add_lshl_u32 v7, v7, v9, 1
	v_lshl_add_u32 v17, v4, 1, 0
	v_and_b32_e32 v4, 15, v1
	s_cselect_b32 s56, -1, 0
	s_cmp_gt_i32 s35, 0
	v_or_b32_e32 v3, 31, v3
	s_cselect_b32 s57, -1, 0
	s_add_i32 s0, 0, 0x210
	s_and_b32 s1, s34, 0xff
	v_add_nc_u32_e32 v18, s0, v5
	v_add_nc_u32_e32 v19, s0, v6
	s_cmp_eq_u32 s1, 0
	v_add_nc_u32_e32 v20, s0, v7
	v_cmp_ne_u32_e64 s0, 0, v4
	v_cmp_lt_u32_e64 s1, 1, v4
	v_cmp_lt_u32_e64 s2, 3, v4
	;; [unrolled: 1-line block ×3, first 2 shown]
	v_add_nc_u32_e32 v4, -1, v1
	s_mul_i32 s28, s10, s14
	s_cselect_b32 s58, -1, 0
	s_lshl_b64 s[14:15], s[28:29], 1
	s_add_i32 s59, s55, -1
	v_cmp_gt_i32_e32 vcc_lo, 0, v4
	s_mul_i32 s28, s11, s12
	v_add_nc_u32_e32 v14, 0, v5
	v_lshrrev_b32_e32 v5, 2, v0
	v_cmp_eq_u32_e64 s5, v3, v0
	v_cndmask_b32_e32 v4, v4, v1, vcc_lo
	v_and_b32_e32 v3, 1, v1
	v_cmp_gt_u32_e64 s6, 2, v0
	v_lshl_add_u32 v22, v0, 3, 0
	v_cmp_gt_u32_e64 s8, 32, v0
	v_cmp_lt_u32_e64 s9, 31, v0
	v_cmp_eq_u32_e64 s10, 0, v0
	s_add_u32 s14, s30, s14
	v_lshlrev_b32_e32 v0, 1, v1
	s_addc_u32 s11, s31, s15
	s_lshl_b64 s[12:13], s[28:29], 1
	v_cmp_eq_u32_e64 s7, 0, v3
	s_add_u32 s12, s14, s12
	s_addc_u32 s11, s11, s13
	v_lshlrev_b32_e32 v3, 1, v2
	v_add_co_u32 v0, s12, s12, v0
	v_add_nc_u32_e32 v15, 0, v6
	v_and_b32_e32 v6, 16, v1
	v_and_b32_e32 v5, 8, v5
	v_lshlrev_b32_e32 v23, 2, v4
	v_add_co_ci_u32_e64 v4, null, s11, 0, s12
	v_add_co_u32 v24, vcc_lo, v0, v3
	v_or_b32_e32 v13, 32, v9
	v_add_nc_u32_e32 v16, 0, v7
	v_cmp_ne_u32_e64 s4, 0, v6
	v_add_nc_u32_e32 v21, 0, v5
	v_cmp_eq_u32_e64 s11, 0, v1
	v_add_co_ci_u32_e32 v25, vcc_lo, 0, v4, vcc_lo
	v_or_b32_e32 v26, 1, v8
	v_or_b32_e32 v27, 2, v8
	;; [unrolled: 1-line block ×3, first 2 shown]
	v_lshlrev_b32_e32 v29, 1, v1
	v_lshlrev_b32_e32 v30, 1, v2
	s_mov_b32 s60, 0x3e9b6dac
	s_add_i32 s61, 0, 0x430
	s_mov_b32 s62, 0
	s_branch .LBB7_12
.LBB7_11:                               ;   in Loop: Header=BB7_12 Depth=1
	s_or_b32 exec_lo, exec_lo, s12
	s_add_u32 s47, s47, 0x200
	s_addc_u32 s36, s36, 0
	s_add_u32 s23, s23, 0x200
	s_addc_u32 s46, s46, 0
	;; [unrolled: 2-line block ×4, first 2 shown]
	s_add_i32 s62, s62, 1
	s_delay_alu instid0(SALU_CYCLE_1)
	s_cmp_eq_u32 s62, s55
	s_cbranch_scc1 .LBB7_92
.LBB7_12:                               ; =>This Loop Header: Depth=1
                                        ;     Child Loop BB7_37 Depth 2
	v_add_co_u32 v0, s12, s23, v29
	s_delay_alu instid0(VALU_DEP_1) | instskip(SKIP_1) | instid1(VALU_DEP_2)
	v_add_co_ci_u32_e64 v1, null, s46, 0, s12
	s_lshl_b32 s24, s62, 8
	v_add_co_u32 v0, vcc_lo, v0, v30
	s_sub_i32 s19, s34, s24
	s_delay_alu instid0(VALU_DEP_2)
	v_add_co_ci_u32_e32 v1, vcc_lo, 0, v1, vcc_lo
	v_cmp_gt_u32_e64 s12, s19, v9
	s_waitcnt lgkmcnt(0)
	v_mov_b32_e32 v2, 0
	s_waitcnt_vscnt null, 0x0
	s_barrier
	buffer_gl0_inv
	s_and_saveexec_b32 s13, s12
	s_cbranch_execz .LBB7_14
; %bb.13:                               ;   in Loop: Header=BB7_12 Depth=1
	global_load_u16 v2, v[0:1], off
.LBB7_14:                               ;   in Loop: Header=BB7_12 Depth=1
	s_or_b32 exec_lo, exec_lo, s13
	v_cmp_gt_u32_e64 s13, s19, v13
	v_mov_b32_e32 v3, 0
	v_mov_b32_e32 v5, 0
	s_delay_alu instid0(VALU_DEP_3)
	s_and_saveexec_b32 s14, s13
	s_cbranch_execz .LBB7_16
; %bb.15:                               ;   in Loop: Header=BB7_12 Depth=1
	global_load_u16 v5, v[0:1], off offset:64
.LBB7_16:                               ;   in Loop: Header=BB7_12 Depth=1
	s_or_b32 exec_lo, exec_lo, s14
	v_cmp_gt_u32_e64 s14, s19, v10
	s_delay_alu instid0(VALU_DEP_1)
	s_and_saveexec_b32 s15, s14
	s_cbranch_execz .LBB7_18
; %bb.17:                               ;   in Loop: Header=BB7_12 Depth=1
	global_load_u16 v3, v[0:1], off offset:128
.LBB7_18:                               ;   in Loop: Header=BB7_12 Depth=1
	s_or_b32 exec_lo, exec_lo, s15
	v_cmp_gt_u32_e64 s15, s19, v11
	v_mov_b32_e32 v4, 0
	v_mov_b32_e32 v6, 0
	s_delay_alu instid0(VALU_DEP_3)
	s_and_saveexec_b32 s16, s15
	s_cbranch_execz .LBB7_20
; %bb.19:                               ;   in Loop: Header=BB7_12 Depth=1
	global_load_u16 v6, v[0:1], off offset:192
.LBB7_20:                               ;   in Loop: Header=BB7_12 Depth=1
	s_or_b32 exec_lo, exec_lo, s16
	s_waitcnt vmcnt(0)
	ds_store_b16 v14, v2
	ds_store_b16 v14, v5 offset:64
	ds_store_b16 v15, v3 offset:128
	;; [unrolled: 1-line block ×3, first 2 shown]
	; wave barrier
	ds_load_b64 v[0:1], v17
	v_add_co_u32 v2, s16, s47, v29
	s_delay_alu instid0(VALU_DEP_1) | instskip(SKIP_1) | instid1(VALU_DEP_2)
	v_add_co_ci_u32_e64 v3, null, s36, 0, s16
	s_waitcnt lgkmcnt(0)
	v_add_co_u32 v2, vcc_lo, v2, v30
	s_delay_alu instid0(VALU_DEP_2)
	v_add_co_ci_u32_e32 v3, vcc_lo, 0, v3, vcc_lo
	s_barrier
	buffer_gl0_inv
	s_and_saveexec_b32 s16, s12
	s_cbranch_execz .LBB7_22
; %bb.21:                               ;   in Loop: Header=BB7_12 Depth=1
	global_load_u16 v4, v[2:3], off
.LBB7_22:                               ;   in Loop: Header=BB7_12 Depth=1
	s_or_b32 exec_lo, exec_lo, s16
	v_dual_mov_b32 v5, 0 :: v_dual_mov_b32 v6, 0
	s_and_saveexec_b32 s16, s13
	s_cbranch_execnz .LBB7_86
; %bb.23:                               ;   in Loop: Header=BB7_12 Depth=1
	s_or_b32 exec_lo, exec_lo, s16
	s_and_saveexec_b32 s16, s14
	s_cbranch_execnz .LBB7_87
.LBB7_24:                               ;   in Loop: Header=BB7_12 Depth=1
	s_or_b32 exec_lo, exec_lo, s16
	v_mov_b32_e32 v7, 0
	s_and_saveexec_b32 s16, s15
	s_cbranch_execz .LBB7_26
.LBB7_25:                               ;   in Loop: Header=BB7_12 Depth=1
	global_load_u16 v7, v[2:3], off offset:192
.LBB7_26:                               ;   in Loop: Header=BB7_12 Depth=1
	s_or_b32 exec_lo, exec_lo, s16
	s_waitcnt vmcnt(0)
	ds_store_b16 v14, v4
	ds_store_b16 v14, v6 offset:64
	ds_store_b16 v15, v5 offset:128
	;; [unrolled: 1-line block ×3, first 2 shown]
	; wave barrier
	ds_load_b64 v[2:3], v17
	s_waitcnt lgkmcnt(0)
	v_lshlrev_b32_e32 v4, 16, v2
	s_delay_alu instid0(VALU_DEP_1) | instskip(NEXT) | instid1(VALU_DEP_1)
	v_add_f32_e32 v31, s48, v4
	v_cmp_ge_f32_e32 vcc_lo, 0x41a00000, v31
	s_and_b32 s16, s56, vcc_lo
	s_delay_alu instid0(SALU_CYCLE_1)
	s_and_saveexec_b32 s17, s16
	s_cbranch_execz .LBB7_28
; %bb.27:                               ;   in Loop: Header=BB7_12 Depth=1
	v_mul_f32_e32 v4, 0x3fb8aa3b, v31
	v_cmp_ngt_f32_e32 vcc_lo, 0xc2ce8ed0, v31
	s_delay_alu instid0(VALU_DEP_2) | instskip(SKIP_1) | instid1(VALU_DEP_2)
	v_rndne_f32_e32 v5, v4
	v_fma_f32 v6, 0x3fb8aa3b, v31, -v4
	v_sub_f32_e32 v4, v4, v5
	s_delay_alu instid0(VALU_DEP_2) | instskip(SKIP_1) | instid1(VALU_DEP_2)
	v_fmac_f32_e32 v6, 0x32a5705f, v31
	v_cvt_i32_f32_e32 v5, v5
	v_add_f32_e32 v4, v4, v6
	s_delay_alu instid0(VALU_DEP_1) | instskip(SKIP_2) | instid1(VALU_DEP_1)
	v_exp_f32_e32 v4, v4
	s_waitcnt_depctr 0xfff
	v_ldexp_f32 v4, v4, v5
	v_cndmask_b32_e32 v4, 0, v4, vcc_lo
	v_cmp_nlt_f32_e32 vcc_lo, 0x42b17218, v31
	s_delay_alu instid0(VALU_DEP_2) | instskip(NEXT) | instid1(VALU_DEP_1)
	v_cndmask_b32_e32 v6, 0x7f800000, v4, vcc_lo
	v_add_f32_e32 v7, 1.0, v6
	s_delay_alu instid0(VALU_DEP_1) | instskip(NEXT) | instid1(VALU_DEP_1)
	v_cvt_f64_f32_e32 v[4:5], v7
	v_frexp_exp_i32_f64_e32 v4, v[4:5]
	v_frexp_mant_f32_e32 v5, v7
	s_delay_alu instid0(VALU_DEP_1) | instskip(SKIP_1) | instid1(VALU_DEP_1)
	v_cmp_gt_f32_e32 vcc_lo, 0x3f2aaaab, v5
	v_add_f32_e32 v5, -1.0, v7
	v_dual_sub_f32 v32, v5, v7 :: v_dual_sub_f32 v5, v6, v5
	s_delay_alu instid0(VALU_DEP_1) | instskip(NEXT) | instid1(VALU_DEP_1)
	v_add_f32_e32 v32, 1.0, v32
	v_add_f32_e32 v5, v5, v32
	v_subrev_co_ci_u32_e32 v4, vcc_lo, 0, v4, vcc_lo
	s_delay_alu instid0(VALU_DEP_1) | instskip(SKIP_1) | instid1(VALU_DEP_2)
	v_sub_nc_u32_e32 v31, 0, v4
	v_cvt_f32_i32_e32 v4, v4
	v_ldexp_f32 v7, v7, v31
	v_ldexp_f32 v5, v5, v31
	s_delay_alu instid0(VALU_DEP_2) | instskip(SKIP_3) | instid1(VALU_DEP_4)
	v_add_f32_e32 v33, 1.0, v7
	v_add_f32_e32 v31, -1.0, v7
	v_cmp_eq_f32_e32 vcc_lo, 0x7f800000, v6
	v_cmp_gt_f32_e64 s16, 0x33800000, v6
	v_add_f32_e32 v32, -1.0, v33
	s_delay_alu instid0(VALU_DEP_4) | instskip(NEXT) | instid1(VALU_DEP_3)
	v_add_f32_e32 v34, 1.0, v31
	s_or_b32 vcc_lo, s16, vcc_lo
	s_delay_alu instid0(VALU_DEP_2) | instskip(NEXT) | instid1(VALU_DEP_1)
	v_sub_f32_e32 v32, v7, v32
	v_dual_sub_f32 v7, v7, v34 :: v_dual_add_f32 v32, v5, v32
	s_delay_alu instid0(VALU_DEP_1) | instskip(NEXT) | instid1(VALU_DEP_1)
	v_add_f32_e32 v5, v5, v7
	v_dual_add_f32 v35, v31, v5 :: v_dual_add_f32 v34, v33, v32
	s_delay_alu instid0(VALU_DEP_1) | instskip(NEXT) | instid1(VALU_DEP_2)
	v_sub_f32_e32 v31, v31, v35
	v_rcp_f32_e32 v7, v34
	v_sub_f32_e32 v33, v33, v34
	s_delay_alu instid0(VALU_DEP_1) | instskip(SKIP_2) | instid1(VALU_DEP_1)
	v_dual_add_f32 v5, v5, v31 :: v_dual_add_f32 v32, v32, v33
	s_waitcnt_depctr 0xfff
	v_mul_f32_e32 v36, v35, v7
	v_mul_f32_e32 v37, v34, v36
	s_delay_alu instid0(VALU_DEP_1) | instskip(NEXT) | instid1(VALU_DEP_1)
	v_fma_f32 v33, v36, v34, -v37
	v_fmac_f32_e32 v33, v36, v32
	s_delay_alu instid0(VALU_DEP_1) | instskip(NEXT) | instid1(VALU_DEP_1)
	v_add_f32_e32 v38, v37, v33
	v_sub_f32_e32 v39, v35, v38
	s_delay_alu instid0(VALU_DEP_1) | instskip(SKIP_1) | instid1(VALU_DEP_2)
	v_sub_f32_e32 v35, v35, v39
	v_sub_f32_e32 v31, v38, v37
	;; [unrolled: 1-line block ×3, first 2 shown]
	s_delay_alu instid0(VALU_DEP_2) | instskip(NEXT) | instid1(VALU_DEP_2)
	v_sub_f32_e32 v31, v31, v33
	v_add_f32_e32 v5, v5, v35
	s_delay_alu instid0(VALU_DEP_1) | instskip(NEXT) | instid1(VALU_DEP_1)
	v_add_f32_e32 v5, v31, v5
	v_add_f32_e32 v31, v39, v5
	s_delay_alu instid0(VALU_DEP_1) | instskip(NEXT) | instid1(VALU_DEP_1)
	v_mul_f32_e32 v33, v7, v31
	v_dual_sub_f32 v38, v39, v31 :: v_dual_mul_f32 v35, v34, v33
	s_delay_alu instid0(VALU_DEP_1) | instskip(NEXT) | instid1(VALU_DEP_2)
	v_add_f32_e32 v5, v5, v38
	v_fma_f32 v34, v33, v34, -v35
	s_delay_alu instid0(VALU_DEP_1) | instskip(NEXT) | instid1(VALU_DEP_1)
	v_fmac_f32_e32 v34, v33, v32
	v_add_f32_e32 v32, v35, v34
	s_delay_alu instid0(VALU_DEP_1) | instskip(SKIP_1) | instid1(VALU_DEP_2)
	v_sub_f32_e32 v37, v31, v32
	v_sub_f32_e32 v35, v32, v35
	;; [unrolled: 1-line block ×3, first 2 shown]
	s_delay_alu instid0(VALU_DEP_1) | instskip(NEXT) | instid1(VALU_DEP_1)
	v_sub_f32_e32 v31, v31, v32
	v_dual_sub_f32 v32, v35, v34 :: v_dual_add_f32 v5, v5, v31
	v_add_f32_e32 v31, v36, v33
	s_delay_alu instid0(VALU_DEP_1) | instskip(NEXT) | instid1(VALU_DEP_1)
	v_dual_add_f32 v5, v32, v5 :: v_dual_sub_f32 v32, v31, v36
	v_add_f32_e32 v5, v37, v5
	s_delay_alu instid0(VALU_DEP_1) | instskip(NEXT) | instid1(VALU_DEP_1)
	v_dual_sub_f32 v32, v33, v32 :: v_dual_mul_f32 v5, v7, v5
	v_add_f32_e32 v5, v32, v5
	s_delay_alu instid0(VALU_DEP_1) | instskip(NEXT) | instid1(VALU_DEP_1)
	v_add_f32_e32 v7, v31, v5
	v_mul_f32_e32 v32, v7, v7
	s_delay_alu instid0(VALU_DEP_1) | instskip(SKIP_1) | instid1(VALU_DEP_2)
	v_fmaak_f32 v33, s60, v32, 0x3ecc95a3
	v_mul_f32_e32 v34, v7, v32
	v_fmaak_f32 v32, v32, v33, 0x3f2aaada
	v_ldexp_f32 v33, v7, 1
	s_delay_alu instid0(VALU_DEP_2) | instskip(NEXT) | instid1(VALU_DEP_1)
	v_dual_sub_f32 v7, v7, v31 :: v_dual_mul_f32 v32, v34, v32
	v_dual_mul_f32 v34, 0x3f317218, v4 :: v_dual_sub_f32 v5, v5, v7
	s_delay_alu instid0(VALU_DEP_2) | instskip(NEXT) | instid1(VALU_DEP_2)
	v_add_f32_e32 v31, v33, v32
	v_ldexp_f32 v5, v5, 1
	s_delay_alu instid0(VALU_DEP_2) | instskip(NEXT) | instid1(VALU_DEP_4)
	v_sub_f32_e32 v7, v31, v33
	v_fma_f32 v33, 0x3f317218, v4, -v34
	s_delay_alu instid0(VALU_DEP_2) | instskip(NEXT) | instid1(VALU_DEP_1)
	v_sub_f32_e32 v7, v32, v7
	v_dual_fmac_f32 v33, 0xb102e308, v4 :: v_dual_add_f32 v4, v5, v7
	s_delay_alu instid0(VALU_DEP_1) | instskip(NEXT) | instid1(VALU_DEP_1)
	v_add_f32_e32 v5, v34, v33
	v_dual_add_f32 v7, v31, v4 :: v_dual_sub_f32 v34, v5, v34
	s_delay_alu instid0(VALU_DEP_1) | instskip(SKIP_1) | instid1(VALU_DEP_3)
	v_add_f32_e32 v32, v5, v7
	v_sub_f32_e32 v31, v7, v31
	v_sub_f32_e32 v33, v33, v34
	s_delay_alu instid0(VALU_DEP_3) | instskip(NEXT) | instid1(VALU_DEP_3)
	v_sub_f32_e32 v35, v32, v5
	v_sub_f32_e32 v4, v4, v31
	s_delay_alu instid0(VALU_DEP_2) | instskip(SKIP_1) | instid1(VALU_DEP_3)
	v_sub_f32_e32 v36, v32, v35
	v_sub_f32_e32 v7, v7, v35
	v_add_f32_e32 v31, v33, v4
	s_delay_alu instid0(VALU_DEP_3) | instskip(NEXT) | instid1(VALU_DEP_1)
	v_sub_f32_e32 v5, v5, v36
	v_add_f32_e32 v5, v7, v5
	s_delay_alu instid0(VALU_DEP_3) | instskip(NEXT) | instid1(VALU_DEP_1)
	v_sub_f32_e32 v7, v31, v33
	v_dual_add_f32 v5, v31, v5 :: v_dual_sub_f32 v4, v4, v7
	s_delay_alu instid0(VALU_DEP_1) | instskip(NEXT) | instid1(VALU_DEP_1)
	v_dual_sub_f32 v31, v31, v7 :: v_dual_add_f32 v34, v32, v5
	v_sub_f32_e32 v31, v33, v31
	s_delay_alu instid0(VALU_DEP_1) | instskip(NEXT) | instid1(VALU_DEP_1)
	v_dual_sub_f32 v7, v34, v32 :: v_dual_add_f32 v4, v4, v31
	v_sub_f32_e32 v5, v5, v7
	s_delay_alu instid0(VALU_DEP_1) | instskip(NEXT) | instid1(VALU_DEP_1)
	v_add_f32_e32 v4, v4, v5
	v_add_f32_e32 v4, v34, v4
	s_delay_alu instid0(VALU_DEP_1)
	v_cndmask_b32_e32 v31, v4, v6, vcc_lo
.LBB7_28:                               ;   in Loop: Header=BB7_12 Depth=1
	s_or_b32 exec_lo, exec_lo, s17
	v_and_b32_e32 v2, 0xffff0000, v2
	s_delay_alu instid0(VALU_DEP_1) | instskip(NEXT) | instid1(VALU_DEP_1)
	v_add_f32_e32 v32, s48, v2
	v_cmp_ge_f32_e32 vcc_lo, 0x41a00000, v32
	s_and_b32 s16, s56, vcc_lo
	s_delay_alu instid0(SALU_CYCLE_1)
	s_and_saveexec_b32 s17, s16
	s_cbranch_execz .LBB7_30
; %bb.29:                               ;   in Loop: Header=BB7_12 Depth=1
	v_mul_f32_e32 v2, 0x3fb8aa3b, v32
	v_cmp_ngt_f32_e32 vcc_lo, 0xc2ce8ed0, v32
	s_delay_alu instid0(VALU_DEP_2) | instskip(SKIP_1) | instid1(VALU_DEP_2)
	v_rndne_f32_e32 v4, v2
	v_fma_f32 v5, 0x3fb8aa3b, v32, -v2
	v_sub_f32_e32 v2, v2, v4
	s_delay_alu instid0(VALU_DEP_2) | instskip(SKIP_1) | instid1(VALU_DEP_2)
	v_fmac_f32_e32 v5, 0x32a5705f, v32
	v_cvt_i32_f32_e32 v4, v4
	v_add_f32_e32 v2, v2, v5
	s_delay_alu instid0(VALU_DEP_1) | instskip(SKIP_2) | instid1(VALU_DEP_1)
	v_exp_f32_e32 v2, v2
	s_waitcnt_depctr 0xfff
	v_ldexp_f32 v2, v2, v4
	v_cndmask_b32_e32 v2, 0, v2, vcc_lo
	v_cmp_nlt_f32_e32 vcc_lo, 0x42b17218, v32
	s_delay_alu instid0(VALU_DEP_2) | instskip(NEXT) | instid1(VALU_DEP_1)
	v_cndmask_b32_e32 v2, 0x7f800000, v2, vcc_lo
	v_add_f32_e32 v6, 1.0, v2
	s_delay_alu instid0(VALU_DEP_1) | instskip(NEXT) | instid1(VALU_DEP_1)
	v_cvt_f64_f32_e32 v[4:5], v6
	v_frexp_exp_i32_f64_e32 v4, v[4:5]
	v_frexp_mant_f32_e32 v5, v6
	s_delay_alu instid0(VALU_DEP_1) | instskip(SKIP_1) | instid1(VALU_DEP_1)
	v_cmp_gt_f32_e32 vcc_lo, 0x3f2aaaab, v5
	v_add_f32_e32 v5, -1.0, v6
	v_dual_sub_f32 v32, v5, v6 :: v_dual_sub_f32 v5, v2, v5
	v_subrev_co_ci_u32_e32 v4, vcc_lo, 0, v4, vcc_lo
	s_delay_alu instid0(VALU_DEP_1) | instskip(SKIP_1) | instid1(VALU_DEP_2)
	v_sub_nc_u32_e32 v7, 0, v4
	v_cvt_f32_i32_e32 v4, v4
	v_ldexp_f32 v6, v6, v7
	s_delay_alu instid0(VALU_DEP_1) | instskip(NEXT) | instid1(VALU_DEP_1)
	v_dual_add_f32 v32, 1.0, v32 :: v_dual_add_f32 v33, 1.0, v6
	v_add_f32_e32 v5, v5, v32
	s_delay_alu instid0(VALU_DEP_1) | instskip(NEXT) | instid1(VALU_DEP_3)
	v_ldexp_f32 v5, v5, v7
	v_dual_add_f32 v7, -1.0, v6 :: v_dual_add_f32 v32, -1.0, v33
	s_delay_alu instid0(VALU_DEP_1) | instskip(NEXT) | instid1(VALU_DEP_2)
	v_add_f32_e32 v34, 1.0, v7
	v_sub_f32_e32 v32, v6, v32
	s_delay_alu instid0(VALU_DEP_2) | instskip(NEXT) | instid1(VALU_DEP_2)
	v_sub_f32_e32 v6, v6, v34
	v_add_f32_e32 v32, v5, v32
	s_delay_alu instid0(VALU_DEP_2) | instskip(NEXT) | instid1(VALU_DEP_1)
	v_add_f32_e32 v5, v5, v6
	v_dual_add_f32 v35, v7, v5 :: v_dual_add_f32 v34, v33, v32
	v_cmp_eq_f32_e32 vcc_lo, 0x7f800000, v2
	v_cmp_gt_f32_e64 s16, 0x33800000, v2
	s_delay_alu instid0(VALU_DEP_3) | instskip(NEXT) | instid1(VALU_DEP_4)
	v_sub_f32_e32 v7, v7, v35
	v_rcp_f32_e32 v6, v34
	v_sub_f32_e32 v33, v33, v34
	s_delay_alu instid0(VALU_DEP_3) | instskip(NEXT) | instid1(VALU_DEP_1)
	s_or_b32 vcc_lo, s16, vcc_lo
	v_dual_add_f32 v5, v5, v7 :: v_dual_add_f32 v32, v32, v33
	s_waitcnt_depctr 0xfff
	v_mul_f32_e32 v36, v35, v6
	s_delay_alu instid0(VALU_DEP_1) | instskip(NEXT) | instid1(VALU_DEP_1)
	v_mul_f32_e32 v37, v34, v36
	v_fma_f32 v33, v36, v34, -v37
	s_delay_alu instid0(VALU_DEP_1) | instskip(NEXT) | instid1(VALU_DEP_1)
	v_fmac_f32_e32 v33, v36, v32
	v_add_f32_e32 v38, v37, v33
	s_delay_alu instid0(VALU_DEP_1) | instskip(NEXT) | instid1(VALU_DEP_1)
	v_sub_f32_e32 v39, v35, v38
	v_sub_f32_e32 v35, v35, v39
	s_delay_alu instid0(VALU_DEP_1) | instskip(SKIP_1) | instid1(VALU_DEP_2)
	v_sub_f32_e32 v35, v35, v38
	v_sub_f32_e32 v7, v38, v37
	v_add_f32_e32 v5, v5, v35
	s_delay_alu instid0(VALU_DEP_2) | instskip(NEXT) | instid1(VALU_DEP_1)
	v_sub_f32_e32 v7, v7, v33
	v_add_f32_e32 v5, v7, v5
	s_delay_alu instid0(VALU_DEP_1) | instskip(NEXT) | instid1(VALU_DEP_1)
	v_add_f32_e32 v7, v39, v5
	v_mul_f32_e32 v33, v6, v7
	s_delay_alu instid0(VALU_DEP_1) | instskip(NEXT) | instid1(VALU_DEP_1)
	v_dual_sub_f32 v38, v39, v7 :: v_dual_mul_f32 v35, v34, v33
	v_add_f32_e32 v5, v5, v38
	s_delay_alu instid0(VALU_DEP_2) | instskip(NEXT) | instid1(VALU_DEP_1)
	v_fma_f32 v34, v33, v34, -v35
	v_fmac_f32_e32 v34, v33, v32
	s_delay_alu instid0(VALU_DEP_1) | instskip(NEXT) | instid1(VALU_DEP_1)
	v_add_f32_e32 v32, v35, v34
	v_sub_f32_e32 v37, v7, v32
	s_delay_alu instid0(VALU_DEP_1) | instskip(NEXT) | instid1(VALU_DEP_1)
	v_sub_f32_e32 v7, v7, v37
	v_sub_f32_e32 v7, v7, v32
	s_delay_alu instid0(VALU_DEP_1) | instskip(SKIP_2) | instid1(VALU_DEP_1)
	v_add_f32_e32 v5, v5, v7
	v_add_f32_e32 v7, v36, v33
	v_sub_f32_e32 v35, v32, v35
	v_sub_f32_e32 v32, v35, v34
	s_delay_alu instid0(VALU_DEP_1) | instskip(NEXT) | instid1(VALU_DEP_1)
	v_dual_add_f32 v5, v32, v5 :: v_dual_sub_f32 v32, v7, v36
	v_add_f32_e32 v5, v37, v5
	s_delay_alu instid0(VALU_DEP_1) | instskip(NEXT) | instid1(VALU_DEP_1)
	v_dual_sub_f32 v32, v33, v32 :: v_dual_mul_f32 v5, v6, v5
	v_add_f32_e32 v5, v32, v5
	s_delay_alu instid0(VALU_DEP_1) | instskip(NEXT) | instid1(VALU_DEP_1)
	v_add_f32_e32 v6, v7, v5
	v_mul_f32_e32 v32, v6, v6
	s_delay_alu instid0(VALU_DEP_1) | instskip(SKIP_1) | instid1(VALU_DEP_2)
	v_fmaak_f32 v33, s60, v32, 0x3ecc95a3
	v_mul_f32_e32 v34, v6, v32
	v_fmaak_f32 v32, v32, v33, 0x3f2aaada
	v_ldexp_f32 v33, v6, 1
	v_sub_f32_e32 v6, v6, v7
	s_delay_alu instid0(VALU_DEP_3) | instskip(SKIP_1) | instid1(VALU_DEP_2)
	v_mul_f32_e32 v32, v34, v32
	v_mul_f32_e32 v34, 0x3f317218, v4
	v_add_f32_e32 v7, v33, v32
	s_delay_alu instid0(VALU_DEP_1) | instskip(NEXT) | instid1(VALU_DEP_3)
	v_dual_sub_f32 v5, v5, v6 :: v_dual_sub_f32 v6, v7, v33
	v_fma_f32 v33, 0x3f317218, v4, -v34
	s_delay_alu instid0(VALU_DEP_2) | instskip(NEXT) | instid1(VALU_DEP_2)
	v_ldexp_f32 v5, v5, 1
	v_dual_sub_f32 v6, v32, v6 :: v_dual_fmac_f32 v33, 0xb102e308, v4
	s_delay_alu instid0(VALU_DEP_1) | instskip(NEXT) | instid1(VALU_DEP_1)
	v_dual_add_f32 v4, v5, v6 :: v_dual_add_f32 v5, v34, v33
	v_add_f32_e32 v6, v7, v4
	s_delay_alu instid0(VALU_DEP_1) | instskip(NEXT) | instid1(VALU_DEP_1)
	v_add_f32_e32 v32, v5, v6
	v_sub_f32_e32 v35, v32, v5
	s_delay_alu instid0(VALU_DEP_1) | instskip(SKIP_2) | instid1(VALU_DEP_2)
	v_sub_f32_e32 v36, v32, v35
	v_sub_f32_e32 v7, v6, v7
	;; [unrolled: 1-line block ×5, first 2 shown]
	s_delay_alu instid0(VALU_DEP_1) | instskip(NEXT) | instid1(VALU_DEP_1)
	v_sub_f32_e32 v33, v33, v34
	v_add_f32_e32 v7, v33, v4
	v_sub_f32_e32 v5, v5, v36
	s_delay_alu instid0(VALU_DEP_1) | instskip(NEXT) | instid1(VALU_DEP_3)
	v_add_f32_e32 v5, v6, v5
	v_sub_f32_e32 v6, v7, v33
	s_delay_alu instid0(VALU_DEP_1) | instskip(NEXT) | instid1(VALU_DEP_1)
	v_dual_sub_f32 v4, v4, v6 :: v_dual_add_f32 v5, v7, v5
	v_dual_sub_f32 v7, v7, v6 :: v_dual_add_f32 v34, v32, v5
	s_delay_alu instid0(VALU_DEP_1) | instskip(NEXT) | instid1(VALU_DEP_1)
	v_dual_sub_f32 v7, v33, v7 :: v_dual_sub_f32 v6, v34, v32
	v_dual_add_f32 v4, v4, v7 :: v_dual_sub_f32 v5, v5, v6
	s_delay_alu instid0(VALU_DEP_1) | instskip(NEXT) | instid1(VALU_DEP_1)
	v_add_f32_e32 v4, v4, v5
	v_add_f32_e32 v4, v34, v4
	s_delay_alu instid0(VALU_DEP_1)
	v_cndmask_b32_e32 v32, v4, v2, vcc_lo
.LBB7_30:                               ;   in Loop: Header=BB7_12 Depth=1
	s_or_b32 exec_lo, exec_lo, s17
	v_lshlrev_b32_e32 v2, 16, v3
	s_delay_alu instid0(VALU_DEP_1) | instskip(NEXT) | instid1(VALU_DEP_1)
	v_add_f32_e32 v33, s48, v2
	v_cmp_ge_f32_e32 vcc_lo, 0x41a00000, v33
	s_and_b32 s16, s56, vcc_lo
	s_delay_alu instid0(SALU_CYCLE_1)
	s_and_saveexec_b32 s17, s16
	s_cbranch_execz .LBB7_32
; %bb.31:                               ;   in Loop: Header=BB7_12 Depth=1
	v_mul_f32_e32 v2, 0x3fb8aa3b, v33
	v_cmp_ngt_f32_e32 vcc_lo, 0xc2ce8ed0, v33
	s_delay_alu instid0(VALU_DEP_2) | instskip(SKIP_1) | instid1(VALU_DEP_1)
	v_rndne_f32_e32 v4, v2
	v_fma_f32 v5, 0x3fb8aa3b, v33, -v2
	v_dual_sub_f32 v2, v2, v4 :: v_dual_fmac_f32 v5, 0x32a5705f, v33
	v_cvt_i32_f32_e32 v4, v4
	s_delay_alu instid0(VALU_DEP_2) | instskip(NEXT) | instid1(VALU_DEP_1)
	v_add_f32_e32 v2, v2, v5
	v_exp_f32_e32 v2, v2
	s_waitcnt_depctr 0xfff
	v_ldexp_f32 v2, v2, v4
	s_delay_alu instid0(VALU_DEP_1) | instskip(SKIP_1) | instid1(VALU_DEP_2)
	v_cndmask_b32_e32 v2, 0, v2, vcc_lo
	v_cmp_nlt_f32_e32 vcc_lo, 0x42b17218, v33
	v_cndmask_b32_e32 v2, 0x7f800000, v2, vcc_lo
	s_delay_alu instid0(VALU_DEP_1) | instskip(NEXT) | instid1(VALU_DEP_1)
	v_add_f32_e32 v6, 1.0, v2
	v_cvt_f64_f32_e32 v[4:5], v6
	s_delay_alu instid0(VALU_DEP_1) | instskip(SKIP_1) | instid1(VALU_DEP_1)
	v_frexp_exp_i32_f64_e32 v4, v[4:5]
	v_frexp_mant_f32_e32 v5, v6
	v_cmp_gt_f32_e32 vcc_lo, 0x3f2aaaab, v5
	v_add_f32_e32 v5, -1.0, v6
	s_delay_alu instid0(VALU_DEP_1) | instskip(SKIP_1) | instid1(VALU_DEP_2)
	v_sub_f32_e32 v33, v5, v6
	v_sub_f32_e32 v5, v2, v5
	v_add_f32_e32 v33, 1.0, v33
	s_delay_alu instid0(VALU_DEP_1) | instskip(SKIP_3) | instid1(VALU_DEP_2)
	v_add_f32_e32 v5, v5, v33
	v_cmp_gt_f32_e64 s16, 0x33800000, v2
	v_subrev_co_ci_u32_e32 v4, vcc_lo, 0, v4, vcc_lo
	v_cmp_eq_f32_e32 vcc_lo, 0x7f800000, v2
	v_sub_nc_u32_e32 v7, 0, v4
	v_cvt_f32_i32_e32 v4, v4
	s_or_b32 vcc_lo, s16, vcc_lo
	s_delay_alu instid0(VALU_DEP_2) | instskip(SKIP_1) | instid1(VALU_DEP_2)
	v_ldexp_f32 v6, v6, v7
	v_ldexp_f32 v5, v5, v7
	v_add_f32_e32 v34, 1.0, v6
	v_add_f32_e32 v7, -1.0, v6
	s_delay_alu instid0(VALU_DEP_1) | instskip(NEXT) | instid1(VALU_DEP_3)
	v_add_f32_e32 v35, 1.0, v7
	v_add_f32_e32 v33, -1.0, v34
	s_delay_alu instid0(VALU_DEP_1) | instskip(NEXT) | instid1(VALU_DEP_1)
	v_sub_f32_e32 v33, v6, v33
	v_dual_sub_f32 v6, v6, v35 :: v_dual_add_f32 v33, v5, v33
	s_delay_alu instid0(VALU_DEP_1) | instskip(NEXT) | instid1(VALU_DEP_2)
	v_add_f32_e32 v35, v34, v33
	v_add_f32_e32 v5, v5, v6
	s_delay_alu instid0(VALU_DEP_2) | instskip(SKIP_1) | instid1(VALU_DEP_1)
	v_rcp_f32_e32 v6, v35
	v_sub_f32_e32 v34, v34, v35
	v_dual_add_f32 v36, v7, v5 :: v_dual_add_f32 v33, v33, v34
	s_delay_alu instid0(VALU_DEP_1) | instskip(SKIP_2) | instid1(VALU_DEP_1)
	v_sub_f32_e32 v7, v7, v36
	s_waitcnt_depctr 0xfff
	v_mul_f32_e32 v37, v36, v6
	v_mul_f32_e32 v38, v35, v37
	s_delay_alu instid0(VALU_DEP_1) | instskip(NEXT) | instid1(VALU_DEP_1)
	v_fma_f32 v34, v37, v35, -v38
	v_fmac_f32_e32 v34, v37, v33
	s_delay_alu instid0(VALU_DEP_1) | instskip(NEXT) | instid1(VALU_DEP_1)
	v_add_f32_e32 v39, v38, v34
	v_sub_f32_e32 v40, v36, v39
	s_delay_alu instid0(VALU_DEP_1) | instskip(NEXT) | instid1(VALU_DEP_1)
	v_dual_sub_f32 v36, v36, v40 :: v_dual_add_f32 v5, v5, v7
	v_dual_sub_f32 v7, v39, v38 :: v_dual_sub_f32 v36, v36, v39
	s_delay_alu instid0(VALU_DEP_1) | instskip(NEXT) | instid1(VALU_DEP_2)
	v_sub_f32_e32 v7, v7, v34
	v_add_f32_e32 v5, v5, v36
	s_delay_alu instid0(VALU_DEP_1) | instskip(NEXT) | instid1(VALU_DEP_1)
	v_add_f32_e32 v5, v7, v5
	v_add_f32_e32 v7, v40, v5
	s_delay_alu instid0(VALU_DEP_1) | instskip(NEXT) | instid1(VALU_DEP_1)
	v_mul_f32_e32 v34, v6, v7
	v_dual_sub_f32 v39, v40, v7 :: v_dual_mul_f32 v36, v35, v34
	s_delay_alu instid0(VALU_DEP_1) | instskip(NEXT) | instid1(VALU_DEP_2)
	v_add_f32_e32 v5, v5, v39
	v_fma_f32 v35, v34, v35, -v36
	s_delay_alu instid0(VALU_DEP_1) | instskip(NEXT) | instid1(VALU_DEP_1)
	v_fmac_f32_e32 v35, v34, v33
	v_add_f32_e32 v33, v36, v35
	s_delay_alu instid0(VALU_DEP_1) | instskip(NEXT) | instid1(VALU_DEP_1)
	v_sub_f32_e32 v38, v7, v33
	v_dual_sub_f32 v36, v33, v36 :: v_dual_sub_f32 v7, v7, v38
	s_delay_alu instid0(VALU_DEP_1) | instskip(NEXT) | instid1(VALU_DEP_2)
	v_sub_f32_e32 v7, v7, v33
	v_sub_f32_e32 v33, v36, v35
	s_delay_alu instid0(VALU_DEP_2) | instskip(SKIP_1) | instid1(VALU_DEP_2)
	v_add_f32_e32 v5, v5, v7
	v_add_f32_e32 v7, v37, v34
	;; [unrolled: 1-line block ×3, first 2 shown]
	s_delay_alu instid0(VALU_DEP_2) | instskip(NEXT) | instid1(VALU_DEP_2)
	v_sub_f32_e32 v33, v7, v37
	v_add_f32_e32 v5, v38, v5
	s_delay_alu instid0(VALU_DEP_2) | instskip(NEXT) | instid1(VALU_DEP_2)
	v_sub_f32_e32 v33, v34, v33
	v_mul_f32_e32 v5, v6, v5
	s_delay_alu instid0(VALU_DEP_1) | instskip(NEXT) | instid1(VALU_DEP_1)
	v_add_f32_e32 v5, v33, v5
	v_add_f32_e32 v6, v7, v5
	s_delay_alu instid0(VALU_DEP_1) | instskip(NEXT) | instid1(VALU_DEP_1)
	v_mul_f32_e32 v33, v6, v6
	v_fmaak_f32 v34, s60, v33, 0x3ecc95a3
	v_mul_f32_e32 v35, v6, v33
	s_delay_alu instid0(VALU_DEP_2) | instskip(SKIP_1) | instid1(VALU_DEP_2)
	v_fmaak_f32 v33, v33, v34, 0x3f2aaada
	v_ldexp_f32 v34, v6, 1
	v_dual_sub_f32 v6, v6, v7 :: v_dual_mul_f32 v33, v35, v33
	v_mul_f32_e32 v35, 0x3f317218, v4
	s_delay_alu instid0(VALU_DEP_2) | instskip(NEXT) | instid1(VALU_DEP_3)
	v_sub_f32_e32 v5, v5, v6
	v_add_f32_e32 v7, v34, v33
	s_delay_alu instid0(VALU_DEP_2) | instskip(NEXT) | instid1(VALU_DEP_2)
	v_ldexp_f32 v5, v5, 1
	v_sub_f32_e32 v6, v7, v34
	v_fma_f32 v34, 0x3f317218, v4, -v35
	s_delay_alu instid0(VALU_DEP_2) | instskip(NEXT) | instid1(VALU_DEP_2)
	v_sub_f32_e32 v6, v33, v6
	v_fmac_f32_e32 v34, 0xb102e308, v4
	s_delay_alu instid0(VALU_DEP_2) | instskip(NEXT) | instid1(VALU_DEP_2)
	v_add_f32_e32 v4, v5, v6
	v_add_f32_e32 v5, v35, v34
	s_delay_alu instid0(VALU_DEP_1) | instskip(NEXT) | instid1(VALU_DEP_1)
	v_dual_add_f32 v6, v7, v4 :: v_dual_sub_f32 v35, v5, v35
	v_add_f32_e32 v33, v5, v6
	v_sub_f32_e32 v7, v6, v7
	s_delay_alu instid0(VALU_DEP_3) | instskip(NEXT) | instid1(VALU_DEP_3)
	v_sub_f32_e32 v34, v34, v35
	v_sub_f32_e32 v36, v33, v5
	s_delay_alu instid0(VALU_DEP_1) | instskip(SKIP_1) | instid1(VALU_DEP_2)
	v_dual_sub_f32 v4, v4, v7 :: v_dual_sub_f32 v37, v33, v36
	v_sub_f32_e32 v6, v6, v36
	v_add_f32_e32 v7, v34, v4
	s_delay_alu instid0(VALU_DEP_3) | instskip(NEXT) | instid1(VALU_DEP_1)
	v_sub_f32_e32 v5, v5, v37
	v_dual_add_f32 v5, v6, v5 :: v_dual_sub_f32 v6, v7, v34
	s_delay_alu instid0(VALU_DEP_1) | instskip(NEXT) | instid1(VALU_DEP_2)
	v_add_f32_e32 v5, v7, v5
	v_sub_f32_e32 v7, v7, v6
	s_delay_alu instid0(VALU_DEP_2) | instskip(NEXT) | instid1(VALU_DEP_1)
	v_dual_sub_f32 v4, v4, v6 :: v_dual_add_f32 v35, v33, v5
	v_dual_sub_f32 v7, v34, v7 :: v_dual_sub_f32 v6, v35, v33
	s_delay_alu instid0(VALU_DEP_1) | instskip(NEXT) | instid1(VALU_DEP_1)
	v_dual_add_f32 v4, v4, v7 :: v_dual_sub_f32 v5, v5, v6
	v_add_f32_e32 v4, v4, v5
	s_delay_alu instid0(VALU_DEP_1) | instskip(NEXT) | instid1(VALU_DEP_1)
	v_add_f32_e32 v4, v35, v4
	v_cndmask_b32_e32 v33, v4, v2, vcc_lo
.LBB7_32:                               ;   in Loop: Header=BB7_12 Depth=1
	s_or_b32 exec_lo, exec_lo, s17
	v_and_b32_e32 v2, 0xffff0000, v3
	s_delay_alu instid0(VALU_DEP_1) | instskip(NEXT) | instid1(VALU_DEP_1)
	v_add_f32_e32 v38, s48, v2
	v_cmp_ge_f32_e32 vcc_lo, 0x41a00000, v38
	s_and_b32 s16, s56, vcc_lo
	s_delay_alu instid0(SALU_CYCLE_1)
	s_and_saveexec_b32 s17, s16
	s_cbranch_execz .LBB7_34
; %bb.33:                               ;   in Loop: Header=BB7_12 Depth=1
	v_mul_f32_e32 v2, 0x3fb8aa3b, v38
	v_cmp_ngt_f32_e32 vcc_lo, 0xc2ce8ed0, v38
	s_delay_alu instid0(VALU_DEP_2) | instskip(SKIP_1) | instid1(VALU_DEP_2)
	v_rndne_f32_e32 v3, v2
	v_fma_f32 v4, 0x3fb8aa3b, v38, -v2
	v_sub_f32_e32 v2, v2, v3
	s_delay_alu instid0(VALU_DEP_2) | instskip(SKIP_1) | instid1(VALU_DEP_2)
	v_fmac_f32_e32 v4, 0x32a5705f, v38
	v_cvt_i32_f32_e32 v3, v3
	v_add_f32_e32 v2, v2, v4
	s_delay_alu instid0(VALU_DEP_1) | instskip(SKIP_2) | instid1(VALU_DEP_1)
	v_exp_f32_e32 v2, v2
	s_waitcnt_depctr 0xfff
	v_ldexp_f32 v2, v2, v3
	v_cndmask_b32_e32 v2, 0, v2, vcc_lo
	v_cmp_nlt_f32_e32 vcc_lo, 0x42b17218, v38
	s_delay_alu instid0(VALU_DEP_2) | instskip(NEXT) | instid1(VALU_DEP_1)
	v_cndmask_b32_e32 v4, 0x7f800000, v2, vcc_lo
	v_add_f32_e32 v5, 1.0, v4
	s_delay_alu instid0(VALU_DEP_1) | instskip(NEXT) | instid1(VALU_DEP_1)
	v_cvt_f64_f32_e32 v[2:3], v5
	v_frexp_exp_i32_f64_e32 v2, v[2:3]
	v_frexp_mant_f32_e32 v3, v5
	s_delay_alu instid0(VALU_DEP_1) | instskip(SKIP_1) | instid1(VALU_DEP_1)
	v_cmp_gt_f32_e32 vcc_lo, 0x3f2aaaab, v3
	v_add_f32_e32 v3, -1.0, v5
	v_sub_f32_e32 v7, v3, v5
	v_sub_f32_e32 v3, v4, v3
	s_delay_alu instid0(VALU_DEP_2) | instskip(NEXT) | instid1(VALU_DEP_1)
	v_add_f32_e32 v7, 1.0, v7
	v_add_f32_e32 v3, v3, v7
	v_cmp_gt_f32_e64 s16, 0x33800000, v4
	v_subrev_co_ci_u32_e32 v2, vcc_lo, 0, v2, vcc_lo
	v_cmp_eq_f32_e32 vcc_lo, 0x7f800000, v4
	s_delay_alu instid0(VALU_DEP_2) | instskip(SKIP_2) | instid1(VALU_DEP_2)
	v_sub_nc_u32_e32 v6, 0, v2
	v_cvt_f32_i32_e32 v2, v2
	s_or_b32 vcc_lo, s16, vcc_lo
	v_ldexp_f32 v5, v5, v6
	v_ldexp_f32 v3, v3, v6
	s_delay_alu instid0(VALU_DEP_2) | instskip(NEXT) | instid1(VALU_DEP_1)
	v_add_f32_e32 v34, 1.0, v5
	v_dual_add_f32 v6, -1.0, v5 :: v_dual_add_f32 v7, -1.0, v34
	s_delay_alu instid0(VALU_DEP_1) | instskip(NEXT) | instid1(VALU_DEP_2)
	v_add_f32_e32 v35, 1.0, v6
	v_sub_f32_e32 v7, v5, v7
	s_delay_alu instid0(VALU_DEP_2) | instskip(NEXT) | instid1(VALU_DEP_2)
	v_sub_f32_e32 v5, v5, v35
	v_add_f32_e32 v7, v3, v7
	s_delay_alu instid0(VALU_DEP_2) | instskip(NEXT) | instid1(VALU_DEP_1)
	v_add_f32_e32 v3, v3, v5
	v_add_f32_e32 v36, v6, v3
	s_delay_alu instid0(VALU_DEP_1) | instskip(NEXT) | instid1(VALU_DEP_4)
	v_sub_f32_e32 v6, v6, v36
	v_add_f32_e32 v35, v34, v7
	s_delay_alu instid0(VALU_DEP_1) | instskip(NEXT) | instid1(VALU_DEP_2)
	v_rcp_f32_e32 v5, v35
	v_dual_sub_f32 v34, v34, v35 :: v_dual_add_f32 v3, v3, v6
	s_delay_alu instid0(VALU_DEP_1) | instskip(SKIP_2) | instid1(VALU_DEP_1)
	v_add_f32_e32 v7, v7, v34
	s_waitcnt_depctr 0xfff
	v_mul_f32_e32 v37, v36, v5
	v_mul_f32_e32 v38, v35, v37
	s_delay_alu instid0(VALU_DEP_1) | instskip(NEXT) | instid1(VALU_DEP_1)
	v_fma_f32 v34, v37, v35, -v38
	v_fmac_f32_e32 v34, v37, v7
	s_delay_alu instid0(VALU_DEP_1) | instskip(NEXT) | instid1(VALU_DEP_1)
	v_add_f32_e32 v39, v38, v34
	v_sub_f32_e32 v40, v36, v39
	v_sub_f32_e32 v6, v39, v38
	s_delay_alu instid0(VALU_DEP_2) | instskip(NEXT) | instid1(VALU_DEP_1)
	v_sub_f32_e32 v36, v36, v40
	v_sub_f32_e32 v36, v36, v39
	s_delay_alu instid0(VALU_DEP_1) | instskip(NEXT) | instid1(VALU_DEP_1)
	v_dual_sub_f32 v6, v6, v34 :: v_dual_add_f32 v3, v3, v36
	v_add_f32_e32 v3, v6, v3
	s_delay_alu instid0(VALU_DEP_1) | instskip(NEXT) | instid1(VALU_DEP_1)
	v_add_f32_e32 v6, v40, v3
	v_mul_f32_e32 v34, v5, v6
	v_sub_f32_e32 v39, v40, v6
	s_delay_alu instid0(VALU_DEP_2) | instskip(NEXT) | instid1(VALU_DEP_2)
	v_mul_f32_e32 v36, v35, v34
	v_add_f32_e32 v3, v3, v39
	s_delay_alu instid0(VALU_DEP_2) | instskip(NEXT) | instid1(VALU_DEP_1)
	v_fma_f32 v35, v34, v35, -v36
	v_fmac_f32_e32 v35, v34, v7
	s_delay_alu instid0(VALU_DEP_1) | instskip(NEXT) | instid1(VALU_DEP_1)
	v_add_f32_e32 v7, v36, v35
	v_sub_f32_e32 v38, v6, v7
	s_delay_alu instid0(VALU_DEP_1) | instskip(NEXT) | instid1(VALU_DEP_1)
	v_sub_f32_e32 v6, v6, v38
	v_sub_f32_e32 v6, v6, v7
	s_delay_alu instid0(VALU_DEP_1) | instskip(SKIP_2) | instid1(VALU_DEP_1)
	v_add_f32_e32 v3, v3, v6
	v_add_f32_e32 v6, v37, v34
	v_sub_f32_e32 v36, v7, v36
	v_sub_f32_e32 v7, v36, v35
	s_delay_alu instid0(VALU_DEP_1) | instskip(NEXT) | instid1(VALU_DEP_4)
	v_add_f32_e32 v3, v7, v3
	v_sub_f32_e32 v7, v6, v37
	s_delay_alu instid0(VALU_DEP_2) | instskip(NEXT) | instid1(VALU_DEP_2)
	v_add_f32_e32 v3, v38, v3
	v_sub_f32_e32 v7, v34, v7
	s_delay_alu instid0(VALU_DEP_2) | instskip(NEXT) | instid1(VALU_DEP_1)
	v_mul_f32_e32 v3, v5, v3
	v_add_f32_e32 v3, v7, v3
	s_delay_alu instid0(VALU_DEP_1) | instskip(NEXT) | instid1(VALU_DEP_1)
	v_add_f32_e32 v5, v6, v3
	v_mul_f32_e32 v7, v5, v5
	s_delay_alu instid0(VALU_DEP_1) | instskip(SKIP_1) | instid1(VALU_DEP_2)
	v_fmaak_f32 v34, s60, v7, 0x3ecc95a3
	v_mul_f32_e32 v35, v5, v7
	v_fmaak_f32 v7, v7, v34, 0x3f2aaada
	v_ldexp_f32 v34, v5, 1
	v_sub_f32_e32 v5, v5, v6
	s_delay_alu instid0(VALU_DEP_3) | instskip(SKIP_1) | instid1(VALU_DEP_2)
	v_mul_f32_e32 v7, v35, v7
	v_mul_f32_e32 v35, 0x3f317218, v2
	v_dual_sub_f32 v3, v3, v5 :: v_dual_add_f32 v6, v34, v7
	s_delay_alu instid0(VALU_DEP_1) | instskip(NEXT) | instid1(VALU_DEP_2)
	v_ldexp_f32 v3, v3, 1
	v_sub_f32_e32 v5, v6, v34
	s_delay_alu instid0(VALU_DEP_4) | instskip(NEXT) | instid1(VALU_DEP_1)
	v_fma_f32 v34, 0x3f317218, v2, -v35
	v_dual_sub_f32 v5, v7, v5 :: v_dual_fmac_f32 v34, 0xb102e308, v2
	s_delay_alu instid0(VALU_DEP_1) | instskip(NEXT) | instid1(VALU_DEP_1)
	v_add_f32_e32 v2, v3, v5
	v_add_f32_e32 v5, v6, v2
	s_delay_alu instid0(VALU_DEP_1) | instskip(NEXT) | instid1(VALU_DEP_1)
	v_sub_f32_e32 v6, v5, v6
	v_sub_f32_e32 v2, v2, v6
	v_add_f32_e32 v3, v35, v34
	s_delay_alu instid0(VALU_DEP_1) | instskip(SKIP_1) | instid1(VALU_DEP_2)
	v_add_f32_e32 v7, v3, v5
	v_sub_f32_e32 v35, v3, v35
	v_sub_f32_e32 v36, v7, v3
	s_delay_alu instid0(VALU_DEP_1) | instskip(NEXT) | instid1(VALU_DEP_1)
	v_dual_sub_f32 v34, v34, v35 :: v_dual_sub_f32 v37, v7, v36
	v_dual_sub_f32 v5, v5, v36 :: v_dual_add_f32 v6, v34, v2
	s_delay_alu instid0(VALU_DEP_2) | instskip(NEXT) | instid1(VALU_DEP_1)
	v_sub_f32_e32 v3, v3, v37
	v_add_f32_e32 v3, v5, v3
	s_delay_alu instid0(VALU_DEP_3) | instskip(NEXT) | instid1(VALU_DEP_2)
	v_sub_f32_e32 v5, v6, v34
	v_add_f32_e32 v3, v6, v3
	s_delay_alu instid0(VALU_DEP_2) | instskip(NEXT) | instid1(VALU_DEP_2)
	v_sub_f32_e32 v6, v6, v5
	v_dual_sub_f32 v2, v2, v5 :: v_dual_add_f32 v35, v7, v3
	s_delay_alu instid0(VALU_DEP_1) | instskip(NEXT) | instid1(VALU_DEP_1)
	v_dual_sub_f32 v6, v34, v6 :: v_dual_sub_f32 v5, v35, v7
	v_dual_add_f32 v2, v2, v6 :: v_dual_sub_f32 v3, v3, v5
	s_delay_alu instid0(VALU_DEP_1) | instskip(NEXT) | instid1(VALU_DEP_1)
	v_add_f32_e32 v2, v2, v3
	v_add_f32_e32 v2, v35, v2
	s_delay_alu instid0(VALU_DEP_1)
	v_cndmask_b32_e32 v38, v2, v4, vcc_lo
.LBB7_34:                               ;   in Loop: Header=BB7_12 Depth=1
	s_or_b32 exec_lo, exec_lo, s17
	v_and_b32_e32 v3, 0xffff0000, v0
	v_lshlrev_b32_e32 v0, 16, v0
	v_lshlrev_b32_e32 v2, 16, v1
	v_and_b32_e32 v1, 0xffff0000, v1
	s_and_b32 vcc_lo, exec_lo, s57
	s_delay_alu instid0(VALU_DEP_3) | instskip(NEXT) | instid1(VALU_DEP_2)
	v_mul_f32_e32 v37, s49, v0
	v_dual_mul_f32 v35, s49, v2 :: v_dual_mul_f32 v36, s49, v1
	v_mul_f32_e32 v34, s49, v3
	s_barrier
	buffer_gl0_inv
	s_cbranch_vccz .LBB7_82
; %bb.35:                               ;   in Loop: Header=BB7_12 Depth=1
	v_dual_mul_f32 v39, v38, v1 :: v_dual_mul_f32 v44, v33, v2
	v_add_co_u32 v1, s16, s27, v29
	s_delay_alu instid0(VALU_DEP_1) | instskip(SKIP_1) | instid1(VALU_DEP_1)
	v_add_co_ci_u32_e64 v4, null, s41, 0, s16
	v_add_co_u32 v5, s16, s45, v29
	v_add_co_ci_u32_e64 v6, null, s52, 0, s16
	s_delay_alu instid0(VALU_DEP_4) | instskip(NEXT) | instid1(VALU_DEP_4)
	v_add_co_u32 v40, vcc_lo, v1, v30
	v_add_co_ci_u32_e32 v41, vcc_lo, 0, v4, vcc_lo
	s_delay_alu instid0(VALU_DEP_4) | instskip(NEXT) | instid1(VALU_DEP_4)
	v_add_co_u32 v42, vcc_lo, v5, v30
	v_add_co_ci_u32_e32 v43, vcc_lo, 0, v6, vcc_lo
	v_cmp_gt_u32_e32 vcc_lo, s19, v8
	v_cmp_gt_u32_e64 s17, s19, v26
	v_cmp_gt_u32_e64 s18, s19, v27
	;; [unrolled: 1-line block ×3, first 2 shown]
	s_cmp_lg_u32 s62, 0
	v_dual_mul_f32 v45, v32, v3 :: v_dual_mul_f32 v46, v31, v0
	s_mov_b32 s28, 0
	s_cselect_b32 s25, -1, 0
	s_cmp_eq_u32 s62, s59
	s_mov_b32 s30, s28
	s_cselect_b32 s63, -1, 0
	s_or_b32 s16, s58, vcc_lo
	s_or_b32 s17, s58, s17
	s_or_b32 s18, s58, s18
	;; [unrolled: 1-line block ×3, first 2 shown]
	s_mov_b32 s38, s28
	s_mov_b32 s42, s28
	;; [unrolled: 1-line block ×4, first 2 shown]
	s_branch .LBB7_37
.LBB7_36:                               ;   in Loop: Header=BB7_37 Depth=2
	s_or_b32 exec_lo, exec_lo, s20
	v_cndmask_b32_e64 v2, v56, v7, s11
	v_cndmask_b32_e64 v3, v55, v6, s11
	s_add_i32 s64, s64, -1
	s_add_i32 s65, s65, 8
	s_add_i32 s42, s42, s26
	v_fma_f32 v2, v2, v54, v52
	v_mul_f32_e32 v3, v3, v54
	s_add_i32 s38, s38, s44
	s_add_i32 s30, s30, s40
	s_add_i32 s28, s28, s37
	v_cndmask_b32_e64 v2, v2, v52, s10
	v_cndmask_b32_e64 v3, v3, v54, s10
	s_cmp_eq_u32 s64, 0
	s_waitcnt lgkmcnt(0)
	s_delay_alu instid0(VALU_DEP_1) | instskip(SKIP_3) | instid1(VALU_DEP_4)
	v_dual_fmac_f32 v2, v4, v3 :: v_dual_and_b32 v3, 0xffff0000, v0
	v_and_b32_e32 v4, 0xffff0000, v1
	v_lshlrev_b32_e32 v0, 16, v0
	v_lshlrev_b32_e32 v1, 16, v1
	v_fmac_f32_e32 v47, v2, v53
	s_delay_alu instid0(VALU_DEP_1) | instskip(NEXT) | instid1(VALU_DEP_1)
	v_fmac_f32_e32 v48, v47, v51
	v_fmac_f32_e32 v49, v48, v50
	s_delay_alu instid0(VALU_DEP_1)
	v_dual_fmac_f32 v35, v48, v1 :: v_dual_fmac_f32 v36, v49, v4
	v_dual_fmac_f32 v37, v2, v0 :: v_dual_fmac_f32 v34, v47, v3
	s_cbranch_scc1 .LBB7_82
.LBB7_37:                               ;   Parent Loop BB7_12 Depth=1
                                        ; =>  This Inner Loop Header: Depth=2
	s_lshl_b64 s[20:21], s[28:29], 2
	s_mov_b32 s31, s29
	s_add_u32 s20, s50, s20
	s_addc_u32 s21, s51, s21
	v_dual_mov_b32 v2, 0 :: v_dual_mov_b32 v3, 0
	global_load_b32 v6, v12, s[20:21]
	s_lshl_b64 s[20:21], s[30:31], 1
	s_delay_alu instid0(SALU_CYCLE_1)
	v_add_co_u32 v0, vcc_lo, v40, s20
	v_add_co_ci_u32_e32 v1, vcc_lo, s21, v41, vcc_lo
	s_and_saveexec_b32 s20, s12
	s_cbranch_execz .LBB7_39
; %bb.38:                               ;   in Loop: Header=BB7_37 Depth=2
	global_load_u16 v3, v[0:1], off
.LBB7_39:                               ;   in Loop: Header=BB7_37 Depth=2
	s_or_b32 exec_lo, exec_lo, s20
	s_and_saveexec_b32 s20, s13
	s_cbranch_execz .LBB7_41
; %bb.40:                               ;   in Loop: Header=BB7_37 Depth=2
	global_load_u16 v2, v[0:1], off offset:64
.LBB7_41:                               ;   in Loop: Header=BB7_37 Depth=2
	s_or_b32 exec_lo, exec_lo, s20
	v_dual_mov_b32 v4, 0 :: v_dual_mov_b32 v5, 0
	s_and_saveexec_b32 s20, s14
	s_cbranch_execz .LBB7_43
; %bb.42:                               ;   in Loop: Header=BB7_37 Depth=2
	global_load_u16 v5, v[0:1], off offset:128
.LBB7_43:                               ;   in Loop: Header=BB7_37 Depth=2
	s_or_b32 exec_lo, exec_lo, s20
	s_and_saveexec_b32 s20, s15
	s_cbranch_execz .LBB7_45
; %bb.44:                               ;   in Loop: Header=BB7_37 Depth=2
	global_load_u16 v4, v[0:1], off offset:192
.LBB7_45:                               ;   in Loop: Header=BB7_37 Depth=2
	s_or_b32 exec_lo, exec_lo, s20
	s_waitcnt vmcnt(0)
	ds_store_b16 v14, v3
	ds_store_b16 v14, v2 offset:64
	ds_store_b16 v15, v5 offset:128
	;; [unrolled: 1-line block ×3, first 2 shown]
	; wave barrier
	ds_load_b64 v[4:5], v17
	s_mov_b32 s39, s29
	v_dual_mov_b32 v2, 0 :: v_dual_mov_b32 v3, 0
	s_lshl_b64 s[20:21], s[38:39], 1
	s_delay_alu instid0(SALU_CYCLE_1)
	v_add_co_u32 v0, vcc_lo, v42, s20
	v_add_co_ci_u32_e32 v1, vcc_lo, s21, v43, vcc_lo
	s_and_saveexec_b32 s20, s12
	s_cbranch_execz .LBB7_47
; %bb.46:                               ;   in Loop: Header=BB7_37 Depth=2
	global_load_u16 v3, v[0:1], off
.LBB7_47:                               ;   in Loop: Header=BB7_37 Depth=2
	s_or_b32 exec_lo, exec_lo, s20
	s_and_saveexec_b32 s20, s13
	s_cbranch_execz .LBB7_49
; %bb.48:                               ;   in Loop: Header=BB7_37 Depth=2
	global_load_u16 v2, v[0:1], off offset:64
.LBB7_49:                               ;   in Loop: Header=BB7_37 Depth=2
	s_or_b32 exec_lo, exec_lo, s20
	v_mov_b32_e32 v7, 0
	v_mov_b32_e32 v47, 0
	s_and_saveexec_b32 s20, s14
	s_cbranch_execz .LBB7_51
; %bb.50:                               ;   in Loop: Header=BB7_37 Depth=2
	global_load_u16 v47, v[0:1], off offset:128
.LBB7_51:                               ;   in Loop: Header=BB7_37 Depth=2
	s_or_b32 exec_lo, exec_lo, s20
	s_and_saveexec_b32 s20, s15
	s_cbranch_execz .LBB7_53
; %bb.52:                               ;   in Loop: Header=BB7_37 Depth=2
	global_load_u16 v7, v[0:1], off offset:192
.LBB7_53:                               ;   in Loop: Header=BB7_37 Depth=2
	s_or_b32 exec_lo, exec_lo, s20
	s_waitcnt vmcnt(0)
	ds_store_b16 v14, v3 offset:528
	ds_store_b16 v18, v2 offset:64
	;; [unrolled: 1-line block ×4, first 2 shown]
	; wave barrier
	ds_load_b64 v[0:1], v17 offset:528
	s_and_not1_b32 vcc_lo, exec_lo, s25
	s_cbranch_vccnz .LBB7_55
; %bb.54:                               ;   in Loop: Header=BB7_37 Depth=2
	v_mov_b32_e32 v2, s65
	ds_load_b64 v[2:3], v2
	s_cbranch_execz .LBB7_56
	s_branch .LBB7_59
.LBB7_55:                               ;   in Loop: Header=BB7_37 Depth=2
                                        ; implicit-def: $vgpr2
.LBB7_56:                               ;   in Loop: Header=BB7_37 Depth=2
	s_waitcnt lgkmcnt(0)
	v_mov_b32_e32 v3, 0
	s_and_not1_b32 vcc_lo, exec_lo, s33
	s_cbranch_vccnz .LBB7_58
; %bb.57:                               ;   in Loop: Header=BB7_37 Depth=2
	s_mov_b32 s43, s29
	s_delay_alu instid0(SALU_CYCLE_1) | instskip(NEXT) | instid1(SALU_CYCLE_1)
	s_lshl_b64 s[20:21], s[42:43], 1
	s_add_u32 s20, s53, s20
	s_addc_u32 s21, s54, s21
	global_load_u16 v2, v12, s[20:21]
	s_waitcnt vmcnt(0)
	v_lshlrev_b32_e32 v3, 16, v2
.LBB7_58:                               ;   in Loop: Header=BB7_37 Depth=2
	v_mov_b32_e32 v2, 1.0
.LBB7_59:                               ;   in Loop: Header=BB7_37 Depth=2
	s_waitcnt lgkmcnt(5)
	v_dual_mul_f32 v6, 0x3fb8aa3b, v6 :: v_dual_lshlrev_b32 v7, 16, v4
	v_lshlrev_b32_e32 v47, 16, v5
	v_and_b32_e32 v4, 0xffff0000, v4
	s_delay_alu instid0(VALU_DEP_3) | instskip(NEXT) | instid1(VALU_DEP_4)
	v_mul_f32_e32 v48, v6, v31
	v_mul_f32_e32 v7, v46, v7
	s_delay_alu instid0(VALU_DEP_3) | instskip(SKIP_1) | instid1(VALU_DEP_4)
	v_dual_mul_f32 v51, v6, v38 :: v_dual_mul_f32 v4, v45, v4
	v_dual_mul_f32 v50, v6, v33 :: v_dual_mul_f32 v55, v44, v47
	v_cmp_gt_f32_e32 vcc_lo, 0xc2fc0000, v48
	s_delay_alu instid0(VALU_DEP_3) | instskip(NEXT) | instid1(VALU_DEP_3)
	v_cmp_gt_f32_e64 s22, 0xc2fc0000, v51
	v_cmp_gt_f32_e64 s21, 0xc2fc0000, v50
	v_cndmask_b32_e64 v48, 0, 0x42800000, vcc_lo
	v_and_b32_e32 v5, 0xffff0000, v5
	s_delay_alu instid0(VALU_DEP_4) | instskip(SKIP_4) | instid1(VALU_DEP_3)
	v_cndmask_b32_e64 v51, 0, 0x42800000, s22
	v_cndmask_b32_e64 v52, 1.0, 0x1f800000, vcc_lo
	v_cndmask_b32_e64 v50, 0, 0x42800000, s21
	v_fmac_f32_e32 v48, v6, v31
	v_cndmask_b32_e64 v47, 1.0, 0x1f800000, s21
	v_fmac_f32_e32 v50, v6, v33
	s_delay_alu instid0(VALU_DEP_3) | instskip(SKIP_1) | instid1(VALU_DEP_2)
	v_exp_f32_e32 v48, v48
	v_fmac_f32_e32 v51, v6, v38
	v_exp_f32_e32 v50, v50
	s_waitcnt_depctr 0xfff
	v_mul_f32_e32 v48, v48, v52
	v_cndmask_b32_e64 v52, 0, v7, s16
	v_exp_f32_e32 v7, v51
	s_delay_alu instid0(VALU_DEP_2) | instskip(SKIP_2) | instid1(VALU_DEP_2)
	v_cndmask_b32_e64 v54, 1.0, v48, s16
	v_mul_f32_e32 v49, v6, v32
	v_cndmask_b32_e64 v48, 0, v55, s18
	v_cmp_gt_f32_e64 s20, 0xc2fc0000, v49
	s_delay_alu instid0(VALU_DEP_1) | instskip(NEXT) | instid1(VALU_DEP_1)
	v_cndmask_b32_e64 v49, 0, 0x42800000, s20
	v_fmac_f32_e32 v49, v6, v32
	v_cndmask_b32_e64 v6, 1.0, 0x1f800000, s20
	s_delay_alu instid0(VALU_DEP_2) | instskip(SKIP_4) | instid1(VALU_DEP_3)
	v_exp_f32_e32 v49, v49
	s_waitcnt_depctr 0xfff
	v_dual_mul_f32 v6, v49, v6 :: v_dual_mul_f32 v49, v50, v47
	v_cndmask_b32_e64 v47, 0, v4, s17
	v_cndmask_b32_e64 v4, 1.0, 0x1f800000, s22
	v_cndmask_b32_e64 v53, 1.0, v6, s17
	s_delay_alu instid0(VALU_DEP_4) | instskip(NEXT) | instid1(VALU_DEP_3)
	v_cndmask_b32_e64 v51, 1.0, v49, s18
	v_mul_f32_e32 v4, v7, v4
	s_delay_alu instid0(VALU_DEP_3) | instskip(SKIP_1) | instid1(VALU_DEP_3)
	v_dual_mul_f32 v6, v53, v54 :: v_dual_mul_f32 v5, v39, v5
	v_fma_f32 v7, v53, v52, v47
	v_cndmask_b32_e64 v50, 1.0, v4, s19
	s_delay_alu instid0(VALU_DEP_3) | instskip(NEXT) | instid1(VALU_DEP_4)
	v_mul_f32_e32 v4, v6, v51
	v_cndmask_b32_e64 v49, 0, v5, s19
	s_delay_alu instid0(VALU_DEP_4) | instskip(NEXT) | instid1(VALU_DEP_3)
	v_fma_f32 v5, v7, v51, v48
	v_mul_f32_e32 v4, v4, v50
	s_delay_alu instid0(VALU_DEP_2) | instskip(NEXT) | instid1(VALU_DEP_2)
	v_fma_f32 v5, v5, v50, v49
	v_mov_b32_dpp v7, v4 row_shr:1 row_mask:0xf bank_mask:0xf
	s_delay_alu instid0(VALU_DEP_2)
	v_mov_b32_dpp v6, v5 row_shr:1 row_mask:0xf bank_mask:0xf
	s_and_saveexec_b32 s20, s0
; %bb.60:                               ;   in Loop: Header=BB7_37 Depth=2
	s_delay_alu instid0(VALU_DEP_2) | instskip(NEXT) | instid1(VALU_DEP_1)
	v_mul_f32_e32 v7, v4, v7
	v_dual_fmac_f32 v5, v4, v6 :: v_dual_mov_b32 v4, v7
; %bb.61:                               ;   in Loop: Header=BB7_37 Depth=2
	s_or_b32 exec_lo, exec_lo, s20
	s_delay_alu instid0(VALU_DEP_1) | instskip(NEXT) | instid1(VALU_DEP_2)
	v_mov_b32_dpp v6, v4 row_shr:2 row_mask:0xf bank_mask:0xf
	v_mov_b32_dpp v7, v5 row_shr:2 row_mask:0xf bank_mask:0xf
	s_and_saveexec_b32 s20, s1
; %bb.62:                               ;   in Loop: Header=BB7_37 Depth=2
	s_delay_alu instid0(VALU_DEP_1) | instskip(NEXT) | instid1(VALU_DEP_3)
	v_fmac_f32_e32 v5, v4, v7
	v_mul_f32_e32 v4, v4, v6
; %bb.63:                               ;   in Loop: Header=BB7_37 Depth=2
	s_or_b32 exec_lo, exec_lo, s20
	s_delay_alu instid0(VALU_DEP_1) | instskip(NEXT) | instid1(VALU_DEP_3)
	v_mov_b32_dpp v6, v4 row_shr:4 row_mask:0xf bank_mask:0xf
	v_mov_b32_dpp v7, v5 row_shr:4 row_mask:0xf bank_mask:0xf
	s_and_saveexec_b32 s20, s2
; %bb.64:                               ;   in Loop: Header=BB7_37 Depth=2
	s_delay_alu instid0(VALU_DEP_1) | instskip(NEXT) | instid1(VALU_DEP_3)
	v_fmac_f32_e32 v5, v4, v7
	v_mul_f32_e32 v4, v4, v6
; %bb.65:                               ;   in Loop: Header=BB7_37 Depth=2
	s_or_b32 exec_lo, exec_lo, s20
	s_delay_alu instid0(VALU_DEP_1) | instskip(NEXT) | instid1(VALU_DEP_3)
	v_mov_b32_dpp v6, v4 row_shr:8 row_mask:0xf bank_mask:0xf
	v_mov_b32_dpp v7, v5 row_shr:8 row_mask:0xf bank_mask:0xf
	s_and_saveexec_b32 s20, s3
; %bb.66:                               ;   in Loop: Header=BB7_37 Depth=2
	s_delay_alu instid0(VALU_DEP_1) | instskip(NEXT) | instid1(VALU_DEP_3)
	v_fmac_f32_e32 v5, v4, v7
	v_mul_f32_e32 v4, v4, v6
; %bb.67:                               ;   in Loop: Header=BB7_37 Depth=2
	s_or_b32 exec_lo, exec_lo, s20
	ds_swizzle_b32 v7, v4 offset:swizzle(BROADCAST,32,15)
	ds_swizzle_b32 v6, v5 offset:swizzle(BROADCAST,32,15)
	s_and_saveexec_b32 s20, s4
	s_cbranch_execz .LBB7_69
; %bb.68:                               ;   in Loop: Header=BB7_37 Depth=2
	s_waitcnt lgkmcnt(1)
	v_mul_f32_e32 v7, v4, v7
	s_waitcnt lgkmcnt(0)
	s_delay_alu instid0(VALU_DEP_1)
	v_dual_fmac_f32 v5, v4, v6 :: v_dual_mov_b32 v4, v7
.LBB7_69:                               ;   in Loop: Header=BB7_37 Depth=2
	s_or_b32 exec_lo, exec_lo, s20
	s_and_saveexec_b32 s20, s5
	s_cbranch_execz .LBB7_71
; %bb.70:                               ;   in Loop: Header=BB7_37 Depth=2
	ds_store_b64 v21, v[4:5] offset:1056
.LBB7_71:                               ;   in Loop: Header=BB7_37 Depth=2
	s_or_b32 exec_lo, exec_lo, s20
	s_waitcnt lgkmcnt(0)
	s_waitcnt_vscnt null, 0x0
	s_barrier
	buffer_gl0_inv
	s_and_saveexec_b32 s20, s6
	s_cbranch_execz .LBB7_73
; %bb.72:                               ;   in Loop: Header=BB7_37 Depth=2
	ds_load_b64 v[6:7], v22 offset:1056
	s_waitcnt lgkmcnt(0)
	v_mov_b32_dpp v55, v6 row_shr:1 row_mask:0xf bank_mask:0xf
	v_mov_b32_dpp v56, v7 row_shr:1 row_mask:0xf bank_mask:0xf
	s_delay_alu instid0(VALU_DEP_2) | instskip(NEXT) | instid1(VALU_DEP_2)
	v_mul_f32_e32 v55, v6, v55
	v_fma_f32 v56, v6, v56, v7
	s_delay_alu instid0(VALU_DEP_2) | instskip(NEXT) | instid1(VALU_DEP_2)
	v_cndmask_b32_e64 v6, v55, v6, s7
	v_cndmask_b32_e64 v7, v56, v7, s7
	ds_store_b64 v22, v[6:7] offset:1056
.LBB7_73:                               ;   in Loop: Header=BB7_37 Depth=2
	s_or_b32 exec_lo, exec_lo, s20
	s_waitcnt lgkmcnt(0)
	s_barrier
	buffer_gl0_inv
                                        ; implicit-def: $vgpr7
	s_and_saveexec_b32 s20, s9
	s_cbranch_execz .LBB7_75
; %bb.74:                               ;   in Loop: Header=BB7_37 Depth=2
	ds_load_b64 v[6:7], v21 offset:1048
	s_waitcnt lgkmcnt(0)
	v_mul_f32_e32 v55, v4, v6
	s_delay_alu instid0(VALU_DEP_1)
	v_dual_fmac_f32 v5, v4, v7 :: v_dual_mov_b32 v4, v55
.LBB7_75:                               ;   in Loop: Header=BB7_37 Depth=2
	s_or_b32 exec_lo, exec_lo, s20
	ds_bpermute_b32 v55, v23, v4
	ds_bpermute_b32 v56, v23, v5
	s_and_saveexec_b32 s20, s8
	s_cbranch_execz .LBB7_79
; %bb.76:                               ;   in Loop: Header=BB7_37 Depth=2
	ds_load_b64 v[4:5], v12 offset:1064
	s_and_saveexec_b32 s21, s10
	s_cbranch_execz .LBB7_78
; %bb.77:                               ;   in Loop: Header=BB7_37 Depth=2
	ds_store_b64 v12, v[2:3] offset:1064
.LBB7_78:                               ;   in Loop: Header=BB7_37 Depth=2
	s_or_b32 exec_lo, exec_lo, s21
	s_waitcnt lgkmcnt(0)
	v_dual_fmac_f32 v5, v4, v3 :: v_dual_mul_f32 v2, v2, v4
	s_delay_alu instid0(VALU_DEP_1)
	v_mov_b32_e32 v3, v5
.LBB7_79:                               ;   in Loop: Header=BB7_37 Depth=2
	s_or_b32 exec_lo, exec_lo, s20
	s_waitcnt lgkmcnt(0)
	s_barrier
	buffer_gl0_inv
	ds_load_b32 v4, v12 offset:1068
	s_and_saveexec_b32 s20, s10
	s_cbranch_execz .LBB7_36
; %bb.80:                               ;   in Loop: Header=BB7_37 Depth=2
	v_mov_b32_e32 v5, s65
	s_and_not1_b32 vcc_lo, exec_lo, s63
	ds_store_b64 v5, v[2:3]
	s_cbranch_vccnz .LBB7_36
; %bb.81:                               ;   in Loop: Header=BB7_37 Depth=2
	v_bfe_u32 v2, v3, 16, 1
	v_cmp_o_f32_e32 vcc_lo, v3, v3
	s_mov_b32 s43, s29
	s_delay_alu instid0(SALU_CYCLE_1) | instskip(NEXT) | instid1(VALU_DEP_2)
	s_lshl_b64 s[66:67], s[42:43], 1
	v_add3_u32 v2, v3, v2, 0x7fff
	s_add_u32 s66, s53, s66
	s_addc_u32 s67, s54, s67
	s_delay_alu instid0(VALU_DEP_1) | instskip(NEXT) | instid1(VALU_DEP_1)
	v_lshrrev_b32_e32 v2, 16, v2
	v_cndmask_b32_e32 v2, 0x7fc0, v2, vcc_lo
	global_store_b16 v12, v2, s[66:67]
	s_branch .LBB7_36
.LBB7_82:                               ;   in Loop: Header=BB7_12 Depth=1
	s_delay_alu instid0(VALU_DEP_1) | instskip(NEXT) | instid1(VALU_DEP_3)
	v_bfe_u32 v0, v37, 16, 1
	v_bfe_u32 v2, v35, 16, 1
	;; [unrolled: 1-line block ×3, first 2 shown]
	v_cmp_o_f32_e32 vcc_lo, v37, v37
	v_bfe_u32 v1, v34, 16, 1
	v_add3_u32 v0, v37, v0, 0x7fff
	v_add3_u32 v2, v35, v2, 0x7fff
	;; [unrolled: 1-line block ×3, first 2 shown]
	s_waitcnt_vscnt null, 0x0
	v_add3_u32 v1, v34, v1, 0x7fff
	v_lshrrev_b32_e32 v0, 16, v0
	v_lshrrev_b32_e32 v2, 16, v2
	;; [unrolled: 1-line block ×3, first 2 shown]
	s_barrier
	v_lshrrev_b32_e32 v1, 16, v1
	v_cndmask_b32_e32 v0, 0x7fc0, v0, vcc_lo
	v_cmp_o_f32_e32 vcc_lo, v35, v35
	buffer_gl0_inv
	s_mov_b32 s25, s29
	s_delay_alu instid0(SALU_CYCLE_1)
	s_lshl_b64 s[16:17], s[24:25], 1
	v_cndmask_b32_e32 v2, 0x7fc0, v2, vcc_lo
	v_cmp_o_f32_e32 vcc_lo, v36, v36
	v_cndmask_b32_e32 v3, 0x7fc0, v3, vcc_lo
	v_cmp_o_f32_e32 vcc_lo, v34, v34
	v_cndmask_b32_e32 v4, 0x7fc0, v1, vcc_lo
	s_delay_alu instid0(VALU_DEP_3) | instskip(NEXT) | instid1(VALU_DEP_2)
	v_perm_b32 v1, v3, v2, 0x5040100
	v_perm_b32 v0, v4, v0, 0x5040100
	ds_store_b64 v17, v[0:1]
	; wave barrier
	ds_load_u16 v4, v14 offset:64
	ds_load_u16 v3, v15 offset:128
	;; [unrolled: 1-line block ×3, first 2 shown]
	v_add_co_u32 v0, vcc_lo, v24, s16
	v_add_co_ci_u32_e32 v1, vcc_lo, s17, v25, vcc_lo
	s_and_saveexec_b32 s16, s12
	s_cbranch_execnz .LBB7_88
; %bb.83:                               ;   in Loop: Header=BB7_12 Depth=1
	s_or_b32 exec_lo, exec_lo, s16
	s_and_saveexec_b32 s12, s13
	s_cbranch_execnz .LBB7_89
.LBB7_84:                               ;   in Loop: Header=BB7_12 Depth=1
	s_or_b32 exec_lo, exec_lo, s12
	s_and_saveexec_b32 s12, s14
	s_cbranch_execnz .LBB7_90
.LBB7_85:                               ;   in Loop: Header=BB7_12 Depth=1
	s_or_b32 exec_lo, exec_lo, s12
	s_and_saveexec_b32 s12, s15
	s_cbranch_execz .LBB7_11
	s_branch .LBB7_91
.LBB7_86:                               ;   in Loop: Header=BB7_12 Depth=1
	global_load_u16 v6, v[2:3], off offset:64
	s_or_b32 exec_lo, exec_lo, s16
	s_and_saveexec_b32 s16, s14
	s_cbranch_execz .LBB7_24
.LBB7_87:                               ;   in Loop: Header=BB7_12 Depth=1
	global_load_u16 v5, v[2:3], off offset:128
	s_or_b32 exec_lo, exec_lo, s16
	v_mov_b32_e32 v7, 0
	s_and_saveexec_b32 s16, s15
	s_cbranch_execnz .LBB7_25
	s_branch .LBB7_26
.LBB7_88:                               ;   in Loop: Header=BB7_12 Depth=1
	ds_load_u16 v5, v14
	s_waitcnt lgkmcnt(0)
	global_store_b16 v[0:1], v5, off
	s_or_b32 exec_lo, exec_lo, s16
	s_and_saveexec_b32 s12, s13
	s_cbranch_execz .LBB7_84
.LBB7_89:                               ;   in Loop: Header=BB7_12 Depth=1
	s_waitcnt lgkmcnt(2)
	global_store_b16 v[0:1], v4, off offset:64
	s_or_b32 exec_lo, exec_lo, s12
	s_and_saveexec_b32 s12, s14
	s_cbranch_execz .LBB7_85
.LBB7_90:                               ;   in Loop: Header=BB7_12 Depth=1
	s_waitcnt lgkmcnt(1)
	global_store_b16 v[0:1], v3, off offset:128
	s_or_b32 exec_lo, exec_lo, s12
	s_and_saveexec_b32 s12, s15
	s_cbranch_execz .LBB7_11
.LBB7_91:                               ;   in Loop: Header=BB7_12 Depth=1
	s_waitcnt lgkmcnt(0)
	global_store_b16 v[0:1], v2, off offset:192
	s_branch .LBB7_11
.LBB7_92:
	s_nop 0
	s_sendmsg sendmsg(MSG_DEALLOC_VGPRS)
	s_endpgm
	.section	.rodata,"a",@progbits
	.p2align	6, 0x0
	.amdhsa_kernel _Z25selective_scan_fwd_kernelI32Selective_Scan_fwd_kernel_traitsILi64ELi4ELi1ELb0ELb1ELb1ELb0ELb0EN3c108BFloat16EfS2_EEv13SSMParamsBase
		.amdhsa_group_segment_fixed_size 0
		.amdhsa_private_segment_fixed_size 0
		.amdhsa_kernarg_size 248
		.amdhsa_user_sgpr_count 14
		.amdhsa_user_sgpr_dispatch_ptr 0
		.amdhsa_user_sgpr_queue_ptr 0
		.amdhsa_user_sgpr_kernarg_segment_ptr 1
		.amdhsa_user_sgpr_dispatch_id 0
		.amdhsa_user_sgpr_private_segment_size 0
		.amdhsa_wavefront_size32 1
		.amdhsa_uses_dynamic_stack 0
		.amdhsa_enable_private_segment 0
		.amdhsa_system_sgpr_workgroup_id_x 1
		.amdhsa_system_sgpr_workgroup_id_y 1
		.amdhsa_system_sgpr_workgroup_id_z 0
		.amdhsa_system_sgpr_workgroup_info 0
		.amdhsa_system_vgpr_workitem_id 0
		.amdhsa_next_free_vgpr 57
		.amdhsa_next_free_sgpr 68
		.amdhsa_reserve_vcc 1
		.amdhsa_float_round_mode_32 0
		.amdhsa_float_round_mode_16_64 0
		.amdhsa_float_denorm_mode_32 3
		.amdhsa_float_denorm_mode_16_64 3
		.amdhsa_dx10_clamp 1
		.amdhsa_ieee_mode 1
		.amdhsa_fp16_overflow 0
		.amdhsa_workgroup_processor_mode 1
		.amdhsa_memory_ordered 1
		.amdhsa_forward_progress 0
		.amdhsa_shared_vgpr_count 0
		.amdhsa_exception_fp_ieee_invalid_op 0
		.amdhsa_exception_fp_denorm_src 0
		.amdhsa_exception_fp_ieee_div_zero 0
		.amdhsa_exception_fp_ieee_overflow 0
		.amdhsa_exception_fp_ieee_underflow 0
		.amdhsa_exception_fp_ieee_inexact 0
		.amdhsa_exception_int_div_zero 0
	.end_amdhsa_kernel
	.section	.text._Z25selective_scan_fwd_kernelI32Selective_Scan_fwd_kernel_traitsILi64ELi4ELi1ELb0ELb1ELb1ELb0ELb0EN3c108BFloat16EfS2_EEv13SSMParamsBase,"axG",@progbits,_Z25selective_scan_fwd_kernelI32Selective_Scan_fwd_kernel_traitsILi64ELi4ELi1ELb0ELb1ELb1ELb0ELb0EN3c108BFloat16EfS2_EEv13SSMParamsBase,comdat
.Lfunc_end7:
	.size	_Z25selective_scan_fwd_kernelI32Selective_Scan_fwd_kernel_traitsILi64ELi4ELi1ELb0ELb1ELb1ELb0ELb0EN3c108BFloat16EfS2_EEv13SSMParamsBase, .Lfunc_end7-_Z25selective_scan_fwd_kernelI32Selective_Scan_fwd_kernel_traitsILi64ELi4ELi1ELb0ELb1ELb1ELb0ELb0EN3c108BFloat16EfS2_EEv13SSMParamsBase
                                        ; -- End function
	.section	.AMDGPU.csdata,"",@progbits
; Kernel info:
; codeLenInByte = 7088
; NumSgprs: 70
; NumVgprs: 57
; ScratchSize: 0
; MemoryBound: 0
; FloatMode: 240
; IeeeMode: 1
; LDSByteSize: 0 bytes/workgroup (compile time only)
; SGPRBlocks: 8
; VGPRBlocks: 7
; NumSGPRsForWavesPerEU: 70
; NumVGPRsForWavesPerEU: 57
; Occupancy: 16
; WaveLimiterHint : 0
; COMPUTE_PGM_RSRC2:SCRATCH_EN: 0
; COMPUTE_PGM_RSRC2:USER_SGPR: 14
; COMPUTE_PGM_RSRC2:TRAP_HANDLER: 0
; COMPUTE_PGM_RSRC2:TGID_X_EN: 1
; COMPUTE_PGM_RSRC2:TGID_Y_EN: 1
; COMPUTE_PGM_RSRC2:TGID_Z_EN: 0
; COMPUTE_PGM_RSRC2:TIDIG_COMP_CNT: 0
	.section	.text._Z25selective_scan_fwd_kernelI32Selective_Scan_fwd_kernel_traitsILi64ELi8ELi1ELb1ELb1ELb1ELb1ELb1EN3c108BFloat16EfS2_EEv13SSMParamsBase,"axG",@progbits,_Z25selective_scan_fwd_kernelI32Selective_Scan_fwd_kernel_traitsILi64ELi8ELi1ELb1ELb1ELb1ELb1ELb1EN3c108BFloat16EfS2_EEv13SSMParamsBase,comdat
	.protected	_Z25selective_scan_fwd_kernelI32Selective_Scan_fwd_kernel_traitsILi64ELi8ELi1ELb1ELb1ELb1ELb1ELb1EN3c108BFloat16EfS2_EEv13SSMParamsBase ; -- Begin function _Z25selective_scan_fwd_kernelI32Selective_Scan_fwd_kernel_traitsILi64ELi8ELi1ELb1ELb1ELb1ELb1ELb1EN3c108BFloat16EfS2_EEv13SSMParamsBase
	.globl	_Z25selective_scan_fwd_kernelI32Selective_Scan_fwd_kernel_traitsILi64ELi8ELi1ELb1ELb1ELb1ELb1ELb1EN3c108BFloat16EfS2_EEv13SSMParamsBase
	.p2align	8
	.type	_Z25selective_scan_fwd_kernelI32Selective_Scan_fwd_kernel_traitsILi64ELi8ELi1ELb1ELb1ELb1ELb1ELb1EN3c108BFloat16EfS2_EEv13SSMParamsBase,@function
_Z25selective_scan_fwd_kernelI32Selective_Scan_fwd_kernel_traitsILi64ELi8ELi1ELb1ELb1ELb1ELb1ELb1EN3c108BFloat16EfS2_EEv13SSMParamsBase: ; @_Z25selective_scan_fwd_kernelI32Selective_Scan_fwd_kernel_traitsILi64ELi8ELi1ELb1ELb1ELb1ELb1ELb1EN3c108BFloat16EfS2_EEv13SSMParamsBase
; %bb.0:
	s_clause 0x2
	s_load_b32 s11, s[0:1], 0x18
	s_load_b256 s[52:59], s[0:1], 0xc8
	s_load_b128 s[4:7], s[0:1], 0xe8
	s_mov_b32 s12, s15
	s_ashr_i32 s15, s14, 31
	s_mov_b32 s33, 0
	s_lshl_b64 s[8:9], s[14:15], 2
	s_waitcnt lgkmcnt(0)
	s_abs_i32 s10, s11
	s_add_u32 s2, s58, s8
	v_cvt_f32_u32_e32 v1, s10
	s_addc_u32 s3, s59, s9
	s_cmp_eq_u64 s[6:7], 0
	s_delay_alu instid0(VALU_DEP_1) | instskip(SKIP_2) | instid1(VALU_DEP_1)
	v_rcp_iflag_f32_e32 v1, v1
	s_waitcnt_depctr 0xfff
	v_mul_f32_e32 v1, 0x4f7ffffe, v1
	v_cvt_u32_f32_e32 v1, v1
	s_delay_alu instid0(VALU_DEP_1)
	v_readfirstlane_b32 s34, v1
	s_cbranch_scc1 .LBB8_2
; %bb.1:
	v_mov_b32_e32 v1, 0
	s_add_u32 s6, s6, s14
	s_addc_u32 s7, s7, s15
	global_load_u8 v1, v1, s[6:7]
	s_waitcnt vmcnt(0)
	v_and_b32_e32 v1, 1, v1
	s_delay_alu instid0(VALU_DEP_1)
	v_cmp_eq_u32_e64 s33, 1, v1
.LBB8_2:
	s_load_b64 s[6:7], s[0:1], 0x20
	s_cmp_eq_u64 s[4:5], 0
	s_cbranch_scc1 .LBB8_4
; %bb.3:
	s_add_u32 s4, s4, s8
	s_addc_u32 s5, s5, s9
	s_load_b32 s14, s[4:5], 0x0
	s_waitcnt lgkmcnt(0)
	s_ashr_i32 s15, s14, 31
.LBB8_4:
	s_waitcnt lgkmcnt(0)
	s_cmp_eq_u64 s[6:7], s[14:15]
	s_cbranch_scc1 .LBB8_172
; %bb.5:
	s_load_b512 s[16:31], s[0:1], 0x88
	s_load_b64 s[58:59], s[2:3], 0x0
	s_mov_b32 s60, 0
	s_mov_b32 s61, 0
	s_waitcnt lgkmcnt(0)
	s_cmp_eq_u64 s[22:23], 0
	s_cbranch_scc1 .LBB8_7
; %bb.6:
	s_ashr_i32 s13, s12, 31
	s_delay_alu instid0(SALU_CYCLE_1) | instskip(NEXT) | instid1(SALU_CYCLE_1)
	s_lshl_b64 s[2:3], s[12:13], 2
	s_add_u32 s2, s22, s2
	s_addc_u32 s3, s23, s3
	s_load_b32 s61, s[2:3], 0x0
.LBB8_7:
	s_cmp_eq_u64 s[28:29], 0
	s_cbranch_scc1 .LBB8_9
; %bb.8:
	s_ashr_i32 s13, s12, 31
	s_delay_alu instid0(SALU_CYCLE_1) | instskip(NEXT) | instid1(SALU_CYCLE_1)
	s_lshl_b64 s[2:3], s[12:13], 2
	s_add_u32 s2, s28, s2
	s_addc_u32 s3, s29, s3
	s_load_b32 s60, s[2:3], 0x0
.LBB8_9:
	s_sub_i32 s59, s59, s58
	s_delay_alu instid0(SALU_CYCLE_1)
	s_cmp_lt_i32 s59, 1
	s_cbranch_scc1 .LBB8_172
; %bb.10:
	s_sub_i32 s2, 0, s10
	s_load_b256 s[36:43], s[0:1], 0x4c
	s_mul_i32 s2, s2, s34
	s_abs_i32 s3, s12
	s_mul_hi_u32 s2, s34, s2
	s_ashr_i32 s5, s11, 31
	s_add_i32 s34, s34, s2
	s_ashr_i32 s2, s12, 31
	s_mul_hi_u32 s4, s3, s34
	s_xor_b32 s5, s2, s5
	s_mul_i32 s6, s4, s10
	s_load_b256 s[44:51], s[0:1], 0x2c
	s_sub_i32 s2, s3, s6
	s_add_i32 s3, s4, 1
	s_sub_i32 s6, s2, s10
	s_cmp_ge_u32 s2, s10
	s_mov_b32 s35, 0
	s_cselect_b32 s3, s3, s4
	s_cselect_b32 s2, s6, s2
	s_add_i32 s4, s3, 1
	s_cmp_ge_u32 s2, s10
	s_waitcnt lgkmcnt(0)
	s_mul_i32 s34, s58, s38
	s_cselect_b32 s4, s4, s3
	s_lshl_b64 s[2:3], s[34:35], 1
	s_xor_b32 s4, s4, s5
	s_mul_i32 s34, s39, s12
	s_sub_i32 s6, s4, s5
	s_add_u32 s4, s24, s2
	s_addc_u32 s5, s25, s3
	s_lshl_b64 s[2:3], s[34:35], 1
	s_mul_i32 s34, s58, s40
	s_add_u32 s47, s4, s2
	s_addc_u32 s51, s5, s3
	s_lshl_b64 s[2:3], s[34:35], 1
	s_mul_i32 s34, s41, s12
	;; [unrolled: 4-line block ×4, first 2 shown]
	s_add_u32 s63, s16, s2
	s_addc_u32 s64, s17, s3
	s_load_b64 s[2:3], s[0:1], 0x7c
	s_lshl_b64 s[4:5], s[34:35], 1
	s_mul_i32 s34, s6, s49
	s_add_u32 s7, s18, s4
	s_addc_u32 s8, s19, s5
	s_load_b128 s[16:19], s[0:1], 0x6c
	s_lshl_b64 s[4:5], s[34:35], 1
	s_mul_i32 s34, s58, s50
	s_add_u32 s46, s7, s4
	v_dual_mov_b32 v13, 0 :: v_dual_lshlrev_b32 v10, 3, v0
	s_addc_u32 s49, s8, s5
	s_lshl_b64 s[4:5], s[34:35], 1
	s_mul_i32 s34, s6, s37
	s_add_u32 s7, s20, s4
	s_addc_u32 s6, s21, s5
	s_lshl_b64 s[4:5], s[34:35], 1
	v_mbcnt_lo_u32_b32 v1, -1, 0
	v_and_b32_e32 v2, 0x100, v10
	s_add_u32 s50, s7, s4
	s_waitcnt lgkmcnt(0)
	s_mul_i32 s34, s14, s2
	s_addc_u32 s65, s6, s5
	s_lshl_b64 s[4:5], s[34:35], 1
	s_load_b32 s37, s[0:1], 0x84
	s_add_u32 s4, s52, s4
	s_clause 0x1
	s_load_b32 s52, s[0:1], 0xc
	s_load_b32 s0, s[0:1], 0x28
	v_or_b32_e32 v11, v1, v2
	s_mul_i32 s34, s3, s12
	s_addc_u32 s5, s53, s5
	s_lshl_b64 s[2:3], s[34:35], 1
	v_and_b32_e32 v6, 32, v0
	v_or_b32_e32 v12, 0x60, v11
	v_or_b32_e32 v17, 0xa0, v11
	;; [unrolled: 1-line block ×3, first 2 shown]
	s_add_u32 s53, s4, s2
	v_or_b32_e32 v15, 64, v11
	v_lshrrev_b32_e32 v3, 5, v12
	v_or_b32_e32 v16, 0x80, v11
	v_or_b32_e32 v18, 0xc0, v11
	v_lshrrev_b32_e32 v7, 5, v17
	v_lshrrev_b32_e32 v24, 5, v19
	v_and_b32_e32 v3, 10, v3
	s_addc_u32 s66, s5, s3
	s_add_i32 s1, s59, 0x7ff
	v_lshrrev_b32_e32 v4, 5, v2
	s_lshr_b32 s67, s1, 11
	s_waitcnt lgkmcnt(0)
	s_bitcmp1_b32 s0, 0
	v_lshrrev_b32_e32 v5, 5, v15
	v_add_lshl_u32 v3, v3, v11, 1
	v_lshrrev_b32_e32 v8, 5, v16
	v_or_b32_e32 v9, v1, v6
	v_and_b32_e32 v7, 12, v7
	v_lshrrev_b32_e32 v23, 5, v18
	v_and_b32_e32 v26, 14, v24
	s_cselect_b32 s68, -1, 0
	s_cmp_gt_i32 s52, 0
	v_add_lshl_u32 v4, v4, v11, 1
	s_cselect_b32 s69, -1, 0
	s_add_i32 s0, 0, 0x420
	v_add_lshl_u32 v5, v5, v11, 1
	v_add_nc_u32_e32 v22, 0, v3
	v_add_lshl_u32 v8, v8, v11, 1
	v_lshrrev_b32_e32 v25, 2, v9
	v_add_lshl_u32 v7, v7, v11, 1
	v_add_lshl_u32 v33, v23, v11, 1
	;; [unrolled: 1-line block ×3, first 2 shown]
	v_add_nc_u32_e32 v30, s0, v3
	v_and_b32_e32 v3, 15, v1
	s_and_b32 s1, s59, 0x1ff
	v_and_b32_e32 v27, 14, v25
	v_add_nc_u32_e32 v25, 0, v33
	v_add_nc_u32_e32 v26, 0, v34
	;; [unrolled: 1-line block ×7, first 2 shown]
	s_cmp_eq_u32 s1, 0
	v_add_nc_u32_e32 v34, s0, v34
	v_cmp_ne_u32_e64 s0, 0, v3
	v_cmp_lt_u32_e64 s1, 1, v3
	v_cmp_lt_u32_e64 s2, 3, v3
	;; [unrolled: 1-line block ×3, first 2 shown]
	v_add_nc_u32_e32 v3, -1, v1
	v_add_nc_u32_e32 v20, 0, v4
	v_lshrrev_b32_e32 v4, 2, v0
	s_mul_i32 s34, s58, s16
	v_or_b32_e32 v6, 31, v6
	v_cmp_gt_i32_e32 vcc_lo, 0, v3
	s_cselect_b32 s70, -1, 0
	s_lshl_b64 s[14:15], s[34:35], 1
	v_and_b32_e32 v4, 8, v4
	s_add_i32 s71, s67, -1
	v_cndmask_b32_e32 v3, v3, v1, vcc_lo
	s_mul_i32 s34, s17, s12
	s_add_u32 s13, s30, s14
	s_addc_u32 s16, s31, s15
	s_lshl_b64 s[14:15], s[34:35], 1
	v_cmp_eq_u32_e64 s5, v6, v0
	v_cmp_gt_u32_e64 s6, 2, v0
	v_cmp_gt_u32_e64 s8, 32, v0
	v_cmp_lt_u32_e64 s9, 31, v0
	v_cmp_eq_u32_e64 s10, 0, v0
	s_mul_i32 s34, s58, s42
	v_lshlrev_b32_e32 v0, 1, v1
	s_add_u32 s13, s13, s14
	v_add_nc_u32_e32 v35, 0, v4
	v_and_b32_e32 v4, 1, v1
	s_addc_u32 s16, s16, s15
	s_lshl_b64 s[14:15], s[34:35], 1
	v_add_nc_u32_e32 v21, 0, v5
	v_and_b32_e32 v5, 16, v1
	s_mul_i32 s34, s43, s12
	s_add_u32 s17, s54, s14
	v_lshlrev_b32_e32 v37, 2, v3
	s_addc_u32 s20, s55, s15
	s_lshl_b64 s[14:15], s[34:35], 1
	v_add_co_u32 v3, s13, s13, v0
	s_mul_i32 s34, s58, s18
	v_cmp_eq_u32_e64 s7, 0, v4
	v_add_co_ci_u32_e64 v4, null, s16, 0, s13
	s_add_u32 s16, s17, s14
	v_cmp_ne_u32_e64 s4, 0, v5
	s_addc_u32 s17, s20, s15
	s_lshl_b64 s[14:15], s[34:35], 1
	v_lshlrev_b32_e32 v5, 1, v2
	s_mul_i32 s34, s19, s12
	s_add_u32 s14, s56, s14
	s_addc_u32 s15, s57, s15
	s_lshl_b64 s[12:13], s[34:35], 1
	v_add_co_u32 v38, vcc_lo, v3, v5
	s_add_u32 s12, s14, s12
	v_add_co_u32 v3, s14, s16, v0
	v_add_co_ci_u32_e32 v39, vcc_lo, 0, v4, vcc_lo
	v_add_co_ci_u32_e64 v4, null, s17, 0, s14
	s_addc_u32 s13, s15, s13
	v_add_co_u32 v0, s12, s12, v0
	v_lshl_add_u32 v9, v9, 3, v27
	v_add_co_ci_u32_e64 v6, null, s13, 0, s12
	v_add_co_u32 v40, vcc_lo, v3, v5
	v_add_co_ci_u32_e32 v41, vcc_lo, 0, v4, vcc_lo
	v_add_co_u32 v42, vcc_lo, v0, v5
	v_or_b32_e32 v14, 32, v11
	v_add_nc_u32_e32 v23, 0, v8
	v_add_nc_u32_e32 v24, 0, v7
	v_lshl_add_u32 v27, v9, 1, 0
	v_add_nc_u32_e32 v36, 0, v10
	v_cmp_eq_u32_e64 s11, 0, v1
	v_add_co_ci_u32_e32 v43, vcc_lo, 0, v6, vcc_lo
	v_or_b32_e32 v44, 1, v10
	v_or_b32_e32 v45, 2, v10
	;; [unrolled: 1-line block ×7, first 2 shown]
	v_lshlrev_b32_e32 v51, 1, v1
	v_lshlrev_b32_e32 v52, 1, v2
	s_mov_b32 s54, 0x3e9b6dac
	s_add_i32 s55, 0, 0x850
	s_mov_b32 s56, 0
	s_branch .LBB8_12
.LBB8_11:                               ;   in Loop: Header=BB8_12 Depth=1
	s_or_b32 exec_lo, exec_lo, s12
	s_add_u32 s62, s62, 0x400
	s_addc_u32 s44, s44, 0
	s_add_u32 s47, s47, 0x400
	s_addc_u32 s51, s51, 0
	;; [unrolled: 2-line block ×4, first 2 shown]
	s_add_i32 s56, s56, 1
	s_delay_alu instid0(SALU_CYCLE_1)
	s_cmp_lg_u32 s56, s67
	s_cbranch_scc0 .LBB8_172
.LBB8_12:                               ; =>This Loop Header: Depth=1
                                        ;     Child Loop BB8_61 Depth 2
	v_add_co_u32 v0, s12, s47, v51
	s_delay_alu instid0(VALU_DEP_1) | instskip(SKIP_1) | instid1(VALU_DEP_2)
	v_add_co_ci_u32_e64 v1, null, s51, 0, s12
	s_lshl_b32 s30, s56, 9
	v_add_co_u32 v0, vcc_lo, v0, v52
	s_sub_i32 s23, s59, s30
	s_delay_alu instid0(VALU_DEP_2)
	v_add_co_ci_u32_e32 v1, vcc_lo, 0, v1, vcc_lo
	v_cmp_gt_u32_e64 s12, s23, v11
	s_waitcnt lgkmcnt(0)
	v_mov_b32_e32 v2, 0
	s_waitcnt_vscnt null, 0x0
	s_barrier
	buffer_gl0_inv
	s_and_saveexec_b32 s13, s12
	s_cbranch_execz .LBB8_14
; %bb.13:                               ;   in Loop: Header=BB8_12 Depth=1
	global_load_u16 v2, v[0:1], off
.LBB8_14:                               ;   in Loop: Header=BB8_12 Depth=1
	s_or_b32 exec_lo, exec_lo, s13
	v_cmp_gt_u32_e64 s13, s23, v14
	v_dual_mov_b32 v3, 0 :: v_dual_mov_b32 v4, 0
	s_delay_alu instid0(VALU_DEP_2)
	s_and_saveexec_b32 s14, s13
	s_cbranch_execz .LBB8_16
; %bb.15:                               ;   in Loop: Header=BB8_12 Depth=1
	global_load_u16 v4, v[0:1], off offset:64
.LBB8_16:                               ;   in Loop: Header=BB8_12 Depth=1
	s_or_b32 exec_lo, exec_lo, s14
	v_cmp_gt_u32_e64 s14, s23, v15
	s_delay_alu instid0(VALU_DEP_1)
	s_and_saveexec_b32 s15, s14
	s_cbranch_execz .LBB8_18
; %bb.17:                               ;   in Loop: Header=BB8_12 Depth=1
	global_load_u16 v3, v[0:1], off offset:128
.LBB8_18:                               ;   in Loop: Header=BB8_12 Depth=1
	s_or_b32 exec_lo, exec_lo, s15
	v_cmp_gt_u32_e64 s15, s23, v12
	v_mov_b32_e32 v5, 0
	v_mov_b32_e32 v7, 0
	s_delay_alu instid0(VALU_DEP_3)
	s_and_saveexec_b32 s16, s15
	s_cbranch_execz .LBB8_20
; %bb.19:                               ;   in Loop: Header=BB8_12 Depth=1
	global_load_u16 v7, v[0:1], off offset:192
.LBB8_20:                               ;   in Loop: Header=BB8_12 Depth=1
	s_or_b32 exec_lo, exec_lo, s16
	v_cmp_gt_u32_e64 s16, s23, v16
	s_delay_alu instid0(VALU_DEP_1)
	s_and_saveexec_b32 s17, s16
	s_cbranch_execz .LBB8_22
; %bb.21:                               ;   in Loop: Header=BB8_12 Depth=1
	global_load_u16 v5, v[0:1], off offset:256
.LBB8_22:                               ;   in Loop: Header=BB8_12 Depth=1
	s_or_b32 exec_lo, exec_lo, s17
	v_cmp_gt_u32_e64 s17, s23, v17
	v_dual_mov_b32 v8, 0 :: v_dual_mov_b32 v9, 0
	s_delay_alu instid0(VALU_DEP_2)
	s_and_saveexec_b32 s18, s17
	s_cbranch_execz .LBB8_24
; %bb.23:                               ;   in Loop: Header=BB8_12 Depth=1
	global_load_u16 v9, v[0:1], off offset:320
.LBB8_24:                               ;   in Loop: Header=BB8_12 Depth=1
	s_or_b32 exec_lo, exec_lo, s18
	v_cmp_gt_u32_e64 s18, s23, v18
	s_delay_alu instid0(VALU_DEP_1)
	s_and_saveexec_b32 s19, s18
	s_cbranch_execz .LBB8_26
; %bb.25:                               ;   in Loop: Header=BB8_12 Depth=1
	global_load_u16 v8, v[0:1], off offset:384
.LBB8_26:                               ;   in Loop: Header=BB8_12 Depth=1
	s_or_b32 exec_lo, exec_lo, s19
	v_cmp_gt_u32_e64 s19, s23, v19
	v_dual_mov_b32 v6, 0 :: v_dual_mov_b32 v53, 0
	s_delay_alu instid0(VALU_DEP_2)
	s_and_saveexec_b32 s20, s19
	s_cbranch_execz .LBB8_28
; %bb.27:                               ;   in Loop: Header=BB8_12 Depth=1
	global_load_u16 v53, v[0:1], off offset:448
.LBB8_28:                               ;   in Loop: Header=BB8_12 Depth=1
	s_or_b32 exec_lo, exec_lo, s20
	s_waitcnt vmcnt(0)
	ds_store_b16 v20, v2
	ds_store_b16 v20, v4 offset:64
	ds_store_b16 v21, v3 offset:128
	ds_store_b16 v22, v7 offset:192
	ds_store_b16 v23, v5 offset:256
	ds_store_b16 v24, v9 offset:320
	ds_store_b16 v25, v8 offset:384
	ds_store_b16 v26, v53 offset:448
	; wave barrier
	ds_load_b128 v[0:3], v27
	v_add_co_u32 v4, s20, s62, v51
	s_delay_alu instid0(VALU_DEP_1) | instskip(SKIP_1) | instid1(VALU_DEP_2)
	v_add_co_ci_u32_e64 v5, null, s44, 0, s20
	s_waitcnt lgkmcnt(0)
	v_add_co_u32 v4, vcc_lo, v4, v52
	s_delay_alu instid0(VALU_DEP_2)
	v_add_co_ci_u32_e32 v5, vcc_lo, 0, v5, vcc_lo
	s_barrier
	buffer_gl0_inv
	s_and_saveexec_b32 s20, s12
	s_cbranch_execz .LBB8_30
; %bb.29:                               ;   in Loop: Header=BB8_12 Depth=1
	global_load_u16 v6, v[4:5], off
.LBB8_30:                               ;   in Loop: Header=BB8_12 Depth=1
	s_or_b32 exec_lo, exec_lo, s20
	v_dual_mov_b32 v7, 0 :: v_dual_mov_b32 v8, 0
	s_and_saveexec_b32 s20, s13
	s_cbranch_execz .LBB8_32
; %bb.31:                               ;   in Loop: Header=BB8_12 Depth=1
	global_load_u16 v8, v[4:5], off offset:64
.LBB8_32:                               ;   in Loop: Header=BB8_12 Depth=1
	s_or_b32 exec_lo, exec_lo, s20
	s_and_saveexec_b32 s20, s14
	s_cbranch_execz .LBB8_34
; %bb.33:                               ;   in Loop: Header=BB8_12 Depth=1
	global_load_u16 v7, v[4:5], off offset:128
.LBB8_34:                               ;   in Loop: Header=BB8_12 Depth=1
	s_or_b32 exec_lo, exec_lo, s20
	v_mov_b32_e32 v9, 0
	v_mov_b32_e32 v53, 0
	s_and_saveexec_b32 s20, s15
	s_cbranch_execz .LBB8_36
; %bb.35:                               ;   in Loop: Header=BB8_12 Depth=1
	global_load_u16 v53, v[4:5], off offset:192
.LBB8_36:                               ;   in Loop: Header=BB8_12 Depth=1
	s_or_b32 exec_lo, exec_lo, s20
	s_and_saveexec_b32 s20, s16
	s_cbranch_execz .LBB8_38
; %bb.37:                               ;   in Loop: Header=BB8_12 Depth=1
	global_load_u16 v9, v[4:5], off offset:256
.LBB8_38:                               ;   in Loop: Header=BB8_12 Depth=1
	s_or_b32 exec_lo, exec_lo, s20
	v_dual_mov_b32 v54, 0 :: v_dual_mov_b32 v55, 0
	s_and_saveexec_b32 s20, s17
	s_cbranch_execnz .LBB8_155
; %bb.39:                               ;   in Loop: Header=BB8_12 Depth=1
	s_or_b32 exec_lo, exec_lo, s20
	s_and_saveexec_b32 s20, s18
	s_cbranch_execnz .LBB8_156
.LBB8_40:                               ;   in Loop: Header=BB8_12 Depth=1
	s_or_b32 exec_lo, exec_lo, s20
	v_mov_b32_e32 v56, 0
	s_and_saveexec_b32 s20, s19
	s_cbranch_execz .LBB8_42
.LBB8_41:                               ;   in Loop: Header=BB8_12 Depth=1
	global_load_u16 v56, v[4:5], off offset:448
.LBB8_42:                               ;   in Loop: Header=BB8_12 Depth=1
	s_or_b32 exec_lo, exec_lo, s20
	s_waitcnt vmcnt(0)
	ds_store_b16 v20, v6
	ds_store_b16 v20, v8 offset:64
	ds_store_b16 v21, v7 offset:128
	;; [unrolled: 1-line block ×7, first 2 shown]
	; wave barrier
	ds_load_b128 v[4:7], v27
	s_waitcnt lgkmcnt(0)
	v_lshlrev_b32_e32 v8, 16, v4
	s_delay_alu instid0(VALU_DEP_1) | instskip(NEXT) | instid1(VALU_DEP_1)
	v_add_f32_e32 v53, s60, v8
	v_cmp_ge_f32_e32 vcc_lo, 0x41a00000, v53
	s_and_b32 s20, s68, vcc_lo
	s_delay_alu instid0(SALU_CYCLE_1)
	s_and_saveexec_b32 s21, s20
	s_cbranch_execz .LBB8_44
; %bb.43:                               ;   in Loop: Header=BB8_12 Depth=1
	v_mul_f32_e32 v8, 0x3fb8aa3b, v53
	v_cmp_ngt_f32_e32 vcc_lo, 0xc2ce8ed0, v53
	s_delay_alu instid0(VALU_DEP_2) | instskip(SKIP_1) | instid1(VALU_DEP_2)
	v_rndne_f32_e32 v9, v8
	v_fma_f32 v54, 0x3fb8aa3b, v53, -v8
	v_sub_f32_e32 v8, v8, v9
	s_delay_alu instid0(VALU_DEP_2) | instskip(SKIP_1) | instid1(VALU_DEP_2)
	v_fmac_f32_e32 v54, 0x32a5705f, v53
	v_cvt_i32_f32_e32 v9, v9
	v_add_f32_e32 v8, v8, v54
	s_delay_alu instid0(VALU_DEP_1) | instskip(SKIP_2) | instid1(VALU_DEP_1)
	v_exp_f32_e32 v8, v8
	s_waitcnt_depctr 0xfff
	v_ldexp_f32 v8, v8, v9
	v_cndmask_b32_e32 v8, 0, v8, vcc_lo
	v_cmp_nlt_f32_e32 vcc_lo, 0x42b17218, v53
	s_delay_alu instid0(VALU_DEP_2) | instskip(NEXT) | instid1(VALU_DEP_1)
	v_cndmask_b32_e32 v53, 0x7f800000, v8, vcc_lo
	v_add_f32_e32 v54, 1.0, v53
	s_delay_alu instid0(VALU_DEP_1) | instskip(NEXT) | instid1(VALU_DEP_1)
	v_cvt_f64_f32_e32 v[8:9], v54
	v_frexp_exp_i32_f64_e32 v8, v[8:9]
	v_frexp_mant_f32_e32 v9, v54
	s_delay_alu instid0(VALU_DEP_1) | instskip(SKIP_1) | instid1(VALU_DEP_1)
	v_cmp_gt_f32_e32 vcc_lo, 0x3f2aaaab, v9
	v_add_f32_e32 v9, -1.0, v54
	v_sub_f32_e32 v56, v9, v54
	v_sub_f32_e32 v9, v53, v9
	v_cmp_gt_f32_e64 s20, 0x33800000, v53
	s_delay_alu instid0(VALU_DEP_3) | instskip(NEXT) | instid1(VALU_DEP_1)
	v_add_f32_e32 v56, 1.0, v56
	v_add_f32_e32 v9, v9, v56
	v_subrev_co_ci_u32_e32 v8, vcc_lo, 0, v8, vcc_lo
	v_cmp_eq_f32_e32 vcc_lo, 0x7f800000, v53
	s_delay_alu instid0(VALU_DEP_2) | instskip(SKIP_2) | instid1(VALU_DEP_2)
	v_sub_nc_u32_e32 v55, 0, v8
	v_cvt_f32_i32_e32 v8, v8
	s_or_b32 vcc_lo, s20, vcc_lo
	v_ldexp_f32 v54, v54, v55
	v_ldexp_f32 v9, v9, v55
	s_delay_alu instid0(VALU_DEP_2) | instskip(NEXT) | instid1(VALU_DEP_1)
	v_add_f32_e32 v57, 1.0, v54
	v_dual_add_f32 v55, -1.0, v54 :: v_dual_add_f32 v56, -1.0, v57
	s_delay_alu instid0(VALU_DEP_1) | instskip(NEXT) | instid1(VALU_DEP_2)
	v_add_f32_e32 v58, 1.0, v55
	v_sub_f32_e32 v56, v54, v56
	s_delay_alu instid0(VALU_DEP_2) | instskip(NEXT) | instid1(VALU_DEP_2)
	v_sub_f32_e32 v54, v54, v58
	v_add_f32_e32 v56, v9, v56
	s_delay_alu instid0(VALU_DEP_2) | instskip(NEXT) | instid1(VALU_DEP_1)
	v_add_f32_e32 v9, v9, v54
	v_dual_add_f32 v59, v55, v9 :: v_dual_add_f32 v58, v57, v56
	s_delay_alu instid0(VALU_DEP_1) | instskip(NEXT) | instid1(VALU_DEP_2)
	v_sub_f32_e32 v55, v55, v59
	v_rcp_f32_e32 v54, v58
	v_sub_f32_e32 v57, v57, v58
	s_delay_alu instid0(VALU_DEP_1) | instskip(SKIP_2) | instid1(VALU_DEP_1)
	v_dual_add_f32 v9, v9, v55 :: v_dual_add_f32 v56, v56, v57
	s_waitcnt_depctr 0xfff
	v_mul_f32_e32 v60, v59, v54
	v_mul_f32_e32 v61, v58, v60
	s_delay_alu instid0(VALU_DEP_1) | instskip(NEXT) | instid1(VALU_DEP_1)
	v_fma_f32 v57, v60, v58, -v61
	v_fmac_f32_e32 v57, v60, v56
	s_delay_alu instid0(VALU_DEP_1) | instskip(NEXT) | instid1(VALU_DEP_1)
	v_add_f32_e32 v62, v61, v57
	v_sub_f32_e32 v63, v59, v62
	s_delay_alu instid0(VALU_DEP_1) | instskip(NEXT) | instid1(VALU_DEP_1)
	v_sub_f32_e32 v59, v59, v63
	v_sub_f32_e32 v59, v59, v62
	;; [unrolled: 1-line block ×3, first 2 shown]
	s_delay_alu instid0(VALU_DEP_2) | instskip(NEXT) | instid1(VALU_DEP_2)
	v_add_f32_e32 v9, v9, v59
	v_sub_f32_e32 v55, v55, v57
	s_delay_alu instid0(VALU_DEP_1) | instskip(NEXT) | instid1(VALU_DEP_1)
	v_add_f32_e32 v9, v55, v9
	v_add_f32_e32 v55, v63, v9
	s_delay_alu instid0(VALU_DEP_1) | instskip(NEXT) | instid1(VALU_DEP_1)
	v_mul_f32_e32 v57, v54, v55
	v_dual_sub_f32 v62, v63, v55 :: v_dual_mul_f32 v59, v58, v57
	s_delay_alu instid0(VALU_DEP_1) | instskip(NEXT) | instid1(VALU_DEP_2)
	v_add_f32_e32 v9, v9, v62
	v_fma_f32 v58, v57, v58, -v59
	s_delay_alu instid0(VALU_DEP_1) | instskip(NEXT) | instid1(VALU_DEP_1)
	v_fmac_f32_e32 v58, v57, v56
	v_add_f32_e32 v56, v59, v58
	s_delay_alu instid0(VALU_DEP_1) | instskip(NEXT) | instid1(VALU_DEP_1)
	v_sub_f32_e32 v61, v55, v56
	v_sub_f32_e32 v55, v55, v61
	s_delay_alu instid0(VALU_DEP_1) | instskip(NEXT) | instid1(VALU_DEP_1)
	v_sub_f32_e32 v55, v55, v56
	v_add_f32_e32 v9, v9, v55
	v_add_f32_e32 v55, v60, v57
	v_sub_f32_e32 v59, v56, v59
	s_delay_alu instid0(VALU_DEP_1) | instskip(NEXT) | instid1(VALU_DEP_1)
	v_sub_f32_e32 v56, v59, v58
	v_dual_add_f32 v9, v56, v9 :: v_dual_sub_f32 v56, v55, v60
	s_delay_alu instid0(VALU_DEP_1) | instskip(NEXT) | instid1(VALU_DEP_1)
	v_add_f32_e32 v9, v61, v9
	v_dual_sub_f32 v56, v57, v56 :: v_dual_mul_f32 v9, v54, v9
	s_delay_alu instid0(VALU_DEP_1) | instskip(NEXT) | instid1(VALU_DEP_1)
	v_add_f32_e32 v9, v56, v9
	v_add_f32_e32 v54, v55, v9
	s_delay_alu instid0(VALU_DEP_1) | instskip(NEXT) | instid1(VALU_DEP_1)
	v_mul_f32_e32 v56, v54, v54
	v_fmaak_f32 v57, s54, v56, 0x3ecc95a3
	v_mul_f32_e32 v58, v54, v56
	s_delay_alu instid0(VALU_DEP_2) | instskip(SKIP_2) | instid1(VALU_DEP_3)
	v_fmaak_f32 v56, v56, v57, 0x3f2aaada
	v_ldexp_f32 v57, v54, 1
	v_sub_f32_e32 v54, v54, v55
	v_mul_f32_e32 v56, v58, v56
	v_mul_f32_e32 v58, 0x3f317218, v8
	s_delay_alu instid0(VALU_DEP_2) | instskip(NEXT) | instid1(VALU_DEP_1)
	v_add_f32_e32 v55, v57, v56
	v_dual_sub_f32 v9, v9, v54 :: v_dual_sub_f32 v54, v55, v57
	s_delay_alu instid0(VALU_DEP_3) | instskip(NEXT) | instid1(VALU_DEP_2)
	v_fma_f32 v57, 0x3f317218, v8, -v58
	v_ldexp_f32 v9, v9, 1
	s_delay_alu instid0(VALU_DEP_2) | instskip(NEXT) | instid1(VALU_DEP_1)
	v_dual_sub_f32 v54, v56, v54 :: v_dual_fmac_f32 v57, 0xb102e308, v8
	v_dual_add_f32 v8, v9, v54 :: v_dual_add_f32 v9, v58, v57
	s_delay_alu instid0(VALU_DEP_1) | instskip(NEXT) | instid1(VALU_DEP_1)
	v_add_f32_e32 v54, v55, v8
	v_add_f32_e32 v56, v9, v54
	s_delay_alu instid0(VALU_DEP_1) | instskip(NEXT) | instid1(VALU_DEP_1)
	v_sub_f32_e32 v59, v56, v9
	v_sub_f32_e32 v60, v56, v59
	;; [unrolled: 1-line block ×4, first 2 shown]
	s_delay_alu instid0(VALU_DEP_2) | instskip(SKIP_1) | instid1(VALU_DEP_1)
	v_sub_f32_e32 v8, v8, v55
	v_sub_f32_e32 v58, v9, v58
	;; [unrolled: 1-line block ×3, first 2 shown]
	s_delay_alu instid0(VALU_DEP_1) | instskip(SKIP_1) | instid1(VALU_DEP_1)
	v_add_f32_e32 v55, v57, v8
	v_sub_f32_e32 v9, v9, v60
	v_add_f32_e32 v9, v54, v9
	s_delay_alu instid0(VALU_DEP_3) | instskip(NEXT) | instid1(VALU_DEP_1)
	v_sub_f32_e32 v54, v55, v57
	v_dual_sub_f32 v8, v8, v54 :: v_dual_add_f32 v9, v55, v9
	s_delay_alu instid0(VALU_DEP_1) | instskip(NEXT) | instid1(VALU_DEP_1)
	v_dual_sub_f32 v55, v55, v54 :: v_dual_add_f32 v58, v56, v9
	v_dual_sub_f32 v55, v57, v55 :: v_dual_sub_f32 v54, v58, v56
	s_delay_alu instid0(VALU_DEP_1) | instskip(NEXT) | instid1(VALU_DEP_1)
	v_dual_add_f32 v8, v8, v55 :: v_dual_sub_f32 v9, v9, v54
	v_add_f32_e32 v8, v8, v9
	s_delay_alu instid0(VALU_DEP_1) | instskip(NEXT) | instid1(VALU_DEP_1)
	v_add_f32_e32 v8, v58, v8
	v_cndmask_b32_e32 v53, v8, v53, vcc_lo
.LBB8_44:                               ;   in Loop: Header=BB8_12 Depth=1
	s_or_b32 exec_lo, exec_lo, s21
	v_and_b32_e32 v4, 0xffff0000, v4
	s_delay_alu instid0(VALU_DEP_1) | instskip(NEXT) | instid1(VALU_DEP_1)
	v_add_f32_e32 v54, s60, v4
	v_cmp_ge_f32_e32 vcc_lo, 0x41a00000, v54
	s_and_b32 s20, s68, vcc_lo
	s_delay_alu instid0(SALU_CYCLE_1)
	s_and_saveexec_b32 s21, s20
	s_cbranch_execz .LBB8_46
; %bb.45:                               ;   in Loop: Header=BB8_12 Depth=1
	v_mul_f32_e32 v4, 0x3fb8aa3b, v54
	v_cmp_ngt_f32_e32 vcc_lo, 0xc2ce8ed0, v54
	s_delay_alu instid0(VALU_DEP_2) | instskip(SKIP_1) | instid1(VALU_DEP_1)
	v_rndne_f32_e32 v8, v4
	v_fma_f32 v9, 0x3fb8aa3b, v54, -v4
	v_dual_sub_f32 v4, v4, v8 :: v_dual_fmac_f32 v9, 0x32a5705f, v54
	v_cvt_i32_f32_e32 v8, v8
	s_delay_alu instid0(VALU_DEP_2) | instskip(NEXT) | instid1(VALU_DEP_1)
	v_add_f32_e32 v4, v4, v9
	v_exp_f32_e32 v4, v4
	s_waitcnt_depctr 0xfff
	v_ldexp_f32 v4, v4, v8
	s_delay_alu instid0(VALU_DEP_1) | instskip(SKIP_1) | instid1(VALU_DEP_2)
	v_cndmask_b32_e32 v4, 0, v4, vcc_lo
	v_cmp_nlt_f32_e32 vcc_lo, 0x42b17218, v54
	v_cndmask_b32_e32 v4, 0x7f800000, v4, vcc_lo
	s_delay_alu instid0(VALU_DEP_1) | instskip(NEXT) | instid1(VALU_DEP_1)
	v_add_f32_e32 v54, 1.0, v4
	v_cvt_f64_f32_e32 v[8:9], v54
	s_delay_alu instid0(VALU_DEP_1) | instskip(SKIP_1) | instid1(VALU_DEP_1)
	v_frexp_exp_i32_f64_e32 v8, v[8:9]
	v_frexp_mant_f32_e32 v9, v54
	v_cmp_gt_f32_e32 vcc_lo, 0x3f2aaaab, v9
	v_add_f32_e32 v9, -1.0, v54
	s_delay_alu instid0(VALU_DEP_1) | instskip(NEXT) | instid1(VALU_DEP_1)
	v_dual_sub_f32 v56, v9, v54 :: v_dual_sub_f32 v9, v4, v9
	v_add_f32_e32 v56, 1.0, v56
	s_delay_alu instid0(VALU_DEP_1) | instskip(SKIP_1) | instid1(VALU_DEP_1)
	v_add_f32_e32 v9, v9, v56
	v_subrev_co_ci_u32_e32 v8, vcc_lo, 0, v8, vcc_lo
	v_sub_nc_u32_e32 v55, 0, v8
	v_cvt_f32_i32_e32 v8, v8
	s_delay_alu instid0(VALU_DEP_2) | instskip(SKIP_1) | instid1(VALU_DEP_2)
	v_ldexp_f32 v54, v54, v55
	v_ldexp_f32 v9, v9, v55
	v_add_f32_e32 v57, 1.0, v54
	v_add_f32_e32 v55, -1.0, v54
	v_cmp_eq_f32_e32 vcc_lo, 0x7f800000, v4
	v_cmp_gt_f32_e64 s20, 0x33800000, v4
	s_delay_alu instid0(VALU_DEP_4) | instskip(NEXT) | instid1(VALU_DEP_4)
	v_add_f32_e32 v56, -1.0, v57
	v_add_f32_e32 v58, 1.0, v55
	s_delay_alu instid0(VALU_DEP_3) | instskip(NEXT) | instid1(VALU_DEP_2)
	s_or_b32 vcc_lo, s20, vcc_lo
	v_sub_f32_e32 v56, v54, v56
	s_delay_alu instid0(VALU_DEP_2) | instskip(NEXT) | instid1(VALU_DEP_2)
	v_sub_f32_e32 v54, v54, v58
	v_add_f32_e32 v56, v9, v56
	s_delay_alu instid0(VALU_DEP_2) | instskip(NEXT) | instid1(VALU_DEP_1)
	v_add_f32_e32 v9, v9, v54
	v_add_f32_e32 v59, v55, v9
	s_delay_alu instid0(VALU_DEP_1) | instskip(NEXT) | instid1(VALU_DEP_1)
	v_dual_sub_f32 v55, v55, v59 :: v_dual_add_f32 v58, v57, v56
	v_add_f32_e32 v9, v9, v55
	s_delay_alu instid0(VALU_DEP_2) | instskip(SKIP_1) | instid1(VALU_DEP_1)
	v_rcp_f32_e32 v54, v58
	v_sub_f32_e32 v57, v57, v58
	v_add_f32_e32 v56, v56, v57
	s_waitcnt_depctr 0xfff
	v_mul_f32_e32 v60, v59, v54
	s_delay_alu instid0(VALU_DEP_1) | instskip(NEXT) | instid1(VALU_DEP_1)
	v_mul_f32_e32 v61, v58, v60
	v_fma_f32 v57, v60, v58, -v61
	s_delay_alu instid0(VALU_DEP_1) | instskip(NEXT) | instid1(VALU_DEP_1)
	v_fmac_f32_e32 v57, v60, v56
	v_add_f32_e32 v62, v61, v57
	s_delay_alu instid0(VALU_DEP_1) | instskip(SKIP_1) | instid1(VALU_DEP_2)
	v_sub_f32_e32 v63, v59, v62
	v_sub_f32_e32 v55, v62, v61
	v_sub_f32_e32 v59, v59, v63
	s_delay_alu instid0(VALU_DEP_2) | instskip(NEXT) | instid1(VALU_DEP_2)
	v_sub_f32_e32 v55, v55, v57
	v_sub_f32_e32 v59, v59, v62
	s_delay_alu instid0(VALU_DEP_1) | instskip(NEXT) | instid1(VALU_DEP_1)
	v_add_f32_e32 v9, v9, v59
	v_add_f32_e32 v9, v55, v9
	s_delay_alu instid0(VALU_DEP_1) | instskip(NEXT) | instid1(VALU_DEP_1)
	v_add_f32_e32 v55, v63, v9
	v_mul_f32_e32 v57, v54, v55
	s_delay_alu instid0(VALU_DEP_1) | instskip(NEXT) | instid1(VALU_DEP_1)
	v_dual_sub_f32 v62, v63, v55 :: v_dual_mul_f32 v59, v58, v57
	v_add_f32_e32 v9, v9, v62
	s_delay_alu instid0(VALU_DEP_2) | instskip(NEXT) | instid1(VALU_DEP_1)
	v_fma_f32 v58, v57, v58, -v59
	v_fmac_f32_e32 v58, v57, v56
	s_delay_alu instid0(VALU_DEP_1) | instskip(NEXT) | instid1(VALU_DEP_1)
	v_add_f32_e32 v56, v59, v58
	v_sub_f32_e32 v61, v55, v56
	s_delay_alu instid0(VALU_DEP_1) | instskip(NEXT) | instid1(VALU_DEP_1)
	v_sub_f32_e32 v55, v55, v61
	v_sub_f32_e32 v55, v55, v56
	s_delay_alu instid0(VALU_DEP_1) | instskip(SKIP_2) | instid1(VALU_DEP_1)
	v_add_f32_e32 v9, v9, v55
	v_add_f32_e32 v55, v60, v57
	v_sub_f32_e32 v59, v56, v59
	v_sub_f32_e32 v56, v59, v58
	s_delay_alu instid0(VALU_DEP_1) | instskip(NEXT) | instid1(VALU_DEP_1)
	v_dual_add_f32 v9, v56, v9 :: v_dual_sub_f32 v56, v55, v60
	v_add_f32_e32 v9, v61, v9
	s_delay_alu instid0(VALU_DEP_1) | instskip(NEXT) | instid1(VALU_DEP_1)
	v_dual_sub_f32 v56, v57, v56 :: v_dual_mul_f32 v9, v54, v9
	v_add_f32_e32 v9, v56, v9
	s_delay_alu instid0(VALU_DEP_1) | instskip(NEXT) | instid1(VALU_DEP_1)
	v_add_f32_e32 v54, v55, v9
	v_mul_f32_e32 v56, v54, v54
	s_delay_alu instid0(VALU_DEP_1) | instskip(SKIP_1) | instid1(VALU_DEP_2)
	v_fmaak_f32 v57, s54, v56, 0x3ecc95a3
	v_mul_f32_e32 v58, v54, v56
	v_fmaak_f32 v56, v56, v57, 0x3f2aaada
	v_ldexp_f32 v57, v54, 1
	v_sub_f32_e32 v54, v54, v55
	s_delay_alu instid0(VALU_DEP_3) | instskip(SKIP_1) | instid1(VALU_DEP_2)
	v_mul_f32_e32 v56, v58, v56
	v_mul_f32_e32 v58, 0x3f317218, v8
	v_add_f32_e32 v55, v57, v56
	s_delay_alu instid0(VALU_DEP_1) | instskip(NEXT) | instid1(VALU_DEP_3)
	v_dual_sub_f32 v9, v9, v54 :: v_dual_sub_f32 v54, v55, v57
	v_fma_f32 v57, 0x3f317218, v8, -v58
	s_delay_alu instid0(VALU_DEP_2) | instskip(NEXT) | instid1(VALU_DEP_2)
	v_ldexp_f32 v9, v9, 1
	v_dual_sub_f32 v54, v56, v54 :: v_dual_fmac_f32 v57, 0xb102e308, v8
	s_delay_alu instid0(VALU_DEP_1) | instskip(NEXT) | instid1(VALU_DEP_1)
	v_dual_add_f32 v8, v9, v54 :: v_dual_add_f32 v9, v58, v57
	v_add_f32_e32 v54, v55, v8
	s_delay_alu instid0(VALU_DEP_1) | instskip(NEXT) | instid1(VALU_DEP_1)
	v_add_f32_e32 v56, v9, v54
	v_sub_f32_e32 v59, v56, v9
	s_delay_alu instid0(VALU_DEP_1) | instskip(SKIP_2) | instid1(VALU_DEP_2)
	v_sub_f32_e32 v60, v56, v59
	v_sub_f32_e32 v55, v54, v55
	;; [unrolled: 1-line block ×5, first 2 shown]
	s_delay_alu instid0(VALU_DEP_1) | instskip(NEXT) | instid1(VALU_DEP_1)
	v_sub_f32_e32 v57, v57, v58
	v_add_f32_e32 v55, v57, v8
	v_sub_f32_e32 v9, v9, v60
	s_delay_alu instid0(VALU_DEP_1) | instskip(NEXT) | instid1(VALU_DEP_3)
	v_add_f32_e32 v9, v54, v9
	v_sub_f32_e32 v54, v55, v57
	s_delay_alu instid0(VALU_DEP_1) | instskip(NEXT) | instid1(VALU_DEP_1)
	v_dual_sub_f32 v8, v8, v54 :: v_dual_add_f32 v9, v55, v9
	v_dual_sub_f32 v55, v55, v54 :: v_dual_add_f32 v58, v56, v9
	s_delay_alu instid0(VALU_DEP_1) | instskip(NEXT) | instid1(VALU_DEP_1)
	v_dual_sub_f32 v55, v57, v55 :: v_dual_sub_f32 v54, v58, v56
	v_dual_add_f32 v8, v8, v55 :: v_dual_sub_f32 v9, v9, v54
	s_delay_alu instid0(VALU_DEP_1) | instskip(NEXT) | instid1(VALU_DEP_1)
	v_add_f32_e32 v8, v8, v9
	v_add_f32_e32 v8, v58, v8
	s_delay_alu instid0(VALU_DEP_1)
	v_cndmask_b32_e32 v54, v8, v4, vcc_lo
.LBB8_46:                               ;   in Loop: Header=BB8_12 Depth=1
	s_or_b32 exec_lo, exec_lo, s21
	v_lshlrev_b32_e32 v4, 16, v5
	s_delay_alu instid0(VALU_DEP_1) | instskip(NEXT) | instid1(VALU_DEP_1)
	v_add_f32_e32 v55, s60, v4
	v_cmp_ge_f32_e32 vcc_lo, 0x41a00000, v55
	s_and_b32 s20, s68, vcc_lo
	s_delay_alu instid0(SALU_CYCLE_1)
	s_and_saveexec_b32 s21, s20
	s_cbranch_execz .LBB8_48
; %bb.47:                               ;   in Loop: Header=BB8_12 Depth=1
	v_mul_f32_e32 v4, 0x3fb8aa3b, v55
	v_cmp_ngt_f32_e32 vcc_lo, 0xc2ce8ed0, v55
	s_delay_alu instid0(VALU_DEP_2) | instskip(SKIP_1) | instid1(VALU_DEP_1)
	v_rndne_f32_e32 v8, v4
	v_fma_f32 v9, 0x3fb8aa3b, v55, -v4
	v_dual_sub_f32 v4, v4, v8 :: v_dual_fmac_f32 v9, 0x32a5705f, v55
	v_cvt_i32_f32_e32 v8, v8
	s_delay_alu instid0(VALU_DEP_2) | instskip(NEXT) | instid1(VALU_DEP_1)
	v_add_f32_e32 v4, v4, v9
	v_exp_f32_e32 v4, v4
	s_waitcnt_depctr 0xfff
	v_ldexp_f32 v4, v4, v8
	s_delay_alu instid0(VALU_DEP_1) | instskip(SKIP_1) | instid1(VALU_DEP_2)
	v_cndmask_b32_e32 v4, 0, v4, vcc_lo
	v_cmp_nlt_f32_e32 vcc_lo, 0x42b17218, v55
	v_cndmask_b32_e32 v4, 0x7f800000, v4, vcc_lo
	s_delay_alu instid0(VALU_DEP_1) | instskip(NEXT) | instid1(VALU_DEP_1)
	v_add_f32_e32 v55, 1.0, v4
	v_cvt_f64_f32_e32 v[8:9], v55
	s_delay_alu instid0(VALU_DEP_1) | instskip(SKIP_1) | instid1(VALU_DEP_1)
	v_frexp_exp_i32_f64_e32 v8, v[8:9]
	v_frexp_mant_f32_e32 v9, v55
	v_cmp_gt_f32_e32 vcc_lo, 0x3f2aaaab, v9
	v_add_f32_e32 v9, -1.0, v55
	s_delay_alu instid0(VALU_DEP_1) | instskip(NEXT) | instid1(VALU_DEP_1)
	v_sub_f32_e32 v57, v9, v55
	v_add_f32_e32 v57, 1.0, v57
	v_subrev_co_ci_u32_e32 v8, vcc_lo, 0, v8, vcc_lo
	s_delay_alu instid0(VALU_DEP_1) | instskip(SKIP_1) | instid1(VALU_DEP_2)
	v_sub_nc_u32_e32 v56, 0, v8
	v_cvt_f32_i32_e32 v8, v8
	v_ldexp_f32 v55, v55, v56
	s_delay_alu instid0(VALU_DEP_1) | instskip(NEXT) | instid1(VALU_DEP_1)
	v_dual_sub_f32 v9, v4, v9 :: v_dual_add_f32 v58, 1.0, v55
	v_add_f32_e32 v9, v9, v57
	v_cmp_eq_f32_e32 vcc_lo, 0x7f800000, v4
	v_cmp_gt_f32_e64 s20, 0x33800000, v4
	s_delay_alu instid0(VALU_DEP_4) | instskip(NEXT) | instid1(VALU_DEP_4)
	v_add_f32_e32 v57, -1.0, v58
	v_ldexp_f32 v9, v9, v56
	v_add_f32_e32 v56, -1.0, v55
	s_delay_alu instid0(VALU_DEP_4) | instskip(NEXT) | instid1(VALU_DEP_3)
	s_or_b32 vcc_lo, s20, vcc_lo
	v_sub_f32_e32 v57, v55, v57
	s_delay_alu instid0(VALU_DEP_2) | instskip(NEXT) | instid1(VALU_DEP_2)
	v_add_f32_e32 v59, 1.0, v56
	v_add_f32_e32 v57, v9, v57
	s_delay_alu instid0(VALU_DEP_2) | instskip(NEXT) | instid1(VALU_DEP_1)
	v_sub_f32_e32 v55, v55, v59
	v_add_f32_e32 v9, v9, v55
	s_delay_alu instid0(VALU_DEP_1) | instskip(NEXT) | instid1(VALU_DEP_1)
	v_add_f32_e32 v60, v56, v9
	v_dual_add_f32 v59, v58, v57 :: v_dual_sub_f32 v56, v56, v60
	s_delay_alu instid0(VALU_DEP_1) | instskip(SKIP_1) | instid1(VALU_DEP_1)
	v_rcp_f32_e32 v55, v59
	v_sub_f32_e32 v58, v58, v59
	v_add_f32_e32 v57, v57, v58
	s_waitcnt_depctr 0xfff
	v_mul_f32_e32 v61, v60, v55
	s_delay_alu instid0(VALU_DEP_1) | instskip(NEXT) | instid1(VALU_DEP_1)
	v_mul_f32_e32 v62, v59, v61
	v_fma_f32 v58, v61, v59, -v62
	s_delay_alu instid0(VALU_DEP_1) | instskip(SKIP_1) | instid1(VALU_DEP_2)
	v_fmac_f32_e32 v58, v61, v57
	v_add_f32_e32 v9, v9, v56
	v_add_f32_e32 v63, v62, v58
	s_delay_alu instid0(VALU_DEP_1) | instskip(SKIP_1) | instid1(VALU_DEP_2)
	v_sub_f32_e32 v64, v60, v63
	v_sub_f32_e32 v56, v63, v62
	;; [unrolled: 1-line block ×3, first 2 shown]
	s_delay_alu instid0(VALU_DEP_2) | instskip(NEXT) | instid1(VALU_DEP_2)
	v_sub_f32_e32 v56, v56, v58
	v_sub_f32_e32 v60, v60, v63
	s_delay_alu instid0(VALU_DEP_1) | instskip(NEXT) | instid1(VALU_DEP_1)
	v_add_f32_e32 v9, v9, v60
	v_add_f32_e32 v9, v56, v9
	s_delay_alu instid0(VALU_DEP_1) | instskip(NEXT) | instid1(VALU_DEP_1)
	v_add_f32_e32 v56, v64, v9
	v_mul_f32_e32 v58, v55, v56
	s_delay_alu instid0(VALU_DEP_1) | instskip(NEXT) | instid1(VALU_DEP_1)
	v_dual_sub_f32 v63, v64, v56 :: v_dual_mul_f32 v60, v59, v58
	v_add_f32_e32 v9, v9, v63
	s_delay_alu instid0(VALU_DEP_2) | instskip(NEXT) | instid1(VALU_DEP_1)
	v_fma_f32 v59, v58, v59, -v60
	v_fmac_f32_e32 v59, v58, v57
	s_delay_alu instid0(VALU_DEP_1) | instskip(NEXT) | instid1(VALU_DEP_1)
	v_add_f32_e32 v57, v60, v59
	v_sub_f32_e32 v62, v56, v57
	s_delay_alu instid0(VALU_DEP_1) | instskip(NEXT) | instid1(VALU_DEP_1)
	v_sub_f32_e32 v56, v56, v62
	v_sub_f32_e32 v56, v56, v57
	s_delay_alu instid0(VALU_DEP_1) | instskip(SKIP_2) | instid1(VALU_DEP_1)
	v_add_f32_e32 v9, v9, v56
	v_add_f32_e32 v56, v61, v58
	v_sub_f32_e32 v60, v57, v60
	v_sub_f32_e32 v57, v60, v59
	s_delay_alu instid0(VALU_DEP_1) | instskip(NEXT) | instid1(VALU_DEP_4)
	v_add_f32_e32 v9, v57, v9
	v_sub_f32_e32 v57, v56, v61
	s_delay_alu instid0(VALU_DEP_2) | instskip(NEXT) | instid1(VALU_DEP_2)
	v_add_f32_e32 v9, v62, v9
	v_sub_f32_e32 v57, v58, v57
	s_delay_alu instid0(VALU_DEP_2) | instskip(NEXT) | instid1(VALU_DEP_1)
	v_mul_f32_e32 v9, v55, v9
	v_add_f32_e32 v9, v57, v9
	s_delay_alu instid0(VALU_DEP_1) | instskip(NEXT) | instid1(VALU_DEP_1)
	v_add_f32_e32 v55, v56, v9
	v_mul_f32_e32 v57, v55, v55
	s_delay_alu instid0(VALU_DEP_1) | instskip(SKIP_1) | instid1(VALU_DEP_2)
	v_fmaak_f32 v58, s54, v57, 0x3ecc95a3
	v_mul_f32_e32 v59, v55, v57
	v_fmaak_f32 v57, v57, v58, 0x3f2aaada
	v_ldexp_f32 v58, v55, 1
	v_sub_f32_e32 v55, v55, v56
	s_delay_alu instid0(VALU_DEP_3) | instskip(SKIP_1) | instid1(VALU_DEP_2)
	v_mul_f32_e32 v57, v59, v57
	v_mul_f32_e32 v59, 0x3f317218, v8
	v_dual_sub_f32 v9, v9, v55 :: v_dual_add_f32 v56, v58, v57
	s_delay_alu instid0(VALU_DEP_1) | instskip(NEXT) | instid1(VALU_DEP_2)
	v_ldexp_f32 v9, v9, 1
	v_sub_f32_e32 v55, v56, v58
	s_delay_alu instid0(VALU_DEP_4) | instskip(NEXT) | instid1(VALU_DEP_1)
	v_fma_f32 v58, 0x3f317218, v8, -v59
	v_dual_sub_f32 v55, v57, v55 :: v_dual_fmac_f32 v58, 0xb102e308, v8
	s_delay_alu instid0(VALU_DEP_1) | instskip(NEXT) | instid1(VALU_DEP_1)
	v_dual_add_f32 v8, v9, v55 :: v_dual_add_f32 v9, v59, v58
	v_add_f32_e32 v55, v56, v8
	s_delay_alu instid0(VALU_DEP_2) | instskip(NEXT) | instid1(VALU_DEP_2)
	v_sub_f32_e32 v59, v9, v59
	v_dual_add_f32 v57, v9, v55 :: v_dual_sub_f32 v56, v55, v56
	s_delay_alu instid0(VALU_DEP_2) | instskip(NEXT) | instid1(VALU_DEP_2)
	v_sub_f32_e32 v58, v58, v59
	v_sub_f32_e32 v60, v57, v9
	s_delay_alu instid0(VALU_DEP_3) | instskip(NEXT) | instid1(VALU_DEP_2)
	v_sub_f32_e32 v8, v8, v56
	v_sub_f32_e32 v61, v57, v60
	;; [unrolled: 1-line block ×3, first 2 shown]
	s_delay_alu instid0(VALU_DEP_2) | instskip(NEXT) | instid1(VALU_DEP_1)
	v_dual_add_f32 v56, v58, v8 :: v_dual_sub_f32 v9, v9, v61
	v_add_f32_e32 v9, v55, v9
	s_delay_alu instid0(VALU_DEP_2) | instskip(NEXT) | instid1(VALU_DEP_2)
	v_sub_f32_e32 v55, v56, v58
	v_add_f32_e32 v9, v56, v9
	s_delay_alu instid0(VALU_DEP_2) | instskip(NEXT) | instid1(VALU_DEP_2)
	v_sub_f32_e32 v56, v56, v55
	v_dual_sub_f32 v8, v8, v55 :: v_dual_add_f32 v59, v57, v9
	s_delay_alu instid0(VALU_DEP_1) | instskip(NEXT) | instid1(VALU_DEP_1)
	v_dual_sub_f32 v56, v58, v56 :: v_dual_sub_f32 v55, v59, v57
	v_dual_add_f32 v8, v8, v56 :: v_dual_sub_f32 v9, v9, v55
	s_delay_alu instid0(VALU_DEP_1) | instskip(NEXT) | instid1(VALU_DEP_1)
	v_add_f32_e32 v8, v8, v9
	v_add_f32_e32 v8, v59, v8
	s_delay_alu instid0(VALU_DEP_1)
	v_cndmask_b32_e32 v55, v8, v4, vcc_lo
.LBB8_48:                               ;   in Loop: Header=BB8_12 Depth=1
	s_or_b32 exec_lo, exec_lo, s21
	v_and_b32_e32 v4, 0xffff0000, v5
	s_delay_alu instid0(VALU_DEP_1) | instskip(NEXT) | instid1(VALU_DEP_1)
	v_add_f32_e32 v58, s60, v4
	v_cmp_ge_f32_e32 vcc_lo, 0x41a00000, v58
	s_and_b32 s20, s68, vcc_lo
	s_delay_alu instid0(SALU_CYCLE_1)
	s_and_saveexec_b32 s21, s20
	s_cbranch_execz .LBB8_50
; %bb.49:                               ;   in Loop: Header=BB8_12 Depth=1
	v_mul_f32_e32 v4, 0x3fb8aa3b, v58
	v_cmp_ngt_f32_e32 vcc_lo, 0xc2ce8ed0, v58
	s_delay_alu instid0(VALU_DEP_2) | instskip(SKIP_1) | instid1(VALU_DEP_2)
	v_rndne_f32_e32 v5, v4
	v_fma_f32 v8, 0x3fb8aa3b, v58, -v4
	v_sub_f32_e32 v4, v4, v5
	s_delay_alu instid0(VALU_DEP_2) | instskip(SKIP_1) | instid1(VALU_DEP_2)
	v_fmac_f32_e32 v8, 0x32a5705f, v58
	v_cvt_i32_f32_e32 v5, v5
	v_add_f32_e32 v4, v4, v8
	s_delay_alu instid0(VALU_DEP_1) | instskip(SKIP_2) | instid1(VALU_DEP_1)
	v_exp_f32_e32 v4, v4
	s_waitcnt_depctr 0xfff
	v_ldexp_f32 v4, v4, v5
	v_cndmask_b32_e32 v4, 0, v4, vcc_lo
	v_cmp_nlt_f32_e32 vcc_lo, 0x42b17218, v58
	s_delay_alu instid0(VALU_DEP_2) | instskip(NEXT) | instid1(VALU_DEP_1)
	v_cndmask_b32_e32 v8, 0x7f800000, v4, vcc_lo
	v_add_f32_e32 v9, 1.0, v8
	s_delay_alu instid0(VALU_DEP_1) | instskip(NEXT) | instid1(VALU_DEP_1)
	v_cvt_f64_f32_e32 v[4:5], v9
	v_frexp_exp_i32_f64_e32 v4, v[4:5]
	v_frexp_mant_f32_e32 v5, v9
	s_delay_alu instid0(VALU_DEP_1) | instskip(SKIP_1) | instid1(VALU_DEP_1)
	v_cmp_gt_f32_e32 vcc_lo, 0x3f2aaaab, v5
	v_add_f32_e32 v5, -1.0, v9
	v_sub_f32_e32 v57, v5, v9
	s_delay_alu instid0(VALU_DEP_1) | instskip(SKIP_2) | instid1(VALU_DEP_2)
	v_add_f32_e32 v57, 1.0, v57
	v_sub_f32_e32 v5, v8, v5
	v_cmp_gt_f32_e64 s20, 0x33800000, v8
	v_add_f32_e32 v5, v5, v57
	v_subrev_co_ci_u32_e32 v4, vcc_lo, 0, v4, vcc_lo
	v_cmp_eq_f32_e32 vcc_lo, 0x7f800000, v8
	s_delay_alu instid0(VALU_DEP_2) | instskip(SKIP_2) | instid1(VALU_DEP_2)
	v_sub_nc_u32_e32 v56, 0, v4
	v_cvt_f32_i32_e32 v4, v4
	s_or_b32 vcc_lo, s20, vcc_lo
	v_ldexp_f32 v9, v9, v56
	v_ldexp_f32 v5, v5, v56
	s_delay_alu instid0(VALU_DEP_2) | instskip(NEXT) | instid1(VALU_DEP_1)
	v_add_f32_e32 v56, -1.0, v9
	v_dual_add_f32 v58, 1.0, v9 :: v_dual_add_f32 v59, 1.0, v56
	s_delay_alu instid0(VALU_DEP_1) | instskip(NEXT) | instid1(VALU_DEP_1)
	v_add_f32_e32 v57, -1.0, v58
	v_sub_f32_e32 v57, v9, v57
	s_delay_alu instid0(VALU_DEP_3) | instskip(NEXT) | instid1(VALU_DEP_2)
	v_sub_f32_e32 v9, v9, v59
	v_add_f32_e32 v57, v5, v57
	s_delay_alu instid0(VALU_DEP_2) | instskip(NEXT) | instid1(VALU_DEP_1)
	v_add_f32_e32 v5, v5, v9
	v_add_f32_e32 v60, v56, v5
	s_delay_alu instid0(VALU_DEP_1) | instskip(NEXT) | instid1(VALU_DEP_1)
	v_dual_sub_f32 v56, v56, v60 :: v_dual_add_f32 v59, v58, v57
	v_add_f32_e32 v5, v5, v56
	s_delay_alu instid0(VALU_DEP_2) | instskip(SKIP_1) | instid1(VALU_DEP_1)
	v_rcp_f32_e32 v9, v59
	v_sub_f32_e32 v58, v58, v59
	v_add_f32_e32 v57, v57, v58
	s_waitcnt_depctr 0xfff
	v_mul_f32_e32 v61, v60, v9
	s_delay_alu instid0(VALU_DEP_1) | instskip(NEXT) | instid1(VALU_DEP_1)
	v_mul_f32_e32 v62, v59, v61
	v_fma_f32 v58, v61, v59, -v62
	s_delay_alu instid0(VALU_DEP_1) | instskip(NEXT) | instid1(VALU_DEP_1)
	v_fmac_f32_e32 v58, v61, v57
	v_add_f32_e32 v63, v62, v58
	s_delay_alu instid0(VALU_DEP_1) | instskip(SKIP_1) | instid1(VALU_DEP_2)
	v_sub_f32_e32 v64, v60, v63
	v_sub_f32_e32 v56, v63, v62
	v_sub_f32_e32 v60, v60, v64
	s_delay_alu instid0(VALU_DEP_1) | instskip(NEXT) | instid1(VALU_DEP_1)
	v_sub_f32_e32 v60, v60, v63
	v_dual_sub_f32 v56, v56, v58 :: v_dual_add_f32 v5, v5, v60
	s_delay_alu instid0(VALU_DEP_1) | instskip(NEXT) | instid1(VALU_DEP_1)
	v_add_f32_e32 v5, v56, v5
	v_add_f32_e32 v56, v64, v5
	s_delay_alu instid0(VALU_DEP_1) | instskip(NEXT) | instid1(VALU_DEP_1)
	v_mul_f32_e32 v58, v9, v56
	v_dual_sub_f32 v63, v64, v56 :: v_dual_mul_f32 v60, v59, v58
	s_delay_alu instid0(VALU_DEP_1) | instskip(NEXT) | instid1(VALU_DEP_2)
	v_add_f32_e32 v5, v5, v63
	v_fma_f32 v59, v58, v59, -v60
	s_delay_alu instid0(VALU_DEP_1) | instskip(NEXT) | instid1(VALU_DEP_1)
	v_fmac_f32_e32 v59, v58, v57
	v_add_f32_e32 v57, v60, v59
	s_delay_alu instid0(VALU_DEP_1) | instskip(NEXT) | instid1(VALU_DEP_1)
	v_sub_f32_e32 v62, v56, v57
	v_sub_f32_e32 v56, v56, v62
	s_delay_alu instid0(VALU_DEP_1) | instskip(NEXT) | instid1(VALU_DEP_1)
	v_sub_f32_e32 v56, v56, v57
	v_add_f32_e32 v5, v5, v56
	v_add_f32_e32 v56, v61, v58
	v_sub_f32_e32 v60, v57, v60
	s_delay_alu instid0(VALU_DEP_1) | instskip(NEXT) | instid1(VALU_DEP_1)
	v_sub_f32_e32 v57, v60, v59
	v_add_f32_e32 v5, v57, v5
	s_delay_alu instid0(VALU_DEP_4) | instskip(NEXT) | instid1(VALU_DEP_2)
	v_sub_f32_e32 v57, v56, v61
	v_add_f32_e32 v5, v62, v5
	s_delay_alu instid0(VALU_DEP_2) | instskip(NEXT) | instid1(VALU_DEP_2)
	v_sub_f32_e32 v57, v58, v57
	v_mul_f32_e32 v5, v9, v5
	s_delay_alu instid0(VALU_DEP_1) | instskip(NEXT) | instid1(VALU_DEP_1)
	v_add_f32_e32 v5, v57, v5
	v_add_f32_e32 v9, v56, v5
	s_delay_alu instid0(VALU_DEP_1) | instskip(NEXT) | instid1(VALU_DEP_1)
	v_mul_f32_e32 v57, v9, v9
	v_fmaak_f32 v58, s54, v57, 0x3ecc95a3
	v_mul_f32_e32 v59, v9, v57
	s_delay_alu instid0(VALU_DEP_2) | instskip(SKIP_1) | instid1(VALU_DEP_2)
	v_fmaak_f32 v57, v57, v58, 0x3f2aaada
	v_ldexp_f32 v58, v9, 1
	v_mul_f32_e32 v57, v59, v57
	s_delay_alu instid0(VALU_DEP_1) | instskip(NEXT) | instid1(VALU_DEP_1)
	v_dual_sub_f32 v9, v9, v56 :: v_dual_add_f32 v56, v58, v57
	v_sub_f32_e32 v5, v5, v9
	s_delay_alu instid0(VALU_DEP_2) | instskip(NEXT) | instid1(VALU_DEP_2)
	v_sub_f32_e32 v9, v56, v58
	v_ldexp_f32 v5, v5, 1
	s_delay_alu instid0(VALU_DEP_2) | instskip(SKIP_1) | instid1(VALU_DEP_1)
	v_sub_f32_e32 v9, v57, v9
	v_mul_f32_e32 v59, 0x3f317218, v4
	v_fma_f32 v58, 0x3f317218, v4, -v59
	s_delay_alu instid0(VALU_DEP_1) | instskip(NEXT) | instid1(VALU_DEP_1)
	v_fmac_f32_e32 v58, 0xb102e308, v4
	v_dual_add_f32 v4, v5, v9 :: v_dual_add_f32 v5, v59, v58
	s_delay_alu instid0(VALU_DEP_1) | instskip(NEXT) | instid1(VALU_DEP_1)
	v_add_f32_e32 v9, v56, v4
	v_add_f32_e32 v57, v5, v9
	v_sub_f32_e32 v56, v9, v56
	s_delay_alu instid0(VALU_DEP_2) | instskip(NEXT) | instid1(VALU_DEP_2)
	v_sub_f32_e32 v60, v57, v5
	v_dual_sub_f32 v4, v4, v56 :: v_dual_sub_f32 v59, v5, v59
	s_delay_alu instid0(VALU_DEP_2) | instskip(NEXT) | instid1(VALU_DEP_2)
	v_sub_f32_e32 v61, v57, v60
	v_dual_sub_f32 v9, v9, v60 :: v_dual_sub_f32 v58, v58, v59
	s_delay_alu instid0(VALU_DEP_1) | instskip(NEXT) | instid1(VALU_DEP_1)
	v_dual_sub_f32 v5, v5, v61 :: v_dual_add_f32 v56, v58, v4
	v_add_f32_e32 v5, v9, v5
	s_delay_alu instid0(VALU_DEP_2) | instskip(NEXT) | instid1(VALU_DEP_2)
	v_sub_f32_e32 v9, v56, v58
	v_add_f32_e32 v5, v56, v5
	s_delay_alu instid0(VALU_DEP_2) | instskip(SKIP_1) | instid1(VALU_DEP_2)
	v_sub_f32_e32 v56, v56, v9
	v_sub_f32_e32 v4, v4, v9
	v_dual_add_f32 v59, v57, v5 :: v_dual_sub_f32 v56, v58, v56
	s_delay_alu instid0(VALU_DEP_1) | instskip(NEXT) | instid1(VALU_DEP_1)
	v_dual_sub_f32 v9, v59, v57 :: v_dual_add_f32 v4, v4, v56
	v_sub_f32_e32 v5, v5, v9
	s_delay_alu instid0(VALU_DEP_1) | instskip(NEXT) | instid1(VALU_DEP_1)
	v_add_f32_e32 v4, v4, v5
	v_add_f32_e32 v4, v59, v4
	s_delay_alu instid0(VALU_DEP_1)
	v_cndmask_b32_e32 v58, v4, v8, vcc_lo
.LBB8_50:                               ;   in Loop: Header=BB8_12 Depth=1
	s_or_b32 exec_lo, exec_lo, s21
	v_lshlrev_b32_e32 v4, 16, v6
	s_delay_alu instid0(VALU_DEP_1) | instskip(NEXT) | instid1(VALU_DEP_1)
	v_add_f32_e32 v65, s60, v4
	v_cmp_ge_f32_e32 vcc_lo, 0x41a00000, v65
	s_and_b32 s20, s68, vcc_lo
	s_delay_alu instid0(SALU_CYCLE_1)
	s_and_saveexec_b32 s21, s20
	s_cbranch_execz .LBB8_52
; %bb.51:                               ;   in Loop: Header=BB8_12 Depth=1
	v_mul_f32_e32 v4, 0x3fb8aa3b, v65
	v_cmp_ngt_f32_e32 vcc_lo, 0xc2ce8ed0, v65
	s_delay_alu instid0(VALU_DEP_2) | instskip(SKIP_1) | instid1(VALU_DEP_2)
	v_rndne_f32_e32 v5, v4
	v_fma_f32 v8, 0x3fb8aa3b, v65, -v4
	v_sub_f32_e32 v4, v4, v5
	s_delay_alu instid0(VALU_DEP_2) | instskip(SKIP_1) | instid1(VALU_DEP_2)
	v_fmac_f32_e32 v8, 0x32a5705f, v65
	v_cvt_i32_f32_e32 v5, v5
	v_add_f32_e32 v4, v4, v8
	s_delay_alu instid0(VALU_DEP_1) | instskip(SKIP_2) | instid1(VALU_DEP_1)
	v_exp_f32_e32 v4, v4
	s_waitcnt_depctr 0xfff
	v_ldexp_f32 v4, v4, v5
	v_cndmask_b32_e32 v4, 0, v4, vcc_lo
	v_cmp_nlt_f32_e32 vcc_lo, 0x42b17218, v65
	s_delay_alu instid0(VALU_DEP_2) | instskip(NEXT) | instid1(VALU_DEP_1)
	v_cndmask_b32_e32 v8, 0x7f800000, v4, vcc_lo
	v_add_f32_e32 v9, 1.0, v8
	s_delay_alu instid0(VALU_DEP_1) | instskip(NEXT) | instid1(VALU_DEP_1)
	v_cvt_f64_f32_e32 v[4:5], v9
	v_frexp_exp_i32_f64_e32 v4, v[4:5]
	v_frexp_mant_f32_e32 v5, v9
	s_delay_alu instid0(VALU_DEP_1) | instskip(SKIP_1) | instid1(VALU_DEP_1)
	v_cmp_gt_f32_e32 vcc_lo, 0x3f2aaaab, v5
	v_add_f32_e32 v5, -1.0, v9
	v_sub_f32_e32 v57, v5, v9
	s_delay_alu instid0(VALU_DEP_1) | instskip(SKIP_2) | instid1(VALU_DEP_2)
	v_add_f32_e32 v57, 1.0, v57
	v_sub_f32_e32 v5, v8, v5
	v_cmp_gt_f32_e64 s20, 0x33800000, v8
	v_add_f32_e32 v5, v5, v57
	v_subrev_co_ci_u32_e32 v4, vcc_lo, 0, v4, vcc_lo
	v_cmp_eq_f32_e32 vcc_lo, 0x7f800000, v8
	s_delay_alu instid0(VALU_DEP_2) | instskip(SKIP_2) | instid1(VALU_DEP_2)
	v_sub_nc_u32_e32 v56, 0, v4
	v_cvt_f32_i32_e32 v4, v4
	s_or_b32 vcc_lo, s20, vcc_lo
	v_ldexp_f32 v9, v9, v56
	v_ldexp_f32 v5, v5, v56
	s_delay_alu instid0(VALU_DEP_2) | instskip(NEXT) | instid1(VALU_DEP_1)
	v_add_f32_e32 v59, 1.0, v9
	v_dual_add_f32 v56, -1.0, v9 :: v_dual_add_f32 v57, -1.0, v59
	s_delay_alu instid0(VALU_DEP_1) | instskip(NEXT) | instid1(VALU_DEP_1)
	v_dual_add_f32 v60, 1.0, v56 :: v_dual_sub_f32 v57, v9, v57
	v_sub_f32_e32 v9, v9, v60
	s_delay_alu instid0(VALU_DEP_2) | instskip(NEXT) | instid1(VALU_DEP_2)
	v_add_f32_e32 v57, v5, v57
	v_add_f32_e32 v5, v5, v9
	s_delay_alu instid0(VALU_DEP_2) | instskip(NEXT) | instid1(VALU_DEP_1)
	v_add_f32_e32 v60, v59, v57
	v_sub_f32_e32 v59, v59, v60
	s_delay_alu instid0(VALU_DEP_3) | instskip(NEXT) | instid1(VALU_DEP_2)
	v_add_f32_e32 v61, v56, v5
	v_add_f32_e32 v57, v57, v59
	v_rcp_f32_e32 v9, v60
	s_delay_alu instid0(VALU_DEP_2) | instskip(NEXT) | instid1(VALU_DEP_1)
	v_sub_f32_e32 v56, v56, v61
	v_add_f32_e32 v5, v5, v56
	s_waitcnt_depctr 0xfff
	v_mul_f32_e32 v62, v61, v9
	s_delay_alu instid0(VALU_DEP_1) | instskip(NEXT) | instid1(VALU_DEP_1)
	v_mul_f32_e32 v63, v60, v62
	v_fma_f32 v59, v62, v60, -v63
	s_delay_alu instid0(VALU_DEP_1) | instskip(NEXT) | instid1(VALU_DEP_1)
	v_fmac_f32_e32 v59, v62, v57
	v_add_f32_e32 v64, v63, v59
	s_delay_alu instid0(VALU_DEP_1) | instskip(NEXT) | instid1(VALU_DEP_1)
	v_dual_sub_f32 v65, v61, v64 :: v_dual_sub_f32 v56, v64, v63
	v_dual_sub_f32 v61, v61, v65 :: v_dual_sub_f32 v56, v56, v59
	s_delay_alu instid0(VALU_DEP_1) | instskip(NEXT) | instid1(VALU_DEP_1)
	v_sub_f32_e32 v61, v61, v64
	v_add_f32_e32 v5, v5, v61
	s_delay_alu instid0(VALU_DEP_1) | instskip(NEXT) | instid1(VALU_DEP_1)
	v_add_f32_e32 v5, v56, v5
	v_add_f32_e32 v56, v65, v5
	s_delay_alu instid0(VALU_DEP_1) | instskip(NEXT) | instid1(VALU_DEP_1)
	v_mul_f32_e32 v59, v9, v56
	v_dual_sub_f32 v64, v65, v56 :: v_dual_mul_f32 v61, v60, v59
	s_delay_alu instid0(VALU_DEP_1) | instskip(NEXT) | instid1(VALU_DEP_2)
	v_add_f32_e32 v5, v5, v64
	v_fma_f32 v60, v59, v60, -v61
	s_delay_alu instid0(VALU_DEP_1) | instskip(NEXT) | instid1(VALU_DEP_1)
	v_fmac_f32_e32 v60, v59, v57
	v_add_f32_e32 v57, v61, v60
	s_delay_alu instid0(VALU_DEP_1) | instskip(NEXT) | instid1(VALU_DEP_1)
	v_sub_f32_e32 v63, v56, v57
	v_dual_sub_f32 v61, v57, v61 :: v_dual_sub_f32 v56, v56, v63
	s_delay_alu instid0(VALU_DEP_1) | instskip(NEXT) | instid1(VALU_DEP_1)
	v_dual_sub_f32 v56, v56, v57 :: v_dual_sub_f32 v57, v61, v60
	v_dual_add_f32 v5, v5, v56 :: v_dual_add_f32 v56, v62, v59
	s_delay_alu instid0(VALU_DEP_1) | instskip(NEXT) | instid1(VALU_DEP_2)
	v_add_f32_e32 v5, v57, v5
	v_sub_f32_e32 v57, v56, v62
	s_delay_alu instid0(VALU_DEP_2) | instskip(NEXT) | instid1(VALU_DEP_2)
	v_add_f32_e32 v5, v63, v5
	v_sub_f32_e32 v57, v59, v57
	s_delay_alu instid0(VALU_DEP_2) | instskip(NEXT) | instid1(VALU_DEP_1)
	v_mul_f32_e32 v5, v9, v5
	v_add_f32_e32 v5, v57, v5
	s_delay_alu instid0(VALU_DEP_1) | instskip(NEXT) | instid1(VALU_DEP_1)
	v_add_f32_e32 v9, v56, v5
	v_mul_f32_e32 v57, v9, v9
	s_delay_alu instid0(VALU_DEP_1) | instskip(SKIP_1) | instid1(VALU_DEP_2)
	v_fmaak_f32 v59, s54, v57, 0x3ecc95a3
	v_mul_f32_e32 v60, v9, v57
	v_fmaak_f32 v57, v57, v59, 0x3f2aaada
	v_ldexp_f32 v59, v9, 1
	v_sub_f32_e32 v9, v9, v56
	s_delay_alu instid0(VALU_DEP_3) | instskip(NEXT) | instid1(VALU_DEP_2)
	v_dual_mul_f32 v57, v60, v57 :: v_dual_mul_f32 v60, 0x3f317218, v4
	v_sub_f32_e32 v5, v5, v9
	s_delay_alu instid0(VALU_DEP_2) | instskip(NEXT) | instid1(VALU_DEP_2)
	v_add_f32_e32 v56, v59, v57
	v_ldexp_f32 v5, v5, 1
	s_delay_alu instid0(VALU_DEP_2) | instskip(SKIP_1) | instid1(VALU_DEP_2)
	v_sub_f32_e32 v9, v56, v59
	v_fma_f32 v59, 0x3f317218, v4, -v60
	v_sub_f32_e32 v9, v57, v9
	s_delay_alu instid0(VALU_DEP_1) | instskip(NEXT) | instid1(VALU_DEP_1)
	v_dual_fmac_f32 v59, 0xb102e308, v4 :: v_dual_add_f32 v4, v5, v9
	v_add_f32_e32 v5, v60, v59
	s_delay_alu instid0(VALU_DEP_2) | instskip(NEXT) | instid1(VALU_DEP_2)
	v_add_f32_e32 v9, v56, v4
	v_sub_f32_e32 v60, v5, v60
	s_delay_alu instid0(VALU_DEP_2) | instskip(SKIP_1) | instid1(VALU_DEP_1)
	v_add_f32_e32 v57, v5, v9
	v_sub_f32_e32 v56, v9, v56
	v_dual_sub_f32 v61, v57, v5 :: v_dual_sub_f32 v4, v4, v56
	s_delay_alu instid0(VALU_DEP_1) | instskip(SKIP_1) | instid1(VALU_DEP_2)
	v_dual_sub_f32 v62, v57, v61 :: v_dual_sub_f32 v59, v59, v60
	v_sub_f32_e32 v9, v9, v61
	v_dual_sub_f32 v5, v5, v62 :: v_dual_add_f32 v56, v59, v4
	s_delay_alu instid0(VALU_DEP_1) | instskip(NEXT) | instid1(VALU_DEP_2)
	v_add_f32_e32 v5, v9, v5
	v_sub_f32_e32 v9, v56, v59
	s_delay_alu instid0(VALU_DEP_2) | instskip(NEXT) | instid1(VALU_DEP_2)
	v_add_f32_e32 v5, v56, v5
	v_sub_f32_e32 v56, v56, v9
	v_sub_f32_e32 v4, v4, v9
	s_delay_alu instid0(VALU_DEP_3) | instskip(NEXT) | instid1(VALU_DEP_1)
	v_add_f32_e32 v60, v57, v5
	v_dual_sub_f32 v56, v59, v56 :: v_dual_sub_f32 v9, v60, v57
	s_delay_alu instid0(VALU_DEP_1) | instskip(NEXT) | instid1(VALU_DEP_1)
	v_dual_add_f32 v4, v4, v56 :: v_dual_sub_f32 v5, v5, v9
	v_add_f32_e32 v4, v4, v5
	s_delay_alu instid0(VALU_DEP_1) | instskip(NEXT) | instid1(VALU_DEP_1)
	v_add_f32_e32 v4, v60, v4
	v_cndmask_b32_e32 v65, v4, v8, vcc_lo
.LBB8_52:                               ;   in Loop: Header=BB8_12 Depth=1
	s_or_b32 exec_lo, exec_lo, s21
	v_and_b32_e32 v4, 0xffff0000, v6
	s_delay_alu instid0(VALU_DEP_1) | instskip(NEXT) | instid1(VALU_DEP_1)
	v_add_f32_e32 v66, s60, v4
	v_cmp_ge_f32_e32 vcc_lo, 0x41a00000, v66
	s_and_b32 s20, s68, vcc_lo
	s_delay_alu instid0(SALU_CYCLE_1)
	s_and_saveexec_b32 s21, s20
	s_cbranch_execz .LBB8_54
; %bb.53:                               ;   in Loop: Header=BB8_12 Depth=1
	v_mul_f32_e32 v4, 0x3fb8aa3b, v66
	v_cmp_ngt_f32_e32 vcc_lo, 0xc2ce8ed0, v66
	s_delay_alu instid0(VALU_DEP_2) | instskip(SKIP_1) | instid1(VALU_DEP_2)
	v_rndne_f32_e32 v5, v4
	v_fma_f32 v6, 0x3fb8aa3b, v66, -v4
	v_sub_f32_e32 v4, v4, v5
	s_delay_alu instid0(VALU_DEP_2) | instskip(SKIP_1) | instid1(VALU_DEP_2)
	v_fmac_f32_e32 v6, 0x32a5705f, v66
	v_cvt_i32_f32_e32 v5, v5
	v_add_f32_e32 v4, v4, v6
	s_delay_alu instid0(VALU_DEP_1) | instskip(SKIP_2) | instid1(VALU_DEP_1)
	v_exp_f32_e32 v4, v4
	s_waitcnt_depctr 0xfff
	v_ldexp_f32 v4, v4, v5
	v_cndmask_b32_e32 v4, 0, v4, vcc_lo
	v_cmp_nlt_f32_e32 vcc_lo, 0x42b17218, v66
	s_delay_alu instid0(VALU_DEP_2) | instskip(NEXT) | instid1(VALU_DEP_1)
	v_cndmask_b32_e32 v6, 0x7f800000, v4, vcc_lo
	v_add_f32_e32 v8, 1.0, v6
	s_delay_alu instid0(VALU_DEP_1) | instskip(NEXT) | instid1(VALU_DEP_1)
	v_cvt_f64_f32_e32 v[4:5], v8
	v_frexp_exp_i32_f64_e32 v4, v[4:5]
	v_frexp_mant_f32_e32 v5, v8
	s_delay_alu instid0(VALU_DEP_1) | instskip(SKIP_1) | instid1(VALU_DEP_1)
	v_cmp_gt_f32_e32 vcc_lo, 0x3f2aaaab, v5
	v_add_f32_e32 v5, -1.0, v8
	v_dual_sub_f32 v56, v5, v8 :: v_dual_sub_f32 v5, v6, v5
	s_delay_alu instid0(VALU_DEP_1) | instskip(NEXT) | instid1(VALU_DEP_1)
	v_add_f32_e32 v56, 1.0, v56
	v_add_f32_e32 v5, v5, v56
	v_subrev_co_ci_u32_e32 v4, vcc_lo, 0, v4, vcc_lo
	s_delay_alu instid0(VALU_DEP_1) | instskip(SKIP_1) | instid1(VALU_DEP_2)
	v_sub_nc_u32_e32 v9, 0, v4
	v_cvt_f32_i32_e32 v4, v4
	v_ldexp_f32 v8, v8, v9
	v_ldexp_f32 v5, v5, v9
	s_delay_alu instid0(VALU_DEP_2) | instskip(NEXT) | instid1(VALU_DEP_1)
	v_add_f32_e32 v57, 1.0, v8
	v_dual_add_f32 v9, -1.0, v8 :: v_dual_add_f32 v56, -1.0, v57
	s_delay_alu instid0(VALU_DEP_1) | instskip(NEXT) | instid1(VALU_DEP_1)
	v_dual_add_f32 v59, 1.0, v9 :: v_dual_sub_f32 v56, v8, v56
	v_sub_f32_e32 v8, v8, v59
	s_delay_alu instid0(VALU_DEP_2) | instskip(NEXT) | instid1(VALU_DEP_1)
	v_add_f32_e32 v56, v5, v56
	v_add_f32_e32 v59, v57, v56
	s_delay_alu instid0(VALU_DEP_3) | instskip(NEXT) | instid1(VALU_DEP_2)
	v_add_f32_e32 v5, v5, v8
	v_rcp_f32_e32 v8, v59
	s_delay_alu instid0(VALU_DEP_1) | instskip(SKIP_3) | instid1(VALU_DEP_3)
	v_add_f32_e32 v60, v9, v5
	v_sub_f32_e32 v57, v57, v59
	v_cmp_eq_f32_e32 vcc_lo, 0x7f800000, v6
	v_cmp_gt_f32_e64 s20, 0x33800000, v6
	v_dual_sub_f32 v9, v9, v60 :: v_dual_add_f32 v56, v56, v57
	s_delay_alu instid0(VALU_DEP_2) | instskip(SKIP_2) | instid1(VALU_DEP_1)
	s_or_b32 vcc_lo, s20, vcc_lo
	s_waitcnt_depctr 0xfff
	v_mul_f32_e32 v61, v60, v8
	v_mul_f32_e32 v62, v59, v61
	v_add_f32_e32 v5, v5, v9
	s_delay_alu instid0(VALU_DEP_2) | instskip(NEXT) | instid1(VALU_DEP_1)
	v_fma_f32 v57, v61, v59, -v62
	v_fmac_f32_e32 v57, v61, v56
	s_delay_alu instid0(VALU_DEP_1) | instskip(NEXT) | instid1(VALU_DEP_1)
	v_add_f32_e32 v63, v62, v57
	v_dual_sub_f32 v9, v63, v62 :: v_dual_sub_f32 v64, v60, v63
	s_delay_alu instid0(VALU_DEP_1) | instskip(NEXT) | instid1(VALU_DEP_1)
	v_dual_sub_f32 v9, v9, v57 :: v_dual_sub_f32 v60, v60, v64
	v_sub_f32_e32 v60, v60, v63
	s_delay_alu instid0(VALU_DEP_1) | instskip(NEXT) | instid1(VALU_DEP_1)
	v_add_f32_e32 v5, v5, v60
	v_add_f32_e32 v5, v9, v5
	s_delay_alu instid0(VALU_DEP_1) | instskip(NEXT) | instid1(VALU_DEP_1)
	v_add_f32_e32 v9, v64, v5
	v_mul_f32_e32 v57, v8, v9
	s_delay_alu instid0(VALU_DEP_1) | instskip(NEXT) | instid1(VALU_DEP_1)
	v_mul_f32_e32 v60, v59, v57
	v_fma_f32 v59, v57, v59, -v60
	s_delay_alu instid0(VALU_DEP_1) | instskip(NEXT) | instid1(VALU_DEP_1)
	v_fmac_f32_e32 v59, v57, v56
	v_add_f32_e32 v56, v60, v59
	s_delay_alu instid0(VALU_DEP_1) | instskip(NEXT) | instid1(VALU_DEP_1)
	v_dual_sub_f32 v62, v9, v56 :: v_dual_sub_f32 v63, v64, v9
	v_dual_sub_f32 v60, v56, v60 :: v_dual_sub_f32 v9, v9, v62
	s_delay_alu instid0(VALU_DEP_2) | instskip(NEXT) | instid1(VALU_DEP_2)
	v_add_f32_e32 v5, v5, v63
	v_dual_sub_f32 v9, v9, v56 :: v_dual_sub_f32 v56, v60, v59
	s_delay_alu instid0(VALU_DEP_1) | instskip(SKIP_1) | instid1(VALU_DEP_2)
	v_add_f32_e32 v5, v5, v9
	v_add_f32_e32 v9, v61, v57
	;; [unrolled: 1-line block ×3, first 2 shown]
	s_delay_alu instid0(VALU_DEP_2) | instskip(NEXT) | instid1(VALU_DEP_1)
	v_sub_f32_e32 v56, v9, v61
	v_dual_add_f32 v5, v62, v5 :: v_dual_sub_f32 v56, v57, v56
	s_delay_alu instid0(VALU_DEP_1) | instskip(NEXT) | instid1(VALU_DEP_1)
	v_mul_f32_e32 v5, v8, v5
	v_add_f32_e32 v5, v56, v5
	s_delay_alu instid0(VALU_DEP_1) | instskip(NEXT) | instid1(VALU_DEP_1)
	v_add_f32_e32 v8, v9, v5
	v_mul_f32_e32 v56, v8, v8
	s_delay_alu instid0(VALU_DEP_1) | instskip(SKIP_1) | instid1(VALU_DEP_2)
	v_fmaak_f32 v57, s54, v56, 0x3ecc95a3
	v_mul_f32_e32 v59, v8, v56
	v_fmaak_f32 v56, v56, v57, 0x3f2aaada
	v_ldexp_f32 v57, v8, 1
	v_sub_f32_e32 v8, v8, v9
	s_delay_alu instid0(VALU_DEP_1) | instskip(NEXT) | instid1(VALU_DEP_4)
	v_sub_f32_e32 v5, v5, v8
	v_mul_f32_e32 v56, v59, v56
	v_mul_f32_e32 v59, 0x3f317218, v4
	s_delay_alu instid0(VALU_DEP_3) | instskip(NEXT) | instid1(VALU_DEP_3)
	v_ldexp_f32 v5, v5, 1
	v_add_f32_e32 v9, v57, v56
	s_delay_alu instid0(VALU_DEP_1) | instskip(NEXT) | instid1(VALU_DEP_4)
	v_sub_f32_e32 v8, v9, v57
	v_fma_f32 v57, 0x3f317218, v4, -v59
	s_delay_alu instid0(VALU_DEP_2) | instskip(NEXT) | instid1(VALU_DEP_2)
	v_sub_f32_e32 v8, v56, v8
	v_fmac_f32_e32 v57, 0xb102e308, v4
	s_delay_alu instid0(VALU_DEP_1) | instskip(NEXT) | instid1(VALU_DEP_1)
	v_dual_add_f32 v4, v5, v8 :: v_dual_add_f32 v5, v59, v57
	v_add_f32_e32 v8, v9, v4
	s_delay_alu instid0(VALU_DEP_2) | instskip(NEXT) | instid1(VALU_DEP_2)
	v_sub_f32_e32 v59, v5, v59
	v_dual_add_f32 v56, v5, v8 :: v_dual_sub_f32 v9, v8, v9
	s_delay_alu instid0(VALU_DEP_1) | instskip(NEXT) | instid1(VALU_DEP_2)
	v_dual_sub_f32 v57, v57, v59 :: v_dual_sub_f32 v60, v56, v5
	v_sub_f32_e32 v4, v4, v9
	s_delay_alu instid0(VALU_DEP_2) | instskip(NEXT) | instid1(VALU_DEP_2)
	v_sub_f32_e32 v8, v8, v60
	v_add_f32_e32 v9, v57, v4
	v_sub_f32_e32 v61, v56, v60
	s_delay_alu instid0(VALU_DEP_1) | instskip(NEXT) | instid1(VALU_DEP_1)
	v_sub_f32_e32 v5, v5, v61
	v_add_f32_e32 v5, v8, v5
	s_delay_alu instid0(VALU_DEP_4) | instskip(NEXT) | instid1(VALU_DEP_2)
	v_sub_f32_e32 v8, v9, v57
	v_add_f32_e32 v5, v9, v5
	s_delay_alu instid0(VALU_DEP_2) | instskip(SKIP_1) | instid1(VALU_DEP_3)
	v_sub_f32_e32 v9, v9, v8
	v_sub_f32_e32 v4, v4, v8
	v_add_f32_e32 v59, v56, v5
	s_delay_alu instid0(VALU_DEP_1) | instskip(NEXT) | instid1(VALU_DEP_1)
	v_dual_sub_f32 v9, v57, v9 :: v_dual_sub_f32 v8, v59, v56
	v_dual_add_f32 v4, v4, v9 :: v_dual_sub_f32 v5, v5, v8
	s_delay_alu instid0(VALU_DEP_1) | instskip(NEXT) | instid1(VALU_DEP_1)
	v_add_f32_e32 v4, v4, v5
	v_add_f32_e32 v4, v59, v4
	s_delay_alu instid0(VALU_DEP_1)
	v_cndmask_b32_e32 v66, v4, v6, vcc_lo
.LBB8_54:                               ;   in Loop: Header=BB8_12 Depth=1
	s_or_b32 exec_lo, exec_lo, s21
	v_lshlrev_b32_e32 v4, 16, v7
	s_delay_alu instid0(VALU_DEP_1) | instskip(NEXT) | instid1(VALU_DEP_1)
	v_add_f32_e32 v67, s60, v4
	v_cmp_ge_f32_e32 vcc_lo, 0x41a00000, v67
	s_and_b32 s20, s68, vcc_lo
	s_delay_alu instid0(SALU_CYCLE_1)
	s_and_saveexec_b32 s21, s20
	s_cbranch_execz .LBB8_56
; %bb.55:                               ;   in Loop: Header=BB8_12 Depth=1
	v_mul_f32_e32 v4, 0x3fb8aa3b, v67
	v_cmp_ngt_f32_e32 vcc_lo, 0xc2ce8ed0, v67
	s_delay_alu instid0(VALU_DEP_2) | instskip(SKIP_1) | instid1(VALU_DEP_2)
	v_rndne_f32_e32 v5, v4
	v_fma_f32 v6, 0x3fb8aa3b, v67, -v4
	v_sub_f32_e32 v4, v4, v5
	s_delay_alu instid0(VALU_DEP_2) | instskip(SKIP_1) | instid1(VALU_DEP_2)
	v_fmac_f32_e32 v6, 0x32a5705f, v67
	v_cvt_i32_f32_e32 v5, v5
	v_add_f32_e32 v4, v4, v6
	s_delay_alu instid0(VALU_DEP_1) | instskip(SKIP_2) | instid1(VALU_DEP_1)
	v_exp_f32_e32 v4, v4
	s_waitcnt_depctr 0xfff
	v_ldexp_f32 v4, v4, v5
	v_cndmask_b32_e32 v4, 0, v4, vcc_lo
	v_cmp_nlt_f32_e32 vcc_lo, 0x42b17218, v67
	s_delay_alu instid0(VALU_DEP_2) | instskip(NEXT) | instid1(VALU_DEP_1)
	v_cndmask_b32_e32 v6, 0x7f800000, v4, vcc_lo
	v_add_f32_e32 v8, 1.0, v6
	s_delay_alu instid0(VALU_DEP_1) | instskip(NEXT) | instid1(VALU_DEP_1)
	v_cvt_f64_f32_e32 v[4:5], v8
	v_frexp_exp_i32_f64_e32 v4, v[4:5]
	v_frexp_mant_f32_e32 v5, v8
	s_delay_alu instid0(VALU_DEP_1) | instskip(SKIP_1) | instid1(VALU_DEP_1)
	v_cmp_gt_f32_e32 vcc_lo, 0x3f2aaaab, v5
	v_add_f32_e32 v5, -1.0, v8
	v_dual_sub_f32 v56, v5, v8 :: v_dual_sub_f32 v5, v6, v5
	s_delay_alu instid0(VALU_DEP_1) | instskip(NEXT) | instid1(VALU_DEP_1)
	v_add_f32_e32 v56, 1.0, v56
	v_add_f32_e32 v5, v5, v56
	v_subrev_co_ci_u32_e32 v4, vcc_lo, 0, v4, vcc_lo
	s_delay_alu instid0(VALU_DEP_1) | instskip(SKIP_1) | instid1(VALU_DEP_2)
	v_sub_nc_u32_e32 v9, 0, v4
	v_cvt_f32_i32_e32 v4, v4
	v_ldexp_f32 v8, v8, v9
	v_ldexp_f32 v5, v5, v9
	s_delay_alu instid0(VALU_DEP_2) | instskip(NEXT) | instid1(VALU_DEP_1)
	v_add_f32_e32 v57, 1.0, v8
	v_dual_add_f32 v9, -1.0, v8 :: v_dual_add_f32 v56, -1.0, v57
	s_delay_alu instid0(VALU_DEP_1) | instskip(NEXT) | instid1(VALU_DEP_1)
	v_dual_add_f32 v59, 1.0, v9 :: v_dual_sub_f32 v56, v8, v56
	v_sub_f32_e32 v8, v8, v59
	s_delay_alu instid0(VALU_DEP_2) | instskip(NEXT) | instid1(VALU_DEP_1)
	v_add_f32_e32 v56, v5, v56
	v_add_f32_e32 v59, v57, v56
	s_delay_alu instid0(VALU_DEP_3) | instskip(NEXT) | instid1(VALU_DEP_2)
	v_add_f32_e32 v5, v5, v8
	v_rcp_f32_e32 v8, v59
	s_delay_alu instid0(VALU_DEP_1) | instskip(SKIP_3) | instid1(VALU_DEP_3)
	v_add_f32_e32 v60, v9, v5
	v_sub_f32_e32 v57, v57, v59
	v_cmp_eq_f32_e32 vcc_lo, 0x7f800000, v6
	v_cmp_gt_f32_e64 s20, 0x33800000, v6
	v_dual_sub_f32 v9, v9, v60 :: v_dual_add_f32 v56, v56, v57
	s_delay_alu instid0(VALU_DEP_2) | instskip(SKIP_2) | instid1(VALU_DEP_1)
	s_or_b32 vcc_lo, s20, vcc_lo
	s_waitcnt_depctr 0xfff
	v_mul_f32_e32 v61, v60, v8
	v_mul_f32_e32 v62, v59, v61
	v_add_f32_e32 v5, v5, v9
	s_delay_alu instid0(VALU_DEP_2) | instskip(NEXT) | instid1(VALU_DEP_1)
	v_fma_f32 v57, v61, v59, -v62
	v_fmac_f32_e32 v57, v61, v56
	s_delay_alu instid0(VALU_DEP_1) | instskip(NEXT) | instid1(VALU_DEP_1)
	v_add_f32_e32 v63, v62, v57
	v_dual_sub_f32 v9, v63, v62 :: v_dual_sub_f32 v64, v60, v63
	s_delay_alu instid0(VALU_DEP_1) | instskip(NEXT) | instid1(VALU_DEP_1)
	v_dual_sub_f32 v9, v9, v57 :: v_dual_sub_f32 v60, v60, v64
	v_sub_f32_e32 v60, v60, v63
	s_delay_alu instid0(VALU_DEP_1) | instskip(NEXT) | instid1(VALU_DEP_1)
	v_add_f32_e32 v5, v5, v60
	v_add_f32_e32 v5, v9, v5
	s_delay_alu instid0(VALU_DEP_1) | instskip(NEXT) | instid1(VALU_DEP_1)
	v_add_f32_e32 v9, v64, v5
	v_mul_f32_e32 v57, v8, v9
	s_delay_alu instid0(VALU_DEP_1) | instskip(NEXT) | instid1(VALU_DEP_1)
	v_mul_f32_e32 v60, v59, v57
	v_fma_f32 v59, v57, v59, -v60
	s_delay_alu instid0(VALU_DEP_1) | instskip(NEXT) | instid1(VALU_DEP_1)
	v_fmac_f32_e32 v59, v57, v56
	v_add_f32_e32 v56, v60, v59
	s_delay_alu instid0(VALU_DEP_1) | instskip(NEXT) | instid1(VALU_DEP_1)
	v_dual_sub_f32 v62, v9, v56 :: v_dual_sub_f32 v63, v64, v9
	v_dual_sub_f32 v60, v56, v60 :: v_dual_sub_f32 v9, v9, v62
	s_delay_alu instid0(VALU_DEP_2) | instskip(NEXT) | instid1(VALU_DEP_2)
	v_add_f32_e32 v5, v5, v63
	v_dual_sub_f32 v9, v9, v56 :: v_dual_sub_f32 v56, v60, v59
	s_delay_alu instid0(VALU_DEP_1) | instskip(SKIP_1) | instid1(VALU_DEP_2)
	v_add_f32_e32 v5, v5, v9
	v_add_f32_e32 v9, v61, v57
	;; [unrolled: 1-line block ×3, first 2 shown]
	s_delay_alu instid0(VALU_DEP_2) | instskip(NEXT) | instid1(VALU_DEP_1)
	v_sub_f32_e32 v56, v9, v61
	v_dual_add_f32 v5, v62, v5 :: v_dual_sub_f32 v56, v57, v56
	s_delay_alu instid0(VALU_DEP_1) | instskip(NEXT) | instid1(VALU_DEP_1)
	v_mul_f32_e32 v5, v8, v5
	v_add_f32_e32 v5, v56, v5
	s_delay_alu instid0(VALU_DEP_1) | instskip(NEXT) | instid1(VALU_DEP_1)
	v_add_f32_e32 v8, v9, v5
	v_mul_f32_e32 v56, v8, v8
	s_delay_alu instid0(VALU_DEP_1) | instskip(SKIP_1) | instid1(VALU_DEP_2)
	v_fmaak_f32 v57, s54, v56, 0x3ecc95a3
	v_mul_f32_e32 v59, v8, v56
	v_fmaak_f32 v56, v56, v57, 0x3f2aaada
	v_ldexp_f32 v57, v8, 1
	v_sub_f32_e32 v8, v8, v9
	s_delay_alu instid0(VALU_DEP_1) | instskip(NEXT) | instid1(VALU_DEP_4)
	v_sub_f32_e32 v5, v5, v8
	v_mul_f32_e32 v56, v59, v56
	v_mul_f32_e32 v59, 0x3f317218, v4
	s_delay_alu instid0(VALU_DEP_3) | instskip(NEXT) | instid1(VALU_DEP_3)
	v_ldexp_f32 v5, v5, 1
	v_add_f32_e32 v9, v57, v56
	s_delay_alu instid0(VALU_DEP_1) | instskip(NEXT) | instid1(VALU_DEP_4)
	v_sub_f32_e32 v8, v9, v57
	v_fma_f32 v57, 0x3f317218, v4, -v59
	s_delay_alu instid0(VALU_DEP_2) | instskip(NEXT) | instid1(VALU_DEP_2)
	v_sub_f32_e32 v8, v56, v8
	v_fmac_f32_e32 v57, 0xb102e308, v4
	s_delay_alu instid0(VALU_DEP_1) | instskip(NEXT) | instid1(VALU_DEP_1)
	v_dual_add_f32 v4, v5, v8 :: v_dual_add_f32 v5, v59, v57
	v_add_f32_e32 v8, v9, v4
	s_delay_alu instid0(VALU_DEP_2) | instskip(NEXT) | instid1(VALU_DEP_2)
	v_sub_f32_e32 v59, v5, v59
	v_dual_add_f32 v56, v5, v8 :: v_dual_sub_f32 v9, v8, v9
	s_delay_alu instid0(VALU_DEP_1) | instskip(NEXT) | instid1(VALU_DEP_2)
	v_dual_sub_f32 v57, v57, v59 :: v_dual_sub_f32 v60, v56, v5
	v_sub_f32_e32 v4, v4, v9
	s_delay_alu instid0(VALU_DEP_2) | instskip(NEXT) | instid1(VALU_DEP_2)
	v_sub_f32_e32 v8, v8, v60
	v_add_f32_e32 v9, v57, v4
	v_sub_f32_e32 v61, v56, v60
	s_delay_alu instid0(VALU_DEP_1) | instskip(NEXT) | instid1(VALU_DEP_1)
	v_sub_f32_e32 v5, v5, v61
	v_add_f32_e32 v5, v8, v5
	s_delay_alu instid0(VALU_DEP_4) | instskip(NEXT) | instid1(VALU_DEP_1)
	v_sub_f32_e32 v8, v9, v57
	v_dual_add_f32 v5, v9, v5 :: v_dual_sub_f32 v4, v4, v8
	v_sub_f32_e32 v9, v9, v8
	s_delay_alu instid0(VALU_DEP_2) | instskip(NEXT) | instid1(VALU_DEP_1)
	v_add_f32_e32 v59, v56, v5
	v_dual_sub_f32 v9, v57, v9 :: v_dual_sub_f32 v8, v59, v56
	s_delay_alu instid0(VALU_DEP_1) | instskip(NEXT) | instid1(VALU_DEP_1)
	v_dual_add_f32 v4, v4, v9 :: v_dual_sub_f32 v5, v5, v8
	v_add_f32_e32 v4, v4, v5
	s_delay_alu instid0(VALU_DEP_1) | instskip(NEXT) | instid1(VALU_DEP_1)
	v_add_f32_e32 v4, v59, v4
	v_cndmask_b32_e32 v67, v4, v6, vcc_lo
.LBB8_56:                               ;   in Loop: Header=BB8_12 Depth=1
	s_or_b32 exec_lo, exec_lo, s21
	v_and_b32_e32 v4, 0xffff0000, v7
	s_delay_alu instid0(VALU_DEP_1) | instskip(NEXT) | instid1(VALU_DEP_1)
	v_add_f32_e32 v68, s60, v4
	v_cmp_ge_f32_e32 vcc_lo, 0x41a00000, v68
	s_and_b32 s20, s68, vcc_lo
	s_delay_alu instid0(SALU_CYCLE_1)
	s_and_saveexec_b32 s21, s20
	s_cbranch_execz .LBB8_58
; %bb.57:                               ;   in Loop: Header=BB8_12 Depth=1
	v_mul_f32_e32 v4, 0x3fb8aa3b, v68
	v_cmp_ngt_f32_e32 vcc_lo, 0xc2ce8ed0, v68
	s_delay_alu instid0(VALU_DEP_2) | instskip(SKIP_1) | instid1(VALU_DEP_2)
	v_rndne_f32_e32 v5, v4
	v_fma_f32 v6, 0x3fb8aa3b, v68, -v4
	v_sub_f32_e32 v4, v4, v5
	s_delay_alu instid0(VALU_DEP_2) | instskip(SKIP_1) | instid1(VALU_DEP_2)
	v_fmac_f32_e32 v6, 0x32a5705f, v68
	v_cvt_i32_f32_e32 v5, v5
	v_add_f32_e32 v4, v4, v6
	s_delay_alu instid0(VALU_DEP_1) | instskip(SKIP_2) | instid1(VALU_DEP_1)
	v_exp_f32_e32 v4, v4
	s_waitcnt_depctr 0xfff
	v_ldexp_f32 v4, v4, v5
	v_cndmask_b32_e32 v4, 0, v4, vcc_lo
	v_cmp_nlt_f32_e32 vcc_lo, 0x42b17218, v68
	s_delay_alu instid0(VALU_DEP_2) | instskip(NEXT) | instid1(VALU_DEP_1)
	v_cndmask_b32_e32 v6, 0x7f800000, v4, vcc_lo
	v_add_f32_e32 v7, 1.0, v6
	s_delay_alu instid0(VALU_DEP_1) | instskip(NEXT) | instid1(VALU_DEP_1)
	v_cvt_f64_f32_e32 v[4:5], v7
	v_frexp_exp_i32_f64_e32 v4, v[4:5]
	v_frexp_mant_f32_e32 v5, v7
	s_delay_alu instid0(VALU_DEP_1) | instskip(SKIP_1) | instid1(VALU_DEP_1)
	v_cmp_gt_f32_e32 vcc_lo, 0x3f2aaaab, v5
	v_add_f32_e32 v5, -1.0, v7
	v_sub_f32_e32 v9, v5, v7
	v_sub_f32_e32 v5, v6, v5
	s_delay_alu instid0(VALU_DEP_2) | instskip(NEXT) | instid1(VALU_DEP_1)
	v_add_f32_e32 v9, 1.0, v9
	v_add_f32_e32 v5, v5, v9
	v_cmp_gt_f32_e64 s20, 0x33800000, v6
	v_subrev_co_ci_u32_e32 v4, vcc_lo, 0, v4, vcc_lo
	v_cmp_eq_f32_e32 vcc_lo, 0x7f800000, v6
	s_delay_alu instid0(VALU_DEP_2) | instskip(SKIP_2) | instid1(VALU_DEP_2)
	v_sub_nc_u32_e32 v8, 0, v4
	v_cvt_f32_i32_e32 v4, v4
	s_or_b32 vcc_lo, s20, vcc_lo
	v_ldexp_f32 v7, v7, v8
	v_ldexp_f32 v5, v5, v8
	s_delay_alu instid0(VALU_DEP_2) | instskip(NEXT) | instid1(VALU_DEP_1)
	v_add_f32_e32 v56, 1.0, v7
	v_dual_add_f32 v8, -1.0, v7 :: v_dual_add_f32 v9, -1.0, v56
	s_delay_alu instid0(VALU_DEP_1) | instskip(NEXT) | instid1(VALU_DEP_2)
	v_add_f32_e32 v57, 1.0, v8
	v_sub_f32_e32 v9, v7, v9
	s_delay_alu instid0(VALU_DEP_2) | instskip(NEXT) | instid1(VALU_DEP_2)
	v_sub_f32_e32 v7, v7, v57
	v_add_f32_e32 v9, v5, v9
	s_delay_alu instid0(VALU_DEP_2) | instskip(NEXT) | instid1(VALU_DEP_1)
	v_add_f32_e32 v5, v5, v7
	v_add_f32_e32 v59, v8, v5
	s_delay_alu instid0(VALU_DEP_1) | instskip(NEXT) | instid1(VALU_DEP_4)
	v_sub_f32_e32 v8, v8, v59
	v_add_f32_e32 v57, v56, v9
	s_delay_alu instid0(VALU_DEP_1) | instskip(NEXT) | instid1(VALU_DEP_2)
	v_rcp_f32_e32 v7, v57
	v_dual_sub_f32 v56, v56, v57 :: v_dual_add_f32 v5, v5, v8
	s_waitcnt_depctr 0xfff
	v_dual_add_f32 v9, v9, v56 :: v_dual_mul_f32 v60, v59, v7
	s_delay_alu instid0(VALU_DEP_1) | instskip(NEXT) | instid1(VALU_DEP_1)
	v_mul_f32_e32 v61, v57, v60
	v_fma_f32 v56, v60, v57, -v61
	s_delay_alu instid0(VALU_DEP_1) | instskip(NEXT) | instid1(VALU_DEP_1)
	v_fmac_f32_e32 v56, v60, v9
	v_add_f32_e32 v62, v61, v56
	s_delay_alu instid0(VALU_DEP_1) | instskip(NEXT) | instid1(VALU_DEP_1)
	v_dual_sub_f32 v8, v62, v61 :: v_dual_sub_f32 v63, v59, v62
	v_dual_sub_f32 v8, v8, v56 :: v_dual_sub_f32 v59, v59, v63
	s_delay_alu instid0(VALU_DEP_1) | instskip(NEXT) | instid1(VALU_DEP_1)
	v_sub_f32_e32 v59, v59, v62
	v_add_f32_e32 v5, v5, v59
	s_delay_alu instid0(VALU_DEP_1) | instskip(NEXT) | instid1(VALU_DEP_1)
	v_add_f32_e32 v5, v8, v5
	v_add_f32_e32 v8, v63, v5
	s_delay_alu instid0(VALU_DEP_1) | instskip(NEXT) | instid1(VALU_DEP_1)
	v_mul_f32_e32 v56, v7, v8
	v_mul_f32_e32 v59, v57, v56
	v_sub_f32_e32 v62, v63, v8
	s_delay_alu instid0(VALU_DEP_2) | instskip(NEXT) | instid1(VALU_DEP_2)
	v_fma_f32 v57, v56, v57, -v59
	v_add_f32_e32 v5, v5, v62
	s_delay_alu instid0(VALU_DEP_2) | instskip(NEXT) | instid1(VALU_DEP_1)
	v_fmac_f32_e32 v57, v56, v9
	v_add_f32_e32 v9, v59, v57
	s_delay_alu instid0(VALU_DEP_1) | instskip(NEXT) | instid1(VALU_DEP_1)
	v_sub_f32_e32 v61, v8, v9
	v_dual_sub_f32 v59, v9, v59 :: v_dual_sub_f32 v8, v8, v61
	s_delay_alu instid0(VALU_DEP_1) | instskip(NEXT) | instid1(VALU_DEP_2)
	v_sub_f32_e32 v8, v8, v9
	v_sub_f32_e32 v9, v59, v57
	s_delay_alu instid0(VALU_DEP_2) | instskip(NEXT) | instid1(VALU_DEP_1)
	v_add_f32_e32 v5, v5, v8
	v_dual_add_f32 v8, v60, v56 :: v_dual_add_f32 v5, v9, v5
	s_delay_alu instid0(VALU_DEP_1) | instskip(NEXT) | instid1(VALU_DEP_2)
	v_sub_f32_e32 v9, v8, v60
	v_add_f32_e32 v5, v61, v5
	s_delay_alu instid0(VALU_DEP_2) | instskip(NEXT) | instid1(VALU_DEP_2)
	v_sub_f32_e32 v9, v56, v9
	v_mul_f32_e32 v5, v7, v5
	s_delay_alu instid0(VALU_DEP_1) | instskip(NEXT) | instid1(VALU_DEP_1)
	v_add_f32_e32 v5, v9, v5
	v_add_f32_e32 v7, v8, v5
	s_delay_alu instid0(VALU_DEP_1) | instskip(NEXT) | instid1(VALU_DEP_1)
	v_mul_f32_e32 v9, v7, v7
	v_fmaak_f32 v56, s54, v9, 0x3ecc95a3
	v_mul_f32_e32 v57, v7, v9
	s_delay_alu instid0(VALU_DEP_2) | instskip(SKIP_2) | instid1(VALU_DEP_3)
	v_fmaak_f32 v9, v9, v56, 0x3f2aaada
	v_ldexp_f32 v56, v7, 1
	v_sub_f32_e32 v7, v7, v8
	v_mul_f32_e32 v9, v57, v9
	v_mul_f32_e32 v57, 0x3f317218, v4
	s_delay_alu instid0(VALU_DEP_2) | instskip(NEXT) | instid1(VALU_DEP_1)
	v_dual_sub_f32 v5, v5, v7 :: v_dual_add_f32 v8, v56, v9
	v_ldexp_f32 v5, v5, 1
	s_delay_alu instid0(VALU_DEP_2) | instskip(NEXT) | instid1(VALU_DEP_4)
	v_sub_f32_e32 v7, v8, v56
	v_fma_f32 v56, 0x3f317218, v4, -v57
	s_delay_alu instid0(VALU_DEP_1) | instskip(NEXT) | instid1(VALU_DEP_1)
	v_dual_sub_f32 v7, v9, v7 :: v_dual_fmac_f32 v56, 0xb102e308, v4
	v_add_f32_e32 v4, v5, v7
	s_delay_alu instid0(VALU_DEP_2) | instskip(NEXT) | instid1(VALU_DEP_2)
	v_add_f32_e32 v5, v57, v56
	v_add_f32_e32 v7, v8, v4
	s_delay_alu instid0(VALU_DEP_2) | instskip(NEXT) | instid1(VALU_DEP_2)
	v_sub_f32_e32 v57, v5, v57
	v_dual_add_f32 v9, v5, v7 :: v_dual_sub_f32 v8, v7, v8
	s_delay_alu instid0(VALU_DEP_2) | instskip(NEXT) | instid1(VALU_DEP_2)
	v_sub_f32_e32 v56, v56, v57
	v_dual_sub_f32 v59, v9, v5 :: v_dual_sub_f32 v4, v4, v8
	s_delay_alu instid0(VALU_DEP_1) | instskip(NEXT) | instid1(VALU_DEP_2)
	v_sub_f32_e32 v60, v9, v59
	v_dual_sub_f32 v7, v7, v59 :: v_dual_add_f32 v8, v56, v4
	s_delay_alu instid0(VALU_DEP_2) | instskip(NEXT) | instid1(VALU_DEP_1)
	v_sub_f32_e32 v5, v5, v60
	v_add_f32_e32 v5, v7, v5
	s_delay_alu instid0(VALU_DEP_3) | instskip(NEXT) | instid1(VALU_DEP_2)
	v_sub_f32_e32 v7, v8, v56
	v_add_f32_e32 v5, v8, v5
	s_delay_alu instid0(VALU_DEP_2) | instskip(NEXT) | instid1(VALU_DEP_2)
	v_sub_f32_e32 v8, v8, v7
	v_dual_sub_f32 v4, v4, v7 :: v_dual_add_f32 v57, v9, v5
	s_delay_alu instid0(VALU_DEP_1) | instskip(NEXT) | instid1(VALU_DEP_1)
	v_dual_sub_f32 v8, v56, v8 :: v_dual_sub_f32 v7, v57, v9
	v_dual_add_f32 v4, v4, v8 :: v_dual_sub_f32 v5, v5, v7
	s_delay_alu instid0(VALU_DEP_1) | instskip(NEXT) | instid1(VALU_DEP_1)
	v_add_f32_e32 v4, v4, v5
	v_add_f32_e32 v4, v57, v4
	s_delay_alu instid0(VALU_DEP_1)
	v_cndmask_b32_e32 v68, v4, v6, vcc_lo
.LBB8_58:                               ;   in Loop: Header=BB8_12 Depth=1
	s_or_b32 exec_lo, exec_lo, s21
	v_and_b32_e32 v6, 0xffff0000, v0
	v_and_b32_e32 v5, 0xffff0000, v2
	v_lshlrev_b32_e32 v4, 16, v3
	v_and_b32_e32 v7, 0xffff0000, v3
	v_lshlrev_b32_e32 v0, 16, v0
	v_dual_mul_f32 v64, s61, v6 :: v_dual_and_b32 v3, 0xffff0000, v1
	s_delay_alu instid0(VALU_DEP_3) | instskip(SKIP_1) | instid1(VALU_DEP_3)
	v_dual_mul_f32 v57, s61, v5 :: v_dual_mul_f32 v60, s61, v7
	v_dual_mul_f32 v56, s61, v4 :: v_dual_lshlrev_b32 v1, 16, v1
	v_mul_f32_e32 v62, s61, v3
	v_dual_mul_f32 v63, s61, v0 :: v_dual_lshlrev_b32 v2, 16, v2
	s_delay_alu instid0(VALU_DEP_3) | instskip(SKIP_1) | instid1(VALU_DEP_2)
	v_mul_f32_e32 v61, s61, v1
	s_and_b32 vcc_lo, exec_lo, s69
	v_mul_f32_e32 v59, s61, v2
	s_barrier
	buffer_gl0_inv
	s_cbranch_vccz .LBB8_122
; %bb.59:                               ;   in Loop: Header=BB8_12 Depth=1
	v_dual_mul_f32 v69, v68, v7 :: v_dual_mul_f32 v74, v67, v4
	v_add_co_u32 v7, s20, s46, v51
	s_delay_alu instid0(VALU_DEP_1) | instskip(SKIP_1) | instid1(VALU_DEP_1)
	v_add_co_ci_u32_e64 v8, null, s49, 0, s20
	v_add_co_u32 v9, s20, s50, v51
	v_add_co_ci_u32_e64 v73, null, s65, 0, s20
	s_delay_alu instid0(VALU_DEP_4) | instskip(NEXT) | instid1(VALU_DEP_4)
	v_add_co_u32 v70, vcc_lo, v7, v52
	v_add_co_ci_u32_e32 v71, vcc_lo, 0, v8, vcc_lo
	s_delay_alu instid0(VALU_DEP_4) | instskip(NEXT) | instid1(VALU_DEP_4)
	v_add_co_u32 v72, vcc_lo, v9, v52
	v_add_co_ci_u32_e32 v73, vcc_lo, 0, v73, vcc_lo
	v_cmp_gt_u32_e32 vcc_lo, s23, v10
	s_cmp_lg_u32 s56, 0
	v_cmp_gt_u32_e64 s21, s23, v44
	s_cselect_b32 s31, -1, 0
	s_cmp_eq_u32 s56, s71
	v_cmp_gt_u32_e64 s22, s23, v45
	s_cselect_b32 s57, -1, 0
	s_or_b32 s20, s70, vcc_lo
	v_cmp_gt_u32_e32 vcc_lo, s23, v46
	v_cmp_gt_u32_e64 s24, s23, v47
	v_cmp_gt_u32_e64 s25, s23, v48
	;; [unrolled: 1-line block ×4, first 2 shown]
	v_dual_mul_f32 v75, v66, v5 :: v_dual_mul_f32 v76, v65, v2
	v_dual_mul_f32 v77, v58, v3 :: v_dual_mul_f32 v78, v55, v1
	;; [unrolled: 1-line block ×3, first 2 shown]
	s_mov_b32 s34, 0
	s_or_b32 s21, s70, s21
	s_or_b32 s22, s70, s22
	s_or_b32 s23, s70, vcc_lo
	s_or_b32 s24, s70, s24
	s_or_b32 s25, s70, s25
	;; [unrolled: 1-line block ×4, first 2 shown]
	s_mov_b32 s38, s34
	s_mov_b32 s40, s34
	;; [unrolled: 1-line block ×5, first 2 shown]
	s_branch .LBB8_61
.LBB8_60:                               ;   in Loop: Header=BB8_61 Depth=2
	s_or_b32 exec_lo, exec_lo, s28
	v_cndmask_b32_e64 v5, v98, v7, s11
	v_cndmask_b32_e64 v6, v97, v6, s11
	s_add_i32 s58, s58, -1
	s_add_i32 s72, s72, 8
	s_add_i32 s42, s42, s37
	v_fma_f32 v5, v5, v86, v84
	v_mul_f32_e32 v6, v6, v86
	s_add_i32 s40, s40, s36
	s_add_i32 s38, s38, s48
	;; [unrolled: 1-line block ×3, first 2 shown]
	v_cndmask_b32_e64 v5, v5, v84, s10
	v_cndmask_b32_e64 v6, v6, v86, s10
	s_cmp_eq_u32 s58, 0
	s_waitcnt lgkmcnt(0)
	s_delay_alu instid0(VALU_DEP_1) | instskip(NEXT) | instid1(VALU_DEP_1)
	v_dual_fmac_f32 v5, v4, v6 :: v_dual_and_b32 v4, 0xffff0000, v0
	v_fmac_f32_e32 v81, v5, v87
	s_delay_alu instid0(VALU_DEP_1) | instskip(SKIP_1) | instid1(VALU_DEP_1)
	v_dual_fmac_f32 v64, v81, v4 :: v_dual_and_b32 v7, 0xffff0000, v2
	v_fmac_f32_e32 v82, v81, v89
	v_dual_fmac_f32 v83, v82, v90 :: v_dual_and_b32 v6, 0xffff0000, v1
	s_delay_alu instid0(VALU_DEP_1) | instskip(NEXT) | instid1(VALU_DEP_2)
	v_fmac_f32_e32 v85, v83, v92
	v_dual_fmac_f32 v62, v83, v6 :: v_dual_lshlrev_b32 v1, 16, v1
	s_delay_alu instid0(VALU_DEP_2) | instskip(SKIP_1) | instid1(VALU_DEP_3)
	v_fmac_f32_e32 v88, v85, v96
	v_lshlrev_b32_e32 v0, 16, v0
	v_dual_fmac_f32 v61, v82, v1 :: v_dual_and_b32 v8, 0xffff0000, v3
	v_lshlrev_b32_e32 v3, 16, v3
	s_delay_alu instid0(VALU_DEP_4) | instskip(NEXT) | instid1(VALU_DEP_4)
	v_fmac_f32_e32 v91, v88, v94
	v_dual_fmac_f32 v63, v5, v0 :: v_dual_lshlrev_b32 v2, 16, v2
	s_delay_alu instid0(VALU_DEP_2) | instskip(NEXT) | instid1(VALU_DEP_2)
	v_fmac_f32_e32 v93, v91, v95
	v_dual_fmac_f32 v59, v85, v2 :: v_dual_fmac_f32 v56, v91, v3
	s_delay_alu instid0(VALU_DEP_2)
	v_dual_fmac_f32 v57, v88, v7 :: v_dual_fmac_f32 v60, v93, v8
	s_cbranch_scc1 .LBB8_122
.LBB8_61:                               ;   Parent Loop BB8_12 Depth=1
                                        ; =>  This Inner Loop Header: Depth=2
	s_lshl_b64 s[28:29], s[34:35], 2
	s_mov_b32 s39, s35
	s_add_u32 s28, s63, s28
	s_addc_u32 s29, s64, s29
	v_dual_mov_b32 v2, 0 :: v_dual_mov_b32 v3, 0
	global_load_b32 v81, v13, s[28:29]
	s_lshl_b64 s[28:29], s[38:39], 1
	s_delay_alu instid0(SALU_CYCLE_1)
	v_add_co_u32 v0, vcc_lo, v70, s28
	v_add_co_ci_u32_e32 v1, vcc_lo, s29, v71, vcc_lo
	s_and_saveexec_b32 s28, s12
	s_cbranch_execz .LBB8_63
; %bb.62:                               ;   in Loop: Header=BB8_61 Depth=2
	global_load_u16 v3, v[0:1], off
.LBB8_63:                               ;   in Loop: Header=BB8_61 Depth=2
	s_or_b32 exec_lo, exec_lo, s28
	s_and_saveexec_b32 s28, s13
	s_cbranch_execz .LBB8_65
; %bb.64:                               ;   in Loop: Header=BB8_61 Depth=2
	global_load_u16 v2, v[0:1], off offset:64
.LBB8_65:                               ;   in Loop: Header=BB8_61 Depth=2
	s_or_b32 exec_lo, exec_lo, s28
	v_dual_mov_b32 v4, 0 :: v_dual_mov_b32 v5, 0
	s_and_saveexec_b32 s28, s14
	s_cbranch_execz .LBB8_67
; %bb.66:                               ;   in Loop: Header=BB8_61 Depth=2
	global_load_u16 v5, v[0:1], off offset:128
.LBB8_67:                               ;   in Loop: Header=BB8_61 Depth=2
	s_or_b32 exec_lo, exec_lo, s28
	s_and_saveexec_b32 s28, s15
	s_cbranch_execz .LBB8_69
; %bb.68:                               ;   in Loop: Header=BB8_61 Depth=2
	global_load_u16 v4, v[0:1], off offset:192
.LBB8_69:                               ;   in Loop: Header=BB8_61 Depth=2
	s_or_b32 exec_lo, exec_lo, s28
	v_dual_mov_b32 v6, 0 :: v_dual_mov_b32 v7, 0
	s_and_saveexec_b32 s28, s16
	s_cbranch_execz .LBB8_71
; %bb.70:                               ;   in Loop: Header=BB8_61 Depth=2
	global_load_u16 v7, v[0:1], off offset:256
.LBB8_71:                               ;   in Loop: Header=BB8_61 Depth=2
	;; [unrolled: 13-line block ×3, first 2 shown]
	s_or_b32 exec_lo, exec_lo, s28
	s_and_saveexec_b32 s28, s19
	s_cbranch_execz .LBB8_77
; %bb.76:                               ;   in Loop: Header=BB8_61 Depth=2
	global_load_u16 v8, v[0:1], off offset:448
.LBB8_77:                               ;   in Loop: Header=BB8_61 Depth=2
	s_or_b32 exec_lo, exec_lo, s28
	s_waitcnt vmcnt(0)
	ds_store_b16 v20, v3
	ds_store_b16 v20, v2 offset:64
	ds_store_b16 v21, v5 offset:128
	ds_store_b16 v22, v4 offset:192
	ds_store_b16 v23, v7 offset:256
	ds_store_b16 v24, v6 offset:320
	ds_store_b16 v25, v9 offset:384
	ds_store_b16 v26, v8 offset:448
	; wave barrier
	ds_load_b128 v[4:7], v27
	s_mov_b32 s41, s35
	v_dual_mov_b32 v2, 0 :: v_dual_mov_b32 v3, 0
	s_lshl_b64 s[28:29], s[40:41], 1
	s_delay_alu instid0(SALU_CYCLE_1)
	v_add_co_u32 v0, vcc_lo, v72, s28
	v_add_co_ci_u32_e32 v1, vcc_lo, s29, v73, vcc_lo
	s_and_saveexec_b32 s28, s12
	s_cbranch_execz .LBB8_79
; %bb.78:                               ;   in Loop: Header=BB8_61 Depth=2
	global_load_u16 v3, v[0:1], off
.LBB8_79:                               ;   in Loop: Header=BB8_61 Depth=2
	s_or_b32 exec_lo, exec_lo, s28
	s_and_saveexec_b32 s28, s13
	s_cbranch_execz .LBB8_81
; %bb.80:                               ;   in Loop: Header=BB8_61 Depth=2
	global_load_u16 v2, v[0:1], off offset:64
.LBB8_81:                               ;   in Loop: Header=BB8_61 Depth=2
	s_or_b32 exec_lo, exec_lo, s28
	v_dual_mov_b32 v8, 0 :: v_dual_mov_b32 v9, 0
	s_and_saveexec_b32 s28, s14
	s_cbranch_execz .LBB8_83
; %bb.82:                               ;   in Loop: Header=BB8_61 Depth=2
	global_load_u16 v9, v[0:1], off offset:128
.LBB8_83:                               ;   in Loop: Header=BB8_61 Depth=2
	s_or_b32 exec_lo, exec_lo, s28
	s_and_saveexec_b32 s28, s15
	s_cbranch_execz .LBB8_85
; %bb.84:                               ;   in Loop: Header=BB8_61 Depth=2
	global_load_u16 v8, v[0:1], off offset:192
.LBB8_85:                               ;   in Loop: Header=BB8_61 Depth=2
	s_or_b32 exec_lo, exec_lo, s28
	v_dual_mov_b32 v82, 0 :: v_dual_mov_b32 v83, 0
	s_and_saveexec_b32 s28, s16
	s_cbranch_execz .LBB8_87
; %bb.86:                               ;   in Loop: Header=BB8_61 Depth=2
	global_load_u16 v83, v[0:1], off offset:256
.LBB8_87:                               ;   in Loop: Header=BB8_61 Depth=2
	;; [unrolled: 13-line block ×3, first 2 shown]
	s_or_b32 exec_lo, exec_lo, s28
	s_and_saveexec_b32 s28, s19
	s_cbranch_execz .LBB8_93
; %bb.92:                               ;   in Loop: Header=BB8_61 Depth=2
	global_load_u16 v84, v[0:1], off offset:448
.LBB8_93:                               ;   in Loop: Header=BB8_61 Depth=2
	s_or_b32 exec_lo, exec_lo, s28
	s_waitcnt vmcnt(0)
	ds_store_b16 v20, v3 offset:1056
	ds_store_b16 v28, v2 offset:64
	;; [unrolled: 1-line block ×8, first 2 shown]
	; wave barrier
	ds_load_b128 v[0:3], v27 offset:1056
	s_and_not1_b32 vcc_lo, exec_lo, s31
	s_cbranch_vccnz .LBB8_95
; %bb.94:                               ;   in Loop: Header=BB8_61 Depth=2
	v_mov_b32_e32 v8, s72
	ds_load_b64 v[8:9], v8
	s_cbranch_execz .LBB8_96
	s_branch .LBB8_99
.LBB8_95:                               ;   in Loop: Header=BB8_61 Depth=2
                                        ; implicit-def: $vgpr8
.LBB8_96:                               ;   in Loop: Header=BB8_61 Depth=2
	s_waitcnt lgkmcnt(0)
	v_mov_b32_e32 v9, 0
	s_and_not1_b32 vcc_lo, exec_lo, s33
	s_cbranch_vccnz .LBB8_98
; %bb.97:                               ;   in Loop: Header=BB8_61 Depth=2
	s_mov_b32 s43, s35
	s_delay_alu instid0(SALU_CYCLE_1) | instskip(NEXT) | instid1(SALU_CYCLE_1)
	s_lshl_b64 s[28:29], s[42:43], 1
	s_add_u32 s28, s53, s28
	s_addc_u32 s29, s66, s29
	global_load_u16 v8, v13, s[28:29]
	s_waitcnt vmcnt(0)
	v_lshlrev_b32_e32 v9, 16, v8
.LBB8_98:                               ;   in Loop: Header=BB8_61 Depth=2
	v_mov_b32_e32 v8, 1.0
.LBB8_99:                               ;   in Loop: Header=BB8_61 Depth=2
	v_mul_f32_e32 v91, 0x3fb8aa3b, v81
	s_waitcnt lgkmcnt(9)
	v_lshlrev_b32_e32 v81, 16, v4
	v_and_b32_e32 v4, 0xffff0000, v4
	s_delay_alu instid0(VALU_DEP_1) | instskip(SKIP_1) | instid1(VALU_DEP_4)
	v_mul_f32_e32 v4, v79, v4
	v_mul_f32_e32 v82, v91, v53
	;; [unrolled: 1-line block ×3, first 2 shown]
	v_dual_mul_f32 v84, v91, v54 :: v_dual_lshlrev_b32 v83, 16, v5
	v_mul_f32_e32 v86, v91, v55
	s_delay_alu instid0(VALU_DEP_4) | instskip(SKIP_1) | instid1(VALU_DEP_4)
	v_cmp_gt_f32_e32 vcc_lo, 0xc2fc0000, v82
	v_dual_mul_f32 v88, v91, v58 :: v_dual_lshlrev_b32 v93, 16, v7
	v_cmp_gt_f32_e64 s28, 0xc2fc0000, v84
	s_delay_alu instid0(VALU_DEP_4)
	v_cmp_gt_f32_e64 s29, 0xc2fc0000, v86
	v_cndmask_b32_e64 v82, 0, 0x42800000, vcc_lo
	v_lshlrev_b32_e32 v85, 16, v6
	v_cndmask_b32_e64 v89, 1.0, 0x1f800000, vcc_lo
	v_cndmask_b32_e64 v84, 0, 0x42800000, s28
	v_and_b32_e32 v5, 0xffff0000, v5
	v_fmac_f32_e32 v82, v91, v53
	v_cndmask_b32_e64 v86, 0, 0x42800000, s29
	v_cndmask_b32_e64 v90, 1.0, 0x1f800000, s28
	v_fmac_f32_e32 v84, v91, v54
	v_cmp_gt_f32_e32 vcc_lo, 0xc2fc0000, v88
	v_exp_f32_e32 v82, v82
	v_and_b32_e32 v7, 0xffff0000, v7
	v_dual_fmac_f32 v86, v91, v55 :: v_dual_mul_f32 v5, v77, v5
	v_exp_f32_e32 v87, v84
	v_cndmask_b32_e64 v84, 0, v81, s20
	v_cndmask_b32_e64 v81, 0, v4, s21
	v_cndmask_b32_e64 v88, 0, 0x42800000, vcc_lo
	v_dual_mul_f32 v83, v78, v83 :: v_dual_and_b32 v6, 0xffff0000, v6
	s_delay_alu instid0(TRANS32_DEP_2) | instskip(SKIP_1) | instid1(VALU_DEP_3)
	v_mul_f32_e32 v4, v82, v89
	v_exp_f32_e32 v89, v86
	v_dual_fmac_f32 v88, v91, v58 :: v_dual_mul_f32 v93, v74, v93
	s_delay_alu instid0(TRANS32_DEP_2) | instskip(NEXT) | instid1(VALU_DEP_3)
	v_dual_mul_f32 v82, v87, v90 :: v_dual_mul_f32 v85, v76, v85
	v_cndmask_b32_e64 v86, 1.0, v4, s20
	v_dual_mul_f32 v4, v91, v65 :: v_dual_mul_f32 v7, v69, v7
	s_delay_alu instid0(VALU_DEP_3) | instskip(SKIP_2) | instid1(VALU_DEP_4)
	v_cndmask_b32_e64 v87, 1.0, v82, s21
	v_cndmask_b32_e64 v82, 1.0, 0x1f800000, s29
	v_mul_f32_e32 v90, v91, v66
	v_cmp_gt_f32_e64 s28, 0xc2fc0000, v4
	v_exp_f32_e32 v88, v88
	v_mul_f32_e32 v95, v91, v68
	v_mul_f32_e32 v89, v89, v82
	v_cndmask_b32_e64 v82, 0, v83, s22
	v_cndmask_b32_e64 v4, 0, 0x42800000, s28
	v_cndmask_b32_e64 v83, 1.0, 0x1f800000, vcc_lo
	v_cmp_gt_f32_e32 vcc_lo, 0xc2fc0000, v90
	v_mul_f32_e32 v6, v75, v6
	v_cndmask_b32_e64 v89, 1.0, v89, s22
	v_fmac_f32_e32 v4, v91, v65
	v_mul_f32_e32 v88, v88, v83
	v_cndmask_b32_e64 v92, 0, 0x42800000, vcc_lo
	v_cndmask_b32_e64 v83, 0, v5, s23
	v_cndmask_b32_e64 v5, 1.0, 0x1f800000, s28
	v_exp_f32_e32 v4, v4
	v_cndmask_b32_e64 v90, 1.0, v88, s23
	v_fmac_f32_e32 v92, v91, v66
	v_cmp_gt_f32_e64 s28, 0xc2fc0000, v95
	v_fma_f32 v95, v87, v84, v81
	v_cndmask_b32_e64 v85, 0, v85, s24
	s_delay_alu instid0(VALU_DEP_4) | instskip(SKIP_1) | instid1(TRANS32_DEP_2)
	v_exp_f32_e32 v88, v92
	v_mul_f32_e32 v92, v91, v67
	v_mul_f32_e32 v4, v4, v5
	v_cndmask_b32_e64 v5, 1.0, 0x1f800000, vcc_lo
	s_delay_alu instid0(VALU_DEP_3) | instskip(NEXT) | instid1(VALU_DEP_3)
	v_cmp_gt_f32_e32 vcc_lo, 0xc2fc0000, v92
	v_cndmask_b32_e64 v92, 1.0, v4, s24
	s_waitcnt_depctr 0xfff
	v_mul_f32_e32 v4, v88, v5
	v_cndmask_b32_e64 v94, 0, 0x42800000, vcc_lo
	v_cndmask_b32_e64 v88, 0, v6, s25
	v_cndmask_b32_e64 v5, 0, 0x42800000, s28
	v_mul_f32_e32 v6, v87, v86
	v_cndmask_b32_e64 v96, 1.0, v4, s25
	v_fmac_f32_e32 v94, v91, v67
	s_delay_alu instid0(VALU_DEP_3) | instskip(SKIP_1) | instid1(VALU_DEP_3)
	v_dual_fmac_f32 v5, v91, v68 :: v_dual_mul_f32 v4, v6, v89
	v_fma_f32 v6, v95, v89, v82
	v_exp_f32_e32 v94, v94
	v_cndmask_b32_e64 v91, 1.0, 0x1f800000, vcc_lo
	s_delay_alu instid0(VALU_DEP_3) | instskip(SKIP_2) | instid1(VALU_DEP_2)
	v_exp_f32_e32 v5, v5
	v_mul_f32_e32 v4, v4, v90
	v_fma_f32 v6, v6, v90, v83
	v_mul_f32_e32 v4, v4, v92
	s_delay_alu instid0(VALU_DEP_2) | instskip(NEXT) | instid1(TRANS32_DEP_2)
	v_fma_f32 v6, v6, v92, v85
	v_mul_f32_e32 v94, v94, v91
	v_cndmask_b32_e64 v91, 0, v93, s26
	v_cndmask_b32_e64 v93, 1.0, 0x1f800000, s28
	v_mul_f32_e32 v4, v4, v96
	v_fma_f32 v6, v6, v96, v88
	v_cndmask_b32_e64 v94, 1.0, v94, s26
	s_delay_alu instid0(VALU_DEP_4) | instskip(SKIP_1) | instid1(VALU_DEP_3)
	v_mul_f32_e32 v5, v5, v93
	v_cndmask_b32_e64 v93, 0, v7, s27
	v_mul_f32_e32 v4, v4, v94
	s_delay_alu instid0(VALU_DEP_3) | instskip(SKIP_1) | instid1(VALU_DEP_2)
	v_cndmask_b32_e64 v95, 1.0, v5, s27
	v_fma_f32 v5, v6, v94, v91
	v_mul_f32_e32 v4, v4, v95
	s_delay_alu instid0(VALU_DEP_2) | instskip(NEXT) | instid1(VALU_DEP_2)
	v_fma_f32 v5, v5, v95, v93
	v_mov_b32_dpp v7, v4 row_shr:1 row_mask:0xf bank_mask:0xf
	s_delay_alu instid0(VALU_DEP_2)
	v_mov_b32_dpp v6, v5 row_shr:1 row_mask:0xf bank_mask:0xf
	s_and_saveexec_b32 s28, s0
; %bb.100:                              ;   in Loop: Header=BB8_61 Depth=2
	s_delay_alu instid0(VALU_DEP_2) | instskip(NEXT) | instid1(VALU_DEP_1)
	v_mul_f32_e32 v7, v4, v7
	v_dual_fmac_f32 v5, v4, v6 :: v_dual_mov_b32 v4, v7
; %bb.101:                              ;   in Loop: Header=BB8_61 Depth=2
	s_or_b32 exec_lo, exec_lo, s28
	s_delay_alu instid0(VALU_DEP_1) | instskip(NEXT) | instid1(VALU_DEP_2)
	v_mov_b32_dpp v6, v4 row_shr:2 row_mask:0xf bank_mask:0xf
	v_mov_b32_dpp v7, v5 row_shr:2 row_mask:0xf bank_mask:0xf
	s_and_saveexec_b32 s28, s1
; %bb.102:                              ;   in Loop: Header=BB8_61 Depth=2
	s_delay_alu instid0(VALU_DEP_1) | instskip(NEXT) | instid1(VALU_DEP_3)
	v_fmac_f32_e32 v5, v4, v7
	v_mul_f32_e32 v4, v4, v6
; %bb.103:                              ;   in Loop: Header=BB8_61 Depth=2
	s_or_b32 exec_lo, exec_lo, s28
	s_delay_alu instid0(VALU_DEP_1) | instskip(NEXT) | instid1(VALU_DEP_3)
	v_mov_b32_dpp v6, v4 row_shr:4 row_mask:0xf bank_mask:0xf
	v_mov_b32_dpp v7, v5 row_shr:4 row_mask:0xf bank_mask:0xf
	s_and_saveexec_b32 s28, s2
; %bb.104:                              ;   in Loop: Header=BB8_61 Depth=2
	s_delay_alu instid0(VALU_DEP_1) | instskip(NEXT) | instid1(VALU_DEP_3)
	v_fmac_f32_e32 v5, v4, v7
	v_mul_f32_e32 v4, v4, v6
; %bb.105:                              ;   in Loop: Header=BB8_61 Depth=2
	s_or_b32 exec_lo, exec_lo, s28
	s_delay_alu instid0(VALU_DEP_1) | instskip(NEXT) | instid1(VALU_DEP_3)
	v_mov_b32_dpp v6, v4 row_shr:8 row_mask:0xf bank_mask:0xf
	v_mov_b32_dpp v7, v5 row_shr:8 row_mask:0xf bank_mask:0xf
	s_and_saveexec_b32 s28, s3
; %bb.106:                              ;   in Loop: Header=BB8_61 Depth=2
	s_delay_alu instid0(VALU_DEP_1) | instskip(NEXT) | instid1(VALU_DEP_3)
	v_fmac_f32_e32 v5, v4, v7
	v_mul_f32_e32 v4, v4, v6
; %bb.107:                              ;   in Loop: Header=BB8_61 Depth=2
	s_or_b32 exec_lo, exec_lo, s28
	ds_swizzle_b32 v7, v4 offset:swizzle(BROADCAST,32,15)
	ds_swizzle_b32 v6, v5 offset:swizzle(BROADCAST,32,15)
	s_and_saveexec_b32 s28, s4
	s_cbranch_execz .LBB8_109
; %bb.108:                              ;   in Loop: Header=BB8_61 Depth=2
	s_waitcnt lgkmcnt(1)
	v_mul_f32_e32 v7, v4, v7
	s_waitcnt lgkmcnt(0)
	s_delay_alu instid0(VALU_DEP_1)
	v_dual_fmac_f32 v5, v4, v6 :: v_dual_mov_b32 v4, v7
.LBB8_109:                              ;   in Loop: Header=BB8_61 Depth=2
	s_or_b32 exec_lo, exec_lo, s28
	s_and_saveexec_b32 s28, s5
	s_cbranch_execz .LBB8_111
; %bb.110:                              ;   in Loop: Header=BB8_61 Depth=2
	ds_store_b64 v35, v[4:5] offset:2112
.LBB8_111:                              ;   in Loop: Header=BB8_61 Depth=2
	s_or_b32 exec_lo, exec_lo, s28
	s_waitcnt lgkmcnt(0)
	s_waitcnt_vscnt null, 0x0
	s_barrier
	buffer_gl0_inv
	s_and_saveexec_b32 s28, s6
	s_cbranch_execz .LBB8_113
; %bb.112:                              ;   in Loop: Header=BB8_61 Depth=2
	ds_load_b64 v[6:7], v36 offset:2112
	s_waitcnt lgkmcnt(0)
	v_mov_b32_dpp v97, v6 row_shr:1 row_mask:0xf bank_mask:0xf
	v_mov_b32_dpp v98, v7 row_shr:1 row_mask:0xf bank_mask:0xf
	s_delay_alu instid0(VALU_DEP_2) | instskip(NEXT) | instid1(VALU_DEP_2)
	v_mul_f32_e32 v97, v6, v97
	v_fma_f32 v98, v6, v98, v7
	s_delay_alu instid0(VALU_DEP_2) | instskip(NEXT) | instid1(VALU_DEP_2)
	v_cndmask_b32_e64 v6, v97, v6, s7
	v_cndmask_b32_e64 v7, v98, v7, s7
	ds_store_b64 v36, v[6:7] offset:2112
.LBB8_113:                              ;   in Loop: Header=BB8_61 Depth=2
	s_or_b32 exec_lo, exec_lo, s28
	s_waitcnt lgkmcnt(0)
	s_barrier
	buffer_gl0_inv
                                        ; implicit-def: $vgpr7
	s_and_saveexec_b32 s28, s9
	s_cbranch_execz .LBB8_115
; %bb.114:                              ;   in Loop: Header=BB8_61 Depth=2
	ds_load_b64 v[6:7], v35 offset:2104
	s_waitcnt lgkmcnt(0)
	v_mul_f32_e32 v97, v4, v6
	s_delay_alu instid0(VALU_DEP_1)
	v_dual_fmac_f32 v5, v4, v7 :: v_dual_mov_b32 v4, v97
.LBB8_115:                              ;   in Loop: Header=BB8_61 Depth=2
	s_or_b32 exec_lo, exec_lo, s28
	ds_bpermute_b32 v97, v37, v4
	ds_bpermute_b32 v98, v37, v5
	s_and_saveexec_b32 s28, s8
	s_cbranch_execz .LBB8_119
; %bb.116:                              ;   in Loop: Header=BB8_61 Depth=2
	ds_load_b64 v[4:5], v13 offset:2120
	s_and_saveexec_b32 s29, s10
	s_cbranch_execz .LBB8_118
; %bb.117:                              ;   in Loop: Header=BB8_61 Depth=2
	ds_store_b64 v13, v[8:9] offset:2120
.LBB8_118:                              ;   in Loop: Header=BB8_61 Depth=2
	s_or_b32 exec_lo, exec_lo, s29
	s_waitcnt lgkmcnt(0)
	v_fmac_f32_e32 v5, v4, v9
	s_delay_alu instid0(VALU_DEP_1)
	v_dual_mul_f32 v8, v8, v4 :: v_dual_mov_b32 v9, v5
.LBB8_119:                              ;   in Loop: Header=BB8_61 Depth=2
	s_or_b32 exec_lo, exec_lo, s28
	s_waitcnt lgkmcnt(0)
	s_barrier
	buffer_gl0_inv
	ds_load_b32 v4, v13 offset:2124
	s_and_saveexec_b32 s28, s10
	s_cbranch_execz .LBB8_60
; %bb.120:                              ;   in Loop: Header=BB8_61 Depth=2
	v_mov_b32_e32 v5, s72
	s_and_not1_b32 vcc_lo, exec_lo, s57
	ds_store_b64 v5, v[8:9]
	s_cbranch_vccnz .LBB8_60
; %bb.121:                              ;   in Loop: Header=BB8_61 Depth=2
	v_bfe_u32 v5, v9, 16, 1
	v_cmp_o_f32_e32 vcc_lo, v9, v9
	s_mov_b32 s43, s35
	s_delay_alu instid0(SALU_CYCLE_1) | instskip(NEXT) | instid1(VALU_DEP_2)
	s_lshl_b64 s[74:75], s[42:43], 1
	v_add3_u32 v5, v9, v5, 0x7fff
	s_add_u32 s74, s53, s74
	s_addc_u32 s75, s66, s75
	s_delay_alu instid0(VALU_DEP_1) | instskip(NEXT) | instid1(VALU_DEP_1)
	v_lshrrev_b32_e32 v5, 16, v5
	v_cndmask_b32_e32 v5, 0x7fc0, v5, vcc_lo
	global_store_b16 v13, v5, s[74:75]
	s_branch .LBB8_60
.LBB8_122:                              ;   in Loop: Header=BB8_12 Depth=1
	v_bfe_u32 v0, v63, 16, 1
	v_bfe_u32 v2, v61, 16, 1
	;; [unrolled: 1-line block ×3, first 2 shown]
	v_cmp_o_f32_e32 vcc_lo, v63, v63
	v_bfe_u32 v4, v59, 16, 1
	v_add3_u32 v0, v63, v0, 0x7fff
	v_add3_u32 v2, v61, v2, 0x7fff
	;; [unrolled: 1-line block ×3, first 2 shown]
	v_bfe_u32 v5, v57, 16, 1
	v_bfe_u32 v6, v56, 16, 1
	v_lshrrev_b32_e32 v0, 16, v0
	v_lshrrev_b32_e32 v2, 16, v2
	;; [unrolled: 1-line block ×3, first 2 shown]
	v_bfe_u32 v7, v60, 16, 1
	v_add3_u32 v4, v59, v4, 0x7fff
	v_cndmask_b32_e32 v0, 0x7fc0, v0, vcc_lo
	v_cmp_o_f32_e32 vcc_lo, v61, v61
	v_add3_u32 v6, v56, v6, 0x7fff
	v_bfe_u32 v1, v64, 16, 1
	s_waitcnt_vscnt null, 0x0
	s_barrier
	v_cndmask_b32_e32 v8, 0x7fc0, v2, vcc_lo
	v_cmp_o_f32_e32 vcc_lo, v62, v62
	v_add3_u32 v2, v57, v5, 0x7fff
	v_add3_u32 v5, v60, v7, 0x7fff
	;; [unrolled: 1-line block ×3, first 2 shown]
	buffer_gl0_inv
	v_cndmask_b32_e32 v7, 0x7fc0, v3, vcc_lo
	v_lshrrev_b32_e32 v3, 16, v4
	v_cmp_o_f32_e32 vcc_lo, v59, v59
	v_lshrrev_b32_e32 v4, 16, v6
	v_lshrrev_b32_e32 v5, 16, v5
	;; [unrolled: 1-line block ×4, first 2 shown]
	v_cndmask_b32_e32 v6, 0x7fc0, v3, vcc_lo
	v_cmp_o_f32_e32 vcc_lo, v56, v56
	s_mov_b32 s31, s35
	s_delay_alu instid0(SALU_CYCLE_1) | instskip(SKIP_4) | instid1(VALU_DEP_2)
	s_lshl_b64 s[24:25], s[30:31], 1
	v_cndmask_b32_e32 v3, 0x7fc0, v4, vcc_lo
	v_cmp_o_f32_e32 vcc_lo, v60, v60
	v_cndmask_b32_e32 v4, 0x7fc0, v5, vcc_lo
	v_cmp_o_f32_e32 vcc_lo, v57, v57
	v_perm_b32 v3, v4, v3, 0x5040100
	v_cndmask_b32_e32 v2, 0x7fc0, v2, vcc_lo
	v_cmp_o_f32_e32 vcc_lo, v64, v64
	s_delay_alu instid0(VALU_DEP_2) | instskip(SKIP_2) | instid1(VALU_DEP_2)
	v_perm_b32 v2, v2, v6, 0x5040100
	v_cndmask_b32_e32 v5, 0x7fc0, v1, vcc_lo
	v_perm_b32 v1, v7, v8, 0x5040100
	v_perm_b32 v0, v5, v0, 0x5040100
	ds_store_b128 v27, v[0:3]
	; wave barrier
	ds_load_u16 v8, v20 offset:64
	ds_load_u16 v7, v21 offset:128
	ds_load_u16 v6, v22 offset:192
	ds_load_u16 v5, v23 offset:256
	ds_load_u16 v4, v24 offset:320
	ds_load_u16 v3, v25 offset:384
	ds_load_u16 v2, v26 offset:448
	v_add_co_u32 v0, vcc_lo, v38, s24
	v_add_co_ci_u32_e32 v1, vcc_lo, s25, v39, vcc_lo
	s_and_saveexec_b32 s20, s12
	s_cbranch_execnz .LBB8_157
; %bb.123:                              ;   in Loop: Header=BB8_12 Depth=1
	s_or_b32 exec_lo, exec_lo, s20
	s_and_saveexec_b32 s20, s13
	s_cbranch_execnz .LBB8_158
.LBB8_124:                              ;   in Loop: Header=BB8_12 Depth=1
	s_or_b32 exec_lo, exec_lo, s20
	s_and_saveexec_b32 s20, s14
	s_cbranch_execnz .LBB8_159
.LBB8_125:                              ;   in Loop: Header=BB8_12 Depth=1
	s_or_b32 exec_lo, exec_lo, s20
	s_and_saveexec_b32 s20, s15
	s_cbranch_execnz .LBB8_160
.LBB8_126:                              ;   in Loop: Header=BB8_12 Depth=1
	s_or_b32 exec_lo, exec_lo, s20
	s_and_saveexec_b32 s20, s16
	s_cbranch_execnz .LBB8_161
.LBB8_127:                              ;   in Loop: Header=BB8_12 Depth=1
	s_or_b32 exec_lo, exec_lo, s20
	s_and_saveexec_b32 s20, s17
	s_cbranch_execnz .LBB8_162
.LBB8_128:                              ;   in Loop: Header=BB8_12 Depth=1
	s_or_b32 exec_lo, exec_lo, s20
	s_and_saveexec_b32 s20, s18
	s_cbranch_execnz .LBB8_163
.LBB8_129:                              ;   in Loop: Header=BB8_12 Depth=1
	s_or_b32 exec_lo, exec_lo, s20
	s_and_saveexec_b32 s20, s19
	s_cbranch_execz .LBB8_131
.LBB8_130:                              ;   in Loop: Header=BB8_12 Depth=1
	s_waitcnt lgkmcnt(0)
	global_store_b16 v[0:1], v2, off offset:448
.LBB8_131:                              ;   in Loop: Header=BB8_12 Depth=1
	s_or_b32 exec_lo, exec_lo, s20
	v_add_co_u32 v0, vcc_lo, v40, s24
	v_add_co_ci_u32_e32 v1, vcc_lo, s25, v41, vcc_lo
	s_waitcnt lgkmcnt(0)
	v_dual_mov_b32 v2, 0 :: v_dual_mov_b32 v3, 0
	s_waitcnt_vscnt null, 0x0
	s_barrier
	buffer_gl0_inv
	s_and_saveexec_b32 s20, s12
	s_cbranch_execz .LBB8_133
; %bb.132:                              ;   in Loop: Header=BB8_12 Depth=1
	global_load_u16 v3, v[0:1], off
.LBB8_133:                              ;   in Loop: Header=BB8_12 Depth=1
	s_or_b32 exec_lo, exec_lo, s20
	s_and_saveexec_b32 s20, s13
	s_cbranch_execz .LBB8_135
; %bb.134:                              ;   in Loop: Header=BB8_12 Depth=1
	global_load_u16 v2, v[0:1], off offset:64
.LBB8_135:                              ;   in Loop: Header=BB8_12 Depth=1
	s_or_b32 exec_lo, exec_lo, s20
	v_dual_mov_b32 v4, 0 :: v_dual_mov_b32 v5, 0
	s_and_saveexec_b32 s20, s14
	s_cbranch_execz .LBB8_137
; %bb.136:                              ;   in Loop: Header=BB8_12 Depth=1
	global_load_u16 v5, v[0:1], off offset:128
.LBB8_137:                              ;   in Loop: Header=BB8_12 Depth=1
	s_or_b32 exec_lo, exec_lo, s20
	s_and_saveexec_b32 s20, s15
	s_cbranch_execz .LBB8_139
; %bb.138:                              ;   in Loop: Header=BB8_12 Depth=1
	global_load_u16 v4, v[0:1], off offset:192
.LBB8_139:                              ;   in Loop: Header=BB8_12 Depth=1
	s_or_b32 exec_lo, exec_lo, s20
	v_dual_mov_b32 v6, 0 :: v_dual_mov_b32 v7, 0
	s_and_saveexec_b32 s20, s16
	s_cbranch_execz .LBB8_141
; %bb.140:                              ;   in Loop: Header=BB8_12 Depth=1
	global_load_u16 v7, v[0:1], off offset:256
.LBB8_141:                              ;   in Loop: Header=BB8_12 Depth=1
	;; [unrolled: 13-line block ×3, first 2 shown]
	s_or_b32 exec_lo, exec_lo, s20
	s_and_saveexec_b32 s20, s19
	s_cbranch_execz .LBB8_147
; %bb.146:                              ;   in Loop: Header=BB8_12 Depth=1
	global_load_u16 v8, v[0:1], off offset:448
.LBB8_147:                              ;   in Loop: Header=BB8_12 Depth=1
	s_or_b32 exec_lo, exec_lo, s20
	s_waitcnt vmcnt(0)
	ds_store_b16 v20, v3
	ds_store_b16 v20, v2 offset:64
	ds_store_b16 v21, v5 offset:128
	;; [unrolled: 1-line block ×7, first 2 shown]
	; wave barrier
	ds_load_b128 v[0:3], v27
	s_waitcnt lgkmcnt(0)
	s_barrier
	buffer_gl0_inv
	v_and_b32_e32 v4, 0xffff0000, v0
	v_and_b32_e32 v5, 0xffff0000, v1
	v_lshlrev_b32_e32 v1, 16, v1
	s_delay_alu instid0(VALU_DEP_1) | instskip(NEXT) | instid1(VALU_DEP_1)
	v_dual_mul_f32 v9, 0xbfb8aa3b, v1 :: v_dual_lshlrev_b32 v0, 16, v0
	v_mul_f32_e32 v7, 0xbfb8aa3b, v0
	s_delay_alu instid0(VALU_DEP_2) | instskip(NEXT) | instid1(VALU_DEP_2)
	v_rndne_f32_e32 v67, v9
	v_rndne_f32_e32 v55, v7
	v_fma_f32 v58, 0xbfb8aa3b, v0, -v7
	s_delay_alu instid0(VALU_DEP_2) | instskip(SKIP_3) | instid1(VALU_DEP_4)
	v_dual_sub_f32 v7, v7, v55 :: v_dual_mul_f32 v6, 0xbfb8aa3b, v4
	v_fma_f32 v68, 0xbfb8aa3b, v1, -v9
	v_cvt_i32_f32_e32 v55, v55
	v_cmp_nlt_f32_e32 vcc_lo, 0x42ce8ed0, v4
	v_rndne_f32_e32 v54, v6
	v_fma_f32 v53, 0xbfb8aa3b, v4, -v6
	s_delay_alu instid0(VALU_DEP_2) | instskip(SKIP_2) | instid1(VALU_DEP_2)
	v_sub_f32_e32 v6, v6, v54
	v_mul_f32_e32 v8, 0xbfb8aa3b, v5
	v_cvt_i32_f32_e32 v54, v54
	v_rndne_f32_e32 v66, v8
	v_fmac_f32_e32 v53, 0xb2a5705f, v4
	v_fma_f32 v65, 0xbfb8aa3b, v5, -v8
	v_fmac_f32_e32 v58, 0xb2a5705f, v0
	s_delay_alu instid0(VALU_DEP_4) | instskip(NEXT) | instid1(VALU_DEP_4)
	v_dual_sub_f32 v8, v8, v66 :: v_dual_sub_f32 v9, v9, v67
	v_add_f32_e32 v6, v6, v53
	s_delay_alu instid0(VALU_DEP_4) | instskip(NEXT) | instid1(VALU_DEP_4)
	v_fmac_f32_e32 v65, 0xb2a5705f, v5
	v_dual_fmac_f32 v68, 0xb2a5705f, v1 :: v_dual_add_f32 v7, v7, v58
	v_cvt_i32_f32_e32 v58, v66
	s_delay_alu instid0(VALU_DEP_4) | instskip(NEXT) | instid1(VALU_DEP_2)
	v_exp_f32_e32 v6, v6
	v_dual_add_f32 v8, v8, v65 :: v_dual_add_f32 v9, v9, v68
	s_delay_alu instid0(VALU_DEP_3) | instskip(NEXT) | instid1(VALU_DEP_1)
	v_exp_f32_e32 v7, v7
	v_exp_f32_e32 v8, v8
	s_delay_alu instid0(VALU_DEP_1) | instskip(SKIP_2) | instid1(TRANS32_DEP_3)
	v_exp_f32_e32 v9, v9
	v_ldexp_f32 v6, v6, v54
	v_cvt_i32_f32_e32 v54, v67
	v_ldexp_f32 v7, v7, v55
	s_delay_alu instid0(VALU_DEP_3) | instskip(SKIP_1) | instid1(TRANS32_DEP_2)
	v_cndmask_b32_e32 v6, 0, v6, vcc_lo
	v_cmp_nlt_f32_e32 vcc_lo, 0x42ce8ed0, v0
	v_ldexp_f32 v8, v8, v58
	s_delay_alu instid0(TRANS32_DEP_1) | instskip(SKIP_4) | instid1(VALU_DEP_4)
	v_ldexp_f32 v9, v9, v54
	v_cndmask_b32_e32 v7, 0, v7, vcc_lo
	v_cmp_ngt_f32_e32 vcc_lo, 0xc2b17218, v4
	v_cndmask_b32_e32 v6, 0x7f800000, v6, vcc_lo
	v_cmp_ngt_f32_e32 vcc_lo, 0xc2b17218, v0
	v_cndmask_b32_e32 v7, 0x7f800000, v7, vcc_lo
	v_cmp_nlt_f32_e32 vcc_lo, 0x42ce8ed0, v5
	v_and_b32_e32 v53, 0xffff0000, v2
	s_delay_alu instid0(VALU_DEP_3) | instskip(SKIP_3) | instid1(VALU_DEP_4)
	v_dual_add_f32 v7, 1.0, v7 :: v_dual_cndmask_b32 v8, 0, v8
	v_add_f32_e32 v6, 1.0, v6
	v_cmp_nlt_f32_e32 vcc_lo, 0x42ce8ed0, v1
	v_lshlrev_b32_e32 v2, 16, v2
	v_div_scale_f32 v55, null, v7, v7, v0
	s_delay_alu instid0(VALU_DEP_4) | instskip(SKIP_2) | instid1(VALU_DEP_4)
	v_div_scale_f32 v54, null, v6, v6, v4
	v_cndmask_b32_e32 v9, 0, v9, vcc_lo
	v_cmp_ngt_f32_e32 vcc_lo, 0xc2b17218, v5
	v_rcp_f32_e32 v66, v55
	s_delay_alu instid0(VALU_DEP_3)
	v_rcp_f32_e32 v65, v54
	v_div_scale_f32 v72, s20, v0, v7, v0
	v_cndmask_b32_e32 v8, 0x7f800000, v8, vcc_lo
	v_cmp_ngt_f32_e32 vcc_lo, 0xc2b17218, v1
	v_cndmask_b32_e32 v9, 0x7f800000, v9, vcc_lo
	s_waitcnt_depctr 0xfff
	v_fma_f32 v70, -v54, v65, 1.0
	v_fma_f32 v71, -v55, v66, 1.0
	v_div_scale_f32 v67, vcc_lo, v4, v6, v4
	v_dual_add_f32 v9, 1.0, v9 :: v_dual_add_f32 v8, 1.0, v8
	s_delay_alu instid0(VALU_DEP_3) | instskip(SKIP_1) | instid1(VALU_DEP_3)
	v_dual_fmac_f32 v65, v70, v65 :: v_dual_fmac_f32 v66, v71, v66
	v_mul_f32_e32 v58, 0xbfb8aa3b, v53
	v_div_scale_f32 v69, null, v9, v9, v1
	s_delay_alu instid0(VALU_DEP_4) | instskip(NEXT) | instid1(VALU_DEP_4)
	v_div_scale_f32 v68, null, v8, v8, v5
	v_mul_f32_e32 v77, v72, v66
	s_delay_alu instid0(VALU_DEP_3) | instskip(SKIP_1) | instid1(VALU_DEP_3)
	v_rcp_f32_e32 v74, v69
	v_fma_f32 v71, 0xbfb8aa3b, v53, -v58
	v_rcp_f32_e32 v73, v68
	v_div_scale_f32 v78, s21, v5, v8, v5
	v_fma_f32 v82, -v55, v77, v72
	v_mul_f32_e32 v76, v67, v65
	v_div_scale_f32 v83, s22, v1, v9, v1
	v_fmac_f32_e32 v71, 0xb2a5705f, v53
	s_delay_alu instid0(VALU_DEP_4) | instskip(NEXT) | instid1(VALU_DEP_4)
	v_fmac_f32_e32 v77, v82, v66
	v_fma_f32 v81, -v54, v76, v67
	s_delay_alu instid0(TRANS32_DEP_1)
	v_fma_f32 v79, -v68, v73, 1.0
	v_mul_f32_e32 v70, 0xbfb8aa3b, v2
	v_fma_f32 v80, -v69, v74, 1.0
	v_fma_f32 v55, -v55, v77, v72
	v_fmac_f32_e32 v76, v81, v65
	v_fmac_f32_e32 v73, v79, v73
	v_rndne_f32_e32 v75, v58
	v_fmac_f32_e32 v74, v80, v74
	s_delay_alu instid0(VALU_DEP_4) | instskip(NEXT) | instid1(VALU_DEP_4)
	v_fma_f32 v54, -v54, v76, v67
	v_mul_f32_e32 v79, v78, v73
	v_rndne_f32_e32 v67, v70
	s_delay_alu instid0(VALU_DEP_4) | instskip(NEXT) | instid1(VALU_DEP_4)
	v_mul_f32_e32 v80, v83, v74
	v_div_fmas_f32 v54, v54, v65, v76
	s_mov_b32 vcc_lo, s20
	v_fma_f32 v65, 0xbfb8aa3b, v2, -v70
	v_div_fmas_f32 v55, v55, v66, v77
	s_mov_b32 vcc_lo, s21
	v_div_fixup_f32 v4, v54, v6, v4
	v_fma_f32 v54, -v68, v79, v78
	v_and_b32_e32 v72, 0xffff0000, v3
	v_div_fixup_f32 v0, v55, v7, v0
	v_fma_f32 v66, -v69, v80, v83
	v_lshlrev_b32_e32 v3, 16, v3
	s_delay_alu instid0(VALU_DEP_4) | instskip(NEXT) | instid1(VALU_DEP_4)
	v_dual_fmac_f32 v79, v54, v73 :: v_dual_mul_f32 v76, 0xbfb8aa3b, v72
	v_mul_f32_e32 v0, v63, v0
	v_mul_f32_e32 v4, v64, v4
	v_sub_f32_e32 v58, v58, v75
	s_delay_alu instid0(VALU_DEP_4) | instskip(SKIP_2) | instid1(VALU_DEP_4)
	v_fma_f32 v55, -v68, v79, v78
	v_fmac_f32_e32 v65, 0xb2a5705f, v2
	v_bfe_u32 v63, v0, 16, 1
	v_add_f32_e32 v54, v58, v71
	s_delay_alu instid0(VALU_DEP_4) | instskip(SKIP_1) | instid1(VALU_DEP_3)
	v_div_fmas_f32 v55, v55, v73, v79
	s_mov_b32 vcc_lo, s22
	v_add3_u32 v63, v0, v63, 0x7fff
	s_delay_alu instid0(VALU_DEP_2) | instskip(SKIP_1) | instid1(VALU_DEP_3)
	v_div_fixup_f32 v5, v55, v8, v5
	v_rndne_f32_e32 v55, v76
	v_lshrrev_b32_e32 v8, 16, v63
	v_mul_f32_e32 v63, 0xbfb8aa3b, v3
	v_bfe_u32 v7, v4, 16, 1
	s_delay_alu instid0(VALU_DEP_4) | instskip(SKIP_1) | instid1(VALU_DEP_4)
	v_dual_mul_f32 v5, v62, v5 :: v_dual_sub_f32 v64, v76, v55
	v_fmac_f32_e32 v80, v66, v74
	v_fma_f32 v68, 0xbfb8aa3b, v3, -v63
	s_delay_alu instid0(VALU_DEP_4)
	v_add3_u32 v7, v4, v7, 0x7fff
	v_cvt_i32_f32_e32 v66, v67
	v_cvt_i32_f32_e32 v55, v55
	v_fma_f32 v58, -v69, v80, v83
	v_fmac_f32_e32 v68, 0xb2a5705f, v3
	v_lshrrev_b32_e32 v7, 16, v7
	v_sub_f32_e32 v6, v70, v67
	v_rndne_f32_e32 v67, v63
	v_div_fmas_f32 v58, v58, v74, v80
	v_cmp_o_f32_e32 vcc_lo, v4, v4
	v_bfe_u32 v73, v5, 16, 1
	s_delay_alu instid0(VALU_DEP_3)
	v_div_fixup_f32 v1, v58, v9, v1
	v_cndmask_b32_e32 v4, 0x7fc0, v7, vcc_lo
	v_fma_f32 v7, 0xbfb8aa3b, v72, -v76
	v_cmp_nlt_f32_e32 vcc_lo, 0x42ce8ed0, v53
	v_sub_f32_e32 v63, v63, v67
	v_mul_f32_e32 v1, v61, v1
	v_exp_f32_e32 v54, v54
	v_fmac_f32_e32 v7, 0xb2a5705f, v72
	v_add3_u32 v73, v5, v73, 0x7fff
	v_dual_add_f32 v63, v63, v68 :: v_dual_add_f32 v6, v6, v65
	v_cvt_i32_f32_e32 v65, v75
	s_delay_alu instid0(VALU_DEP_4) | instskip(SKIP_1) | instid1(VALU_DEP_4)
	v_add_f32_e32 v7, v64, v7
	v_bfe_u32 v77, v1, 16, 1
	v_exp_f32_e32 v63, v63
	v_exp_f32_e32 v6, v6
	s_delay_alu instid0(TRANS32_DEP_3) | instskip(SKIP_1) | instid1(VALU_DEP_1)
	v_ldexp_f32 v54, v54, v65
	v_exp_f32_e32 v7, v7
	v_cndmask_b32_e32 v54, 0, v54, vcc_lo
	v_cmp_nlt_f32_e32 vcc_lo, 0x42ce8ed0, v2
	s_waitcnt_depctr 0xfff
	v_ldexp_f32 v6, v6, v66
	v_ldexp_f32 v7, v7, v55
	v_cvt_i32_f32_e32 v55, v67
	s_delay_alu instid0(VALU_DEP_1) | instskip(NEXT) | instid1(VALU_DEP_4)
	v_ldexp_f32 v55, v63, v55
	v_cndmask_b32_e32 v6, 0, v6, vcc_lo
	v_cmp_ngt_f32_e32 vcc_lo, 0xc2b17218, v53
	v_cndmask_b32_e32 v54, 0x7f800000, v54, vcc_lo
	v_cmp_ngt_f32_e32 vcc_lo, 0xc2b17218, v2
	s_delay_alu instid0(VALU_DEP_4) | instskip(SKIP_3) | instid1(VALU_DEP_2)
	v_cndmask_b32_e32 v6, 0x7f800000, v6, vcc_lo
	v_cmp_nlt_f32_e32 vcc_lo, 0x42ce8ed0, v72
	v_cndmask_b32_e32 v7, 0, v7, vcc_lo
	v_cmp_ngt_f32_e32 vcc_lo, 0xc2b17218, v72
	v_cndmask_b32_e32 v7, 0x7f800000, v7, vcc_lo
	v_cmp_nlt_f32_e32 vcc_lo, 0x42ce8ed0, v3
	s_delay_alu instid0(VALU_DEP_2) | instskip(SKIP_3) | instid1(VALU_DEP_4)
	v_add_f32_e32 v7, 1.0, v7
	v_cndmask_b32_e32 v55, 0, v55, vcc_lo
	v_cmp_ngt_f32_e32 vcc_lo, 0xc2b17218, v3
	v_add_f32_e32 v54, 1.0, v54
	v_div_scale_f32 v66, null, v7, v7, v72
	s_delay_alu instid0(VALU_DEP_4) | instskip(NEXT) | instid1(VALU_DEP_3)
	v_cndmask_b32_e32 v55, 0x7f800000, v55, vcc_lo
	v_div_scale_f32 v64, null, v54, v54, v53
	s_delay_alu instid0(VALU_DEP_3) | instskip(NEXT) | instid1(VALU_DEP_2)
	v_rcp_f32_e32 v67, v66
	v_add_f32_e32 v55, 1.0, v55
	s_delay_alu instid0(VALU_DEP_2) | instskip(NEXT) | instid1(VALU_DEP_1)
	v_rcp_f32_e32 v63, v64
	v_div_scale_f32 v62, null, v55, v55, v3
	s_waitcnt_depctr 0xfff
	v_fma_f32 v61, -v66, v67, 1.0
	v_rcp_f32_e32 v69, v62
	v_fma_f32 v58, -v64, v63, 1.0
	s_delay_alu instid0(VALU_DEP_1) | instskip(NEXT) | instid1(VALU_DEP_1)
	v_dual_add_f32 v6, 1.0, v6 :: v_dual_fmac_f32 v63, v58, v63
	v_div_scale_f32 v65, null, v6, v6, v2
	v_div_scale_f32 v58, vcc_lo, v53, v54, v53
	s_waitcnt_depctr 0xfff
	v_fma_f32 v71, -v62, v69, 1.0
	v_rcp_f32_e32 v9, v65
	s_delay_alu instid0(VALU_DEP_1) | instskip(SKIP_4) | instid1(VALU_DEP_2)
	v_fmac_f32_e32 v69, v71, v69
	v_div_scale_f32 v71, s22, v3, v55, v3
	s_waitcnt_depctr 0xfff
	v_fma_f32 v68, -v65, v9, 1.0
	v_dual_mul_f32 v70, v58, v63 :: v_dual_mul_f32 v79, v71, v69
	v_fmac_f32_e32 v9, v68, v9
	v_div_scale_f32 v68, s20, v2, v6, v2
	s_delay_alu instid0(VALU_DEP_3) | instskip(NEXT) | instid1(VALU_DEP_1)
	v_fma_f32 v74, -v64, v70, v58
	v_dual_mul_f32 v75, v68, v9 :: v_dual_fmac_f32 v70, v74, v63
	s_delay_alu instid0(VALU_DEP_1) | instskip(NEXT) | instid1(VALU_DEP_2)
	v_fma_f32 v74, -v65, v75, v68
	v_fma_f32 v58, -v64, v70, v58
	;; [unrolled: 1-line block ×3, first 2 shown]
	s_delay_alu instid0(VALU_DEP_3) | instskip(NEXT) | instid1(VALU_DEP_2)
	v_fmac_f32_e32 v75, v74, v9
	v_fmac_f32_e32 v79, v64, v69
	s_delay_alu instid0(VALU_DEP_4) | instskip(NEXT) | instid1(VALU_DEP_3)
	v_div_fmas_f32 v58, v58, v63, v70
	v_fma_f32 v63, -v65, v75, v68
	s_mov_b32 vcc_lo, s20
	s_delay_alu instid0(VALU_DEP_3) | instskip(NEXT) | instid1(VALU_DEP_3)
	v_fma_f32 v62, -v62, v79, v71
	v_div_fixup_f32 v53, v58, v54, v53
	s_delay_alu instid0(VALU_DEP_3) | instskip(SKIP_1) | instid1(VALU_DEP_2)
	v_div_fmas_f32 v9, v63, v9, v75
	v_add3_u32 v63, v1, v77, 0x7fff
	v_div_fixup_f32 v2, v9, v6, v2
	v_fmac_f32_e32 v67, v61, v67
	v_div_scale_f32 v61, s21, v72, v7, v72
	s_delay_alu instid0(VALU_DEP_3) | instskip(SKIP_1) | instid1(VALU_DEP_2)
	v_dual_mul_f32 v9, v57, v53 :: v_dual_mul_f32 v2, v59, v2
	s_mov_b32 vcc_lo, s21
	v_mul_f32_e32 v76, v61, v67
	v_lshrrev_b32_e32 v53, 16, v63
	s_delay_alu instid0(VALU_DEP_3) | instskip(NEXT) | instid1(VALU_DEP_3)
	v_bfe_u32 v54, v9, 16, 1
	v_fma_f32 v78, -v66, v76, v61
	s_delay_alu instid0(VALU_DEP_1) | instskip(NEXT) | instid1(VALU_DEP_1)
	v_fmac_f32_e32 v76, v78, v67
	v_fma_f32 v61, -v66, v76, v61
	s_delay_alu instid0(VALU_DEP_1) | instskip(SKIP_3) | instid1(VALU_DEP_3)
	v_div_fmas_f32 v61, v61, v67, v76
	s_mov_b32 vcc_lo, s22
	v_div_fmas_f32 v62, v62, v69, v79
	v_cmp_o_f32_e32 vcc_lo, v5, v5
	v_div_fixup_f32 v6, v61, v7, v72
	v_lshrrev_b32_e32 v7, 16, v73
	s_delay_alu instid0(VALU_DEP_4) | instskip(SKIP_1) | instid1(VALU_DEP_3)
	v_div_fixup_f32 v3, v62, v55, v3
	v_bfe_u32 v55, v2, 16, 1
	v_dual_mul_f32 v6, v60, v6 :: v_dual_cndmask_b32 v5, 0x7fc0, v7
	v_add3_u32 v7, v9, v54, 0x7fff
	v_cmp_o_f32_e32 vcc_lo, v1, v1
	s_delay_alu instid0(VALU_DEP_4) | instskip(NEXT) | instid1(VALU_DEP_3)
	v_add3_u32 v54, v2, v55, 0x7fff
	v_lshrrev_b32_e32 v7, 16, v7
	v_cndmask_b32_e32 v1, 0x7fc0, v53, vcc_lo
	v_cmp_o_f32_e32 vcc_lo, v9, v9
	s_delay_alu instid0(VALU_DEP_4) | instskip(NEXT) | instid1(VALU_DEP_3)
	v_lshrrev_b32_e32 v53, 16, v54
	v_perm_b32 v1, v5, v1, 0x5040100
	v_cndmask_b32_e32 v7, 0x7fc0, v7, vcc_lo
	v_cmp_o_f32_e32 vcc_lo, v6, v6
	v_mul_f32_e32 v3, v56, v3
	v_bfe_u32 v56, v6, 16, 1
	s_delay_alu instid0(VALU_DEP_1) | instskip(NEXT) | instid1(VALU_DEP_1)
	v_add3_u32 v55, v6, v56, 0x7fff
	v_lshrrev_b32_e32 v54, 16, v55
	s_delay_alu instid0(VALU_DEP_1) | instskip(SKIP_2) | instid1(VALU_DEP_2)
	v_cndmask_b32_e32 v6, 0x7fc0, v54, vcc_lo
	v_bfe_u32 v57, v3, 16, 1
	v_cmp_o_f32_e32 vcc_lo, v3, v3
	v_add3_u32 v56, v3, v57, 0x7fff
	s_delay_alu instid0(VALU_DEP_1) | instskip(NEXT) | instid1(VALU_DEP_1)
	v_lshrrev_b32_e32 v55, 16, v56
	v_cndmask_b32_e32 v3, 0x7fc0, v55, vcc_lo
	v_cmp_o_f32_e32 vcc_lo, v2, v2
	s_delay_alu instid0(VALU_DEP_2) | instskip(SKIP_2) | instid1(VALU_DEP_2)
	v_perm_b32 v3, v6, v3, 0x5040100
	v_cndmask_b32_e32 v2, 0x7fc0, v53, vcc_lo
	v_cmp_o_f32_e32 vcc_lo, v0, v0
	v_perm_b32 v2, v7, v2, 0x5040100
	v_cndmask_b32_e32 v0, 0x7fc0, v8, vcc_lo
	s_delay_alu instid0(VALU_DEP_1)
	v_perm_b32 v0, v4, v0, 0x5040100
	ds_store_b128 v27, v[0:3]
	; wave barrier
	ds_load_u16 v8, v20 offset:64
	ds_load_u16 v7, v21 offset:128
	;; [unrolled: 1-line block ×7, first 2 shown]
	v_add_co_u32 v0, vcc_lo, v42, s24
	v_add_co_ci_u32_e32 v1, vcc_lo, s25, v43, vcc_lo
	s_and_saveexec_b32 s20, s12
	s_cbranch_execnz .LBB8_164
; %bb.148:                              ;   in Loop: Header=BB8_12 Depth=1
	s_or_b32 exec_lo, exec_lo, s20
	s_and_saveexec_b32 s12, s13
	s_cbranch_execnz .LBB8_165
.LBB8_149:                              ;   in Loop: Header=BB8_12 Depth=1
	s_or_b32 exec_lo, exec_lo, s12
	s_and_saveexec_b32 s12, s14
	s_cbranch_execnz .LBB8_166
.LBB8_150:                              ;   in Loop: Header=BB8_12 Depth=1
	s_or_b32 exec_lo, exec_lo, s12
	s_and_saveexec_b32 s12, s15
	s_cbranch_execnz .LBB8_167
.LBB8_151:                              ;   in Loop: Header=BB8_12 Depth=1
	s_or_b32 exec_lo, exec_lo, s12
	s_and_saveexec_b32 s12, s16
	s_cbranch_execnz .LBB8_168
.LBB8_152:                              ;   in Loop: Header=BB8_12 Depth=1
	s_or_b32 exec_lo, exec_lo, s12
	s_and_saveexec_b32 s12, s17
	s_cbranch_execnz .LBB8_169
.LBB8_153:                              ;   in Loop: Header=BB8_12 Depth=1
	s_or_b32 exec_lo, exec_lo, s12
	s_and_saveexec_b32 s12, s18
	s_cbranch_execnz .LBB8_170
.LBB8_154:                              ;   in Loop: Header=BB8_12 Depth=1
	s_or_b32 exec_lo, exec_lo, s12
	s_and_saveexec_b32 s12, s19
	s_cbranch_execz .LBB8_11
	s_branch .LBB8_171
.LBB8_155:                              ;   in Loop: Header=BB8_12 Depth=1
	global_load_u16 v55, v[4:5], off offset:320
	s_or_b32 exec_lo, exec_lo, s20
	s_and_saveexec_b32 s20, s18
	s_cbranch_execz .LBB8_40
.LBB8_156:                              ;   in Loop: Header=BB8_12 Depth=1
	global_load_u16 v54, v[4:5], off offset:384
	s_or_b32 exec_lo, exec_lo, s20
	v_mov_b32_e32 v56, 0
	s_and_saveexec_b32 s20, s19
	s_cbranch_execnz .LBB8_41
	s_branch .LBB8_42
.LBB8_157:                              ;   in Loop: Header=BB8_12 Depth=1
	ds_load_u16 v9, v20
	s_waitcnt lgkmcnt(0)
	global_store_b16 v[0:1], v9, off
	s_or_b32 exec_lo, exec_lo, s20
	s_and_saveexec_b32 s20, s13
	s_cbranch_execz .LBB8_124
.LBB8_158:                              ;   in Loop: Header=BB8_12 Depth=1
	s_waitcnt lgkmcnt(6)
	global_store_b16 v[0:1], v8, off offset:64
	s_or_b32 exec_lo, exec_lo, s20
	s_and_saveexec_b32 s20, s14
	s_cbranch_execz .LBB8_125
.LBB8_159:                              ;   in Loop: Header=BB8_12 Depth=1
	s_waitcnt lgkmcnt(5)
	global_store_b16 v[0:1], v7, off offset:128
	s_or_b32 exec_lo, exec_lo, s20
	s_and_saveexec_b32 s20, s15
	s_cbranch_execz .LBB8_126
.LBB8_160:                              ;   in Loop: Header=BB8_12 Depth=1
	s_waitcnt lgkmcnt(4)
	global_store_b16 v[0:1], v6, off offset:192
	s_or_b32 exec_lo, exec_lo, s20
	s_and_saveexec_b32 s20, s16
	s_cbranch_execz .LBB8_127
.LBB8_161:                              ;   in Loop: Header=BB8_12 Depth=1
	s_waitcnt lgkmcnt(3)
	global_store_b16 v[0:1], v5, off offset:256
	s_or_b32 exec_lo, exec_lo, s20
	s_and_saveexec_b32 s20, s17
	s_cbranch_execz .LBB8_128
.LBB8_162:                              ;   in Loop: Header=BB8_12 Depth=1
	s_waitcnt lgkmcnt(2)
	global_store_b16 v[0:1], v4, off offset:320
	s_or_b32 exec_lo, exec_lo, s20
	s_and_saveexec_b32 s20, s18
	s_cbranch_execz .LBB8_129
.LBB8_163:                              ;   in Loop: Header=BB8_12 Depth=1
	s_waitcnt lgkmcnt(1)
	global_store_b16 v[0:1], v3, off offset:384
	s_or_b32 exec_lo, exec_lo, s20
	s_and_saveexec_b32 s20, s19
	s_cbranch_execnz .LBB8_130
	s_branch .LBB8_131
.LBB8_164:                              ;   in Loop: Header=BB8_12 Depth=1
	ds_load_u16 v9, v20
	s_waitcnt lgkmcnt(0)
	global_store_b16 v[0:1], v9, off
	s_or_b32 exec_lo, exec_lo, s20
	s_and_saveexec_b32 s12, s13
	s_cbranch_execz .LBB8_149
.LBB8_165:                              ;   in Loop: Header=BB8_12 Depth=1
	s_waitcnt lgkmcnt(6)
	global_store_b16 v[0:1], v8, off offset:64
	s_or_b32 exec_lo, exec_lo, s12
	s_and_saveexec_b32 s12, s14
	s_cbranch_execz .LBB8_150
.LBB8_166:                              ;   in Loop: Header=BB8_12 Depth=1
	s_waitcnt lgkmcnt(5)
	global_store_b16 v[0:1], v7, off offset:128
	s_or_b32 exec_lo, exec_lo, s12
	s_and_saveexec_b32 s12, s15
	s_cbranch_execz .LBB8_151
.LBB8_167:                              ;   in Loop: Header=BB8_12 Depth=1
	s_waitcnt lgkmcnt(4)
	global_store_b16 v[0:1], v6, off offset:192
	s_or_b32 exec_lo, exec_lo, s12
	s_and_saveexec_b32 s12, s16
	s_cbranch_execz .LBB8_152
.LBB8_168:                              ;   in Loop: Header=BB8_12 Depth=1
	s_waitcnt lgkmcnt(3)
	global_store_b16 v[0:1], v5, off offset:256
	s_or_b32 exec_lo, exec_lo, s12
	s_and_saveexec_b32 s12, s17
	s_cbranch_execz .LBB8_153
.LBB8_169:                              ;   in Loop: Header=BB8_12 Depth=1
	s_waitcnt lgkmcnt(2)
	global_store_b16 v[0:1], v4, off offset:320
	s_or_b32 exec_lo, exec_lo, s12
	s_and_saveexec_b32 s12, s18
	s_cbranch_execz .LBB8_154
.LBB8_170:                              ;   in Loop: Header=BB8_12 Depth=1
	s_waitcnt lgkmcnt(1)
	global_store_b16 v[0:1], v3, off offset:384
	s_or_b32 exec_lo, exec_lo, s12
	s_and_saveexec_b32 s12, s19
	s_cbranch_execz .LBB8_11
.LBB8_171:                              ;   in Loop: Header=BB8_12 Depth=1
	s_waitcnt lgkmcnt(0)
	global_store_b16 v[0:1], v2, off offset:448
	s_branch .LBB8_11
.LBB8_172:
	s_nop 0
	s_sendmsg sendmsg(MSG_DEALLOC_VGPRS)
	s_endpgm
	.section	.rodata,"a",@progbits
	.p2align	6, 0x0
	.amdhsa_kernel _Z25selective_scan_fwd_kernelI32Selective_Scan_fwd_kernel_traitsILi64ELi8ELi1ELb1ELb1ELb1ELb1ELb1EN3c108BFloat16EfS2_EEv13SSMParamsBase
		.amdhsa_group_segment_fixed_size 0
		.amdhsa_private_segment_fixed_size 0
		.amdhsa_kernarg_size 248
		.amdhsa_user_sgpr_count 14
		.amdhsa_user_sgpr_dispatch_ptr 0
		.amdhsa_user_sgpr_queue_ptr 0
		.amdhsa_user_sgpr_kernarg_segment_ptr 1
		.amdhsa_user_sgpr_dispatch_id 0
		.amdhsa_user_sgpr_private_segment_size 0
		.amdhsa_wavefront_size32 1
		.amdhsa_uses_dynamic_stack 0
		.amdhsa_enable_private_segment 0
		.amdhsa_system_sgpr_workgroup_id_x 1
		.amdhsa_system_sgpr_workgroup_id_y 1
		.amdhsa_system_sgpr_workgroup_id_z 0
		.amdhsa_system_sgpr_workgroup_info 0
		.amdhsa_system_vgpr_workitem_id 0
		.amdhsa_next_free_vgpr 99
		.amdhsa_next_free_sgpr 76
		.amdhsa_reserve_vcc 1
		.amdhsa_float_round_mode_32 0
		.amdhsa_float_round_mode_16_64 0
		.amdhsa_float_denorm_mode_32 3
		.amdhsa_float_denorm_mode_16_64 3
		.amdhsa_dx10_clamp 1
		.amdhsa_ieee_mode 1
		.amdhsa_fp16_overflow 0
		.amdhsa_workgroup_processor_mode 1
		.amdhsa_memory_ordered 1
		.amdhsa_forward_progress 0
		.amdhsa_shared_vgpr_count 0
		.amdhsa_exception_fp_ieee_invalid_op 0
		.amdhsa_exception_fp_denorm_src 0
		.amdhsa_exception_fp_ieee_div_zero 0
		.amdhsa_exception_fp_ieee_overflow 0
		.amdhsa_exception_fp_ieee_underflow 0
		.amdhsa_exception_fp_ieee_inexact 0
		.amdhsa_exception_int_div_zero 0
	.end_amdhsa_kernel
	.section	.text._Z25selective_scan_fwd_kernelI32Selective_Scan_fwd_kernel_traitsILi64ELi8ELi1ELb1ELb1ELb1ELb1ELb1EN3c108BFloat16EfS2_EEv13SSMParamsBase,"axG",@progbits,_Z25selective_scan_fwd_kernelI32Selective_Scan_fwd_kernel_traitsILi64ELi8ELi1ELb1ELb1ELb1ELb1ELb1EN3c108BFloat16EfS2_EEv13SSMParamsBase,comdat
.Lfunc_end8:
	.size	_Z25selective_scan_fwd_kernelI32Selective_Scan_fwd_kernel_traitsILi64ELi8ELi1ELb1ELb1ELb1ELb1ELb1EN3c108BFloat16EfS2_EEv13SSMParamsBase, .Lfunc_end8-_Z25selective_scan_fwd_kernelI32Selective_Scan_fwd_kernel_traitsILi64ELi8ELi1ELb1ELb1ELb1ELb1ELb1EN3c108BFloat16EfS2_EEv13SSMParamsBase
                                        ; -- End function
	.section	.AMDGPU.csdata,"",@progbits
; Kernel info:
; codeLenInByte = 14580
; NumSgprs: 78
; NumVgprs: 99
; ScratchSize: 0
; MemoryBound: 0
; FloatMode: 240
; IeeeMode: 1
; LDSByteSize: 0 bytes/workgroup (compile time only)
; SGPRBlocks: 9
; VGPRBlocks: 12
; NumSGPRsForWavesPerEU: 78
; NumVGPRsForWavesPerEU: 99
; Occupancy: 12
; WaveLimiterHint : 1
; COMPUTE_PGM_RSRC2:SCRATCH_EN: 0
; COMPUTE_PGM_RSRC2:USER_SGPR: 14
; COMPUTE_PGM_RSRC2:TRAP_HANDLER: 0
; COMPUTE_PGM_RSRC2:TGID_X_EN: 1
; COMPUTE_PGM_RSRC2:TGID_Y_EN: 1
; COMPUTE_PGM_RSRC2:TGID_Z_EN: 0
; COMPUTE_PGM_RSRC2:TIDIG_COMP_CNT: 0
	.section	.text._Z25selective_scan_fwd_kernelI32Selective_Scan_fwd_kernel_traitsILi64ELi8ELi1ELb1ELb1ELb1ELb1ELb0EN3c108BFloat16EfS2_EEv13SSMParamsBase,"axG",@progbits,_Z25selective_scan_fwd_kernelI32Selective_Scan_fwd_kernel_traitsILi64ELi8ELi1ELb1ELb1ELb1ELb1ELb0EN3c108BFloat16EfS2_EEv13SSMParamsBase,comdat
	.protected	_Z25selective_scan_fwd_kernelI32Selective_Scan_fwd_kernel_traitsILi64ELi8ELi1ELb1ELb1ELb1ELb1ELb0EN3c108BFloat16EfS2_EEv13SSMParamsBase ; -- Begin function _Z25selective_scan_fwd_kernelI32Selective_Scan_fwd_kernel_traitsILi64ELi8ELi1ELb1ELb1ELb1ELb1ELb0EN3c108BFloat16EfS2_EEv13SSMParamsBase
	.globl	_Z25selective_scan_fwd_kernelI32Selective_Scan_fwd_kernel_traitsILi64ELi8ELi1ELb1ELb1ELb1ELb1ELb0EN3c108BFloat16EfS2_EEv13SSMParamsBase
	.p2align	8
	.type	_Z25selective_scan_fwd_kernelI32Selective_Scan_fwd_kernel_traitsILi64ELi8ELi1ELb1ELb1ELb1ELb1ELb0EN3c108BFloat16EfS2_EEv13SSMParamsBase,@function
_Z25selective_scan_fwd_kernelI32Selective_Scan_fwd_kernel_traitsILi64ELi8ELi1ELb1ELb1ELb1ELb1ELb0EN3c108BFloat16EfS2_EEv13SSMParamsBase: ; @_Z25selective_scan_fwd_kernelI32Selective_Scan_fwd_kernel_traitsILi64ELi8ELi1ELb1ELb1ELb1ELb1ELb0EN3c108BFloat16EfS2_EEv13SSMParamsBase
; %bb.0:
	s_clause 0x1
	s_load_b32 s9, s[0:1], 0x18
	s_load_b128 s[4:7], s[0:1], 0xe8
	s_mov_b32 s12, s15
	s_mov_b32 s33, 0
	s_waitcnt lgkmcnt(0)
	s_abs_i32 s8, s9
	s_cmp_eq_u64 s[6:7], 0
	v_cvt_f32_u32_e32 v1, s8
	s_delay_alu instid0(VALU_DEP_1) | instskip(SKIP_2) | instid1(VALU_DEP_1)
	v_rcp_iflag_f32_e32 v1, v1
	s_waitcnt_depctr 0xfff
	v_mul_f32_e32 v1, 0x4f7ffffe, v1
	v_cvt_u32_f32_e32 v1, v1
	s_delay_alu instid0(VALU_DEP_1)
	v_readfirstlane_b32 s10, v1
	s_cbranch_scc1 .LBB9_2
; %bb.1:
	v_mov_b32_e32 v1, 0
	s_ashr_i32 s3, s14, 31
	s_add_u32 s2, s6, s14
	s_addc_u32 s3, s7, s3
	global_load_u8 v1, v1, s[2:3]
	s_waitcnt vmcnt(0)
	v_and_b32_e32 v1, 1, v1
	s_delay_alu instid0(VALU_DEP_1)
	v_cmp_eq_u32_e64 s33, 1, v1
.LBB9_2:
	s_load_b64 s[6:7], s[0:1], 0x20
	s_cmp_eq_u64 s[4:5], 0
	s_cbranch_scc1 .LBB9_4
; %bb.3:
	s_ashr_i32 s15, s14, 31
	s_delay_alu instid0(SALU_CYCLE_1) | instskip(NEXT) | instid1(SALU_CYCLE_1)
	s_lshl_b64 s[2:3], s[14:15], 2
	s_add_u32 s2, s4, s2
	s_addc_u32 s3, s5, s3
	s_load_b32 s2, s[2:3], 0x0
	s_waitcnt lgkmcnt(0)
	s_ashr_i32 s3, s2, 31
	s_delay_alu instid0(SALU_CYCLE_1)
	s_cmp_eq_u64 s[6:7], s[2:3]
	s_cbranch_scc0 .LBB9_5
	s_branch .LBB9_64
.LBB9_4:
	s_mov_b32 s2, s14
	s_delay_alu instid0(SALU_CYCLE_1)
	s_ashr_i32 s3, s2, 31
	s_waitcnt lgkmcnt(0)
	s_cmp_eq_u64 s[6:7], s[2:3]
	s_cbranch_scc1 .LBB9_64
.LBB9_5:
	s_clause 0x1
	s_load_b512 s[16:31], s[0:1], 0x88
	s_load_b64 s[34:35], s[0:1], 0x8
	s_mov_b32 s52, 0
	s_mov_b32 s53, 0
	s_waitcnt lgkmcnt(0)
	s_cmp_eq_u64 s[22:23], 0
	s_cbranch_scc1 .LBB9_7
; %bb.6:
	s_ashr_i32 s13, s12, 31
	s_delay_alu instid0(SALU_CYCLE_1) | instskip(NEXT) | instid1(SALU_CYCLE_1)
	s_lshl_b64 s[4:5], s[12:13], 2
	s_add_u32 s4, s22, s4
	s_addc_u32 s5, s23, s5
	s_load_b32 s53, s[4:5], 0x0
.LBB9_7:
	s_cmp_eq_u64 s[28:29], 0
	s_cbranch_scc1 .LBB9_9
; %bb.8:
	s_ashr_i32 s13, s12, 31
	s_delay_alu instid0(SALU_CYCLE_1) | instskip(NEXT) | instid1(SALU_CYCLE_1)
	s_lshl_b64 s[4:5], s[12:13], 2
	s_add_u32 s4, s28, s4
	s_addc_u32 s5, s29, s5
	s_load_b32 s52, s[4:5], 0x0
.LBB9_9:
	s_cmp_lt_i32 s34, 1
	s_cbranch_scc1 .LBB9_64
; %bb.10:
	s_sub_i32 s3, 0, s8
	s_load_b256 s[36:43], s[0:1], 0x4c
	s_mul_i32 s3, s3, s10
	s_abs_i32 s4, s12
	s_mul_hi_u32 s3, s10, s3
	s_ashr_i32 s6, s9, 31
	s_add_i32 s10, s10, s3
	s_ashr_i32 s3, s12, 31
	s_mul_hi_u32 s5, s4, s10
	s_xor_b32 s3, s3, s6
	s_mul_i32 s7, s5, s8
	s_add_i32 s6, s5, 1
	s_sub_i32 s4, s4, s7
	s_load_b256 s[44:51], s[0:1], 0x2c
	s_sub_i32 s7, s4, s8
	s_cmp_ge_u32 s4, s8
	s_mov_b32 s29, 0
	s_cselect_b32 s5, s6, s5
	s_cselect_b32 s4, s7, s4
	s_add_i32 s6, s5, 1
	s_cmp_ge_u32 s4, s8
	s_waitcnt lgkmcnt(0)
	s_mul_i32 s28, s38, s14
	s_cselect_b32 s6, s6, s5
	s_lshl_b64 s[4:5], s[28:29], 1
	s_xor_b32 s6, s6, s3
	s_mul_i32 s28, s39, s12
	s_sub_i32 s3, s6, s3
	s_add_u32 s6, s24, s4
	s_addc_u32 s7, s25, s5
	s_lshl_b64 s[4:5], s[28:29], 1
	s_mul_i32 s28, s40, s14
	s_add_u32 s24, s6, s4
	s_addc_u32 s25, s7, s5
	s_lshl_b64 s[4:5], s[28:29], 1
	s_mul_i32 s28, s41, s12
	;; [unrolled: 4-line block ×3, first 2 shown]
	s_add_u32 s26, s6, s4
	s_load_b64 s[38:39], s[0:1], 0x7c
	s_addc_u32 s27, s7, s5
	s_lshl_b64 s[4:5], s[28:29], 2
	s_mul_i32 s28, s46, s14
	s_add_u32 s23, s16, s4
	s_addc_u32 s44, s17, s5
	s_load_b128 s[4:7], s[0:1], 0xc8
	s_lshl_b64 s[8:9], s[28:29], 1
	s_mul_i32 s28, s3, s49
	s_add_u32 s10, s18, s8
	s_addc_u32 s11, s19, s9
	s_lshl_b64 s[8:9], s[28:29], 1
	s_load_b32 s13, s[0:1], 0x28
	s_mul_i32 s28, s50, s14
	s_load_b32 s50, s[0:1], 0x84
	s_add_u32 s46, s10, s8
	s_addc_u32 s47, s11, s9
	s_lshl_b64 s[8:9], s[28:29], 1
	s_mul_i32 s28, s3, s37
	s_add_u32 s15, s20, s8
	s_addc_u32 s3, s21, s9
	s_load_b128 s[8:11], s[0:1], 0x6c
	s_lshl_b64 s[16:17], s[28:29], 1
	s_waitcnt lgkmcnt(0)
	s_mul_i32 s28, s2, s38
	s_add_u32 s37, s15, s16
	s_addc_u32 s49, s3, s17
	s_lshl_b64 s[2:3], s[28:29], 1
	s_mul_i32 s28, s39, s12
	s_add_u32 s4, s4, s2
	s_addc_u32 s5, s5, s3
	s_lshl_b64 s[2:3], s[28:29], 1
	s_load_b64 s[16:17], s[0:1], 0xd8
	s_add_u32 s51, s4, s2
	s_addc_u32 s54, s5, s3
	s_add_i32 s2, s34, 0x7ff
	v_lshrrev_b32_e32 v1, 2, v0
	s_lshr_b32 s55, s2, 11
	s_bitcmp1_b32 s13, 0
	v_mov_b32_e32 v22, 0
	s_cselect_b32 s56, -1, 0
	s_cmp_gt_i32 s35, 0
	s_mul_i32 s28, s8, s14
	s_cselect_b32 s57, -1, 0
	s_and_b32 s1, s34, 0x1ff
	v_and_b32_e32 v1, 8, v1
	s_cmp_eq_u32 s1, 0
	v_or_b32_e32 v2, 31, v0
	s_cselect_b32 s58, -1, 0
	s_lshl_b64 s[4:5], s[28:29], 1
	s_add_i32 s59, s55, -1
	s_mul_i32 s28, s9, s12
	s_add_u32 s8, s30, s4
	s_addc_u32 s9, s31, s5
	s_lshl_b64 s[4:5], s[28:29], 1
	s_mul_i32 s28, s10, s14
	s_add_u32 s13, s8, s4
	s_addc_u32 s10, s9, s5
	s_lshl_b64 s[8:9], s[28:29], 1
	s_mul_i32 s28, s11, s12
	s_waitcnt lgkmcnt(0)
	s_add_u32 s15, s16, s8
	s_addc_u32 s11, s17, s9
	s_lshl_b64 s[8:9], s[28:29], 1
	s_mul_i32 s28, s42, s14
	s_add_u32 s15, s15, s8
	s_addc_u32 s11, s11, s9
	s_lshl_b64 s[8:9], s[28:29], 1
	s_mul_i32 s28, s43, s12
	v_add_nc_u32_e32 v24, 0, v1
	v_lshlrev_b32_e32 v1, 4, v0
	s_add_u32 s8, s6, s8
	s_addc_u32 s9, s7, s9
	s_lshl_b64 s[6:7], s[28:29], 1
	v_lshlrev_b32_e32 v23, 3, v0
	s_add_u32 s6, s8, s6
	s_addc_u32 s7, s9, s7
	v_add_co_u32 v28, s6, s6, v1
	v_add_co_u32 v26, s12, s13, v1
	v_add_co_ci_u32_e64 v29, null, s7, 0, s6
	v_add_co_u32 v30, s6, s15, v1
	v_cmp_gt_u32_e64 s0, 64, v0
	v_cmp_eq_u32_e64 s1, v2, v0
	v_cmp_gt_u32_e64 s2, 2, v0
	v_add_nc_u32_e32 v25, 0, v23
	v_cmp_gt_u32_e64 s3, 32, v0
	v_cmp_lt_u32_e64 s4, 31, v0
	v_cmp_eq_u32_e64 s5, 0, v0
	v_add_co_ci_u32_e64 v27, null, s10, 0, s12
	v_add_co_ci_u32_e64 v31, null, s11, 0, s6
	v_or_b32_e32 v32, 1, v23
	v_or_b32_e32 v33, 2, v23
	;; [unrolled: 1-line block ×7, first 2 shown]
	v_lshlrev_b32_e32 v39, 4, v0
	v_mbcnt_lo_u32_b32 v40, -1, 0
	s_mov_b32 s60, 0x3e9b6dac
	s_add_i32 s61, 0, 0x850
	s_mov_b32 s62, 0
                                        ; implicit-def: $vgpr48
                                        ; implicit-def: $vgpr7
                                        ; implicit-def: $vgpr47
                                        ; implicit-def: $vgpr45
                                        ; implicit-def: $vgpr43
                                        ; implicit-def: $vgpr0
                                        ; implicit-def: $vgpr41
                                        ; implicit-def: $vgpr42
                                        ; implicit-def: $vgpr44
                                        ; implicit-def: $vgpr46
                                        ; implicit-def: $vgpr8
	s_branch .LBB9_12
.LBB9_11:                               ;   in Loop: Header=BB9_12 Depth=1
	s_or_b32 exec_lo, exec_lo, s6
	s_waitcnt vmcnt(0)
	v_lshlrev_b32_e32 v13, 16, v8
	s_add_u32 s26, s26, 0x400
	s_addc_u32 s27, s27, 0
	s_add_u32 s24, s24, 0x400
	s_addc_u32 s25, s25, 0
	v_mul_f32_e32 v15, 0xbfb8aa3b, v13
	s_add_u32 s46, s46, 0x400
	s_addc_u32 s47, s47, 0
	s_add_u32 s37, s37, 0x400
	s_addc_u32 s49, s49, 0
	v_rndne_f32_e32 v18, v15
	v_and_b32_e32 v12, 0xffff0000, v8
	v_fma_f32 v19, 0xbfb8aa3b, v13, -v15
	s_add_i32 s62, s62, 1
	s_delay_alu instid0(VALU_DEP_2)
	v_dual_sub_f32 v15, v15, v18 :: v_dual_mul_f32 v14, 0xbfb8aa3b, v12
	v_lshlrev_b32_e32 v21, 16, v9
	v_cvt_i32_f32_e32 v18, v18
	v_cmp_nlt_f32_e32 vcc_lo, 0x42ce8ed0, v12
	s_cmp_eq_u32 s62, s55
	v_fma_f32 v16, 0xbfb8aa3b, v12, -v14
	v_rndne_f32_e32 v17, v14
	v_cmp_nlt_f32_e64 s7, 0x42ce8ed0, v21
	s_barrier
	buffer_gl0_inv
	v_sub_f32_e32 v14, v14, v17
	v_dual_fmac_f32 v16, 0xb2a5705f, v12 :: v_dual_fmac_f32 v19, 0xb2a5705f, v13
	v_and_b32_e32 v20, 0xffff0000, v9
	v_cvt_i32_f32_e32 v17, v17
	s_delay_alu instid0(VALU_DEP_3) | instskip(NEXT) | instid1(VALU_DEP_3)
	v_dual_add_f32 v14, v14, v16 :: v_dual_add_f32 v15, v15, v19
	v_dual_mul_f32 v16, 0xbfb8aa3b, v20 :: v_dual_mul_f32 v19, 0xbfb8aa3b, v21
	s_delay_alu instid0(VALU_DEP_2) | instskip(NEXT) | instid1(VALU_DEP_2)
	v_exp_f32_e32 v14, v14
	v_exp_f32_e32 v15, v15
	s_delay_alu instid0(VALU_DEP_1)
	v_fma_f32 v50, 0xbfb8aa3b, v20, -v16
	v_rndne_f32_e32 v51, v16
	v_rndne_f32_e32 v52, v19
	v_and_b32_e32 v49, 0xffff0000, v10
	v_fma_f32 v57, 0xbfb8aa3b, v21, -v19
	v_fmac_f32_e32 v50, 0xb2a5705f, v20
	v_sub_f32_e32 v16, v16, v51
	s_delay_alu instid0(TRANS32_DEP_2) | instskip(NEXT) | instid1(VALU_DEP_4)
	v_ldexp_f32 v14, v14, v17
	v_fmac_f32_e32 v57, 0xb2a5705f, v21
	v_sub_f32_e32 v17, v19, v52
	v_ldexp_f32 v15, v15, v18
	v_cvt_i32_f32_e32 v19, v51
	v_cndmask_b32_e32 v14, 0, v14, vcc_lo
	v_cmp_nlt_f32_e32 vcc_lo, 0x42ce8ed0, v13
	v_add_f32_e32 v16, v16, v50
	v_cvt_i32_f32_e32 v52, v52
	v_dual_add_f32 v17, v17, v57 :: v_dual_lshlrev_b32 v18, 16, v10
	v_cndmask_b32_e32 v15, 0, v15, vcc_lo
	v_cmp_ngt_f32_e32 vcc_lo, 0xc2b17218, v12
	v_exp_f32_e32 v16, v16
	s_delay_alu instid0(VALU_DEP_3) | instskip(SKIP_3) | instid1(VALU_DEP_2)
	v_exp_f32_e32 v17, v17
	v_mul_f32_e32 v69, 0xbfb8aa3b, v49
	v_cndmask_b32_e32 v14, 0x7f800000, v14, vcc_lo
	v_cmp_ngt_f32_e32 vcc_lo, 0xc2b17218, v13
	v_dual_cndmask_b32 v15, 0x7f800000, v15 :: v_dual_add_f32 v14, 1.0, v14
	s_waitcnt_depctr 0xfff
	v_ldexp_f32 v16, v16, v19
	v_cmp_nlt_f32_e32 vcc_lo, 0x42ce8ed0, v20
	v_ldexp_f32 v17, v17, v52
	v_add_f32_e32 v15, 1.0, v15
	v_div_scale_f32 v50, null, v14, v14, v12
	s_delay_alu instid0(VALU_DEP_3) | instskip(NEXT) | instid1(VALU_DEP_3)
	v_cndmask_b32_e64 v17, 0, v17, s7
	v_div_scale_f32 v19, null, v15, v15, v13
	s_delay_alu instid0(VALU_DEP_3) | instskip(SKIP_1) | instid1(VALU_DEP_2)
	v_rcp_f32_e32 v51, v50
	v_cmp_ngt_f32_e64 s7, 0xc2b17218, v21
	v_rcp_f32_e32 v57, v19
	s_delay_alu instid0(VALU_DEP_1)
	v_cndmask_b32_e64 v17, 0x7f800000, v17, s7
	v_mul_f32_e32 v70, 0xbfb8aa3b, v18
	s_waitcnt_depctr 0xfff
	v_fma_f32 v52, -v50, v51, 1.0
	v_dual_add_f32 v17, 1.0, v17 :: v_dual_cndmask_b32 v16, 0, v16
	v_cmp_ngt_f32_e32 vcc_lo, 0xc2b17218, v20
	v_fma_f32 v60, -v19, v57, 1.0
	s_delay_alu instid0(VALU_DEP_4) | instskip(SKIP_1) | instid1(VALU_DEP_3)
	v_fmac_f32_e32 v51, v52, v51
	v_div_scale_f32 v52, s6, v13, v15, v13
	v_dual_cndmask_b32 v16, 0x7f800000, v16 :: v_dual_fmac_f32 v57, v60, v57
	v_div_scale_f32 v63, vcc_lo, v12, v14, v12
	s_delay_alu instid0(VALU_DEP_2) | instskip(NEXT) | instid1(VALU_DEP_2)
	v_dual_add_f32 v16, 1.0, v16 :: v_dual_mul_f32 v65, v52, v57
	v_mul_f32_e32 v60, v63, v51
	s_delay_alu instid0(VALU_DEP_2) | instskip(NEXT) | instid1(VALU_DEP_2)
	v_div_scale_f32 v64, null, v16, v16, v20
	v_fma_f32 v66, -v50, v60, v63
	s_delay_alu instid0(VALU_DEP_4) | instskip(NEXT) | instid1(VALU_DEP_3)
	v_fma_f32 v68, -v19, v65, v52
	v_rcp_f32_e32 v67, v64
	s_delay_alu instid0(VALU_DEP_1) | instskip(SKIP_1) | instid1(VALU_DEP_2)
	v_dual_fmac_f32 v60, v66, v51 :: v_dual_fmac_f32 v65, v68, v57
	v_div_scale_f32 v66, s7, v20, v16, v20
	v_fma_f32 v50, -v50, v60, v63
	s_delay_alu instid0(VALU_DEP_3)
	v_fma_f32 v19, -v19, v65, v52
	s_waitcnt_depctr 0xfff
	v_fma_f32 v63, -v64, v67, 1.0
	v_div_fmas_f32 v50, v50, v51, v60
	s_mov_b32 vcc_lo, s6
	v_div_scale_f32 v51, null, v17, v17, v21
	v_div_fmas_f32 v19, v19, v57, v65
	s_delay_alu instid0(VALU_DEP_3)
	v_div_fixup_f32 v12, v50, v14, v12
	v_fmac_f32_e32 v67, v63, v67
	v_fma_f32 v14, 0xbfb8aa3b, v49, -v69
	s_mov_b32 vcc_lo, s7
	v_div_fixup_f32 v13, v19, v15, v13
	v_mul_f32_e32 v12, v62, v12
	v_rcp_f32_e32 v15, v51
	v_dual_mul_f32 v19, v66, v67 :: v_dual_fmac_f32 v14, 0xb2a5705f, v49
	v_rndne_f32_e32 v50, v69
	s_delay_alu instid0(VALU_DEP_3) | instskip(NEXT) | instid1(VALU_DEP_3)
	v_bfe_u32 v57, v12, 16, 1
	v_fma_f32 v52, -v64, v19, v66
	s_waitcnt_depctr 0xfff
	v_fma_f32 v62, -v51, v15, 1.0
	v_fmac_f32_e32 v19, v52, v67
	v_add3_u32 v52, v12, v57, 0x7fff
	s_delay_alu instid0(VALU_DEP_3) | instskip(NEXT) | instid1(VALU_DEP_3)
	v_fmac_f32_e32 v15, v62, v15
	v_fma_f32 v62, -v64, v19, v66
	s_delay_alu instid0(VALU_DEP_3) | instskip(SKIP_1) | instid1(VALU_DEP_3)
	v_lshrrev_b32_e32 v52, 16, v52
	v_lshlrev_b32_e32 v64, 16, v11
	v_div_fmas_f32 v19, v62, v67, v19
	v_cmp_o_f32_e32 vcc_lo, v12, v12
	s_delay_alu instid0(VALU_DEP_4) | instskip(NEXT) | instid1(VALU_DEP_1)
	v_dual_mul_f32 v13, v61, v13 :: v_dual_cndmask_b32 v12, 0x7fc0, v52
	v_bfe_u32 v60, v13, 16, 1
	v_cmp_o_f32_e32 vcc_lo, v13, v13
	s_delay_alu instid0(VALU_DEP_2) | instskip(SKIP_1) | instid1(VALU_DEP_2)
	v_add3_u32 v57, v13, v60, 0x7fff
	v_div_scale_f32 v60, s6, v21, v17, v21
	v_lshrrev_b32_e32 v57, 16, v57
	v_sub_f32_e32 v61, v69, v50
	v_cvt_i32_f32_e32 v50, v50
	s_delay_alu instid0(VALU_DEP_2)
	v_dual_cndmask_b32 v52, 0x7fc0, v57 :: v_dual_add_f32 v13, v61, v14
	v_div_fixup_f32 v14, v19, v16, v20
	v_rndne_f32_e32 v16, v70
	v_fma_f32 v19, 0xbfb8aa3b, v18, -v70
	v_cmp_nlt_f32_e32 vcc_lo, 0x42ce8ed0, v49
	v_perm_b32 v12, v12, v52, 0x5040100
	s_delay_alu instid0(VALU_DEP_4) | instskip(NEXT) | instid1(VALU_DEP_4)
	v_dual_mul_f32 v14, v59, v14 :: v_dual_sub_f32 v61, v70, v16
	v_fmac_f32_e32 v19, 0xb2a5705f, v18
	v_cvt_i32_f32_e32 v16, v16
	s_delay_alu instid0(VALU_DEP_2) | instskip(SKIP_1) | instid1(VALU_DEP_2)
	v_add_f32_e32 v19, v61, v19
	v_mul_f32_e32 v61, 0xbfb8aa3b, v64
	v_exp_f32_e32 v19, v19
	s_delay_alu instid0(VALU_DEP_1) | instskip(SKIP_1) | instid1(VALU_DEP_2)
	v_fma_f32 v66, 0xbfb8aa3b, v64, -v61
	v_rndne_f32_e32 v65, v61
	v_fmac_f32_e32 v66, 0xb2a5705f, v64
	v_mul_f32_e32 v20, v60, v15
	v_exp_f32_e32 v13, v13
	s_delay_alu instid0(VALU_DEP_3) | instskip(SKIP_1) | instid1(TRANS32_DEP_2)
	v_sub_f32_e32 v61, v61, v65
	v_and_b32_e32 v57, 0xffff0000, v11
	v_ldexp_f32 v16, v19, v16
	v_fma_f32 v62, -v51, v20, v60
	s_delay_alu instid0(VALU_DEP_1) | instskip(SKIP_3) | instid1(VALU_DEP_2)
	v_fmac_f32_e32 v20, v62, v15
	s_waitcnt_depctr 0xfff
	v_ldexp_f32 v13, v13, v50
	v_fma_f32 v51, -v51, v20, v60
	v_cndmask_b32_e32 v13, 0, v13, vcc_lo
	v_cmp_ngt_f32_e32 vcc_lo, 0xc2b17218, v49
	s_delay_alu instid0(VALU_DEP_2) | instskip(SKIP_2) | instid1(VALU_DEP_1)
	v_cndmask_b32_e32 v13, 0x7f800000, v13, vcc_lo
	v_cmp_nlt_f32_e32 vcc_lo, 0x42ce8ed0, v18
	v_dual_mul_f32 v63, 0xbfb8aa3b, v57 :: v_dual_cndmask_b32 v16, 0, v16
	v_fma_f32 v50, 0xbfb8aa3b, v57, -v63
	v_rndne_f32_e32 v62, v63
	v_cmp_ngt_f32_e32 vcc_lo, 0xc2b17218, v18
	s_delay_alu instid0(VALU_DEP_3) | instskip(NEXT) | instid1(VALU_DEP_3)
	v_fmac_f32_e32 v50, 0xb2a5705f, v57
	v_dual_cndmask_b32 v16, 0x7f800000, v16 :: v_dual_sub_f32 v63, v63, v62
	s_delay_alu instid0(VALU_DEP_1)
	v_dual_add_f32 v16, 1.0, v16 :: v_dual_add_f32 v19, v63, v50
	v_add_f32_e32 v50, v61, v66
	v_cvt_i32_f32_e32 v61, v62
	v_cvt_i32_f32_e32 v63, v65
	v_cmp_nlt_f32_e32 vcc_lo, 0x42ce8ed0, v57
	v_exp_f32_e32 v19, v19
	v_exp_f32_e32 v50, v50
	s_waitcnt_depctr 0xfff
	v_ldexp_f32 v19, v19, v61
	v_ldexp_f32 v50, v50, v63
	v_div_scale_f32 v61, null, v16, v16, v18
	s_delay_alu instid0(VALU_DEP_3) | instskip(SKIP_1) | instid1(VALU_DEP_3)
	v_cndmask_b32_e32 v19, 0, v19, vcc_lo
	v_cmp_nlt_f32_e32 vcc_lo, 0x42ce8ed0, v64
	v_rcp_f32_e32 v65, v61
	v_cndmask_b32_e32 v50, 0, v50, vcc_lo
	v_cmp_ngt_f32_e32 vcc_lo, 0xc2b17218, v57
	v_cndmask_b32_e32 v19, 0x7f800000, v19, vcc_lo
	v_cmp_ngt_f32_e32 vcc_lo, 0xc2b17218, v64
	s_delay_alu instid0(VALU_DEP_2) | instskip(SKIP_3) | instid1(VALU_DEP_3)
	v_dual_add_f32 v19, 1.0, v19 :: v_dual_cndmask_b32 v50, 0x7f800000, v50
	s_mov_b32 vcc_lo, s6
	v_div_scale_f32 v59, s6, v18, v16, v18
	v_div_fmas_f32 v15, v51, v15, v20
	v_dual_add_f32 v50, 1.0, v50 :: v_dual_add_f32 v13, 1.0, v13
	v_div_scale_f32 v20, null, v19, v19, v57
	s_delay_alu instid0(VALU_DEP_3) | instskip(NEXT) | instid1(VALU_DEP_3)
	v_div_fixup_f32 v15, v15, v17, v21
	v_div_scale_f32 v67, null, v50, v50, v64
	s_delay_alu instid0(VALU_DEP_4) | instskip(SKIP_2) | instid1(VALU_DEP_2)
	v_div_scale_f32 v62, null, v13, v13, v49
	v_div_scale_f32 v51, vcc_lo, v49, v13, v49
	v_rcp_f32_e32 v66, v20
	v_rcp_f32_e32 v60, v62
	;; [unrolled: 1-line block ×3, first 2 shown]
	s_waitcnt_depctr 0xfff
	v_fma_f32 v63, -v62, v60, 1.0
	v_fma_f32 v70, -v67, v21, 1.0
	s_delay_alu instid0(VALU_DEP_2) | instskip(SKIP_1) | instid1(VALU_DEP_2)
	v_fmac_f32_e32 v60, v63, v60
	v_fma_f32 v63, -v61, v65, 1.0
	v_mul_f32_e32 v17, v51, v60
	s_delay_alu instid0(VALU_DEP_2) | instskip(SKIP_1) | instid1(VALU_DEP_3)
	v_fmac_f32_e32 v65, v63, v65
	v_fma_f32 v63, -v20, v66, 1.0
	v_fma_f32 v68, -v62, v17, v51
	s_delay_alu instid0(VALU_DEP_3) | instskip(NEXT) | instid1(VALU_DEP_3)
	v_mul_f32_e32 v69, v59, v65
	v_fmac_f32_e32 v66, v63, v66
	v_div_scale_f32 v63, s7, v57, v19, v57
	s_delay_alu instid0(VALU_DEP_4) | instskip(NEXT) | instid1(VALU_DEP_4)
	v_fmac_f32_e32 v17, v68, v60
	v_fma_f32 v68, -v61, v69, v59
	s_delay_alu instid0(VALU_DEP_3) | instskip(NEXT) | instid1(VALU_DEP_3)
	v_mul_f32_e32 v72, v63, v66
	v_fma_f32 v51, -v62, v17, v51
	s_delay_alu instid0(VALU_DEP_3) | instskip(NEXT) | instid1(VALU_DEP_3)
	v_fmac_f32_e32 v69, v68, v65
	v_fma_f32 v62, -v20, v72, v63
	s_delay_alu instid0(VALU_DEP_3) | instskip(NEXT) | instid1(VALU_DEP_3)
	v_div_fmas_f32 v17, v51, v60, v17
	v_fma_f32 v51, -v61, v69, v59
	s_mov_b32 vcc_lo, s6
	s_delay_alu instid0(VALU_DEP_3) | instskip(NEXT) | instid1(VALU_DEP_3)
	v_fmac_f32_e32 v72, v62, v66
	v_div_fixup_f32 v13, v17, v13, v49
	s_delay_alu instid0(VALU_DEP_3) | instskip(SKIP_1) | instid1(VALU_DEP_3)
	v_div_fmas_f32 v51, v51, v65, v69
	s_mov_b32 vcc_lo, s7
	v_fma_f32 v17, -v20, v72, v63
	s_delay_alu instid0(VALU_DEP_3) | instskip(NEXT) | instid1(VALU_DEP_3)
	v_mul_f32_e32 v13, v54, v13
	v_div_fixup_f32 v16, v51, v16, v18
	v_fmac_f32_e32 v21, v70, v21
	v_div_scale_f32 v70, s8, v64, v50, v64
	v_div_fmas_f32 v17, v17, v66, v72
	s_delay_alu instid0(VALU_DEP_4) | instskip(SKIP_1) | instid1(VALU_DEP_3)
	v_mul_f32_e32 v16, v55, v16
	s_mov_b32 vcc_lo, s8
	v_mul_f32_e32 v68, v70, v21
	s_delay_alu instid0(VALU_DEP_3) | instskip(NEXT) | instid1(VALU_DEP_3)
	v_div_fixup_f32 v17, v17, v19, v57
	v_bfe_u32 v49, v16, 16, 1
	s_delay_alu instid0(VALU_DEP_3) | instskip(SKIP_3) | instid1(VALU_DEP_4)
	v_fma_f32 v59, -v67, v68, v70
	v_mul_f32_e32 v15, v58, v15
	v_bfe_u32 v58, v14, 16, 1
	v_mul_f32_e32 v17, v56, v17
	v_fmac_f32_e32 v68, v59, v21
	s_delay_alu instid0(VALU_DEP_4) | instskip(NEXT) | instid1(VALU_DEP_4)
	v_bfe_u32 v71, v15, 16, 1
	v_add3_u32 v58, v14, v58, 0x7fff
	s_delay_alu instid0(VALU_DEP_3) | instskip(NEXT) | instid1(VALU_DEP_3)
	v_fma_f32 v18, -v67, v68, v70
	v_add3_u32 v59, v15, v71, 0x7fff
	s_delay_alu instid0(VALU_DEP_3) | instskip(NEXT) | instid1(VALU_DEP_3)
	v_lshrrev_b32_e32 v20, 16, v58
	v_div_fmas_f32 v18, v18, v21, v68
	v_bfe_u32 v21, v13, 16, 1
	v_cmp_o_f32_e32 vcc_lo, v14, v14
	v_lshrrev_b32_e32 v19, 16, v59
	s_delay_alu instid0(VALU_DEP_4) | instskip(NEXT) | instid1(VALU_DEP_4)
	v_div_fixup_f32 v18, v18, v50, v64
	v_add3_u32 v14, v13, v21, 0x7fff
	v_cndmask_b32_e32 v20, 0x7fc0, v20, vcc_lo
	v_cmp_o_f32_e32 vcc_lo, v15, v15
	v_add3_u32 v21, v16, v49, 0x7fff
	v_mul_f32_e32 v18, v53, v18
	v_bfe_u32 v49, v17, 16, 1
	v_lshrrev_b32_e32 v14, 16, v14
	v_cndmask_b32_e32 v19, 0x7fc0, v19, vcc_lo
	v_cmp_o_f32_e32 vcc_lo, v13, v13
	v_bfe_u32 v50, v18, 16, 1
	v_add3_u32 v15, v17, v49, 0x7fff
	v_lshrrev_b32_e32 v21, 16, v21
	v_cndmask_b32_e32 v13, 0x7fc0, v14, vcc_lo
	v_cmp_o_f32_e32 vcc_lo, v16, v16
	v_add3_u32 v49, v18, v50, 0x7fff
	v_lshrrev_b32_e32 v14, 16, v15
	v_cndmask_b32_e32 v21, 0x7fc0, v21, vcc_lo
	v_cmp_o_f32_e32 vcc_lo, v17, v17
	s_delay_alu instid0(VALU_DEP_4) | instskip(NEXT) | instid1(VALU_DEP_4)
	v_lshrrev_b32_e32 v15, 16, v49
	v_cndmask_b32_e32 v14, 0x7fc0, v14, vcc_lo
	v_cmp_o_f32_e32 vcc_lo, v18, v18
	s_delay_alu instid0(VALU_DEP_3) | instskip(SKIP_2) | instid1(VALU_DEP_3)
	v_cndmask_b32_e32 v15, 0x7fc0, v15, vcc_lo
	v_add_co_u32 v16, vcc_lo, v30, s10
	v_add_co_ci_u32_e32 v17, vcc_lo, s11, v31, vcc_lo
	v_perm_b32 v15, v14, v15, 0x5040100
	v_perm_b32 v14, v13, v21, 0x5040100
	;; [unrolled: 1-line block ×3, first 2 shown]
	global_store_b128 v[16:17], v[12:15], off
	s_cbranch_scc1 .LBB9_64
.LBB9_12:                               ; =>This Loop Header: Depth=1
                                        ;     Child Loop BB9_33 Depth 2
	s_waitcnt_vscnt null, 0x0
	s_barrier
	buffer_gl0_inv
	s_and_saveexec_b32 s6, s0
	s_cbranch_execz .LBB9_14
; %bb.13:                               ;   in Loop: Header=BB9_12 Depth=1
	s_clause 0x1
	global_load_b128 v[0:3], v39, s[24:25]
	global_load_b128 v[4:7], v39, s[26:27]
	s_waitcnt vmcnt(1)
	v_lshrrev_b32_e32 v41, 16, v0
	v_lshrrev_b32_e32 v42, 16, v1
	;; [unrolled: 1-line block ×4, first 2 shown]
	s_waitcnt vmcnt(0)
	v_lshrrev_b32_e32 v43, 16, v4
	v_lshrrev_b32_e32 v45, 16, v5
	;; [unrolled: 1-line block ×4, first 2 shown]
.LBB9_14:                               ;   in Loop: Header=BB9_12 Depth=1
	s_or_b32 exec_lo, exec_lo, s6
	v_lshlrev_b32_e32 v12, 16, v4
	s_delay_alu instid0(VALU_DEP_1) | instskip(NEXT) | instid1(VALU_DEP_1)
	v_add_f32_e32 v49, s52, v12
	v_cmp_ge_f32_e32 vcc_lo, 0x41a00000, v49
	s_and_b32 s6, s56, vcc_lo
	s_delay_alu instid0(SALU_CYCLE_1)
	s_and_saveexec_b32 s7, s6
	s_cbranch_execz .LBB9_16
; %bb.15:                               ;   in Loop: Header=BB9_12 Depth=1
	v_mul_f32_e32 v12, 0x3fb8aa3b, v49
	v_cmp_ngt_f32_e32 vcc_lo, 0xc2ce8ed0, v49
	s_delay_alu instid0(VALU_DEP_2) | instskip(SKIP_1) | instid1(VALU_DEP_2)
	v_rndne_f32_e32 v13, v12
	v_fma_f32 v14, 0x3fb8aa3b, v49, -v12
	v_sub_f32_e32 v12, v12, v13
	s_delay_alu instid0(VALU_DEP_2) | instskip(SKIP_1) | instid1(VALU_DEP_2)
	v_fmac_f32_e32 v14, 0x32a5705f, v49
	v_cvt_i32_f32_e32 v13, v13
	v_add_f32_e32 v12, v12, v14
	s_delay_alu instid0(VALU_DEP_1) | instskip(SKIP_2) | instid1(VALU_DEP_1)
	v_exp_f32_e32 v12, v12
	s_waitcnt_depctr 0xfff
	v_ldexp_f32 v12, v12, v13
	v_cndmask_b32_e32 v12, 0, v12, vcc_lo
	v_cmp_nlt_f32_e32 vcc_lo, 0x42b17218, v49
	s_delay_alu instid0(VALU_DEP_2) | instskip(NEXT) | instid1(VALU_DEP_1)
	v_cndmask_b32_e32 v14, 0x7f800000, v12, vcc_lo
	v_add_f32_e32 v15, 1.0, v14
	s_delay_alu instid0(VALU_DEP_1) | instskip(NEXT) | instid1(VALU_DEP_1)
	v_cvt_f64_f32_e32 v[12:13], v15
	v_frexp_exp_i32_f64_e32 v12, v[12:13]
	v_frexp_mant_f32_e32 v13, v15
	s_delay_alu instid0(VALU_DEP_1) | instskip(SKIP_1) | instid1(VALU_DEP_1)
	v_cmp_gt_f32_e32 vcc_lo, 0x3f2aaaab, v13
	v_add_f32_e32 v13, -1.0, v15
	v_sub_f32_e32 v17, v13, v15
	v_sub_f32_e32 v13, v14, v13
	s_delay_alu instid0(VALU_DEP_2) | instskip(NEXT) | instid1(VALU_DEP_1)
	v_add_f32_e32 v17, 1.0, v17
	v_add_f32_e32 v13, v13, v17
	v_cmp_gt_f32_e64 s6, 0x33800000, v14
	v_subrev_co_ci_u32_e32 v12, vcc_lo, 0, v12, vcc_lo
	v_cmp_eq_f32_e32 vcc_lo, 0x7f800000, v14
	s_delay_alu instid0(VALU_DEP_2) | instskip(SKIP_2) | instid1(VALU_DEP_2)
	v_sub_nc_u32_e32 v16, 0, v12
	v_cvt_f32_i32_e32 v12, v12
	s_or_b32 vcc_lo, s6, vcc_lo
	v_ldexp_f32 v15, v15, v16
	v_ldexp_f32 v13, v13, v16
	s_delay_alu instid0(VALU_DEP_2) | instskip(NEXT) | instid1(VALU_DEP_1)
	v_add_f32_e32 v18, 1.0, v15
	v_dual_add_f32 v16, -1.0, v15 :: v_dual_add_f32 v17, -1.0, v18
	s_delay_alu instid0(VALU_DEP_1) | instskip(NEXT) | instid1(VALU_DEP_2)
	v_add_f32_e32 v19, 1.0, v16
	v_sub_f32_e32 v17, v15, v17
	s_delay_alu instid0(VALU_DEP_2) | instskip(NEXT) | instid1(VALU_DEP_2)
	v_sub_f32_e32 v15, v15, v19
	v_add_f32_e32 v17, v13, v17
	s_delay_alu instid0(VALU_DEP_2) | instskip(NEXT) | instid1(VALU_DEP_2)
	v_add_f32_e32 v13, v13, v15
	v_add_f32_e32 v19, v18, v17
	s_delay_alu instid0(VALU_DEP_2) | instskip(NEXT) | instid1(VALU_DEP_2)
	v_add_f32_e32 v20, v16, v13
	v_rcp_f32_e32 v15, v19
	v_sub_f32_e32 v18, v18, v19
	s_delay_alu instid0(VALU_DEP_1) | instskip(SKIP_2) | instid1(VALU_DEP_1)
	v_dual_sub_f32 v16, v16, v20 :: v_dual_add_f32 v17, v17, v18
	s_waitcnt_depctr 0xfff
	v_mul_f32_e32 v21, v20, v15
	v_mul_f32_e32 v49, v19, v21
	s_delay_alu instid0(VALU_DEP_1) | instskip(NEXT) | instid1(VALU_DEP_1)
	v_fma_f32 v18, v21, v19, -v49
	v_fmac_f32_e32 v18, v21, v17
	s_delay_alu instid0(VALU_DEP_1) | instskip(NEXT) | instid1(VALU_DEP_1)
	v_add_f32_e32 v50, v49, v18
	v_sub_f32_e32 v51, v20, v50
	s_delay_alu instid0(VALU_DEP_1) | instskip(SKIP_1) | instid1(VALU_DEP_2)
	v_dual_sub_f32 v20, v20, v51 :: v_dual_add_f32 v13, v13, v16
	v_sub_f32_e32 v16, v50, v49
	v_sub_f32_e32 v20, v20, v50
	s_delay_alu instid0(VALU_DEP_1) | instskip(NEXT) | instid1(VALU_DEP_1)
	v_dual_sub_f32 v16, v16, v18 :: v_dual_add_f32 v13, v13, v20
	v_add_f32_e32 v13, v16, v13
	s_delay_alu instid0(VALU_DEP_1) | instskip(NEXT) | instid1(VALU_DEP_1)
	v_add_f32_e32 v16, v51, v13
	v_mul_f32_e32 v18, v15, v16
	v_sub_f32_e32 v50, v51, v16
	s_delay_alu instid0(VALU_DEP_2) | instskip(NEXT) | instid1(VALU_DEP_2)
	v_mul_f32_e32 v20, v19, v18
	v_add_f32_e32 v13, v13, v50
	s_delay_alu instid0(VALU_DEP_2) | instskip(NEXT) | instid1(VALU_DEP_1)
	v_fma_f32 v19, v18, v19, -v20
	v_fmac_f32_e32 v19, v18, v17
	s_delay_alu instid0(VALU_DEP_1) | instskip(NEXT) | instid1(VALU_DEP_1)
	v_add_f32_e32 v17, v20, v19
	v_sub_f32_e32 v49, v16, v17
	s_delay_alu instid0(VALU_DEP_1) | instskip(NEXT) | instid1(VALU_DEP_1)
	v_sub_f32_e32 v16, v16, v49
	v_sub_f32_e32 v16, v16, v17
	s_delay_alu instid0(VALU_DEP_1) | instskip(SKIP_2) | instid1(VALU_DEP_1)
	v_add_f32_e32 v13, v13, v16
	v_add_f32_e32 v16, v21, v18
	v_sub_f32_e32 v20, v17, v20
	v_sub_f32_e32 v17, v20, v19
	s_delay_alu instid0(VALU_DEP_1) | instskip(NEXT) | instid1(VALU_DEP_4)
	v_add_f32_e32 v13, v17, v13
	v_sub_f32_e32 v17, v16, v21
	s_delay_alu instid0(VALU_DEP_2) | instskip(NEXT) | instid1(VALU_DEP_2)
	v_add_f32_e32 v13, v49, v13
	v_sub_f32_e32 v17, v18, v17
	s_delay_alu instid0(VALU_DEP_2) | instskip(NEXT) | instid1(VALU_DEP_1)
	v_mul_f32_e32 v13, v15, v13
	v_add_f32_e32 v13, v17, v13
	s_delay_alu instid0(VALU_DEP_1) | instskip(NEXT) | instid1(VALU_DEP_1)
	v_add_f32_e32 v15, v16, v13
	v_mul_f32_e32 v17, v15, v15
	s_delay_alu instid0(VALU_DEP_1) | instskip(SKIP_1) | instid1(VALU_DEP_2)
	v_fmaak_f32 v18, s60, v17, 0x3ecc95a3
	v_mul_f32_e32 v19, v15, v17
	v_fmaak_f32 v17, v17, v18, 0x3f2aaada
	v_ldexp_f32 v18, v15, 1
	s_delay_alu instid0(VALU_DEP_2) | instskip(SKIP_1) | instid1(VALU_DEP_2)
	v_mul_f32_e32 v17, v19, v17
	v_sub_f32_e32 v15, v15, v16
	v_dual_mul_f32 v19, 0x3f317218, v12 :: v_dual_add_f32 v16, v18, v17
	s_delay_alu instid0(VALU_DEP_2) | instskip(NEXT) | instid1(VALU_DEP_2)
	v_sub_f32_e32 v13, v13, v15
	v_sub_f32_e32 v15, v16, v18
	s_delay_alu instid0(VALU_DEP_3) | instskip(NEXT) | instid1(VALU_DEP_3)
	v_fma_f32 v18, 0x3f317218, v12, -v19
	v_ldexp_f32 v13, v13, 1
	s_delay_alu instid0(VALU_DEP_2) | instskip(NEXT) | instid1(VALU_DEP_1)
	v_dual_sub_f32 v15, v17, v15 :: v_dual_fmac_f32 v18, 0xb102e308, v12
	v_dual_add_f32 v12, v13, v15 :: v_dual_add_f32 v13, v19, v18
	s_delay_alu instid0(VALU_DEP_1) | instskip(NEXT) | instid1(VALU_DEP_1)
	v_add_f32_e32 v15, v16, v12
	v_dual_add_f32 v17, v13, v15 :: v_dual_sub_f32 v16, v15, v16
	s_delay_alu instid0(VALU_DEP_1) | instskip(NEXT) | instid1(VALU_DEP_2)
	v_sub_f32_e32 v20, v17, v13
	v_dual_sub_f32 v19, v13, v19 :: v_dual_sub_f32 v12, v12, v16
	s_delay_alu instid0(VALU_DEP_1) | instskip(SKIP_1) | instid1(VALU_DEP_2)
	v_dual_sub_f32 v21, v17, v20 :: v_dual_sub_f32 v18, v18, v19
	v_sub_f32_e32 v15, v15, v20
	v_dual_sub_f32 v13, v13, v21 :: v_dual_add_f32 v16, v18, v12
	s_delay_alu instid0(VALU_DEP_1) | instskip(NEXT) | instid1(VALU_DEP_2)
	v_add_f32_e32 v13, v15, v13
	v_sub_f32_e32 v15, v16, v18
	s_delay_alu instid0(VALU_DEP_2) | instskip(NEXT) | instid1(VALU_DEP_2)
	v_add_f32_e32 v13, v16, v13
	v_sub_f32_e32 v16, v16, v15
	s_delay_alu instid0(VALU_DEP_2) | instskip(NEXT) | instid1(VALU_DEP_1)
	v_dual_sub_f32 v12, v12, v15 :: v_dual_add_f32 v19, v17, v13
	v_dual_sub_f32 v16, v18, v16 :: v_dual_sub_f32 v15, v19, v17
	s_delay_alu instid0(VALU_DEP_1) | instskip(NEXT) | instid1(VALU_DEP_1)
	v_dual_add_f32 v12, v12, v16 :: v_dual_sub_f32 v13, v13, v15
	v_add_f32_e32 v12, v12, v13
	s_delay_alu instid0(VALU_DEP_1) | instskip(NEXT) | instid1(VALU_DEP_1)
	v_add_f32_e32 v12, v19, v12
	v_cndmask_b32_e32 v49, v12, v14, vcc_lo
.LBB9_16:                               ;   in Loop: Header=BB9_12 Depth=1
	s_or_b32 exec_lo, exec_lo, s7
	v_lshlrev_b32_e32 v12, 16, v43
	s_delay_alu instid0(VALU_DEP_1) | instskip(NEXT) | instid1(VALU_DEP_1)
	v_add_f32_e32 v50, s52, v12
	v_cmp_ge_f32_e32 vcc_lo, 0x41a00000, v50
	s_and_b32 s6, s56, vcc_lo
	s_delay_alu instid0(SALU_CYCLE_1)
	s_and_saveexec_b32 s7, s6
	s_cbranch_execz .LBB9_18
; %bb.17:                               ;   in Loop: Header=BB9_12 Depth=1
	v_mul_f32_e32 v12, 0x3fb8aa3b, v50
	v_cmp_ngt_f32_e32 vcc_lo, 0xc2ce8ed0, v50
	s_delay_alu instid0(VALU_DEP_2) | instskip(SKIP_1) | instid1(VALU_DEP_2)
	v_rndne_f32_e32 v13, v12
	v_fma_f32 v14, 0x3fb8aa3b, v50, -v12
	v_sub_f32_e32 v12, v12, v13
	s_delay_alu instid0(VALU_DEP_2) | instskip(SKIP_1) | instid1(VALU_DEP_2)
	v_fmac_f32_e32 v14, 0x32a5705f, v50
	v_cvt_i32_f32_e32 v13, v13
	v_add_f32_e32 v12, v12, v14
	s_delay_alu instid0(VALU_DEP_1) | instskip(SKIP_2) | instid1(VALU_DEP_1)
	v_exp_f32_e32 v12, v12
	s_waitcnt_depctr 0xfff
	v_ldexp_f32 v12, v12, v13
	v_cndmask_b32_e32 v12, 0, v12, vcc_lo
	v_cmp_nlt_f32_e32 vcc_lo, 0x42b17218, v50
	s_delay_alu instid0(VALU_DEP_2) | instskip(NEXT) | instid1(VALU_DEP_1)
	v_cndmask_b32_e32 v14, 0x7f800000, v12, vcc_lo
	v_add_f32_e32 v15, 1.0, v14
	s_delay_alu instid0(VALU_DEP_1) | instskip(NEXT) | instid1(VALU_DEP_1)
	v_cvt_f64_f32_e32 v[12:13], v15
	v_frexp_exp_i32_f64_e32 v12, v[12:13]
	v_frexp_mant_f32_e32 v13, v15
	s_delay_alu instid0(VALU_DEP_1) | instskip(SKIP_1) | instid1(VALU_DEP_1)
	v_cmp_gt_f32_e32 vcc_lo, 0x3f2aaaab, v13
	v_add_f32_e32 v13, -1.0, v15
	v_sub_f32_e32 v17, v13, v15
	v_sub_f32_e32 v13, v14, v13
	s_delay_alu instid0(VALU_DEP_2) | instskip(NEXT) | instid1(VALU_DEP_1)
	v_add_f32_e32 v17, 1.0, v17
	v_add_f32_e32 v13, v13, v17
	v_cmp_gt_f32_e64 s6, 0x33800000, v14
	v_subrev_co_ci_u32_e32 v12, vcc_lo, 0, v12, vcc_lo
	v_cmp_eq_f32_e32 vcc_lo, 0x7f800000, v14
	s_delay_alu instid0(VALU_DEP_2) | instskip(SKIP_2) | instid1(VALU_DEP_2)
	v_sub_nc_u32_e32 v16, 0, v12
	v_cvt_f32_i32_e32 v12, v12
	s_or_b32 vcc_lo, s6, vcc_lo
	v_ldexp_f32 v15, v15, v16
	v_ldexp_f32 v13, v13, v16
	s_delay_alu instid0(VALU_DEP_2) | instskip(NEXT) | instid1(VALU_DEP_1)
	v_add_f32_e32 v18, 1.0, v15
	v_dual_add_f32 v16, -1.0, v15 :: v_dual_add_f32 v17, -1.0, v18
	s_delay_alu instid0(VALU_DEP_1) | instskip(NEXT) | instid1(VALU_DEP_2)
	v_add_f32_e32 v19, 1.0, v16
	v_sub_f32_e32 v17, v15, v17
	s_delay_alu instid0(VALU_DEP_2) | instskip(NEXT) | instid1(VALU_DEP_2)
	v_sub_f32_e32 v15, v15, v19
	v_add_f32_e32 v17, v13, v17
	s_delay_alu instid0(VALU_DEP_2) | instskip(NEXT) | instid1(VALU_DEP_1)
	v_add_f32_e32 v13, v13, v15
	v_add_f32_e32 v20, v16, v13
	s_delay_alu instid0(VALU_DEP_1) | instskip(NEXT) | instid1(VALU_DEP_1)
	v_dual_add_f32 v19, v18, v17 :: v_dual_sub_f32 v16, v16, v20
	v_rcp_f32_e32 v15, v19
	v_sub_f32_e32 v18, v18, v19
	s_delay_alu instid0(VALU_DEP_1) | instskip(SKIP_2) | instid1(VALU_DEP_1)
	v_add_f32_e32 v17, v17, v18
	s_waitcnt_depctr 0xfff
	v_mul_f32_e32 v21, v20, v15
	v_mul_f32_e32 v50, v19, v21
	s_delay_alu instid0(VALU_DEP_1) | instskip(NEXT) | instid1(VALU_DEP_1)
	v_fma_f32 v18, v21, v19, -v50
	v_fmac_f32_e32 v18, v21, v17
	s_delay_alu instid0(VALU_DEP_1) | instskip(NEXT) | instid1(VALU_DEP_1)
	v_add_f32_e32 v51, v50, v18
	v_sub_f32_e32 v52, v20, v51
	s_delay_alu instid0(VALU_DEP_1) | instskip(SKIP_1) | instid1(VALU_DEP_2)
	v_sub_f32_e32 v20, v20, v52
	v_dual_add_f32 v13, v13, v16 :: v_dual_sub_f32 v16, v51, v50
	v_sub_f32_e32 v20, v20, v51
	s_delay_alu instid0(VALU_DEP_1) | instskip(NEXT) | instid1(VALU_DEP_1)
	v_dual_sub_f32 v16, v16, v18 :: v_dual_add_f32 v13, v13, v20
	v_add_f32_e32 v13, v16, v13
	s_delay_alu instid0(VALU_DEP_1) | instskip(NEXT) | instid1(VALU_DEP_1)
	v_add_f32_e32 v16, v52, v13
	v_mul_f32_e32 v18, v15, v16
	s_delay_alu instid0(VALU_DEP_1) | instskip(NEXT) | instid1(VALU_DEP_1)
	v_dual_sub_f32 v51, v52, v16 :: v_dual_mul_f32 v20, v19, v18
	v_add_f32_e32 v13, v13, v51
	s_delay_alu instid0(VALU_DEP_2) | instskip(NEXT) | instid1(VALU_DEP_1)
	v_fma_f32 v19, v18, v19, -v20
	v_fmac_f32_e32 v19, v18, v17
	s_delay_alu instid0(VALU_DEP_1) | instskip(NEXT) | instid1(VALU_DEP_1)
	v_add_f32_e32 v17, v20, v19
	v_sub_f32_e32 v50, v16, v17
	s_delay_alu instid0(VALU_DEP_1) | instskip(NEXT) | instid1(VALU_DEP_1)
	v_sub_f32_e32 v16, v16, v50
	v_sub_f32_e32 v16, v16, v17
	s_delay_alu instid0(VALU_DEP_1) | instskip(SKIP_2) | instid1(VALU_DEP_1)
	v_add_f32_e32 v13, v13, v16
	v_add_f32_e32 v16, v21, v18
	v_sub_f32_e32 v20, v17, v20
	v_sub_f32_e32 v17, v20, v19
	s_delay_alu instid0(VALU_DEP_1) | instskip(NEXT) | instid1(VALU_DEP_4)
	v_add_f32_e32 v13, v17, v13
	v_sub_f32_e32 v17, v16, v21
	s_delay_alu instid0(VALU_DEP_2) | instskip(NEXT) | instid1(VALU_DEP_2)
	v_add_f32_e32 v13, v50, v13
	v_sub_f32_e32 v17, v18, v17
	s_delay_alu instid0(VALU_DEP_2) | instskip(NEXT) | instid1(VALU_DEP_1)
	v_mul_f32_e32 v13, v15, v13
	v_add_f32_e32 v13, v17, v13
	s_delay_alu instid0(VALU_DEP_1) | instskip(NEXT) | instid1(VALU_DEP_1)
	v_add_f32_e32 v15, v16, v13
	v_mul_f32_e32 v17, v15, v15
	s_delay_alu instid0(VALU_DEP_1) | instskip(SKIP_1) | instid1(VALU_DEP_2)
	v_fmaak_f32 v18, s60, v17, 0x3ecc95a3
	v_mul_f32_e32 v19, v15, v17
	v_fmaak_f32 v17, v17, v18, 0x3f2aaada
	v_ldexp_f32 v18, v15, 1
	s_delay_alu instid0(VALU_DEP_2) | instskip(SKIP_1) | instid1(VALU_DEP_2)
	v_mul_f32_e32 v17, v19, v17
	v_sub_f32_e32 v15, v15, v16
	v_dual_mul_f32 v19, 0x3f317218, v12 :: v_dual_add_f32 v16, v18, v17
	s_delay_alu instid0(VALU_DEP_2) | instskip(NEXT) | instid1(VALU_DEP_2)
	v_sub_f32_e32 v13, v13, v15
	v_sub_f32_e32 v15, v16, v18
	s_delay_alu instid0(VALU_DEP_3) | instskip(NEXT) | instid1(VALU_DEP_3)
	v_fma_f32 v18, 0x3f317218, v12, -v19
	v_ldexp_f32 v13, v13, 1
	s_delay_alu instid0(VALU_DEP_2) | instskip(NEXT) | instid1(VALU_DEP_1)
	v_dual_sub_f32 v15, v17, v15 :: v_dual_fmac_f32 v18, 0xb102e308, v12
	v_dual_add_f32 v12, v13, v15 :: v_dual_add_f32 v13, v19, v18
	s_delay_alu instid0(VALU_DEP_1) | instskip(NEXT) | instid1(VALU_DEP_1)
	v_add_f32_e32 v15, v16, v12
	v_dual_add_f32 v17, v13, v15 :: v_dual_sub_f32 v16, v15, v16
	s_delay_alu instid0(VALU_DEP_1) | instskip(NEXT) | instid1(VALU_DEP_2)
	v_sub_f32_e32 v20, v17, v13
	v_dual_sub_f32 v19, v13, v19 :: v_dual_sub_f32 v12, v12, v16
	s_delay_alu instid0(VALU_DEP_1) | instskip(SKIP_1) | instid1(VALU_DEP_2)
	v_dual_sub_f32 v21, v17, v20 :: v_dual_sub_f32 v18, v18, v19
	v_sub_f32_e32 v15, v15, v20
	v_dual_sub_f32 v13, v13, v21 :: v_dual_add_f32 v16, v18, v12
	s_delay_alu instid0(VALU_DEP_1) | instskip(NEXT) | instid1(VALU_DEP_2)
	v_add_f32_e32 v13, v15, v13
	v_sub_f32_e32 v15, v16, v18
	s_delay_alu instid0(VALU_DEP_2) | instskip(NEXT) | instid1(VALU_DEP_2)
	v_add_f32_e32 v13, v16, v13
	v_sub_f32_e32 v16, v16, v15
	s_delay_alu instid0(VALU_DEP_2) | instskip(NEXT) | instid1(VALU_DEP_1)
	v_dual_sub_f32 v12, v12, v15 :: v_dual_add_f32 v19, v17, v13
	v_dual_sub_f32 v16, v18, v16 :: v_dual_sub_f32 v15, v19, v17
	s_delay_alu instid0(VALU_DEP_1) | instskip(NEXT) | instid1(VALU_DEP_1)
	v_dual_add_f32 v12, v12, v16 :: v_dual_sub_f32 v13, v13, v15
	v_add_f32_e32 v12, v12, v13
	s_delay_alu instid0(VALU_DEP_1) | instskip(NEXT) | instid1(VALU_DEP_1)
	v_add_f32_e32 v12, v19, v12
	v_cndmask_b32_e32 v50, v12, v14, vcc_lo
.LBB9_18:                               ;   in Loop: Header=BB9_12 Depth=1
	s_or_b32 exec_lo, exec_lo, s7
	v_lshlrev_b32_e32 v12, 16, v5
	s_delay_alu instid0(VALU_DEP_1) | instskip(NEXT) | instid1(VALU_DEP_1)
	v_add_f32_e32 v51, s52, v12
	v_cmp_ge_f32_e32 vcc_lo, 0x41a00000, v51
	s_and_b32 s6, s56, vcc_lo
	s_delay_alu instid0(SALU_CYCLE_1)
	s_and_saveexec_b32 s7, s6
	s_cbranch_execz .LBB9_20
; %bb.19:                               ;   in Loop: Header=BB9_12 Depth=1
	v_mul_f32_e32 v12, 0x3fb8aa3b, v51
	v_cmp_ngt_f32_e32 vcc_lo, 0xc2ce8ed0, v51
	s_delay_alu instid0(VALU_DEP_2) | instskip(SKIP_1) | instid1(VALU_DEP_2)
	v_rndne_f32_e32 v13, v12
	v_fma_f32 v14, 0x3fb8aa3b, v51, -v12
	v_sub_f32_e32 v12, v12, v13
	s_delay_alu instid0(VALU_DEP_2) | instskip(SKIP_1) | instid1(VALU_DEP_2)
	v_fmac_f32_e32 v14, 0x32a5705f, v51
	v_cvt_i32_f32_e32 v13, v13
	v_add_f32_e32 v12, v12, v14
	s_delay_alu instid0(VALU_DEP_1) | instskip(SKIP_2) | instid1(VALU_DEP_1)
	v_exp_f32_e32 v12, v12
	s_waitcnt_depctr 0xfff
	v_ldexp_f32 v12, v12, v13
	v_cndmask_b32_e32 v12, 0, v12, vcc_lo
	v_cmp_nlt_f32_e32 vcc_lo, 0x42b17218, v51
	s_delay_alu instid0(VALU_DEP_2) | instskip(NEXT) | instid1(VALU_DEP_1)
	v_cndmask_b32_e32 v14, 0x7f800000, v12, vcc_lo
	v_add_f32_e32 v15, 1.0, v14
	s_delay_alu instid0(VALU_DEP_1) | instskip(NEXT) | instid1(VALU_DEP_1)
	v_cvt_f64_f32_e32 v[12:13], v15
	v_frexp_exp_i32_f64_e32 v12, v[12:13]
	v_frexp_mant_f32_e32 v13, v15
	s_delay_alu instid0(VALU_DEP_1) | instskip(SKIP_1) | instid1(VALU_DEP_1)
	v_cmp_gt_f32_e32 vcc_lo, 0x3f2aaaab, v13
	v_add_f32_e32 v13, -1.0, v15
	v_sub_f32_e32 v17, v13, v15
	v_sub_f32_e32 v13, v14, v13
	s_delay_alu instid0(VALU_DEP_2) | instskip(NEXT) | instid1(VALU_DEP_1)
	v_add_f32_e32 v17, 1.0, v17
	v_add_f32_e32 v13, v13, v17
	v_cmp_gt_f32_e64 s6, 0x33800000, v14
	v_subrev_co_ci_u32_e32 v12, vcc_lo, 0, v12, vcc_lo
	v_cmp_eq_f32_e32 vcc_lo, 0x7f800000, v14
	s_delay_alu instid0(VALU_DEP_2) | instskip(SKIP_2) | instid1(VALU_DEP_2)
	v_sub_nc_u32_e32 v16, 0, v12
	v_cvt_f32_i32_e32 v12, v12
	s_or_b32 vcc_lo, s6, vcc_lo
	v_ldexp_f32 v15, v15, v16
	v_ldexp_f32 v13, v13, v16
	s_delay_alu instid0(VALU_DEP_2) | instskip(NEXT) | instid1(VALU_DEP_1)
	v_add_f32_e32 v18, 1.0, v15
	v_dual_add_f32 v16, -1.0, v15 :: v_dual_add_f32 v17, -1.0, v18
	s_delay_alu instid0(VALU_DEP_1) | instskip(NEXT) | instid1(VALU_DEP_2)
	v_add_f32_e32 v19, 1.0, v16
	v_sub_f32_e32 v17, v15, v17
	s_delay_alu instid0(VALU_DEP_2) | instskip(NEXT) | instid1(VALU_DEP_2)
	v_sub_f32_e32 v15, v15, v19
	v_add_f32_e32 v17, v13, v17
	s_delay_alu instid0(VALU_DEP_2) | instskip(NEXT) | instid1(VALU_DEP_2)
	v_add_f32_e32 v13, v13, v15
	v_add_f32_e32 v19, v18, v17
	s_delay_alu instid0(VALU_DEP_2) | instskip(NEXT) | instid1(VALU_DEP_2)
	v_add_f32_e32 v20, v16, v13
	v_rcp_f32_e32 v15, v19
	v_sub_f32_e32 v18, v18, v19
	s_delay_alu instid0(VALU_DEP_1) | instskip(SKIP_2) | instid1(VALU_DEP_1)
	v_dual_sub_f32 v16, v16, v20 :: v_dual_add_f32 v17, v17, v18
	s_waitcnt_depctr 0xfff
	v_mul_f32_e32 v21, v20, v15
	v_mul_f32_e32 v51, v19, v21
	s_delay_alu instid0(VALU_DEP_1) | instskip(NEXT) | instid1(VALU_DEP_1)
	v_fma_f32 v18, v21, v19, -v51
	v_fmac_f32_e32 v18, v21, v17
	s_delay_alu instid0(VALU_DEP_1) | instskip(NEXT) | instid1(VALU_DEP_1)
	v_add_f32_e32 v52, v51, v18
	v_sub_f32_e32 v53, v20, v52
	s_delay_alu instid0(VALU_DEP_1) | instskip(NEXT) | instid1(VALU_DEP_1)
	v_sub_f32_e32 v20, v20, v53
	v_sub_f32_e32 v20, v20, v52
	v_dual_add_f32 v13, v13, v16 :: v_dual_sub_f32 v16, v52, v51
	s_delay_alu instid0(VALU_DEP_1) | instskip(NEXT) | instid1(VALU_DEP_1)
	v_dual_add_f32 v13, v13, v20 :: v_dual_sub_f32 v16, v16, v18
	v_add_f32_e32 v13, v16, v13
	s_delay_alu instid0(VALU_DEP_1) | instskip(NEXT) | instid1(VALU_DEP_1)
	v_add_f32_e32 v16, v53, v13
	v_mul_f32_e32 v18, v15, v16
	s_delay_alu instid0(VALU_DEP_1) | instskip(SKIP_1) | instid1(VALU_DEP_2)
	v_mul_f32_e32 v20, v19, v18
	v_sub_f32_e32 v52, v53, v16
	v_fma_f32 v19, v18, v19, -v20
	s_delay_alu instid0(VALU_DEP_2) | instskip(NEXT) | instid1(VALU_DEP_2)
	v_add_f32_e32 v13, v13, v52
	v_fmac_f32_e32 v19, v18, v17
	s_delay_alu instid0(VALU_DEP_1) | instskip(NEXT) | instid1(VALU_DEP_1)
	v_add_f32_e32 v17, v20, v19
	v_sub_f32_e32 v51, v16, v17
	s_delay_alu instid0(VALU_DEP_1) | instskip(NEXT) | instid1(VALU_DEP_1)
	v_sub_f32_e32 v16, v16, v51
	v_sub_f32_e32 v16, v16, v17
	s_delay_alu instid0(VALU_DEP_1) | instskip(SKIP_2) | instid1(VALU_DEP_1)
	v_add_f32_e32 v13, v13, v16
	v_add_f32_e32 v16, v21, v18
	v_sub_f32_e32 v20, v17, v20
	v_sub_f32_e32 v17, v20, v19
	s_delay_alu instid0(VALU_DEP_1) | instskip(NEXT) | instid1(VALU_DEP_4)
	v_add_f32_e32 v13, v17, v13
	v_sub_f32_e32 v17, v16, v21
	s_delay_alu instid0(VALU_DEP_2) | instskip(NEXT) | instid1(VALU_DEP_2)
	v_add_f32_e32 v13, v51, v13
	v_sub_f32_e32 v17, v18, v17
	s_delay_alu instid0(VALU_DEP_2) | instskip(NEXT) | instid1(VALU_DEP_1)
	v_mul_f32_e32 v13, v15, v13
	v_add_f32_e32 v13, v17, v13
	s_delay_alu instid0(VALU_DEP_1) | instskip(NEXT) | instid1(VALU_DEP_1)
	v_add_f32_e32 v15, v16, v13
	v_mul_f32_e32 v17, v15, v15
	s_delay_alu instid0(VALU_DEP_1) | instskip(SKIP_1) | instid1(VALU_DEP_2)
	v_fmaak_f32 v18, s60, v17, 0x3ecc95a3
	v_mul_f32_e32 v19, v15, v17
	v_fmaak_f32 v17, v17, v18, 0x3f2aaada
	v_ldexp_f32 v18, v15, 1
	s_delay_alu instid0(VALU_DEP_2) | instskip(SKIP_1) | instid1(VALU_DEP_2)
	v_mul_f32_e32 v17, v19, v17
	v_sub_f32_e32 v15, v15, v16
	v_dual_mul_f32 v19, 0x3f317218, v12 :: v_dual_add_f32 v16, v18, v17
	s_delay_alu instid0(VALU_DEP_2) | instskip(NEXT) | instid1(VALU_DEP_2)
	v_sub_f32_e32 v13, v13, v15
	v_sub_f32_e32 v15, v16, v18
	s_delay_alu instid0(VALU_DEP_3) | instskip(NEXT) | instid1(VALU_DEP_3)
	v_fma_f32 v18, 0x3f317218, v12, -v19
	v_ldexp_f32 v13, v13, 1
	s_delay_alu instid0(VALU_DEP_2) | instskip(NEXT) | instid1(VALU_DEP_1)
	v_dual_sub_f32 v15, v17, v15 :: v_dual_fmac_f32 v18, 0xb102e308, v12
	v_dual_add_f32 v12, v13, v15 :: v_dual_add_f32 v13, v19, v18
	s_delay_alu instid0(VALU_DEP_1) | instskip(NEXT) | instid1(VALU_DEP_1)
	v_add_f32_e32 v15, v16, v12
	v_dual_add_f32 v17, v13, v15 :: v_dual_sub_f32 v16, v15, v16
	s_delay_alu instid0(VALU_DEP_1) | instskip(NEXT) | instid1(VALU_DEP_2)
	v_sub_f32_e32 v20, v17, v13
	v_dual_sub_f32 v19, v13, v19 :: v_dual_sub_f32 v12, v12, v16
	s_delay_alu instid0(VALU_DEP_1) | instskip(SKIP_1) | instid1(VALU_DEP_2)
	v_dual_sub_f32 v21, v17, v20 :: v_dual_sub_f32 v18, v18, v19
	v_sub_f32_e32 v15, v15, v20
	v_dual_sub_f32 v13, v13, v21 :: v_dual_add_f32 v16, v18, v12
	s_delay_alu instid0(VALU_DEP_1) | instskip(NEXT) | instid1(VALU_DEP_2)
	v_add_f32_e32 v13, v15, v13
	v_sub_f32_e32 v15, v16, v18
	s_delay_alu instid0(VALU_DEP_2) | instskip(NEXT) | instid1(VALU_DEP_2)
	v_add_f32_e32 v13, v16, v13
	v_sub_f32_e32 v16, v16, v15
	s_delay_alu instid0(VALU_DEP_2) | instskip(NEXT) | instid1(VALU_DEP_1)
	v_dual_sub_f32 v12, v12, v15 :: v_dual_add_f32 v19, v17, v13
	v_dual_sub_f32 v16, v18, v16 :: v_dual_sub_f32 v15, v19, v17
	s_delay_alu instid0(VALU_DEP_1) | instskip(NEXT) | instid1(VALU_DEP_1)
	v_dual_add_f32 v12, v12, v16 :: v_dual_sub_f32 v13, v13, v15
	v_add_f32_e32 v12, v12, v13
	s_delay_alu instid0(VALU_DEP_1) | instskip(NEXT) | instid1(VALU_DEP_1)
	v_add_f32_e32 v12, v19, v12
	v_cndmask_b32_e32 v51, v12, v14, vcc_lo
.LBB9_20:                               ;   in Loop: Header=BB9_12 Depth=1
	s_or_b32 exec_lo, exec_lo, s7
	v_lshlrev_b32_e32 v12, 16, v45
	s_delay_alu instid0(VALU_DEP_1) | instskip(NEXT) | instid1(VALU_DEP_1)
	v_add_f32_e32 v52, s52, v12
	v_cmp_ge_f32_e32 vcc_lo, 0x41a00000, v52
	s_and_b32 s6, s56, vcc_lo
	s_delay_alu instid0(SALU_CYCLE_1)
	s_and_saveexec_b32 s7, s6
	s_cbranch_execz .LBB9_22
; %bb.21:                               ;   in Loop: Header=BB9_12 Depth=1
	v_mul_f32_e32 v12, 0x3fb8aa3b, v52
	v_cmp_ngt_f32_e32 vcc_lo, 0xc2ce8ed0, v52
	s_delay_alu instid0(VALU_DEP_2) | instskip(SKIP_1) | instid1(VALU_DEP_2)
	v_rndne_f32_e32 v13, v12
	v_fma_f32 v14, 0x3fb8aa3b, v52, -v12
	v_sub_f32_e32 v12, v12, v13
	s_delay_alu instid0(VALU_DEP_2) | instskip(SKIP_1) | instid1(VALU_DEP_2)
	v_fmac_f32_e32 v14, 0x32a5705f, v52
	v_cvt_i32_f32_e32 v13, v13
	v_add_f32_e32 v12, v12, v14
	s_delay_alu instid0(VALU_DEP_1) | instskip(SKIP_2) | instid1(VALU_DEP_1)
	v_exp_f32_e32 v12, v12
	s_waitcnt_depctr 0xfff
	v_ldexp_f32 v12, v12, v13
	v_cndmask_b32_e32 v12, 0, v12, vcc_lo
	v_cmp_nlt_f32_e32 vcc_lo, 0x42b17218, v52
	s_delay_alu instid0(VALU_DEP_2) | instskip(NEXT) | instid1(VALU_DEP_1)
	v_cndmask_b32_e32 v14, 0x7f800000, v12, vcc_lo
	v_add_f32_e32 v15, 1.0, v14
	s_delay_alu instid0(VALU_DEP_1) | instskip(NEXT) | instid1(VALU_DEP_1)
	v_cvt_f64_f32_e32 v[12:13], v15
	v_frexp_exp_i32_f64_e32 v12, v[12:13]
	v_frexp_mant_f32_e32 v13, v15
	s_delay_alu instid0(VALU_DEP_1) | instskip(SKIP_1) | instid1(VALU_DEP_1)
	v_cmp_gt_f32_e32 vcc_lo, 0x3f2aaaab, v13
	v_add_f32_e32 v13, -1.0, v15
	v_sub_f32_e32 v17, v13, v15
	v_sub_f32_e32 v13, v14, v13
	s_delay_alu instid0(VALU_DEP_2) | instskip(NEXT) | instid1(VALU_DEP_1)
	v_add_f32_e32 v17, 1.0, v17
	v_add_f32_e32 v13, v13, v17
	v_cmp_gt_f32_e64 s6, 0x33800000, v14
	v_subrev_co_ci_u32_e32 v12, vcc_lo, 0, v12, vcc_lo
	v_cmp_eq_f32_e32 vcc_lo, 0x7f800000, v14
	s_delay_alu instid0(VALU_DEP_2) | instskip(SKIP_2) | instid1(VALU_DEP_2)
	v_sub_nc_u32_e32 v16, 0, v12
	v_cvt_f32_i32_e32 v12, v12
	s_or_b32 vcc_lo, s6, vcc_lo
	v_ldexp_f32 v15, v15, v16
	v_ldexp_f32 v13, v13, v16
	s_delay_alu instid0(VALU_DEP_2) | instskip(NEXT) | instid1(VALU_DEP_1)
	v_add_f32_e32 v18, 1.0, v15
	v_dual_add_f32 v16, -1.0, v15 :: v_dual_add_f32 v17, -1.0, v18
	s_delay_alu instid0(VALU_DEP_1) | instskip(NEXT) | instid1(VALU_DEP_2)
	v_add_f32_e32 v19, 1.0, v16
	v_sub_f32_e32 v17, v15, v17
	s_delay_alu instid0(VALU_DEP_2) | instskip(NEXT) | instid1(VALU_DEP_2)
	v_sub_f32_e32 v15, v15, v19
	v_add_f32_e32 v17, v13, v17
	s_delay_alu instid0(VALU_DEP_2) | instskip(NEXT) | instid1(VALU_DEP_1)
	v_add_f32_e32 v13, v13, v15
	v_add_f32_e32 v20, v16, v13
	s_delay_alu instid0(VALU_DEP_1) | instskip(NEXT) | instid1(VALU_DEP_1)
	v_dual_add_f32 v19, v18, v17 :: v_dual_sub_f32 v16, v16, v20
	v_rcp_f32_e32 v15, v19
	v_sub_f32_e32 v18, v18, v19
	s_delay_alu instid0(VALU_DEP_1) | instskip(SKIP_2) | instid1(VALU_DEP_1)
	v_add_f32_e32 v17, v17, v18
	s_waitcnt_depctr 0xfff
	v_mul_f32_e32 v21, v20, v15
	v_dual_mul_f32 v52, v19, v21 :: v_dual_add_f32 v13, v13, v16
	s_delay_alu instid0(VALU_DEP_1) | instskip(NEXT) | instid1(VALU_DEP_1)
	v_fma_f32 v18, v21, v19, -v52
	v_fmac_f32_e32 v18, v21, v17
	s_delay_alu instid0(VALU_DEP_1) | instskip(NEXT) | instid1(VALU_DEP_1)
	v_add_f32_e32 v53, v52, v18
	v_sub_f32_e32 v54, v20, v53
	v_sub_f32_e32 v16, v53, v52
	s_delay_alu instid0(VALU_DEP_2) | instskip(NEXT) | instid1(VALU_DEP_1)
	v_sub_f32_e32 v20, v20, v54
	v_sub_f32_e32 v20, v20, v53
	s_delay_alu instid0(VALU_DEP_1) | instskip(NEXT) | instid1(VALU_DEP_1)
	v_dual_sub_f32 v16, v16, v18 :: v_dual_add_f32 v13, v13, v20
	v_add_f32_e32 v13, v16, v13
	s_delay_alu instid0(VALU_DEP_1) | instskip(NEXT) | instid1(VALU_DEP_1)
	v_add_f32_e32 v16, v54, v13
	v_mul_f32_e32 v18, v15, v16
	s_delay_alu instid0(VALU_DEP_1) | instskip(NEXT) | instid1(VALU_DEP_1)
	v_dual_sub_f32 v53, v54, v16 :: v_dual_mul_f32 v20, v19, v18
	v_add_f32_e32 v13, v13, v53
	s_delay_alu instid0(VALU_DEP_2) | instskip(NEXT) | instid1(VALU_DEP_1)
	v_fma_f32 v19, v18, v19, -v20
	v_fmac_f32_e32 v19, v18, v17
	s_delay_alu instid0(VALU_DEP_1) | instskip(NEXT) | instid1(VALU_DEP_1)
	v_add_f32_e32 v17, v20, v19
	v_sub_f32_e32 v52, v16, v17
	s_delay_alu instid0(VALU_DEP_1) | instskip(NEXT) | instid1(VALU_DEP_1)
	v_sub_f32_e32 v16, v16, v52
	v_sub_f32_e32 v16, v16, v17
	s_delay_alu instid0(VALU_DEP_1) | instskip(SKIP_2) | instid1(VALU_DEP_1)
	v_add_f32_e32 v13, v13, v16
	v_add_f32_e32 v16, v21, v18
	v_sub_f32_e32 v20, v17, v20
	v_sub_f32_e32 v17, v20, v19
	s_delay_alu instid0(VALU_DEP_1) | instskip(NEXT) | instid1(VALU_DEP_4)
	v_add_f32_e32 v13, v17, v13
	v_sub_f32_e32 v17, v16, v21
	s_delay_alu instid0(VALU_DEP_2) | instskip(NEXT) | instid1(VALU_DEP_2)
	v_add_f32_e32 v13, v52, v13
	v_sub_f32_e32 v17, v18, v17
	s_delay_alu instid0(VALU_DEP_2) | instskip(NEXT) | instid1(VALU_DEP_1)
	v_mul_f32_e32 v13, v15, v13
	v_add_f32_e32 v13, v17, v13
	s_delay_alu instid0(VALU_DEP_1) | instskip(NEXT) | instid1(VALU_DEP_1)
	v_add_f32_e32 v15, v16, v13
	v_mul_f32_e32 v17, v15, v15
	s_delay_alu instid0(VALU_DEP_1) | instskip(SKIP_1) | instid1(VALU_DEP_2)
	v_fmaak_f32 v18, s60, v17, 0x3ecc95a3
	v_mul_f32_e32 v19, v15, v17
	v_fmaak_f32 v17, v17, v18, 0x3f2aaada
	v_ldexp_f32 v18, v15, 1
	v_sub_f32_e32 v15, v15, v16
	s_delay_alu instid0(VALU_DEP_3) | instskip(SKIP_1) | instid1(VALU_DEP_2)
	v_mul_f32_e32 v17, v19, v17
	v_mul_f32_e32 v19, 0x3f317218, v12
	v_dual_sub_f32 v13, v13, v15 :: v_dual_add_f32 v16, v18, v17
	s_delay_alu instid0(VALU_DEP_1) | instskip(NEXT) | instid1(VALU_DEP_2)
	v_ldexp_f32 v13, v13, 1
	v_sub_f32_e32 v15, v16, v18
	s_delay_alu instid0(VALU_DEP_4) | instskip(NEXT) | instid1(VALU_DEP_1)
	v_fma_f32 v18, 0x3f317218, v12, -v19
	v_dual_sub_f32 v15, v17, v15 :: v_dual_fmac_f32 v18, 0xb102e308, v12
	s_delay_alu instid0(VALU_DEP_1) | instskip(NEXT) | instid1(VALU_DEP_1)
	v_dual_add_f32 v12, v13, v15 :: v_dual_add_f32 v13, v19, v18
	v_add_f32_e32 v15, v16, v12
	s_delay_alu instid0(VALU_DEP_2) | instskip(NEXT) | instid1(VALU_DEP_2)
	v_sub_f32_e32 v19, v13, v19
	v_dual_add_f32 v17, v13, v15 :: v_dual_sub_f32 v16, v15, v16
	s_delay_alu instid0(VALU_DEP_2) | instskip(NEXT) | instid1(VALU_DEP_2)
	v_sub_f32_e32 v18, v18, v19
	v_sub_f32_e32 v20, v17, v13
	s_delay_alu instid0(VALU_DEP_3) | instskip(NEXT) | instid1(VALU_DEP_2)
	v_sub_f32_e32 v12, v12, v16
	v_sub_f32_e32 v21, v17, v20
	;; [unrolled: 1-line block ×3, first 2 shown]
	s_delay_alu instid0(VALU_DEP_2) | instskip(NEXT) | instid1(VALU_DEP_1)
	v_dual_add_f32 v16, v18, v12 :: v_dual_sub_f32 v13, v13, v21
	v_add_f32_e32 v13, v15, v13
	s_delay_alu instid0(VALU_DEP_2) | instskip(NEXT) | instid1(VALU_DEP_2)
	v_sub_f32_e32 v15, v16, v18
	v_add_f32_e32 v13, v16, v13
	s_delay_alu instid0(VALU_DEP_2) | instskip(NEXT) | instid1(VALU_DEP_2)
	v_sub_f32_e32 v16, v16, v15
	v_dual_sub_f32 v12, v12, v15 :: v_dual_add_f32 v19, v17, v13
	s_delay_alu instid0(VALU_DEP_1) | instskip(NEXT) | instid1(VALU_DEP_1)
	v_dual_sub_f32 v16, v18, v16 :: v_dual_sub_f32 v15, v19, v17
	v_dual_add_f32 v12, v12, v16 :: v_dual_sub_f32 v13, v13, v15
	s_delay_alu instid0(VALU_DEP_1) | instskip(NEXT) | instid1(VALU_DEP_1)
	v_add_f32_e32 v12, v12, v13
	v_add_f32_e32 v12, v19, v12
	s_delay_alu instid0(VALU_DEP_1)
	v_cndmask_b32_e32 v52, v12, v14, vcc_lo
.LBB9_22:                               ;   in Loop: Header=BB9_12 Depth=1
	s_or_b32 exec_lo, exec_lo, s7
	v_lshlrev_b32_e32 v12, 16, v6
	s_delay_alu instid0(VALU_DEP_1) | instskip(NEXT) | instid1(VALU_DEP_1)
	v_add_f32_e32 v57, s52, v12
	v_cmp_ge_f32_e32 vcc_lo, 0x41a00000, v57
	s_and_b32 s6, s56, vcc_lo
	s_delay_alu instid0(SALU_CYCLE_1)
	s_and_saveexec_b32 s7, s6
	s_cbranch_execz .LBB9_24
; %bb.23:                               ;   in Loop: Header=BB9_12 Depth=1
	v_mul_f32_e32 v12, 0x3fb8aa3b, v57
	v_cmp_ngt_f32_e32 vcc_lo, 0xc2ce8ed0, v57
	s_delay_alu instid0(VALU_DEP_2) | instskip(SKIP_1) | instid1(VALU_DEP_2)
	v_rndne_f32_e32 v13, v12
	v_fma_f32 v14, 0x3fb8aa3b, v57, -v12
	v_sub_f32_e32 v12, v12, v13
	s_delay_alu instid0(VALU_DEP_2) | instskip(SKIP_1) | instid1(VALU_DEP_2)
	v_fmac_f32_e32 v14, 0x32a5705f, v57
	v_cvt_i32_f32_e32 v13, v13
	v_add_f32_e32 v12, v12, v14
	s_delay_alu instid0(VALU_DEP_1) | instskip(SKIP_2) | instid1(VALU_DEP_1)
	v_exp_f32_e32 v12, v12
	s_waitcnt_depctr 0xfff
	v_ldexp_f32 v12, v12, v13
	v_cndmask_b32_e32 v12, 0, v12, vcc_lo
	v_cmp_nlt_f32_e32 vcc_lo, 0x42b17218, v57
	s_delay_alu instid0(VALU_DEP_2) | instskip(NEXT) | instid1(VALU_DEP_1)
	v_cndmask_b32_e32 v14, 0x7f800000, v12, vcc_lo
	v_add_f32_e32 v15, 1.0, v14
	s_delay_alu instid0(VALU_DEP_1) | instskip(NEXT) | instid1(VALU_DEP_1)
	v_cvt_f64_f32_e32 v[12:13], v15
	v_frexp_exp_i32_f64_e32 v12, v[12:13]
	v_frexp_mant_f32_e32 v13, v15
	s_delay_alu instid0(VALU_DEP_1) | instskip(SKIP_1) | instid1(VALU_DEP_1)
	v_cmp_gt_f32_e32 vcc_lo, 0x3f2aaaab, v13
	v_add_f32_e32 v13, -1.0, v15
	v_sub_f32_e32 v17, v13, v15
	v_sub_f32_e32 v13, v14, v13
	s_delay_alu instid0(VALU_DEP_2) | instskip(NEXT) | instid1(VALU_DEP_1)
	v_add_f32_e32 v17, 1.0, v17
	v_add_f32_e32 v13, v13, v17
	v_cmp_gt_f32_e64 s6, 0x33800000, v14
	v_subrev_co_ci_u32_e32 v12, vcc_lo, 0, v12, vcc_lo
	v_cmp_eq_f32_e32 vcc_lo, 0x7f800000, v14
	s_delay_alu instid0(VALU_DEP_2) | instskip(SKIP_2) | instid1(VALU_DEP_2)
	v_sub_nc_u32_e32 v16, 0, v12
	v_cvt_f32_i32_e32 v12, v12
	s_or_b32 vcc_lo, s6, vcc_lo
	v_ldexp_f32 v15, v15, v16
	v_ldexp_f32 v13, v13, v16
	s_delay_alu instid0(VALU_DEP_2) | instskip(NEXT) | instid1(VALU_DEP_1)
	v_add_f32_e32 v18, 1.0, v15
	v_dual_add_f32 v16, -1.0, v15 :: v_dual_add_f32 v17, -1.0, v18
	s_delay_alu instid0(VALU_DEP_1) | instskip(NEXT) | instid1(VALU_DEP_2)
	v_add_f32_e32 v19, 1.0, v16
	v_sub_f32_e32 v17, v15, v17
	s_delay_alu instid0(VALU_DEP_2) | instskip(NEXT) | instid1(VALU_DEP_2)
	v_sub_f32_e32 v15, v15, v19
	v_add_f32_e32 v17, v13, v17
	s_delay_alu instid0(VALU_DEP_2) | instskip(NEXT) | instid1(VALU_DEP_2)
	v_add_f32_e32 v13, v13, v15
	v_add_f32_e32 v19, v18, v17
	s_delay_alu instid0(VALU_DEP_2) | instskip(NEXT) | instid1(VALU_DEP_2)
	v_add_f32_e32 v20, v16, v13
	v_rcp_f32_e32 v15, v19
	v_sub_f32_e32 v18, v18, v19
	s_delay_alu instid0(VALU_DEP_1) | instskip(SKIP_2) | instid1(VALU_DEP_1)
	v_dual_sub_f32 v16, v16, v20 :: v_dual_add_f32 v17, v17, v18
	s_waitcnt_depctr 0xfff
	v_mul_f32_e32 v21, v20, v15
	v_mul_f32_e32 v53, v19, v21
	s_delay_alu instid0(VALU_DEP_1) | instskip(NEXT) | instid1(VALU_DEP_1)
	v_fma_f32 v18, v21, v19, -v53
	v_fmac_f32_e32 v18, v21, v17
	s_delay_alu instid0(VALU_DEP_1) | instskip(NEXT) | instid1(VALU_DEP_1)
	v_add_f32_e32 v54, v53, v18
	v_sub_f32_e32 v55, v20, v54
	s_delay_alu instid0(VALU_DEP_1) | instskip(SKIP_1) | instid1(VALU_DEP_2)
	v_dual_sub_f32 v20, v20, v55 :: v_dual_add_f32 v13, v13, v16
	v_sub_f32_e32 v16, v54, v53
	v_sub_f32_e32 v20, v20, v54
	s_delay_alu instid0(VALU_DEP_1) | instskip(NEXT) | instid1(VALU_DEP_1)
	v_dual_sub_f32 v16, v16, v18 :: v_dual_add_f32 v13, v13, v20
	v_add_f32_e32 v13, v16, v13
	s_delay_alu instid0(VALU_DEP_1) | instskip(NEXT) | instid1(VALU_DEP_1)
	v_add_f32_e32 v16, v55, v13
	v_mul_f32_e32 v18, v15, v16
	v_sub_f32_e32 v54, v55, v16
	s_delay_alu instid0(VALU_DEP_2) | instskip(NEXT) | instid1(VALU_DEP_2)
	v_mul_f32_e32 v20, v19, v18
	v_add_f32_e32 v13, v13, v54
	s_delay_alu instid0(VALU_DEP_2) | instskip(NEXT) | instid1(VALU_DEP_1)
	v_fma_f32 v19, v18, v19, -v20
	v_fmac_f32_e32 v19, v18, v17
	s_delay_alu instid0(VALU_DEP_1) | instskip(NEXT) | instid1(VALU_DEP_1)
	v_add_f32_e32 v17, v20, v19
	v_sub_f32_e32 v53, v16, v17
	s_delay_alu instid0(VALU_DEP_1) | instskip(NEXT) | instid1(VALU_DEP_1)
	v_sub_f32_e32 v16, v16, v53
	v_sub_f32_e32 v16, v16, v17
	s_delay_alu instid0(VALU_DEP_1) | instskip(SKIP_2) | instid1(VALU_DEP_1)
	v_add_f32_e32 v13, v13, v16
	v_add_f32_e32 v16, v21, v18
	v_sub_f32_e32 v20, v17, v20
	v_sub_f32_e32 v17, v20, v19
	s_delay_alu instid0(VALU_DEP_1) | instskip(NEXT) | instid1(VALU_DEP_4)
	v_add_f32_e32 v13, v17, v13
	v_sub_f32_e32 v17, v16, v21
	s_delay_alu instid0(VALU_DEP_2) | instskip(NEXT) | instid1(VALU_DEP_2)
	v_add_f32_e32 v13, v53, v13
	v_sub_f32_e32 v17, v18, v17
	s_delay_alu instid0(VALU_DEP_2) | instskip(NEXT) | instid1(VALU_DEP_1)
	v_mul_f32_e32 v13, v15, v13
	v_add_f32_e32 v13, v17, v13
	s_delay_alu instid0(VALU_DEP_1) | instskip(NEXT) | instid1(VALU_DEP_1)
	v_add_f32_e32 v15, v16, v13
	v_mul_f32_e32 v17, v15, v15
	s_delay_alu instid0(VALU_DEP_1) | instskip(SKIP_1) | instid1(VALU_DEP_2)
	v_fmaak_f32 v18, s60, v17, 0x3ecc95a3
	v_mul_f32_e32 v19, v15, v17
	v_fmaak_f32 v17, v17, v18, 0x3f2aaada
	v_ldexp_f32 v18, v15, 1
	s_delay_alu instid0(VALU_DEP_2) | instskip(SKIP_1) | instid1(VALU_DEP_2)
	v_mul_f32_e32 v17, v19, v17
	v_sub_f32_e32 v15, v15, v16
	v_dual_mul_f32 v19, 0x3f317218, v12 :: v_dual_add_f32 v16, v18, v17
	s_delay_alu instid0(VALU_DEP_2) | instskip(NEXT) | instid1(VALU_DEP_2)
	v_sub_f32_e32 v13, v13, v15
	v_sub_f32_e32 v15, v16, v18
	s_delay_alu instid0(VALU_DEP_3) | instskip(NEXT) | instid1(VALU_DEP_3)
	v_fma_f32 v18, 0x3f317218, v12, -v19
	v_ldexp_f32 v13, v13, 1
	s_delay_alu instid0(VALU_DEP_2) | instskip(NEXT) | instid1(VALU_DEP_1)
	v_dual_sub_f32 v15, v17, v15 :: v_dual_fmac_f32 v18, 0xb102e308, v12
	v_dual_add_f32 v12, v13, v15 :: v_dual_add_f32 v13, v19, v18
	s_delay_alu instid0(VALU_DEP_1) | instskip(NEXT) | instid1(VALU_DEP_1)
	v_add_f32_e32 v15, v16, v12
	v_dual_add_f32 v17, v13, v15 :: v_dual_sub_f32 v16, v15, v16
	s_delay_alu instid0(VALU_DEP_1) | instskip(NEXT) | instid1(VALU_DEP_2)
	v_sub_f32_e32 v20, v17, v13
	v_dual_sub_f32 v19, v13, v19 :: v_dual_sub_f32 v12, v12, v16
	s_delay_alu instid0(VALU_DEP_1) | instskip(SKIP_1) | instid1(VALU_DEP_2)
	v_dual_sub_f32 v21, v17, v20 :: v_dual_sub_f32 v18, v18, v19
	v_sub_f32_e32 v15, v15, v20
	v_dual_sub_f32 v13, v13, v21 :: v_dual_add_f32 v16, v18, v12
	s_delay_alu instid0(VALU_DEP_1) | instskip(NEXT) | instid1(VALU_DEP_2)
	v_add_f32_e32 v13, v15, v13
	v_sub_f32_e32 v15, v16, v18
	s_delay_alu instid0(VALU_DEP_2) | instskip(NEXT) | instid1(VALU_DEP_2)
	v_add_f32_e32 v13, v16, v13
	v_sub_f32_e32 v16, v16, v15
	s_delay_alu instid0(VALU_DEP_2) | instskip(NEXT) | instid1(VALU_DEP_1)
	v_dual_sub_f32 v12, v12, v15 :: v_dual_add_f32 v19, v17, v13
	v_dual_sub_f32 v16, v18, v16 :: v_dual_sub_f32 v15, v19, v17
	s_delay_alu instid0(VALU_DEP_1) | instskip(NEXT) | instid1(VALU_DEP_1)
	v_dual_add_f32 v12, v12, v16 :: v_dual_sub_f32 v13, v13, v15
	v_add_f32_e32 v12, v12, v13
	s_delay_alu instid0(VALU_DEP_1) | instskip(NEXT) | instid1(VALU_DEP_1)
	v_add_f32_e32 v12, v19, v12
	v_cndmask_b32_e32 v57, v12, v14, vcc_lo
.LBB9_24:                               ;   in Loop: Header=BB9_12 Depth=1
	s_or_b32 exec_lo, exec_lo, s7
	v_lshlrev_b32_e32 v12, 16, v47
	s_delay_alu instid0(VALU_DEP_1) | instskip(NEXT) | instid1(VALU_DEP_1)
	v_add_f32_e32 v60, s52, v12
	v_cmp_ge_f32_e32 vcc_lo, 0x41a00000, v60
	s_and_b32 s6, s56, vcc_lo
	s_delay_alu instid0(SALU_CYCLE_1)
	s_and_saveexec_b32 s7, s6
	s_cbranch_execz .LBB9_26
; %bb.25:                               ;   in Loop: Header=BB9_12 Depth=1
	v_mul_f32_e32 v12, 0x3fb8aa3b, v60
	v_cmp_ngt_f32_e32 vcc_lo, 0xc2ce8ed0, v60
	s_delay_alu instid0(VALU_DEP_2) | instskip(SKIP_1) | instid1(VALU_DEP_2)
	v_rndne_f32_e32 v13, v12
	v_fma_f32 v14, 0x3fb8aa3b, v60, -v12
	v_sub_f32_e32 v12, v12, v13
	s_delay_alu instid0(VALU_DEP_2) | instskip(SKIP_1) | instid1(VALU_DEP_2)
	v_fmac_f32_e32 v14, 0x32a5705f, v60
	v_cvt_i32_f32_e32 v13, v13
	v_add_f32_e32 v12, v12, v14
	s_delay_alu instid0(VALU_DEP_1) | instskip(SKIP_2) | instid1(VALU_DEP_1)
	v_exp_f32_e32 v12, v12
	s_waitcnt_depctr 0xfff
	v_ldexp_f32 v12, v12, v13
	v_cndmask_b32_e32 v12, 0, v12, vcc_lo
	v_cmp_nlt_f32_e32 vcc_lo, 0x42b17218, v60
	s_delay_alu instid0(VALU_DEP_2) | instskip(NEXT) | instid1(VALU_DEP_1)
	v_cndmask_b32_e32 v14, 0x7f800000, v12, vcc_lo
	v_add_f32_e32 v15, 1.0, v14
	s_delay_alu instid0(VALU_DEP_1) | instskip(NEXT) | instid1(VALU_DEP_1)
	v_cvt_f64_f32_e32 v[12:13], v15
	v_frexp_exp_i32_f64_e32 v12, v[12:13]
	v_frexp_mant_f32_e32 v13, v15
	s_delay_alu instid0(VALU_DEP_1) | instskip(SKIP_1) | instid1(VALU_DEP_1)
	v_cmp_gt_f32_e32 vcc_lo, 0x3f2aaaab, v13
	v_add_f32_e32 v13, -1.0, v15
	v_sub_f32_e32 v17, v13, v15
	v_sub_f32_e32 v13, v14, v13
	s_delay_alu instid0(VALU_DEP_2) | instskip(NEXT) | instid1(VALU_DEP_1)
	v_add_f32_e32 v17, 1.0, v17
	v_add_f32_e32 v13, v13, v17
	v_cmp_gt_f32_e64 s6, 0x33800000, v14
	v_subrev_co_ci_u32_e32 v12, vcc_lo, 0, v12, vcc_lo
	v_cmp_eq_f32_e32 vcc_lo, 0x7f800000, v14
	s_delay_alu instid0(VALU_DEP_2) | instskip(SKIP_2) | instid1(VALU_DEP_2)
	v_sub_nc_u32_e32 v16, 0, v12
	v_cvt_f32_i32_e32 v12, v12
	s_or_b32 vcc_lo, s6, vcc_lo
	v_ldexp_f32 v15, v15, v16
	v_ldexp_f32 v13, v13, v16
	s_delay_alu instid0(VALU_DEP_2) | instskip(NEXT) | instid1(VALU_DEP_1)
	v_add_f32_e32 v18, 1.0, v15
	v_dual_add_f32 v16, -1.0, v15 :: v_dual_add_f32 v17, -1.0, v18
	s_delay_alu instid0(VALU_DEP_1) | instskip(NEXT) | instid1(VALU_DEP_2)
	v_add_f32_e32 v19, 1.0, v16
	v_sub_f32_e32 v17, v15, v17
	s_delay_alu instid0(VALU_DEP_2) | instskip(NEXT) | instid1(VALU_DEP_2)
	v_sub_f32_e32 v15, v15, v19
	v_add_f32_e32 v17, v13, v17
	s_delay_alu instid0(VALU_DEP_2) | instskip(NEXT) | instid1(VALU_DEP_2)
	v_add_f32_e32 v13, v13, v15
	v_add_f32_e32 v19, v18, v17
	s_delay_alu instid0(VALU_DEP_2) | instskip(NEXT) | instid1(VALU_DEP_2)
	v_add_f32_e32 v20, v16, v13
	v_rcp_f32_e32 v15, v19
	v_sub_f32_e32 v18, v18, v19
	s_delay_alu instid0(VALU_DEP_1) | instskip(SKIP_2) | instid1(VALU_DEP_1)
	v_dual_sub_f32 v16, v16, v20 :: v_dual_add_f32 v17, v17, v18
	s_waitcnt_depctr 0xfff
	v_mul_f32_e32 v21, v20, v15
	v_mul_f32_e32 v53, v19, v21
	s_delay_alu instid0(VALU_DEP_1) | instskip(NEXT) | instid1(VALU_DEP_1)
	v_fma_f32 v18, v21, v19, -v53
	v_fmac_f32_e32 v18, v21, v17
	s_delay_alu instid0(VALU_DEP_1) | instskip(NEXT) | instid1(VALU_DEP_1)
	v_add_f32_e32 v54, v53, v18
	v_sub_f32_e32 v55, v20, v54
	s_delay_alu instid0(VALU_DEP_1) | instskip(SKIP_1) | instid1(VALU_DEP_2)
	v_dual_sub_f32 v20, v20, v55 :: v_dual_add_f32 v13, v13, v16
	v_sub_f32_e32 v16, v54, v53
	v_sub_f32_e32 v20, v20, v54
	s_delay_alu instid0(VALU_DEP_1) | instskip(NEXT) | instid1(VALU_DEP_1)
	v_dual_sub_f32 v16, v16, v18 :: v_dual_add_f32 v13, v13, v20
	v_add_f32_e32 v13, v16, v13
	s_delay_alu instid0(VALU_DEP_1) | instskip(NEXT) | instid1(VALU_DEP_1)
	v_add_f32_e32 v16, v55, v13
	v_mul_f32_e32 v18, v15, v16
	v_sub_f32_e32 v54, v55, v16
	s_delay_alu instid0(VALU_DEP_2) | instskip(NEXT) | instid1(VALU_DEP_2)
	v_mul_f32_e32 v20, v19, v18
	v_add_f32_e32 v13, v13, v54
	s_delay_alu instid0(VALU_DEP_2) | instskip(NEXT) | instid1(VALU_DEP_1)
	v_fma_f32 v19, v18, v19, -v20
	v_fmac_f32_e32 v19, v18, v17
	s_delay_alu instid0(VALU_DEP_1) | instskip(NEXT) | instid1(VALU_DEP_1)
	v_add_f32_e32 v17, v20, v19
	v_sub_f32_e32 v53, v16, v17
	s_delay_alu instid0(VALU_DEP_1) | instskip(NEXT) | instid1(VALU_DEP_1)
	v_sub_f32_e32 v16, v16, v53
	v_sub_f32_e32 v16, v16, v17
	s_delay_alu instid0(VALU_DEP_1) | instskip(SKIP_2) | instid1(VALU_DEP_1)
	v_add_f32_e32 v13, v13, v16
	v_add_f32_e32 v16, v21, v18
	v_sub_f32_e32 v20, v17, v20
	v_sub_f32_e32 v17, v20, v19
	s_delay_alu instid0(VALU_DEP_1) | instskip(NEXT) | instid1(VALU_DEP_4)
	v_add_f32_e32 v13, v17, v13
	v_sub_f32_e32 v17, v16, v21
	s_delay_alu instid0(VALU_DEP_2) | instskip(NEXT) | instid1(VALU_DEP_2)
	v_add_f32_e32 v13, v53, v13
	v_sub_f32_e32 v17, v18, v17
	s_delay_alu instid0(VALU_DEP_2) | instskip(NEXT) | instid1(VALU_DEP_1)
	v_mul_f32_e32 v13, v15, v13
	v_add_f32_e32 v13, v17, v13
	s_delay_alu instid0(VALU_DEP_1) | instskip(NEXT) | instid1(VALU_DEP_1)
	v_add_f32_e32 v15, v16, v13
	v_mul_f32_e32 v17, v15, v15
	s_delay_alu instid0(VALU_DEP_1) | instskip(SKIP_1) | instid1(VALU_DEP_2)
	v_fmaak_f32 v18, s60, v17, 0x3ecc95a3
	v_mul_f32_e32 v19, v15, v17
	v_fmaak_f32 v17, v17, v18, 0x3f2aaada
	v_ldexp_f32 v18, v15, 1
	s_delay_alu instid0(VALU_DEP_2) | instskip(SKIP_1) | instid1(VALU_DEP_2)
	v_mul_f32_e32 v17, v19, v17
	v_sub_f32_e32 v15, v15, v16
	v_dual_mul_f32 v19, 0x3f317218, v12 :: v_dual_add_f32 v16, v18, v17
	s_delay_alu instid0(VALU_DEP_2) | instskip(NEXT) | instid1(VALU_DEP_2)
	v_sub_f32_e32 v13, v13, v15
	v_sub_f32_e32 v15, v16, v18
	s_delay_alu instid0(VALU_DEP_3) | instskip(NEXT) | instid1(VALU_DEP_3)
	v_fma_f32 v18, 0x3f317218, v12, -v19
	v_ldexp_f32 v13, v13, 1
	s_delay_alu instid0(VALU_DEP_2) | instskip(NEXT) | instid1(VALU_DEP_1)
	v_dual_sub_f32 v15, v17, v15 :: v_dual_fmac_f32 v18, 0xb102e308, v12
	v_dual_add_f32 v12, v13, v15 :: v_dual_add_f32 v13, v19, v18
	s_delay_alu instid0(VALU_DEP_1) | instskip(NEXT) | instid1(VALU_DEP_1)
	v_add_f32_e32 v15, v16, v12
	v_dual_add_f32 v17, v13, v15 :: v_dual_sub_f32 v16, v15, v16
	s_delay_alu instid0(VALU_DEP_1) | instskip(NEXT) | instid1(VALU_DEP_2)
	v_sub_f32_e32 v20, v17, v13
	v_dual_sub_f32 v19, v13, v19 :: v_dual_sub_f32 v12, v12, v16
	s_delay_alu instid0(VALU_DEP_1) | instskip(SKIP_1) | instid1(VALU_DEP_2)
	v_dual_sub_f32 v21, v17, v20 :: v_dual_sub_f32 v18, v18, v19
	v_sub_f32_e32 v15, v15, v20
	v_dual_sub_f32 v13, v13, v21 :: v_dual_add_f32 v16, v18, v12
	s_delay_alu instid0(VALU_DEP_1) | instskip(NEXT) | instid1(VALU_DEP_2)
	v_add_f32_e32 v13, v15, v13
	v_sub_f32_e32 v15, v16, v18
	s_delay_alu instid0(VALU_DEP_2) | instskip(NEXT) | instid1(VALU_DEP_2)
	v_add_f32_e32 v13, v16, v13
	v_sub_f32_e32 v16, v16, v15
	s_delay_alu instid0(VALU_DEP_2) | instskip(NEXT) | instid1(VALU_DEP_1)
	v_dual_sub_f32 v12, v12, v15 :: v_dual_add_f32 v19, v17, v13
	v_dual_sub_f32 v16, v18, v16 :: v_dual_sub_f32 v15, v19, v17
	s_delay_alu instid0(VALU_DEP_1) | instskip(NEXT) | instid1(VALU_DEP_1)
	v_dual_add_f32 v12, v12, v16 :: v_dual_sub_f32 v13, v13, v15
	v_add_f32_e32 v12, v12, v13
	s_delay_alu instid0(VALU_DEP_1) | instskip(NEXT) | instid1(VALU_DEP_1)
	v_add_f32_e32 v12, v19, v12
	v_cndmask_b32_e32 v60, v12, v14, vcc_lo
.LBB9_26:                               ;   in Loop: Header=BB9_12 Depth=1
	s_or_b32 exec_lo, exec_lo, s7
	v_lshlrev_b32_e32 v12, 16, v7
	s_delay_alu instid0(VALU_DEP_1) | instskip(NEXT) | instid1(VALU_DEP_1)
	v_add_f32_e32 v63, s52, v12
	v_cmp_ge_f32_e32 vcc_lo, 0x41a00000, v63
	s_and_b32 s6, s56, vcc_lo
	s_delay_alu instid0(SALU_CYCLE_1)
	s_and_saveexec_b32 s7, s6
	s_cbranch_execz .LBB9_28
; %bb.27:                               ;   in Loop: Header=BB9_12 Depth=1
	v_mul_f32_e32 v12, 0x3fb8aa3b, v63
	v_cmp_ngt_f32_e32 vcc_lo, 0xc2ce8ed0, v63
	s_delay_alu instid0(VALU_DEP_2) | instskip(SKIP_1) | instid1(VALU_DEP_2)
	v_rndne_f32_e32 v13, v12
	v_fma_f32 v14, 0x3fb8aa3b, v63, -v12
	v_sub_f32_e32 v12, v12, v13
	s_delay_alu instid0(VALU_DEP_2) | instskip(SKIP_1) | instid1(VALU_DEP_2)
	v_fmac_f32_e32 v14, 0x32a5705f, v63
	v_cvt_i32_f32_e32 v13, v13
	v_add_f32_e32 v12, v12, v14
	s_delay_alu instid0(VALU_DEP_1) | instskip(SKIP_2) | instid1(VALU_DEP_1)
	v_exp_f32_e32 v12, v12
	s_waitcnt_depctr 0xfff
	v_ldexp_f32 v12, v12, v13
	v_cndmask_b32_e32 v12, 0, v12, vcc_lo
	v_cmp_nlt_f32_e32 vcc_lo, 0x42b17218, v63
	s_delay_alu instid0(VALU_DEP_2) | instskip(NEXT) | instid1(VALU_DEP_1)
	v_cndmask_b32_e32 v14, 0x7f800000, v12, vcc_lo
	v_add_f32_e32 v15, 1.0, v14
	s_delay_alu instid0(VALU_DEP_1) | instskip(NEXT) | instid1(VALU_DEP_1)
	v_cvt_f64_f32_e32 v[12:13], v15
	v_frexp_exp_i32_f64_e32 v12, v[12:13]
	v_frexp_mant_f32_e32 v13, v15
	s_delay_alu instid0(VALU_DEP_1) | instskip(SKIP_1) | instid1(VALU_DEP_1)
	v_cmp_gt_f32_e32 vcc_lo, 0x3f2aaaab, v13
	v_add_f32_e32 v13, -1.0, v15
	v_sub_f32_e32 v17, v13, v15
	v_sub_f32_e32 v13, v14, v13
	s_delay_alu instid0(VALU_DEP_2) | instskip(NEXT) | instid1(VALU_DEP_1)
	v_add_f32_e32 v17, 1.0, v17
	v_add_f32_e32 v13, v13, v17
	v_cmp_gt_f32_e64 s6, 0x33800000, v14
	v_subrev_co_ci_u32_e32 v12, vcc_lo, 0, v12, vcc_lo
	v_cmp_eq_f32_e32 vcc_lo, 0x7f800000, v14
	s_delay_alu instid0(VALU_DEP_2) | instskip(SKIP_2) | instid1(VALU_DEP_2)
	v_sub_nc_u32_e32 v16, 0, v12
	v_cvt_f32_i32_e32 v12, v12
	s_or_b32 vcc_lo, s6, vcc_lo
	v_ldexp_f32 v15, v15, v16
	v_ldexp_f32 v13, v13, v16
	s_delay_alu instid0(VALU_DEP_2) | instskip(NEXT) | instid1(VALU_DEP_1)
	v_add_f32_e32 v18, 1.0, v15
	v_dual_add_f32 v16, -1.0, v15 :: v_dual_add_f32 v17, -1.0, v18
	s_delay_alu instid0(VALU_DEP_1) | instskip(NEXT) | instid1(VALU_DEP_2)
	v_add_f32_e32 v19, 1.0, v16
	v_sub_f32_e32 v17, v15, v17
	s_delay_alu instid0(VALU_DEP_2) | instskip(NEXT) | instid1(VALU_DEP_2)
	v_sub_f32_e32 v15, v15, v19
	v_add_f32_e32 v17, v13, v17
	s_delay_alu instid0(VALU_DEP_2) | instskip(NEXT) | instid1(VALU_DEP_2)
	v_add_f32_e32 v13, v13, v15
	v_add_f32_e32 v19, v18, v17
	s_delay_alu instid0(VALU_DEP_2) | instskip(NEXT) | instid1(VALU_DEP_2)
	v_add_f32_e32 v20, v16, v13
	v_rcp_f32_e32 v15, v19
	v_sub_f32_e32 v18, v18, v19
	s_delay_alu instid0(VALU_DEP_1) | instskip(SKIP_2) | instid1(VALU_DEP_1)
	v_dual_sub_f32 v16, v16, v20 :: v_dual_add_f32 v17, v17, v18
	s_waitcnt_depctr 0xfff
	v_mul_f32_e32 v21, v20, v15
	v_mul_f32_e32 v53, v19, v21
	s_delay_alu instid0(VALU_DEP_1) | instskip(NEXT) | instid1(VALU_DEP_1)
	v_fma_f32 v18, v21, v19, -v53
	v_fmac_f32_e32 v18, v21, v17
	s_delay_alu instid0(VALU_DEP_1) | instskip(NEXT) | instid1(VALU_DEP_1)
	v_add_f32_e32 v54, v53, v18
	v_sub_f32_e32 v55, v20, v54
	s_delay_alu instid0(VALU_DEP_1) | instskip(SKIP_1) | instid1(VALU_DEP_2)
	v_dual_sub_f32 v20, v20, v55 :: v_dual_add_f32 v13, v13, v16
	v_sub_f32_e32 v16, v54, v53
	v_sub_f32_e32 v20, v20, v54
	s_delay_alu instid0(VALU_DEP_1) | instskip(NEXT) | instid1(VALU_DEP_1)
	v_dual_sub_f32 v16, v16, v18 :: v_dual_add_f32 v13, v13, v20
	v_add_f32_e32 v13, v16, v13
	s_delay_alu instid0(VALU_DEP_1) | instskip(NEXT) | instid1(VALU_DEP_1)
	v_add_f32_e32 v16, v55, v13
	v_mul_f32_e32 v18, v15, v16
	v_sub_f32_e32 v54, v55, v16
	s_delay_alu instid0(VALU_DEP_2) | instskip(NEXT) | instid1(VALU_DEP_2)
	v_mul_f32_e32 v20, v19, v18
	v_add_f32_e32 v13, v13, v54
	s_delay_alu instid0(VALU_DEP_2) | instskip(NEXT) | instid1(VALU_DEP_1)
	v_fma_f32 v19, v18, v19, -v20
	v_fmac_f32_e32 v19, v18, v17
	s_delay_alu instid0(VALU_DEP_1) | instskip(NEXT) | instid1(VALU_DEP_1)
	v_add_f32_e32 v17, v20, v19
	v_sub_f32_e32 v53, v16, v17
	s_delay_alu instid0(VALU_DEP_1) | instskip(NEXT) | instid1(VALU_DEP_1)
	v_sub_f32_e32 v16, v16, v53
	v_sub_f32_e32 v16, v16, v17
	s_delay_alu instid0(VALU_DEP_1) | instskip(SKIP_2) | instid1(VALU_DEP_1)
	v_add_f32_e32 v13, v13, v16
	v_add_f32_e32 v16, v21, v18
	v_sub_f32_e32 v20, v17, v20
	v_sub_f32_e32 v17, v20, v19
	s_delay_alu instid0(VALU_DEP_1) | instskip(NEXT) | instid1(VALU_DEP_4)
	v_add_f32_e32 v13, v17, v13
	v_sub_f32_e32 v17, v16, v21
	s_delay_alu instid0(VALU_DEP_2) | instskip(NEXT) | instid1(VALU_DEP_2)
	v_add_f32_e32 v13, v53, v13
	v_sub_f32_e32 v17, v18, v17
	s_delay_alu instid0(VALU_DEP_2) | instskip(NEXT) | instid1(VALU_DEP_1)
	v_mul_f32_e32 v13, v15, v13
	v_add_f32_e32 v13, v17, v13
	s_delay_alu instid0(VALU_DEP_1) | instskip(NEXT) | instid1(VALU_DEP_1)
	v_add_f32_e32 v15, v16, v13
	v_mul_f32_e32 v17, v15, v15
	s_delay_alu instid0(VALU_DEP_1) | instskip(SKIP_1) | instid1(VALU_DEP_2)
	v_fmaak_f32 v18, s60, v17, 0x3ecc95a3
	v_mul_f32_e32 v19, v15, v17
	v_fmaak_f32 v17, v17, v18, 0x3f2aaada
	v_ldexp_f32 v18, v15, 1
	s_delay_alu instid0(VALU_DEP_2) | instskip(SKIP_1) | instid1(VALU_DEP_2)
	v_mul_f32_e32 v17, v19, v17
	v_sub_f32_e32 v15, v15, v16
	v_dual_mul_f32 v19, 0x3f317218, v12 :: v_dual_add_f32 v16, v18, v17
	s_delay_alu instid0(VALU_DEP_2) | instskip(NEXT) | instid1(VALU_DEP_2)
	v_sub_f32_e32 v13, v13, v15
	v_sub_f32_e32 v15, v16, v18
	s_delay_alu instid0(VALU_DEP_3) | instskip(NEXT) | instid1(VALU_DEP_3)
	v_fma_f32 v18, 0x3f317218, v12, -v19
	v_ldexp_f32 v13, v13, 1
	s_delay_alu instid0(VALU_DEP_2) | instskip(NEXT) | instid1(VALU_DEP_1)
	v_dual_sub_f32 v15, v17, v15 :: v_dual_fmac_f32 v18, 0xb102e308, v12
	v_dual_add_f32 v12, v13, v15 :: v_dual_add_f32 v13, v19, v18
	s_delay_alu instid0(VALU_DEP_1) | instskip(NEXT) | instid1(VALU_DEP_1)
	v_add_f32_e32 v15, v16, v12
	v_dual_add_f32 v17, v13, v15 :: v_dual_sub_f32 v16, v15, v16
	s_delay_alu instid0(VALU_DEP_1) | instskip(NEXT) | instid1(VALU_DEP_2)
	v_sub_f32_e32 v20, v17, v13
	v_dual_sub_f32 v19, v13, v19 :: v_dual_sub_f32 v12, v12, v16
	s_delay_alu instid0(VALU_DEP_1) | instskip(SKIP_1) | instid1(VALU_DEP_2)
	v_dual_sub_f32 v21, v17, v20 :: v_dual_sub_f32 v18, v18, v19
	v_sub_f32_e32 v15, v15, v20
	v_dual_sub_f32 v13, v13, v21 :: v_dual_add_f32 v16, v18, v12
	s_delay_alu instid0(VALU_DEP_1) | instskip(NEXT) | instid1(VALU_DEP_2)
	v_add_f32_e32 v13, v15, v13
	v_sub_f32_e32 v15, v16, v18
	s_delay_alu instid0(VALU_DEP_2) | instskip(NEXT) | instid1(VALU_DEP_2)
	v_add_f32_e32 v13, v16, v13
	v_sub_f32_e32 v16, v16, v15
	s_delay_alu instid0(VALU_DEP_2) | instskip(NEXT) | instid1(VALU_DEP_1)
	v_dual_sub_f32 v12, v12, v15 :: v_dual_add_f32 v19, v17, v13
	v_dual_sub_f32 v16, v18, v16 :: v_dual_sub_f32 v15, v19, v17
	s_delay_alu instid0(VALU_DEP_1) | instskip(NEXT) | instid1(VALU_DEP_1)
	v_dual_add_f32 v12, v12, v16 :: v_dual_sub_f32 v13, v13, v15
	v_add_f32_e32 v12, v12, v13
	s_delay_alu instid0(VALU_DEP_1) | instskip(NEXT) | instid1(VALU_DEP_1)
	v_add_f32_e32 v12, v19, v12
	v_cndmask_b32_e32 v63, v12, v14, vcc_lo
.LBB9_28:                               ;   in Loop: Header=BB9_12 Depth=1
	s_or_b32 exec_lo, exec_lo, s7
	v_lshlrev_b32_e32 v12, 16, v48
	s_delay_alu instid0(VALU_DEP_1) | instskip(NEXT) | instid1(VALU_DEP_1)
	v_add_f32_e32 v64, s52, v12
	v_cmp_ge_f32_e32 vcc_lo, 0x41a00000, v64
	s_and_b32 s6, s56, vcc_lo
	s_delay_alu instid0(SALU_CYCLE_1)
	s_and_saveexec_b32 s7, s6
	s_cbranch_execz .LBB9_30
; %bb.29:                               ;   in Loop: Header=BB9_12 Depth=1
	v_mul_f32_e32 v12, 0x3fb8aa3b, v64
	v_cmp_ngt_f32_e32 vcc_lo, 0xc2ce8ed0, v64
	s_delay_alu instid0(VALU_DEP_2) | instskip(SKIP_1) | instid1(VALU_DEP_2)
	v_rndne_f32_e32 v13, v12
	v_fma_f32 v14, 0x3fb8aa3b, v64, -v12
	v_sub_f32_e32 v12, v12, v13
	s_delay_alu instid0(VALU_DEP_2) | instskip(SKIP_1) | instid1(VALU_DEP_2)
	v_fmac_f32_e32 v14, 0x32a5705f, v64
	v_cvt_i32_f32_e32 v13, v13
	v_add_f32_e32 v12, v12, v14
	s_delay_alu instid0(VALU_DEP_1) | instskip(SKIP_2) | instid1(VALU_DEP_1)
	v_exp_f32_e32 v12, v12
	s_waitcnt_depctr 0xfff
	v_ldexp_f32 v12, v12, v13
	v_cndmask_b32_e32 v12, 0, v12, vcc_lo
	v_cmp_nlt_f32_e32 vcc_lo, 0x42b17218, v64
	s_delay_alu instid0(VALU_DEP_2) | instskip(NEXT) | instid1(VALU_DEP_1)
	v_cndmask_b32_e32 v14, 0x7f800000, v12, vcc_lo
	v_add_f32_e32 v15, 1.0, v14
	s_delay_alu instid0(VALU_DEP_1) | instskip(NEXT) | instid1(VALU_DEP_1)
	v_cvt_f64_f32_e32 v[12:13], v15
	v_frexp_exp_i32_f64_e32 v12, v[12:13]
	v_frexp_mant_f32_e32 v13, v15
	s_delay_alu instid0(VALU_DEP_1) | instskip(SKIP_1) | instid1(VALU_DEP_1)
	v_cmp_gt_f32_e32 vcc_lo, 0x3f2aaaab, v13
	v_add_f32_e32 v13, -1.0, v15
	v_sub_f32_e32 v17, v13, v15
	v_sub_f32_e32 v13, v14, v13
	s_delay_alu instid0(VALU_DEP_2) | instskip(NEXT) | instid1(VALU_DEP_1)
	v_add_f32_e32 v17, 1.0, v17
	v_add_f32_e32 v13, v13, v17
	v_cmp_gt_f32_e64 s6, 0x33800000, v14
	v_subrev_co_ci_u32_e32 v12, vcc_lo, 0, v12, vcc_lo
	v_cmp_eq_f32_e32 vcc_lo, 0x7f800000, v14
	s_delay_alu instid0(VALU_DEP_2) | instskip(SKIP_2) | instid1(VALU_DEP_2)
	v_sub_nc_u32_e32 v16, 0, v12
	v_cvt_f32_i32_e32 v12, v12
	s_or_b32 vcc_lo, s6, vcc_lo
	v_ldexp_f32 v15, v15, v16
	v_ldexp_f32 v13, v13, v16
	s_delay_alu instid0(VALU_DEP_2) | instskip(NEXT) | instid1(VALU_DEP_1)
	v_add_f32_e32 v18, 1.0, v15
	v_dual_add_f32 v16, -1.0, v15 :: v_dual_add_f32 v17, -1.0, v18
	s_delay_alu instid0(VALU_DEP_1) | instskip(NEXT) | instid1(VALU_DEP_2)
	v_add_f32_e32 v19, 1.0, v16
	v_sub_f32_e32 v17, v15, v17
	s_delay_alu instid0(VALU_DEP_2) | instskip(NEXT) | instid1(VALU_DEP_2)
	v_sub_f32_e32 v15, v15, v19
	v_add_f32_e32 v17, v13, v17
	s_delay_alu instid0(VALU_DEP_2) | instskip(NEXT) | instid1(VALU_DEP_2)
	v_add_f32_e32 v13, v13, v15
	v_add_f32_e32 v19, v18, v17
	s_delay_alu instid0(VALU_DEP_2) | instskip(NEXT) | instid1(VALU_DEP_2)
	v_add_f32_e32 v20, v16, v13
	v_rcp_f32_e32 v15, v19
	v_sub_f32_e32 v18, v18, v19
	s_delay_alu instid0(VALU_DEP_1) | instskip(SKIP_2) | instid1(VALU_DEP_1)
	v_dual_sub_f32 v16, v16, v20 :: v_dual_add_f32 v17, v17, v18
	s_waitcnt_depctr 0xfff
	v_mul_f32_e32 v21, v20, v15
	v_mul_f32_e32 v53, v19, v21
	s_delay_alu instid0(VALU_DEP_1) | instskip(NEXT) | instid1(VALU_DEP_1)
	v_fma_f32 v18, v21, v19, -v53
	v_fmac_f32_e32 v18, v21, v17
	s_delay_alu instid0(VALU_DEP_1) | instskip(NEXT) | instid1(VALU_DEP_1)
	v_add_f32_e32 v54, v53, v18
	v_sub_f32_e32 v55, v20, v54
	s_delay_alu instid0(VALU_DEP_1) | instskip(SKIP_1) | instid1(VALU_DEP_2)
	v_dual_sub_f32 v20, v20, v55 :: v_dual_add_f32 v13, v13, v16
	v_sub_f32_e32 v16, v54, v53
	v_sub_f32_e32 v20, v20, v54
	s_delay_alu instid0(VALU_DEP_1) | instskip(NEXT) | instid1(VALU_DEP_1)
	v_dual_sub_f32 v16, v16, v18 :: v_dual_add_f32 v13, v13, v20
	v_add_f32_e32 v13, v16, v13
	s_delay_alu instid0(VALU_DEP_1) | instskip(NEXT) | instid1(VALU_DEP_1)
	v_add_f32_e32 v16, v55, v13
	v_mul_f32_e32 v18, v15, v16
	v_sub_f32_e32 v54, v55, v16
	s_delay_alu instid0(VALU_DEP_2) | instskip(NEXT) | instid1(VALU_DEP_2)
	v_mul_f32_e32 v20, v19, v18
	v_add_f32_e32 v13, v13, v54
	s_delay_alu instid0(VALU_DEP_2) | instskip(NEXT) | instid1(VALU_DEP_1)
	v_fma_f32 v19, v18, v19, -v20
	v_fmac_f32_e32 v19, v18, v17
	s_delay_alu instid0(VALU_DEP_1) | instskip(NEXT) | instid1(VALU_DEP_1)
	v_add_f32_e32 v17, v20, v19
	v_sub_f32_e32 v53, v16, v17
	s_delay_alu instid0(VALU_DEP_1) | instskip(NEXT) | instid1(VALU_DEP_1)
	v_sub_f32_e32 v16, v16, v53
	v_sub_f32_e32 v16, v16, v17
	s_delay_alu instid0(VALU_DEP_1) | instskip(SKIP_2) | instid1(VALU_DEP_1)
	v_add_f32_e32 v13, v13, v16
	v_add_f32_e32 v16, v21, v18
	v_sub_f32_e32 v20, v17, v20
	v_sub_f32_e32 v17, v20, v19
	s_delay_alu instid0(VALU_DEP_1) | instskip(NEXT) | instid1(VALU_DEP_4)
	v_add_f32_e32 v13, v17, v13
	v_sub_f32_e32 v17, v16, v21
	s_delay_alu instid0(VALU_DEP_2) | instskip(NEXT) | instid1(VALU_DEP_2)
	v_add_f32_e32 v13, v53, v13
	v_sub_f32_e32 v17, v18, v17
	s_delay_alu instid0(VALU_DEP_2) | instskip(NEXT) | instid1(VALU_DEP_1)
	v_mul_f32_e32 v13, v15, v13
	v_add_f32_e32 v13, v17, v13
	s_delay_alu instid0(VALU_DEP_1) | instskip(NEXT) | instid1(VALU_DEP_1)
	v_add_f32_e32 v15, v16, v13
	v_mul_f32_e32 v17, v15, v15
	s_delay_alu instid0(VALU_DEP_1) | instskip(SKIP_1) | instid1(VALU_DEP_2)
	v_fmaak_f32 v18, s60, v17, 0x3ecc95a3
	v_mul_f32_e32 v19, v15, v17
	v_fmaak_f32 v17, v17, v18, 0x3f2aaada
	v_ldexp_f32 v18, v15, 1
	s_delay_alu instid0(VALU_DEP_2) | instskip(SKIP_1) | instid1(VALU_DEP_2)
	v_mul_f32_e32 v17, v19, v17
	v_sub_f32_e32 v15, v15, v16
	v_dual_mul_f32 v19, 0x3f317218, v12 :: v_dual_add_f32 v16, v18, v17
	s_delay_alu instid0(VALU_DEP_2) | instskip(NEXT) | instid1(VALU_DEP_2)
	v_sub_f32_e32 v13, v13, v15
	v_sub_f32_e32 v15, v16, v18
	s_delay_alu instid0(VALU_DEP_3) | instskip(NEXT) | instid1(VALU_DEP_3)
	v_fma_f32 v18, 0x3f317218, v12, -v19
	v_ldexp_f32 v13, v13, 1
	s_delay_alu instid0(VALU_DEP_2) | instskip(NEXT) | instid1(VALU_DEP_1)
	v_dual_sub_f32 v15, v17, v15 :: v_dual_fmac_f32 v18, 0xb102e308, v12
	v_dual_add_f32 v12, v13, v15 :: v_dual_add_f32 v13, v19, v18
	s_delay_alu instid0(VALU_DEP_1) | instskip(NEXT) | instid1(VALU_DEP_1)
	v_add_f32_e32 v15, v16, v12
	v_dual_add_f32 v17, v13, v15 :: v_dual_sub_f32 v16, v15, v16
	s_delay_alu instid0(VALU_DEP_1) | instskip(NEXT) | instid1(VALU_DEP_2)
	v_sub_f32_e32 v20, v17, v13
	v_dual_sub_f32 v19, v13, v19 :: v_dual_sub_f32 v12, v12, v16
	s_delay_alu instid0(VALU_DEP_1) | instskip(SKIP_1) | instid1(VALU_DEP_2)
	v_dual_sub_f32 v21, v17, v20 :: v_dual_sub_f32 v18, v18, v19
	v_sub_f32_e32 v15, v15, v20
	v_dual_sub_f32 v13, v13, v21 :: v_dual_add_f32 v16, v18, v12
	s_delay_alu instid0(VALU_DEP_1) | instskip(NEXT) | instid1(VALU_DEP_2)
	v_add_f32_e32 v13, v15, v13
	v_sub_f32_e32 v15, v16, v18
	s_delay_alu instid0(VALU_DEP_2) | instskip(NEXT) | instid1(VALU_DEP_2)
	v_add_f32_e32 v13, v16, v13
	v_sub_f32_e32 v16, v16, v15
	s_delay_alu instid0(VALU_DEP_2) | instskip(NEXT) | instid1(VALU_DEP_1)
	v_dual_sub_f32 v12, v12, v15 :: v_dual_add_f32 v19, v17, v13
	v_dual_sub_f32 v16, v18, v16 :: v_dual_sub_f32 v15, v19, v17
	s_delay_alu instid0(VALU_DEP_1) | instskip(NEXT) | instid1(VALU_DEP_1)
	v_dual_add_f32 v12, v12, v16 :: v_dual_sub_f32 v13, v13, v15
	v_add_f32_e32 v12, v12, v13
	s_delay_alu instid0(VALU_DEP_1) | instskip(NEXT) | instid1(VALU_DEP_1)
	v_add_f32_e32 v12, v19, v12
	v_cndmask_b32_e32 v64, v12, v14, vcc_lo
.LBB9_30:                               ;   in Loop: Header=BB9_12 Depth=1
	s_or_b32 exec_lo, exec_lo, s7
	v_lshlrev_b32_e32 v19, 16, v0
	v_lshlrev_b32_e32 v16, 16, v42
	;; [unrolled: 1-line block ×4, first 2 shown]
	s_lshl_b32 s30, s62, 9
	v_dual_mul_f32 v61, s53, v19 :: v_dual_lshlrev_b32 v18, 16, v41
	v_mul_f32_e32 v59, s53, v16
	v_lshlrev_b32_e32 v17, 16, v1
	v_mul_f32_e32 v55, s53, v14
	s_delay_alu instid0(VALU_DEP_4) | instskip(NEXT) | instid1(VALU_DEP_3)
	v_dual_mul_f32 v53, s53, v12 :: v_dual_mul_f32 v62, s53, v18
	v_dual_mul_f32 v58, s53, v17 :: v_dual_lshlrev_b32 v13, 16, v44
	v_lshlrev_b32_e32 v15, 16, v46
	s_and_b32 vcc_lo, exec_lo, s57
	s_delay_alu instid0(VALU_DEP_2) | instskip(SKIP_1) | instid1(VALU_DEP_2)
	v_mul_f32_e32 v54, s53, v13
	s_barrier
	v_mul_f32_e32 v56, s53, v15
	buffer_gl0_inv
	s_cbranch_vccz .LBB9_62
; %bb.31:                               ;   in Loop: Header=BB9_12 Depth=1
	v_dual_mul_f32 v67, v60, v13 :: v_dual_mul_f32 v68, v57, v14
	v_add_nc_u32_e32 v13, -1, v40
	s_sub_i32 s16, s34, s30
	s_cmp_lg_u32 s62, 0
	v_dual_mul_f32 v65, v64, v15 :: v_dual_mul_f32 v66, v63, v12
	s_delay_alu instid0(VALU_DEP_2)
	v_cmp_gt_i32_e32 vcc_lo, 0, v13
	v_and_b32_e32 v12, 15, v40
	v_and_b32_e32 v14, 16, v40
	;; [unrolled: 1-line block ×3, first 2 shown]
	v_add_co_u32 v73, s6, s46, v39
	v_cndmask_b32_e32 v13, v13, v40, vcc_lo
	v_cmp_gt_u32_e32 vcc_lo, s16, v23
	s_cselect_b32 s31, -1, 0
	s_cmp_eq_u32 s62, s59
	v_add_co_ci_u32_e64 v74, null, s47, 0, s6
	v_add_co_u32 v75, s6, s37, v39
	v_cmp_gt_u32_e64 s14, s16, v32
	v_cmp_gt_u32_e64 s15, s16, v33
	s_cselect_b32 s63, -1, 0
	s_or_b32 s13, s58, vcc_lo
	v_cmp_gt_u32_e32 vcc_lo, s16, v34
	v_cmp_gt_u32_e64 s17, s16, v35
	v_cmp_gt_u32_e64 s18, s16, v36
	;; [unrolled: 1-line block ×4, first 2 shown]
	v_dual_mul_f32 v69, v52, v16 :: v_dual_mul_f32 v70, v51, v17
	v_dual_mul_f32 v71, v50, v18 :: v_dual_mul_f32 v72, v49, v19
	v_add_co_ci_u32_e64 v76, null, s49, 0, s6
	v_cmp_ne_u32_e64 s6, 0, v12
	v_cmp_lt_u32_e64 s7, 1, v12
	v_cmp_lt_u32_e64 s8, 3, v12
	;; [unrolled: 1-line block ×3, first 2 shown]
	v_cmp_ne_u32_e64 s10, 0, v14
	v_cmp_eq_u32_e64 s11, 0, v15
	v_lshlrev_b32_e32 v77, 2, v13
	v_cmp_eq_u32_e64 s12, 0, v40
	s_mov_b32 s28, 0
	s_or_b32 s14, s58, s14
	s_or_b32 s15, s58, s15
	s_or_b32 s16, s58, vcc_lo
	s_or_b32 s17, s58, s17
	s_or_b32 s18, s58, s18
	s_or_b32 s19, s58, s19
	s_or_b32 s20, s58, s20
	s_mov_b32 s38, s28
	s_mov_b32 s40, s28
	;; [unrolled: 1-line block ×5, first 2 shown]
	s_branch .LBB9_33
.LBB9_32:                               ;   in Loop: Header=BB9_33 Depth=2
	s_or_b32 exec_lo, exec_lo, s21
	v_cndmask_b32_e64 v17, v95, v19, s12
	v_cndmask_b32_e64 v18, v94, v18, s12
	s_add_i32 s64, s64, -1
	s_add_i32 s65, s65, 8
	s_add_i32 s42, s42, s50
	v_fma_f32 v17, v17, v83, v81
	v_mul_f32_e32 v18, v18, v83
	s_add_i32 s40, s40, s36
	s_add_i32 s38, s38, s48
	;; [unrolled: 1-line block ×3, first 2 shown]
	v_cndmask_b32_e64 v17, v17, v81, s5
	v_cndmask_b32_e64 v18, v18, v83, s5
	s_cmp_eq_u32 s64, 0
	v_and_b32_e32 v19, 0xffff0000, v14
	s_waitcnt lgkmcnt(0)
	s_delay_alu instid0(VALU_DEP_2) | instskip(NEXT) | instid1(VALU_DEP_1)
	v_dual_fmac_f32 v17, v16, v18 :: v_dual_and_b32 v16, 0xffff0000, v12
	v_fmac_f32_e32 v78, v17, v84
	s_delay_alu instid0(VALU_DEP_1) | instskip(NEXT) | instid1(VALU_DEP_3)
	v_fmac_f32_e32 v79, v78, v86
	v_fmac_f32_e32 v62, v78, v16
	s_delay_alu instid0(VALU_DEP_2) | instskip(SKIP_1) | instid1(VALU_DEP_2)
	v_fmac_f32_e32 v80, v79, v87
	v_and_b32_e32 v20, 0xffff0000, v15
	v_dual_fmac_f32 v82, v80, v89 :: v_dual_lshlrev_b32 v15, 16, v15
	s_delay_alu instid0(VALU_DEP_1) | instskip(NEXT) | instid1(VALU_DEP_1)
	v_dual_fmac_f32 v85, v82, v93 :: v_dual_lshlrev_b32 v12, 16, v12
	v_dual_fmac_f32 v61, v17, v12 :: v_dual_and_b32 v18, 0xffff0000, v13
	s_delay_alu instid0(VALU_DEP_2) | instskip(SKIP_1) | instid1(VALU_DEP_2)
	v_dual_fmac_f32 v88, v85, v91 :: v_dual_lshlrev_b32 v13, 16, v13
	v_lshlrev_b32_e32 v14, 16, v14
	v_dual_fmac_f32 v59, v80, v18 :: v_dual_fmac_f32 v58, v79, v13
	v_fmac_f32_e32 v54, v85, v19
	s_delay_alu instid0(VALU_DEP_4) | instskip(NEXT) | instid1(VALU_DEP_4)
	v_fmac_f32_e32 v53, v88, v15
	v_dual_fmac_f32 v55, v82, v14 :: v_dual_fmac_f32 v90, v88, v92
	s_delay_alu instid0(VALU_DEP_1)
	v_fmac_f32_e32 v56, v90, v20
	s_cbranch_scc1 .LBB9_62
.LBB9_33:                               ;   Parent Loop BB9_12 Depth=1
                                        ; =>  This Inner Loop Header: Depth=2
	s_lshl_b64 s[66:67], s[28:29], 2
	s_mov_b32 s39, s29
	s_add_u32 s66, s23, s66
	s_addc_u32 s67, s44, s67
	s_lshl_b64 s[68:69], s[38:39], 1
	s_mov_b32 s41, s29
	v_add_co_u32 v12, vcc_lo, v73, s68
	v_add_co_ci_u32_e32 v13, vcc_lo, s69, v74, vcc_lo
	s_lshl_b64 s[68:69], s[40:41], 1
	s_delay_alu instid0(SALU_CYCLE_1)
	v_add_co_u32 v14, vcc_lo, v75, s68
	v_add_co_ci_u32_e32 v15, vcc_lo, s69, v76, vcc_lo
	global_load_b32 v78, v22, s[66:67]
	global_load_b128 v[16:19], v[12:13], off
	global_load_b128 v[12:15], v[14:15], off
	s_and_not1_b32 vcc_lo, exec_lo, s31
	s_cbranch_vccnz .LBB9_35
; %bb.34:                               ;   in Loop: Header=BB9_33 Depth=2
	v_mov_b32_e32 v20, s65
	ds_load_b64 v[20:21], v20
	s_cbranch_execz .LBB9_36
	s_branch .LBB9_39
.LBB9_35:                               ;   in Loop: Header=BB9_33 Depth=2
                                        ; implicit-def: $vgpr20
.LBB9_36:                               ;   in Loop: Header=BB9_33 Depth=2
	s_waitcnt lgkmcnt(0)
	v_mov_b32_e32 v21, 0
	s_and_not1_b32 vcc_lo, exec_lo, s33
	s_cbranch_vccnz .LBB9_38
; %bb.37:                               ;   in Loop: Header=BB9_33 Depth=2
	s_mov_b32 s43, s29
	s_delay_alu instid0(SALU_CYCLE_1) | instskip(NEXT) | instid1(SALU_CYCLE_1)
	s_lshl_b64 s[66:67], s[42:43], 1
	s_add_u32 s66, s51, s66
	s_addc_u32 s67, s54, s67
	global_load_u16 v20, v22, s[66:67]
	s_waitcnt vmcnt(0)
	v_lshlrev_b32_e32 v21, 16, v20
.LBB9_38:                               ;   in Loop: Header=BB9_33 Depth=2
	v_mov_b32_e32 v20, 1.0
.LBB9_39:                               ;   in Loop: Header=BB9_33 Depth=2
	s_waitcnt vmcnt(2)
	v_mul_f32_e32 v88, 0x3fb8aa3b, v78
	s_waitcnt vmcnt(1)
	v_lshlrev_b32_e32 v78, 16, v16
	s_delay_alu instid0(VALU_DEP_2) | instskip(NEXT) | instid1(VALU_DEP_1)
	v_dual_mul_f32 v81, v88, v50 :: v_dual_and_b32 v16, 0xffff0000, v16
	v_dual_mul_f32 v79, v88, v49 :: v_dual_mul_f32 v16, v71, v16
	s_delay_alu instid0(VALU_DEP_3) | instskip(NEXT) | instid1(VALU_DEP_3)
	v_mul_f32_e32 v78, v72, v78
	v_cmp_gt_f32_e64 s21, 0xc2fc0000, v81
	s_delay_alu instid0(VALU_DEP_3) | instskip(NEXT) | instid1(VALU_DEP_2)
	v_cmp_gt_f32_e32 vcc_lo, 0xc2fc0000, v79
	v_cndmask_b32_e64 v81, 0, 0x42800000, s21
	v_cndmask_b32_e64 v79, 0, 0x42800000, vcc_lo
	v_lshlrev_b32_e32 v80, 16, v17
	v_lshlrev_b32_e32 v82, 16, v18
	v_and_b32_e32 v17, 0xffff0000, v17
	v_fmac_f32_e32 v81, v88, v50
	v_fmac_f32_e32 v79, v88, v49
	v_cndmask_b32_e64 v86, 1.0, 0x1f800000, vcc_lo
	v_cndmask_b32_e64 v87, 1.0, 0x1f800000, s21
	v_dual_mul_f32 v80, v70, v80 :: v_dual_mul_f32 v17, v69, v17
	s_delay_alu instid0(VALU_DEP_4)
	v_exp_f32_e32 v79, v79
	v_exp_f32_e32 v84, v81
	v_cndmask_b32_e64 v81, 0, v78, s13
	v_cndmask_b32_e64 v78, 0, v16, s14
	s_waitcnt_depctr 0xfff
	v_dual_mul_f32 v16, v79, v86 :: v_dual_mul_f32 v79, v84, v87
	v_dual_mul_f32 v83, v88, v51 :: v_dual_and_b32 v18, 0xffff0000, v18
	v_dual_mul_f32 v85, v88, v52 :: v_dual_lshlrev_b32 v90, 16, v19
	v_and_b32_e32 v19, 0xffff0000, v19
	s_delay_alu instid0(VALU_DEP_4) | instskip(NEXT) | instid1(VALU_DEP_4)
	v_cndmask_b32_e64 v84, 1.0, v79, s14
	v_cmp_gt_f32_e64 s22, 0xc2fc0000, v83
	v_mul_f32_e32 v92, v88, v64
	v_cmp_gt_f32_e32 vcc_lo, 0xc2fc0000, v85
	v_mul_f32_e32 v18, v67, v18
	v_mul_f32_e32 v90, v66, v90
	v_cndmask_b32_e64 v83, 0, 0x42800000, s22
	v_cndmask_b32_e64 v79, 1.0, 0x1f800000, s22
	v_cndmask_b32_e64 v85, 0, 0x42800000, vcc_lo
	s_delay_alu instid0(VALU_DEP_3) | instskip(NEXT) | instid1(VALU_DEP_2)
	v_fmac_f32_e32 v83, v88, v51
	v_fmac_f32_e32 v85, v88, v52
	s_delay_alu instid0(VALU_DEP_2) | instskip(SKIP_2) | instid1(VALU_DEP_3)
	v_exp_f32_e32 v86, v83
	v_cndmask_b32_e64 v83, 1.0, v16, s13
	v_mul_f32_e32 v16, v88, v57
	v_exp_f32_e32 v85, v85
	v_mul_f32_e32 v87, v88, v60
	v_mul_f32_e32 v19, v65, v19
	s_delay_alu instid0(VALU_DEP_3) | instskip(NEXT) | instid1(TRANS32_DEP_2)
	v_cmp_gt_f32_e64 s21, 0xc2fc0000, v16
	v_mul_f32_e32 v86, v86, v79
	v_cndmask_b32_e64 v79, 0, v80, s15
	s_delay_alu instid0(VALU_DEP_3) | instskip(SKIP_3) | instid1(VALU_DEP_3)
	v_cndmask_b32_e64 v16, 0, 0x42800000, s21
	v_cndmask_b32_e64 v80, 1.0, 0x1f800000, vcc_lo
	v_cmp_gt_f32_e32 vcc_lo, 0xc2fc0000, v87
	v_cndmask_b32_e64 v86, 1.0, v86, s15
	v_dual_fmac_f32 v16, v88, v57 :: v_dual_mul_f32 v85, v85, v80
	v_cndmask_b32_e64 v89, 0, 0x42800000, vcc_lo
	v_cndmask_b32_e64 v80, 0, v17, s16
	v_cndmask_b32_e64 v17, 1.0, 0x1f800000, s21
	s_delay_alu instid0(VALU_DEP_4) | instskip(SKIP_4) | instid1(VALU_DEP_3)
	v_exp_f32_e32 v16, v16
	v_cndmask_b32_e64 v87, 1.0, v85, s16
	v_fmac_f32_e32 v89, v88, v60
	v_cmp_gt_f32_e64 s21, 0xc2fc0000, v92
	v_fma_f32 v92, v84, v81, v78
	v_exp_f32_e32 v85, v89
	s_waitcnt_depctr 0xfff
	v_mul_f32_e32 v16, v16, v17
	v_cndmask_b32_e64 v17, 1.0, 0x1f800000, vcc_lo
	v_mul_f32_e32 v89, v88, v63
	s_delay_alu instid0(VALU_DEP_1) | instskip(NEXT) | instid1(VALU_DEP_4)
	v_cmp_gt_f32_e32 vcc_lo, 0xc2fc0000, v89
	v_cndmask_b32_e64 v89, 1.0, v16, s17
	s_delay_alu instid0(VALU_DEP_4)
	v_mul_f32_e32 v16, v85, v17
	v_cndmask_b32_e64 v85, 0, v18, s18
	v_mul_f32_e32 v18, v84, v83
	v_cndmask_b32_e64 v91, 0, 0x42800000, vcc_lo
	v_cndmask_b32_e64 v17, 0, 0x42800000, s21
	v_cndmask_b32_e64 v93, 1.0, v16, s18
	s_delay_alu instid0(VALU_DEP_3) | instskip(NEXT) | instid1(VALU_DEP_3)
	v_dual_mul_f32 v16, v18, v86 :: v_dual_fmac_f32 v91, v88, v63
	v_fmac_f32_e32 v17, v88, v64
	v_fma_f32 v18, v92, v86, v79
	v_cndmask_b32_e64 v88, 1.0, 0x1f800000, vcc_lo
	s_delay_alu instid0(VALU_DEP_4)
	v_mul_f32_e32 v16, v16, v87
	v_exp_f32_e32 v91, v91
	v_mul_f32_e32 v82, v68, v82
	v_exp_f32_e32 v17, v17
	v_fma_f32 v18, v18, v87, v80
	v_mul_f32_e32 v16, v16, v89
	s_waitcnt_depctr 0xfff
	v_dual_mul_f32 v16, v16, v93 :: v_dual_mul_f32 v91, v91, v88
	v_cndmask_b32_e64 v82, 0, v82, s17
	v_cndmask_b32_e64 v88, 0, v90, s19
	v_cndmask_b32_e64 v90, 1.0, 0x1f800000, s21
	s_delay_alu instid0(VALU_DEP_4) | instskip(NEXT) | instid1(VALU_DEP_4)
	v_cndmask_b32_e64 v91, 1.0, v91, s19
	v_fma_f32 v18, v18, v89, v82
	s_delay_alu instid0(VALU_DEP_3) | instskip(SKIP_1) | instid1(VALU_DEP_4)
	v_mul_f32_e32 v17, v17, v90
	v_cndmask_b32_e64 v90, 0, v19, s20
	v_mul_f32_e32 v16, v16, v91
	s_delay_alu instid0(VALU_DEP_4) | instskip(NEXT) | instid1(VALU_DEP_4)
	v_fma_f32 v18, v18, v93, v85
	v_cndmask_b32_e64 v92, 1.0, v17, s20
	s_delay_alu instid0(VALU_DEP_2) | instskip(NEXT) | instid1(VALU_DEP_2)
	v_fma_f32 v17, v18, v91, v88
	v_mul_f32_e32 v16, v16, v92
	s_delay_alu instid0(VALU_DEP_2) | instskip(NEXT) | instid1(VALU_DEP_2)
	v_fma_f32 v17, v17, v92, v90
	v_mov_b32_dpp v19, v16 row_shr:1 row_mask:0xf bank_mask:0xf
	s_delay_alu instid0(VALU_DEP_2)
	v_mov_b32_dpp v18, v17 row_shr:1 row_mask:0xf bank_mask:0xf
	s_and_saveexec_b32 s21, s6
; %bb.40:                               ;   in Loop: Header=BB9_33 Depth=2
	s_delay_alu instid0(VALU_DEP_2) | instskip(NEXT) | instid1(VALU_DEP_1)
	v_mul_f32_e32 v19, v16, v19
	v_dual_fmac_f32 v17, v16, v18 :: v_dual_mov_b32 v16, v19
; %bb.41:                               ;   in Loop: Header=BB9_33 Depth=2
	s_or_b32 exec_lo, exec_lo, s21
	s_delay_alu instid0(VALU_DEP_1) | instskip(NEXT) | instid1(VALU_DEP_2)
	v_mov_b32_dpp v18, v16 row_shr:2 row_mask:0xf bank_mask:0xf
	v_mov_b32_dpp v19, v17 row_shr:2 row_mask:0xf bank_mask:0xf
	s_and_saveexec_b32 s21, s7
; %bb.42:                               ;   in Loop: Header=BB9_33 Depth=2
	s_delay_alu instid0(VALU_DEP_1) | instskip(NEXT) | instid1(VALU_DEP_3)
	v_fmac_f32_e32 v17, v16, v19
	v_mul_f32_e32 v16, v16, v18
; %bb.43:                               ;   in Loop: Header=BB9_33 Depth=2
	s_or_b32 exec_lo, exec_lo, s21
	s_delay_alu instid0(VALU_DEP_1) | instskip(NEXT) | instid1(VALU_DEP_3)
	v_mov_b32_dpp v18, v16 row_shr:4 row_mask:0xf bank_mask:0xf
	v_mov_b32_dpp v19, v17 row_shr:4 row_mask:0xf bank_mask:0xf
	s_and_saveexec_b32 s21, s8
; %bb.44:                               ;   in Loop: Header=BB9_33 Depth=2
	s_delay_alu instid0(VALU_DEP_1) | instskip(NEXT) | instid1(VALU_DEP_3)
	v_fmac_f32_e32 v17, v16, v19
	v_mul_f32_e32 v16, v16, v18
; %bb.45:                               ;   in Loop: Header=BB9_33 Depth=2
	s_or_b32 exec_lo, exec_lo, s21
	s_delay_alu instid0(VALU_DEP_1) | instskip(NEXT) | instid1(VALU_DEP_3)
	v_mov_b32_dpp v18, v16 row_shr:8 row_mask:0xf bank_mask:0xf
	v_mov_b32_dpp v19, v17 row_shr:8 row_mask:0xf bank_mask:0xf
	s_and_saveexec_b32 s21, s9
; %bb.46:                               ;   in Loop: Header=BB9_33 Depth=2
	s_delay_alu instid0(VALU_DEP_1) | instskip(NEXT) | instid1(VALU_DEP_3)
	v_fmac_f32_e32 v17, v16, v19
	v_mul_f32_e32 v16, v16, v18
; %bb.47:                               ;   in Loop: Header=BB9_33 Depth=2
	s_or_b32 exec_lo, exec_lo, s21
	ds_swizzle_b32 v19, v16 offset:swizzle(BROADCAST,32,15)
	ds_swizzle_b32 v18, v17 offset:swizzle(BROADCAST,32,15)
	s_and_saveexec_b32 s21, s10
	s_cbranch_execz .LBB9_49
; %bb.48:                               ;   in Loop: Header=BB9_33 Depth=2
	s_waitcnt lgkmcnt(1)
	v_mul_f32_e32 v19, v16, v19
	s_waitcnt lgkmcnt(0)
	s_delay_alu instid0(VALU_DEP_1)
	v_dual_fmac_f32 v17, v16, v18 :: v_dual_mov_b32 v16, v19
.LBB9_49:                               ;   in Loop: Header=BB9_33 Depth=2
	s_or_b32 exec_lo, exec_lo, s21
	s_and_saveexec_b32 s21, s1
	s_cbranch_execz .LBB9_51
; %bb.50:                               ;   in Loop: Header=BB9_33 Depth=2
	ds_store_b64 v24, v[16:17] offset:2112
.LBB9_51:                               ;   in Loop: Header=BB9_33 Depth=2
	s_or_b32 exec_lo, exec_lo, s21
	s_waitcnt vmcnt(0) lgkmcnt(0)
	s_waitcnt_vscnt null, 0x0
	s_barrier
	buffer_gl0_inv
	s_and_saveexec_b32 s21, s2
	s_cbranch_execz .LBB9_53
; %bb.52:                               ;   in Loop: Header=BB9_33 Depth=2
	ds_load_b64 v[18:19], v25 offset:2112
	s_waitcnt lgkmcnt(0)
	v_mov_b32_dpp v94, v18 row_shr:1 row_mask:0xf bank_mask:0xf
	v_mov_b32_dpp v95, v19 row_shr:1 row_mask:0xf bank_mask:0xf
	s_delay_alu instid0(VALU_DEP_2) | instskip(NEXT) | instid1(VALU_DEP_2)
	v_mul_f32_e32 v94, v18, v94
	v_fma_f32 v95, v18, v95, v19
	s_delay_alu instid0(VALU_DEP_2) | instskip(NEXT) | instid1(VALU_DEP_2)
	v_cndmask_b32_e64 v18, v94, v18, s11
	v_cndmask_b32_e64 v19, v95, v19, s11
	ds_store_b64 v25, v[18:19] offset:2112
.LBB9_53:                               ;   in Loop: Header=BB9_33 Depth=2
	s_or_b32 exec_lo, exec_lo, s21
	s_waitcnt lgkmcnt(0)
	s_barrier
	buffer_gl0_inv
                                        ; implicit-def: $vgpr19
	s_and_saveexec_b32 s21, s4
	s_cbranch_execz .LBB9_55
; %bb.54:                               ;   in Loop: Header=BB9_33 Depth=2
	ds_load_b64 v[18:19], v24 offset:2104
	s_waitcnt lgkmcnt(0)
	v_mul_f32_e32 v94, v16, v18
	s_delay_alu instid0(VALU_DEP_1)
	v_dual_fmac_f32 v17, v16, v19 :: v_dual_mov_b32 v16, v94
.LBB9_55:                               ;   in Loop: Header=BB9_33 Depth=2
	s_or_b32 exec_lo, exec_lo, s21
	ds_bpermute_b32 v94, v77, v16
	ds_bpermute_b32 v95, v77, v17
	s_and_saveexec_b32 s21, s3
	s_cbranch_execz .LBB9_59
; %bb.56:                               ;   in Loop: Header=BB9_33 Depth=2
	ds_load_b64 v[16:17], v22 offset:2120
	s_and_saveexec_b32 s22, s5
	s_cbranch_execz .LBB9_58
; %bb.57:                               ;   in Loop: Header=BB9_33 Depth=2
	ds_store_b64 v22, v[20:21] offset:2120
.LBB9_58:                               ;   in Loop: Header=BB9_33 Depth=2
	s_or_b32 exec_lo, exec_lo, s22
	s_waitcnt lgkmcnt(0)
	v_fmac_f32_e32 v17, v16, v21
	s_delay_alu instid0(VALU_DEP_1)
	v_dual_mul_f32 v20, v20, v16 :: v_dual_mov_b32 v21, v17
.LBB9_59:                               ;   in Loop: Header=BB9_33 Depth=2
	s_or_b32 exec_lo, exec_lo, s21
	s_waitcnt lgkmcnt(0)
	s_barrier
	buffer_gl0_inv
	ds_load_b32 v16, v22 offset:2124
	s_and_saveexec_b32 s21, s5
	s_cbranch_execz .LBB9_32
; %bb.60:                               ;   in Loop: Header=BB9_33 Depth=2
	v_mov_b32_e32 v17, s65
	s_and_not1_b32 vcc_lo, exec_lo, s63
	ds_store_b64 v17, v[20:21]
	s_cbranch_vccnz .LBB9_32
; %bb.61:                               ;   in Loop: Header=BB9_33 Depth=2
	v_bfe_u32 v17, v21, 16, 1
	v_cmp_o_f32_e32 vcc_lo, v21, v21
	s_mov_b32 s43, s29
	s_delay_alu instid0(SALU_CYCLE_1) | instskip(NEXT) | instid1(VALU_DEP_2)
	s_lshl_b64 s[66:67], s[42:43], 1
	v_add3_u32 v17, v21, v17, 0x7fff
	s_add_u32 s66, s51, s66
	s_addc_u32 s67, s54, s67
	s_delay_alu instid0(VALU_DEP_1) | instskip(NEXT) | instid1(VALU_DEP_1)
	v_lshrrev_b32_e32 v17, 16, v17
	v_cndmask_b32_e32 v17, 0x7fc0, v17, vcc_lo
	global_store_b16 v22, v17, s[66:67]
	s_branch .LBB9_32
.LBB9_62:                               ;   in Loop: Header=BB9_12 Depth=1
	v_bfe_u32 v12, v61, 16, 1
	v_bfe_u32 v13, v62, 16, 1
	;; [unrolled: 1-line block ×3, first 2 shown]
	v_cmp_o_f32_e32 vcc_lo, v61, v61
	v_bfe_u32 v14, v59, 16, 1
	v_add3_u32 v12, v61, v12, 0x7fff
	v_add3_u32 v13, v62, v13, 0x7fff
	;; [unrolled: 1-line block ×3, first 2 shown]
	v_bfe_u32 v16, v55, 16, 1
	v_add3_u32 v14, v59, v14, 0x7fff
	v_lshrrev_b32_e32 v12, 16, v12
	v_lshrrev_b32_e32 v13, 16, v13
	v_bfe_u32 v17, v53, 16, 1
	v_add3_u32 v16, v55, v16, 0x7fff
	v_lshrrev_b32_e32 v14, 16, v14
	v_cndmask_b32_e32 v12, 0x7fc0, v12, vcc_lo
	v_cmp_o_f32_e32 vcc_lo, v62, v62
	v_bfe_u32 v19, v56, 16, 1
	s_mov_b32 s31, s29
	s_waitcnt_vscnt null, 0x0
	s_lshl_b64 s[10:11], s[30:31], 1
	v_cndmask_b32_e32 v18, 0x7fc0, v13, vcc_lo
	v_lshrrev_b32_e32 v13, 16, v15
	v_cmp_o_f32_e32 vcc_lo, v58, v58
	v_bfe_u32 v15, v54, 16, 1
	s_barrier
	v_perm_b32 v12, v18, v12, 0x5040100
	buffer_gl0_inv
	v_cndmask_b32_e32 v13, 0x7fc0, v13, vcc_lo
	v_cmp_o_f32_e32 vcc_lo, v59, v59
	v_add3_u32 v15, v54, v15, 0x7fff
	v_cndmask_b32_e32 v20, 0x7fc0, v14, vcc_lo
	v_lshrrev_b32_e32 v14, 16, v16
	v_cmp_o_f32_e32 vcc_lo, v55, v55
	v_add3_u32 v16, v53, v17, 0x7fff
	v_lshrrev_b32_e32 v15, 16, v15
	v_add3_u32 v17, v56, v19, 0x7fff
	v_perm_b32 v13, v20, v13, 0x5040100
	v_cndmask_b32_e32 v14, 0x7fc0, v14, vcc_lo
	v_cmp_o_f32_e32 vcc_lo, v54, v54
	v_lshrrev_b32_e32 v16, 16, v16
	v_lshrrev_b32_e32 v17, 16, v17
	v_cndmask_b32_e32 v19, 0x7fc0, v15, vcc_lo
	v_cmp_o_f32_e32 vcc_lo, v53, v53
	s_delay_alu instid0(VALU_DEP_2)
	v_perm_b32 v14, v19, v14, 0x5040100
	v_cndmask_b32_e32 v15, 0x7fc0, v16, vcc_lo
	v_cmp_o_f32_e32 vcc_lo, v56, v56
	v_cndmask_b32_e32 v21, 0x7fc0, v17, vcc_lo
	v_add_co_u32 v16, vcc_lo, v26, s10
	v_add_co_ci_u32_e32 v17, vcc_lo, s11, v27, vcc_lo
	s_delay_alu instid0(VALU_DEP_3)
	v_perm_b32 v15, v21, v15, 0x5040100
	global_store_b128 v[16:17], v[12:15], off
	s_waitcnt_vscnt null, 0x0
	s_barrier
	buffer_gl0_inv
	s_and_saveexec_b32 s6, s0
	s_cbranch_execz .LBB9_11
; %bb.63:                               ;   in Loop: Header=BB9_12 Depth=1
	v_add_co_u32 v8, vcc_lo, v28, s10
	v_add_co_ci_u32_e32 v9, vcc_lo, s11, v29, vcc_lo
	global_load_b128 v[8:11], v[8:9], off
	s_branch .LBB9_11
.LBB9_64:
	s_nop 0
	s_sendmsg sendmsg(MSG_DEALLOC_VGPRS)
	s_endpgm
	.section	.rodata,"a",@progbits
	.p2align	6, 0x0
	.amdhsa_kernel _Z25selective_scan_fwd_kernelI32Selective_Scan_fwd_kernel_traitsILi64ELi8ELi1ELb1ELb1ELb1ELb1ELb0EN3c108BFloat16EfS2_EEv13SSMParamsBase
		.amdhsa_group_segment_fixed_size 0
		.amdhsa_private_segment_fixed_size 0
		.amdhsa_kernarg_size 248
		.amdhsa_user_sgpr_count 14
		.amdhsa_user_sgpr_dispatch_ptr 0
		.amdhsa_user_sgpr_queue_ptr 0
		.amdhsa_user_sgpr_kernarg_segment_ptr 1
		.amdhsa_user_sgpr_dispatch_id 0
		.amdhsa_user_sgpr_private_segment_size 0
		.amdhsa_wavefront_size32 1
		.amdhsa_uses_dynamic_stack 0
		.amdhsa_enable_private_segment 0
		.amdhsa_system_sgpr_workgroup_id_x 1
		.amdhsa_system_sgpr_workgroup_id_y 1
		.amdhsa_system_sgpr_workgroup_id_z 0
		.amdhsa_system_sgpr_workgroup_info 0
		.amdhsa_system_vgpr_workitem_id 0
		.amdhsa_next_free_vgpr 96
		.amdhsa_next_free_sgpr 70
		.amdhsa_reserve_vcc 1
		.amdhsa_float_round_mode_32 0
		.amdhsa_float_round_mode_16_64 0
		.amdhsa_float_denorm_mode_32 3
		.amdhsa_float_denorm_mode_16_64 3
		.amdhsa_dx10_clamp 1
		.amdhsa_ieee_mode 1
		.amdhsa_fp16_overflow 0
		.amdhsa_workgroup_processor_mode 1
		.amdhsa_memory_ordered 1
		.amdhsa_forward_progress 0
		.amdhsa_shared_vgpr_count 0
		.amdhsa_exception_fp_ieee_invalid_op 0
		.amdhsa_exception_fp_denorm_src 0
		.amdhsa_exception_fp_ieee_div_zero 0
		.amdhsa_exception_fp_ieee_overflow 0
		.amdhsa_exception_fp_ieee_underflow 0
		.amdhsa_exception_fp_ieee_inexact 0
		.amdhsa_exception_int_div_zero 0
	.end_amdhsa_kernel
	.section	.text._Z25selective_scan_fwd_kernelI32Selective_Scan_fwd_kernel_traitsILi64ELi8ELi1ELb1ELb1ELb1ELb1ELb0EN3c108BFloat16EfS2_EEv13SSMParamsBase,"axG",@progbits,_Z25selective_scan_fwd_kernelI32Selective_Scan_fwd_kernel_traitsILi64ELi8ELi1ELb1ELb1ELb1ELb1ELb0EN3c108BFloat16EfS2_EEv13SSMParamsBase,comdat
.Lfunc_end9:
	.size	_Z25selective_scan_fwd_kernelI32Selective_Scan_fwd_kernel_traitsILi64ELi8ELi1ELb1ELb1ELb1ELb1ELb0EN3c108BFloat16EfS2_EEv13SSMParamsBase, .Lfunc_end9-_Z25selective_scan_fwd_kernelI32Selective_Scan_fwd_kernel_traitsILi64ELi8ELi1ELb1ELb1ELb1ELb1ELb0EN3c108BFloat16EfS2_EEv13SSMParamsBase
                                        ; -- End function
	.section	.AMDGPU.csdata,"",@progbits
; Kernel info:
; codeLenInByte = 12112
; NumSgprs: 72
; NumVgprs: 96
; ScratchSize: 0
; MemoryBound: 1
; FloatMode: 240
; IeeeMode: 1
; LDSByteSize: 0 bytes/workgroup (compile time only)
; SGPRBlocks: 8
; VGPRBlocks: 11
; NumSGPRsForWavesPerEU: 72
; NumVGPRsForWavesPerEU: 96
; Occupancy: 16
; WaveLimiterHint : 0
; COMPUTE_PGM_RSRC2:SCRATCH_EN: 0
; COMPUTE_PGM_RSRC2:USER_SGPR: 14
; COMPUTE_PGM_RSRC2:TRAP_HANDLER: 0
; COMPUTE_PGM_RSRC2:TGID_X_EN: 1
; COMPUTE_PGM_RSRC2:TGID_Y_EN: 1
; COMPUTE_PGM_RSRC2:TGID_Z_EN: 0
; COMPUTE_PGM_RSRC2:TIDIG_COMP_CNT: 0
	.section	.text._Z25selective_scan_fwd_kernelI32Selective_Scan_fwd_kernel_traitsILi64ELi8ELi1ELb1ELb1ELb1ELb0ELb1EN3c108BFloat16EfS2_EEv13SSMParamsBase,"axG",@progbits,_Z25selective_scan_fwd_kernelI32Selective_Scan_fwd_kernel_traitsILi64ELi8ELi1ELb1ELb1ELb1ELb0ELb1EN3c108BFloat16EfS2_EEv13SSMParamsBase,comdat
	.protected	_Z25selective_scan_fwd_kernelI32Selective_Scan_fwd_kernel_traitsILi64ELi8ELi1ELb1ELb1ELb1ELb0ELb1EN3c108BFloat16EfS2_EEv13SSMParamsBase ; -- Begin function _Z25selective_scan_fwd_kernelI32Selective_Scan_fwd_kernel_traitsILi64ELi8ELi1ELb1ELb1ELb1ELb0ELb1EN3c108BFloat16EfS2_EEv13SSMParamsBase
	.globl	_Z25selective_scan_fwd_kernelI32Selective_Scan_fwd_kernel_traitsILi64ELi8ELi1ELb1ELb1ELb1ELb0ELb1EN3c108BFloat16EfS2_EEv13SSMParamsBase
	.p2align	8
	.type	_Z25selective_scan_fwd_kernelI32Selective_Scan_fwd_kernel_traitsILi64ELi8ELi1ELb1ELb1ELb1ELb0ELb1EN3c108BFloat16EfS2_EEv13SSMParamsBase,@function
_Z25selective_scan_fwd_kernelI32Selective_Scan_fwd_kernel_traitsILi64ELi8ELi1ELb1ELb1ELb1ELb0ELb1EN3c108BFloat16EfS2_EEv13SSMParamsBase: ; @_Z25selective_scan_fwd_kernelI32Selective_Scan_fwd_kernel_traitsILi64ELi8ELi1ELb1ELb1ELb1ELb0ELb1EN3c108BFloat16EfS2_EEv13SSMParamsBase
; %bb.0:
	s_clause 0x2
	s_load_b32 s35, s[0:1], 0x18
	s_load_b128 s[4:7], s[0:1], 0xe0
	s_load_b64 s[10:11], s[0:1], 0xf0
	s_mov_b32 s12, s15
	s_ashr_i32 s15, s14, 31
	s_mov_b32 s33, 0
	s_lshl_b64 s[8:9], s[14:15], 2
	s_waitcnt lgkmcnt(0)
	s_abs_i32 s34, s35
	s_add_u32 s2, s4, s8
	v_cvt_f32_u32_e32 v1, s34
	s_addc_u32 s3, s5, s9
	s_cmp_eq_u64 s[10:11], 0
	s_delay_alu instid0(VALU_DEP_1) | instskip(SKIP_2) | instid1(VALU_DEP_1)
	v_rcp_iflag_f32_e32 v1, v1
	s_waitcnt_depctr 0xfff
	v_mul_f32_e32 v1, 0x4f7ffffe, v1
	v_cvt_u32_f32_e32 v1, v1
	s_delay_alu instid0(VALU_DEP_1)
	v_readfirstlane_b32 s36, v1
	s_cbranch_scc1 .LBB10_2
; %bb.1:
	v_mov_b32_e32 v1, 0
	s_add_u32 s4, s10, s14
	s_addc_u32 s5, s11, s15
	global_load_u8 v1, v1, s[4:5]
	s_waitcnt vmcnt(0)
	v_and_b32_e32 v1, 1, v1
	s_delay_alu instid0(VALU_DEP_1)
	v_cmp_eq_u32_e64 s33, 1, v1
.LBB10_2:
	s_load_b64 s[4:5], s[0:1], 0x20
	s_cmp_eq_u64 s[6:7], 0
	s_cbranch_scc1 .LBB10_4
; %bb.3:
	s_add_u32 s6, s6, s8
	s_addc_u32 s7, s7, s9
	s_load_b32 s14, s[6:7], 0x0
	s_waitcnt lgkmcnt(0)
	s_ashr_i32 s15, s14, 31
.LBB10_4:
	s_waitcnt lgkmcnt(0)
	s_cmp_eq_u64 s[4:5], s[14:15]
	s_cbranch_scc1 .LBB10_140
; %bb.5:
	s_load_b512 s[16:31], s[0:1], 0x88
	s_load_b64 s[10:11], s[2:3], 0x0
	s_mov_b32 s52, 0
	s_mov_b32 s53, 0
	s_waitcnt lgkmcnt(0)
	s_cmp_eq_u64 s[22:23], 0
	s_cbranch_scc1 .LBB10_7
; %bb.6:
	s_ashr_i32 s13, s12, 31
	s_delay_alu instid0(SALU_CYCLE_1) | instskip(NEXT) | instid1(SALU_CYCLE_1)
	s_lshl_b64 s[2:3], s[12:13], 2
	s_add_u32 s2, s22, s2
	s_addc_u32 s3, s23, s3
	s_load_b32 s53, s[2:3], 0x0
.LBB10_7:
	s_cmp_eq_u64 s[28:29], 0
	s_cbranch_scc1 .LBB10_9
; %bb.8:
	s_ashr_i32 s13, s12, 31
	s_delay_alu instid0(SALU_CYCLE_1) | instskip(NEXT) | instid1(SALU_CYCLE_1)
	s_lshl_b64 s[2:3], s[12:13], 2
	s_add_u32 s2, s28, s2
	s_addc_u32 s3, s29, s3
	s_load_b32 s52, s[2:3], 0x0
.LBB10_9:
	s_sub_i32 s54, s11, s10
	s_delay_alu instid0(SALU_CYCLE_1)
	s_cmp_lt_i32 s54, 1
	s_cbranch_scc1 .LBB10_140
; %bb.10:
	s_sub_i32 s2, 0, s34
	s_abs_i32 s5, s12
	s_mul_i32 s4, s2, s36
	s_clause 0x1
	s_load_b64 s[2:3], s[0:1], 0x5c
	s_load_b128 s[44:47], s[0:1], 0x4c
	s_mul_hi_u32 s4, s36, s4
	s_ashr_i32 s7, s35, 31
	s_add_i32 s36, s36, s4
	s_ashr_i32 s4, s12, 31
	s_mul_hi_u32 s6, s5, s36
	s_xor_b32 s7, s4, s7
	s_mul_i32 s8, s6, s34
	s_load_b256 s[36:43], s[0:1], 0x2c
	s_sub_i32 s4, s5, s8
	s_add_i32 s5, s6, 1
	s_sub_i32 s8, s4, s34
	s_cmp_ge_u32 s4, s34
	s_mov_b32 s35, 0
	s_cselect_b32 s5, s5, s6
	s_cselect_b32 s4, s8, s4
	s_add_i32 s6, s5, 1
	s_cmp_ge_u32 s4, s34
	s_load_b128 s[48:51], s[0:1], 0x7c
	s_cselect_b32 s4, s6, s5
	s_waitcnt lgkmcnt(0)
	s_mul_i32 s34, s10, s46
	s_xor_b32 s6, s4, s7
	s_lshl_b64 s[4:5], s[34:35], 1
	s_sub_i32 s6, s6, s7
	s_mul_i32 s34, s47, s12
	s_add_u32 s7, s24, s4
	s_addc_u32 s8, s25, s5
	s_lshl_b64 s[4:5], s[34:35], 1
	s_mul_i32 s34, s10, s2
	s_add_u32 s55, s7, s4
	s_addc_u32 s56, s8, s5
	s_lshl_b64 s[4:5], s[34:35], 1
	;; [unrolled: 4-line block ×4, first 2 shown]
	s_mul_i32 s34, s10, s38
	s_add_u32 s58, s16, s2
	s_addc_u32 s59, s17, s3
	s_load_b64 s[16:17], s[0:1], 0x6c
	s_lshl_b64 s[2:3], s[34:35], 1
	s_mul_i32 s34, s6, s41
	s_add_u32 s7, s18, s2
	s_addc_u32 s8, s19, s3
	s_lshl_b64 s[2:3], s[34:35], 1
	v_dual_mov_b32 v13, 0 :: v_dual_lshlrev_b32 v10, 3, v0
	s_mul_i32 s34, s10, s42
	s_load_b64 s[4:5], s[0:1], 0xc8
	s_add_u32 s41, s7, s2
	s_addc_u32 s51, s8, s3
	s_lshl_b64 s[2:3], s[34:35], 1
	s_mul_i32 s34, s6, s45
	s_add_u32 s7, s20, s2
	v_mbcnt_lo_u32_b32 v1, -1, 0
	v_and_b32_e32 v2, 0x100, v10
	s_addc_u32 s6, s21, s3
	s_lshl_b64 s[2:3], s[34:35], 1
	s_mul_i32 s34, s14, s48
	s_add_u32 s45, s7, s2
	s_addc_u32 s48, s6, s3
	s_lshl_b64 s[2:3], s[34:35], 1
	s_mul_i32 s34, s49, s12
	s_clause 0x1
	s_load_b32 s49, s[0:1], 0xc
	s_load_b32 s0, s[0:1], 0x28
	v_or_b32_e32 v11, v1, v2
	v_and_b32_e32 v6, 32, v0
	v_lshrrev_b32_e32 v4, 5, v2
	v_cmp_gt_u32_e64 s6, 2, v0
	s_waitcnt lgkmcnt(0)
	s_add_u32 s4, s4, s2
	v_or_b32_e32 v12, 0x60, v11
	v_or_b32_e32 v17, 0xa0, v11
	;; [unrolled: 1-line block ×3, first 2 shown]
	s_addc_u32 s5, s5, s3
	s_lshl_b64 s[2:3], s[34:35], 1
	v_lshrrev_b32_e32 v3, 5, v12
	s_add_u32 s60, s4, s2
	v_or_b32_e32 v15, 64, v11
	v_or_b32_e32 v16, 0x80, v11
	;; [unrolled: 1-line block ×3, first 2 shown]
	v_and_b32_e32 v3, 10, v3
	v_lshrrev_b32_e32 v7, 5, v17
	v_lshrrev_b32_e32 v24, 5, v19
	s_addc_u32 s61, s5, s3
	s_add_i32 s1, s54, 0x7ff
	v_lshrrev_b32_e32 v5, 5, v15
	s_lshr_b32 s62, s1, 11
	s_bitcmp1_b32 s0, 0
	v_add_lshl_u32 v3, v3, v11, 1
	v_lshrrev_b32_e32 v8, 5, v16
	v_or_b32_e32 v9, v1, v6
	v_and_b32_e32 v7, 12, v7
	v_lshrrev_b32_e32 v23, 5, v18
	v_and_b32_e32 v26, 14, v24
	s_cselect_b32 s63, -1, 0
	s_cmp_gt_i32 s49, 0
	v_add_lshl_u32 v4, v4, v11, 1
	s_cselect_b32 s64, -1, 0
	s_add_i32 s0, 0, 0x420
	v_add_lshl_u32 v5, v5, v11, 1
	v_add_nc_u32_e32 v22, 0, v3
	v_add_lshl_u32 v8, v8, v11, 1
	v_lshrrev_b32_e32 v25, 2, v9
	v_add_lshl_u32 v7, v7, v11, 1
	v_add_lshl_u32 v33, v23, v11, 1
	;; [unrolled: 1-line block ×3, first 2 shown]
	v_add_nc_u32_e32 v30, s0, v3
	v_and_b32_e32 v3, 15, v1
	s_and_b32 s1, s54, 0x1ff
	v_and_b32_e32 v27, 14, v25
	v_add_nc_u32_e32 v25, 0, v33
	v_add_nc_u32_e32 v26, 0, v34
	;; [unrolled: 1-line block ×7, first 2 shown]
	s_cmp_eq_u32 s1, 0
	v_add_nc_u32_e32 v34, s0, v34
	v_cmp_ne_u32_e64 s0, 0, v3
	v_cmp_lt_u32_e64 s1, 1, v3
	v_cmp_lt_u32_e64 s2, 3, v3
	;; [unrolled: 1-line block ×3, first 2 shown]
	v_add_nc_u32_e32 v3, -1, v1
	v_add_nc_u32_e32 v20, 0, v4
	v_lshrrev_b32_e32 v4, 2, v0
	v_or_b32_e32 v6, 31, v6
	s_mul_i32 s34, s10, s16
	v_cmp_gt_i32_e32 vcc_lo, 0, v3
	s_cselect_b32 s65, -1, 0
	v_and_b32_e32 v4, 8, v4
	s_lshl_b64 s[14:15], s[34:35], 1
	s_add_i32 s66, s62, -1
	v_cndmask_b32_e32 v3, v3, v1, vcc_lo
	s_mul_i32 s34, s17, s12
	v_cmp_eq_u32_e64 s5, v6, v0
	v_cmp_gt_u32_e64 s8, 32, v0
	v_cmp_lt_u32_e64 s9, 31, v0
	v_cmp_eq_u32_e64 s10, 0, v0
	s_add_u32 s11, s30, s14
	v_lshlrev_b32_e32 v0, 1, v1
	s_addc_u32 s14, s31, s15
	s_lshl_b64 s[12:13], s[34:35], 1
	v_add_nc_u32_e32 v35, 0, v4
	v_and_b32_e32 v4, 1, v1
	s_add_u32 s11, s11, s12
	v_lshlrev_b32_e32 v37, 2, v3
	s_addc_u32 s12, s14, s13
	v_lshlrev_b32_e32 v3, 1, v2
	v_add_co_u32 v0, s11, s11, v0
	v_add_nc_u32_e32 v21, 0, v5
	v_lshl_add_u32 v9, v9, 3, v27
	v_and_b32_e32 v5, 16, v1
	v_cmp_eq_u32_e64 s7, 0, v4
	v_add_co_ci_u32_e64 v4, null, s12, 0, s11
	v_add_co_u32 v38, vcc_lo, v0, v3
	v_or_b32_e32 v14, 32, v11
	v_add_nc_u32_e32 v23, 0, v8
	v_add_nc_u32_e32 v24, 0, v7
	v_lshl_add_u32 v27, v9, 1, 0
	v_cmp_ne_u32_e64 s4, 0, v5
	v_add_nc_u32_e32 v36, 0, v10
	v_cmp_eq_u32_e64 s11, 0, v1
	v_add_co_ci_u32_e32 v39, vcc_lo, 0, v4, vcc_lo
	v_or_b32_e32 v40, 1, v10
	v_or_b32_e32 v41, 2, v10
	;; [unrolled: 1-line block ×7, first 2 shown]
	v_lshlrev_b32_e32 v47, 1, v1
	v_lshlrev_b32_e32 v48, 1, v2
	s_mov_b32 s67, 0x3e9b6dac
	s_add_i32 s68, 0, 0x850
	s_mov_b32 s69, 0
	s_branch .LBB10_12
.LBB10_11:                              ;   in Loop: Header=BB10_12 Depth=1
	s_or_b32 exec_lo, exec_lo, s12
	s_add_u32 s57, s57, 0x400
	s_addc_u32 s36, s36, 0
	s_add_u32 s55, s55, 0x400
	s_addc_u32 s56, s56, 0
	;; [unrolled: 2-line block ×4, first 2 shown]
	s_add_i32 s69, s69, 1
	s_delay_alu instid0(SALU_CYCLE_1)
	s_cmp_eq_u32 s69, s62
	s_cbranch_scc1 .LBB10_140
.LBB10_12:                              ; =>This Loop Header: Depth=1
                                        ;     Child Loop BB10_61 Depth 2
	v_add_co_u32 v0, s12, s55, v47
	s_delay_alu instid0(VALU_DEP_1) | instskip(SKIP_1) | instid1(VALU_DEP_2)
	v_add_co_ci_u32_e64 v1, null, s56, 0, s12
	s_lshl_b32 s30, s69, 9
	v_add_co_u32 v0, vcc_lo, v0, v48
	s_sub_i32 s23, s54, s30
	s_delay_alu instid0(VALU_DEP_2)
	v_add_co_ci_u32_e32 v1, vcc_lo, 0, v1, vcc_lo
	v_cmp_gt_u32_e64 s12, s23, v11
	s_waitcnt lgkmcnt(0)
	v_mov_b32_e32 v2, 0
	s_waitcnt_vscnt null, 0x0
	s_barrier
	buffer_gl0_inv
	s_and_saveexec_b32 s13, s12
	s_cbranch_execz .LBB10_14
; %bb.13:                               ;   in Loop: Header=BB10_12 Depth=1
	global_load_u16 v2, v[0:1], off
.LBB10_14:                              ;   in Loop: Header=BB10_12 Depth=1
	s_or_b32 exec_lo, exec_lo, s13
	v_cmp_gt_u32_e64 s13, s23, v14
	v_dual_mov_b32 v3, 0 :: v_dual_mov_b32 v4, 0
	s_delay_alu instid0(VALU_DEP_2)
	s_and_saveexec_b32 s14, s13
	s_cbranch_execz .LBB10_16
; %bb.15:                               ;   in Loop: Header=BB10_12 Depth=1
	global_load_u16 v4, v[0:1], off offset:64
.LBB10_16:                              ;   in Loop: Header=BB10_12 Depth=1
	s_or_b32 exec_lo, exec_lo, s14
	v_cmp_gt_u32_e64 s14, s23, v15
	s_delay_alu instid0(VALU_DEP_1)
	s_and_saveexec_b32 s15, s14
	s_cbranch_execz .LBB10_18
; %bb.17:                               ;   in Loop: Header=BB10_12 Depth=1
	global_load_u16 v3, v[0:1], off offset:128
.LBB10_18:                              ;   in Loop: Header=BB10_12 Depth=1
	s_or_b32 exec_lo, exec_lo, s15
	v_cmp_gt_u32_e64 s15, s23, v12
	v_mov_b32_e32 v5, 0
	v_mov_b32_e32 v7, 0
	s_delay_alu instid0(VALU_DEP_3)
	s_and_saveexec_b32 s16, s15
	s_cbranch_execz .LBB10_20
; %bb.19:                               ;   in Loop: Header=BB10_12 Depth=1
	global_load_u16 v7, v[0:1], off offset:192
.LBB10_20:                              ;   in Loop: Header=BB10_12 Depth=1
	s_or_b32 exec_lo, exec_lo, s16
	v_cmp_gt_u32_e64 s16, s23, v16
	s_delay_alu instid0(VALU_DEP_1)
	s_and_saveexec_b32 s17, s16
	s_cbranch_execz .LBB10_22
; %bb.21:                               ;   in Loop: Header=BB10_12 Depth=1
	global_load_u16 v5, v[0:1], off offset:256
.LBB10_22:                              ;   in Loop: Header=BB10_12 Depth=1
	s_or_b32 exec_lo, exec_lo, s17
	v_cmp_gt_u32_e64 s17, s23, v17
	v_dual_mov_b32 v8, 0 :: v_dual_mov_b32 v9, 0
	s_delay_alu instid0(VALU_DEP_2)
	s_and_saveexec_b32 s18, s17
	s_cbranch_execz .LBB10_24
; %bb.23:                               ;   in Loop: Header=BB10_12 Depth=1
	global_load_u16 v9, v[0:1], off offset:320
.LBB10_24:                              ;   in Loop: Header=BB10_12 Depth=1
	s_or_b32 exec_lo, exec_lo, s18
	v_cmp_gt_u32_e64 s18, s23, v18
	s_delay_alu instid0(VALU_DEP_1)
	s_and_saveexec_b32 s19, s18
	s_cbranch_execz .LBB10_26
; %bb.25:                               ;   in Loop: Header=BB10_12 Depth=1
	global_load_u16 v8, v[0:1], off offset:384
.LBB10_26:                              ;   in Loop: Header=BB10_12 Depth=1
	s_or_b32 exec_lo, exec_lo, s19
	v_cmp_gt_u32_e64 s19, s23, v19
	v_dual_mov_b32 v6, 0 :: v_dual_mov_b32 v49, 0
	s_delay_alu instid0(VALU_DEP_2)
	s_and_saveexec_b32 s20, s19
	s_cbranch_execz .LBB10_28
; %bb.27:                               ;   in Loop: Header=BB10_12 Depth=1
	global_load_u16 v49, v[0:1], off offset:448
.LBB10_28:                              ;   in Loop: Header=BB10_12 Depth=1
	s_or_b32 exec_lo, exec_lo, s20
	s_waitcnt vmcnt(0)
	ds_store_b16 v20, v2
	ds_store_b16 v20, v4 offset:64
	ds_store_b16 v21, v3 offset:128
	;; [unrolled: 1-line block ×7, first 2 shown]
	; wave barrier
	ds_load_b128 v[0:3], v27
	v_add_co_u32 v4, s20, s57, v47
	s_delay_alu instid0(VALU_DEP_1) | instskip(SKIP_1) | instid1(VALU_DEP_2)
	v_add_co_ci_u32_e64 v5, null, s36, 0, s20
	s_waitcnt lgkmcnt(0)
	v_add_co_u32 v4, vcc_lo, v4, v48
	s_delay_alu instid0(VALU_DEP_2)
	v_add_co_ci_u32_e32 v5, vcc_lo, 0, v5, vcc_lo
	s_barrier
	buffer_gl0_inv
	s_and_saveexec_b32 s20, s12
	s_cbranch_execz .LBB10_30
; %bb.29:                               ;   in Loop: Header=BB10_12 Depth=1
	global_load_u16 v6, v[4:5], off
.LBB10_30:                              ;   in Loop: Header=BB10_12 Depth=1
	s_or_b32 exec_lo, exec_lo, s20
	v_dual_mov_b32 v7, 0 :: v_dual_mov_b32 v8, 0
	s_and_saveexec_b32 s20, s13
	s_cbranch_execz .LBB10_32
; %bb.31:                               ;   in Loop: Header=BB10_12 Depth=1
	global_load_u16 v8, v[4:5], off offset:64
.LBB10_32:                              ;   in Loop: Header=BB10_12 Depth=1
	s_or_b32 exec_lo, exec_lo, s20
	s_and_saveexec_b32 s20, s14
	s_cbranch_execz .LBB10_34
; %bb.33:                               ;   in Loop: Header=BB10_12 Depth=1
	global_load_u16 v7, v[4:5], off offset:128
.LBB10_34:                              ;   in Loop: Header=BB10_12 Depth=1
	s_or_b32 exec_lo, exec_lo, s20
	v_mov_b32_e32 v9, 0
	v_mov_b32_e32 v49, 0
	s_and_saveexec_b32 s20, s15
	s_cbranch_execz .LBB10_36
; %bb.35:                               ;   in Loop: Header=BB10_12 Depth=1
	global_load_u16 v49, v[4:5], off offset:192
.LBB10_36:                              ;   in Loop: Header=BB10_12 Depth=1
	s_or_b32 exec_lo, exec_lo, s20
	s_and_saveexec_b32 s20, s16
	s_cbranch_execz .LBB10_38
; %bb.37:                               ;   in Loop: Header=BB10_12 Depth=1
	global_load_u16 v9, v[4:5], off offset:256
.LBB10_38:                              ;   in Loop: Header=BB10_12 Depth=1
	s_or_b32 exec_lo, exec_lo, s20
	v_dual_mov_b32 v50, 0 :: v_dual_mov_b32 v51, 0
	s_and_saveexec_b32 s20, s17
	s_cbranch_execnz .LBB10_130
; %bb.39:                               ;   in Loop: Header=BB10_12 Depth=1
	s_or_b32 exec_lo, exec_lo, s20
	s_and_saveexec_b32 s20, s18
	s_cbranch_execnz .LBB10_131
.LBB10_40:                              ;   in Loop: Header=BB10_12 Depth=1
	s_or_b32 exec_lo, exec_lo, s20
	v_mov_b32_e32 v52, 0
	s_and_saveexec_b32 s20, s19
	s_cbranch_execz .LBB10_42
.LBB10_41:                              ;   in Loop: Header=BB10_12 Depth=1
	global_load_u16 v52, v[4:5], off offset:448
.LBB10_42:                              ;   in Loop: Header=BB10_12 Depth=1
	s_or_b32 exec_lo, exec_lo, s20
	s_waitcnt vmcnt(0)
	ds_store_b16 v20, v6
	ds_store_b16 v20, v8 offset:64
	ds_store_b16 v21, v7 offset:128
	;; [unrolled: 1-line block ×7, first 2 shown]
	; wave barrier
	ds_load_b128 v[4:7], v27
	s_waitcnt lgkmcnt(0)
	v_lshlrev_b32_e32 v8, 16, v4
	s_delay_alu instid0(VALU_DEP_1) | instskip(NEXT) | instid1(VALU_DEP_1)
	v_add_f32_e32 v49, s52, v8
	v_cmp_ge_f32_e32 vcc_lo, 0x41a00000, v49
	s_and_b32 s20, s63, vcc_lo
	s_delay_alu instid0(SALU_CYCLE_1)
	s_and_saveexec_b32 s21, s20
	s_cbranch_execz .LBB10_44
; %bb.43:                               ;   in Loop: Header=BB10_12 Depth=1
	v_mul_f32_e32 v8, 0x3fb8aa3b, v49
	v_cmp_ngt_f32_e32 vcc_lo, 0xc2ce8ed0, v49
	s_delay_alu instid0(VALU_DEP_2) | instskip(SKIP_1) | instid1(VALU_DEP_2)
	v_rndne_f32_e32 v9, v8
	v_fma_f32 v50, 0x3fb8aa3b, v49, -v8
	v_sub_f32_e32 v8, v8, v9
	s_delay_alu instid0(VALU_DEP_2) | instskip(SKIP_1) | instid1(VALU_DEP_2)
	v_fmac_f32_e32 v50, 0x32a5705f, v49
	v_cvt_i32_f32_e32 v9, v9
	v_add_f32_e32 v8, v8, v50
	s_delay_alu instid0(VALU_DEP_1) | instskip(SKIP_2) | instid1(VALU_DEP_1)
	v_exp_f32_e32 v8, v8
	s_waitcnt_depctr 0xfff
	v_ldexp_f32 v8, v8, v9
	v_cndmask_b32_e32 v8, 0, v8, vcc_lo
	v_cmp_nlt_f32_e32 vcc_lo, 0x42b17218, v49
	s_delay_alu instid0(VALU_DEP_2) | instskip(NEXT) | instid1(VALU_DEP_1)
	v_cndmask_b32_e32 v49, 0x7f800000, v8, vcc_lo
	v_add_f32_e32 v50, 1.0, v49
	s_delay_alu instid0(VALU_DEP_1) | instskip(NEXT) | instid1(VALU_DEP_1)
	v_cvt_f64_f32_e32 v[8:9], v50
	v_frexp_exp_i32_f64_e32 v8, v[8:9]
	v_frexp_mant_f32_e32 v9, v50
	s_delay_alu instid0(VALU_DEP_1) | instskip(SKIP_1) | instid1(VALU_DEP_1)
	v_cmp_gt_f32_e32 vcc_lo, 0x3f2aaaab, v9
	v_add_f32_e32 v9, -1.0, v50
	v_sub_f32_e32 v52, v9, v50
	v_sub_f32_e32 v9, v49, v9
	v_cmp_gt_f32_e64 s20, 0x33800000, v49
	s_delay_alu instid0(VALU_DEP_3) | instskip(NEXT) | instid1(VALU_DEP_1)
	v_add_f32_e32 v52, 1.0, v52
	v_add_f32_e32 v9, v9, v52
	v_subrev_co_ci_u32_e32 v8, vcc_lo, 0, v8, vcc_lo
	v_cmp_eq_f32_e32 vcc_lo, 0x7f800000, v49
	s_delay_alu instid0(VALU_DEP_2) | instskip(SKIP_2) | instid1(VALU_DEP_2)
	v_sub_nc_u32_e32 v51, 0, v8
	v_cvt_f32_i32_e32 v8, v8
	s_or_b32 vcc_lo, s20, vcc_lo
	v_ldexp_f32 v50, v50, v51
	v_ldexp_f32 v9, v9, v51
	s_delay_alu instid0(VALU_DEP_2) | instskip(NEXT) | instid1(VALU_DEP_1)
	v_add_f32_e32 v53, 1.0, v50
	v_dual_add_f32 v51, -1.0, v50 :: v_dual_add_f32 v52, -1.0, v53
	s_delay_alu instid0(VALU_DEP_1) | instskip(NEXT) | instid1(VALU_DEP_2)
	v_add_f32_e32 v54, 1.0, v51
	v_sub_f32_e32 v52, v50, v52
	s_delay_alu instid0(VALU_DEP_2) | instskip(NEXT) | instid1(VALU_DEP_2)
	v_sub_f32_e32 v50, v50, v54
	v_add_f32_e32 v52, v9, v52
	s_delay_alu instid0(VALU_DEP_2) | instskip(NEXT) | instid1(VALU_DEP_1)
	v_add_f32_e32 v9, v9, v50
	v_dual_add_f32 v55, v51, v9 :: v_dual_add_f32 v54, v53, v52
	s_delay_alu instid0(VALU_DEP_1) | instskip(NEXT) | instid1(VALU_DEP_2)
	v_sub_f32_e32 v51, v51, v55
	v_rcp_f32_e32 v50, v54
	v_sub_f32_e32 v53, v53, v54
	s_delay_alu instid0(VALU_DEP_1) | instskip(SKIP_2) | instid1(VALU_DEP_1)
	v_dual_add_f32 v9, v9, v51 :: v_dual_add_f32 v52, v52, v53
	s_waitcnt_depctr 0xfff
	v_mul_f32_e32 v56, v55, v50
	v_mul_f32_e32 v57, v54, v56
	s_delay_alu instid0(VALU_DEP_1) | instskip(NEXT) | instid1(VALU_DEP_1)
	v_fma_f32 v53, v56, v54, -v57
	v_fmac_f32_e32 v53, v56, v52
	s_delay_alu instid0(VALU_DEP_1) | instskip(NEXT) | instid1(VALU_DEP_1)
	v_add_f32_e32 v58, v57, v53
	v_sub_f32_e32 v59, v55, v58
	s_delay_alu instid0(VALU_DEP_1) | instskip(NEXT) | instid1(VALU_DEP_1)
	v_sub_f32_e32 v55, v55, v59
	v_sub_f32_e32 v55, v55, v58
	;; [unrolled: 1-line block ×3, first 2 shown]
	s_delay_alu instid0(VALU_DEP_2) | instskip(NEXT) | instid1(VALU_DEP_2)
	v_add_f32_e32 v9, v9, v55
	v_sub_f32_e32 v51, v51, v53
	s_delay_alu instid0(VALU_DEP_1) | instskip(NEXT) | instid1(VALU_DEP_1)
	v_add_f32_e32 v9, v51, v9
	v_add_f32_e32 v51, v59, v9
	s_delay_alu instid0(VALU_DEP_1) | instskip(NEXT) | instid1(VALU_DEP_1)
	v_mul_f32_e32 v53, v50, v51
	v_dual_sub_f32 v58, v59, v51 :: v_dual_mul_f32 v55, v54, v53
	s_delay_alu instid0(VALU_DEP_1) | instskip(NEXT) | instid1(VALU_DEP_2)
	v_add_f32_e32 v9, v9, v58
	v_fma_f32 v54, v53, v54, -v55
	s_delay_alu instid0(VALU_DEP_1) | instskip(NEXT) | instid1(VALU_DEP_1)
	v_fmac_f32_e32 v54, v53, v52
	v_add_f32_e32 v52, v55, v54
	s_delay_alu instid0(VALU_DEP_1) | instskip(NEXT) | instid1(VALU_DEP_1)
	v_sub_f32_e32 v57, v51, v52
	v_sub_f32_e32 v51, v51, v57
	s_delay_alu instid0(VALU_DEP_1) | instskip(NEXT) | instid1(VALU_DEP_1)
	v_sub_f32_e32 v51, v51, v52
	v_add_f32_e32 v9, v9, v51
	v_add_f32_e32 v51, v56, v53
	v_sub_f32_e32 v55, v52, v55
	s_delay_alu instid0(VALU_DEP_1) | instskip(NEXT) | instid1(VALU_DEP_1)
	v_sub_f32_e32 v52, v55, v54
	v_dual_add_f32 v9, v52, v9 :: v_dual_sub_f32 v52, v51, v56
	s_delay_alu instid0(VALU_DEP_1) | instskip(NEXT) | instid1(VALU_DEP_1)
	v_add_f32_e32 v9, v57, v9
	v_dual_sub_f32 v52, v53, v52 :: v_dual_mul_f32 v9, v50, v9
	s_delay_alu instid0(VALU_DEP_1) | instskip(NEXT) | instid1(VALU_DEP_1)
	v_add_f32_e32 v9, v52, v9
	v_add_f32_e32 v50, v51, v9
	s_delay_alu instid0(VALU_DEP_1) | instskip(NEXT) | instid1(VALU_DEP_1)
	v_mul_f32_e32 v52, v50, v50
	v_fmaak_f32 v53, s67, v52, 0x3ecc95a3
	v_mul_f32_e32 v54, v50, v52
	s_delay_alu instid0(VALU_DEP_2) | instskip(SKIP_2) | instid1(VALU_DEP_3)
	v_fmaak_f32 v52, v52, v53, 0x3f2aaada
	v_ldexp_f32 v53, v50, 1
	v_sub_f32_e32 v50, v50, v51
	v_mul_f32_e32 v52, v54, v52
	v_mul_f32_e32 v54, 0x3f317218, v8
	s_delay_alu instid0(VALU_DEP_2) | instskip(NEXT) | instid1(VALU_DEP_1)
	v_add_f32_e32 v51, v53, v52
	v_dual_sub_f32 v9, v9, v50 :: v_dual_sub_f32 v50, v51, v53
	s_delay_alu instid0(VALU_DEP_3) | instskip(NEXT) | instid1(VALU_DEP_2)
	v_fma_f32 v53, 0x3f317218, v8, -v54
	v_ldexp_f32 v9, v9, 1
	s_delay_alu instid0(VALU_DEP_2) | instskip(NEXT) | instid1(VALU_DEP_1)
	v_dual_sub_f32 v50, v52, v50 :: v_dual_fmac_f32 v53, 0xb102e308, v8
	v_dual_add_f32 v8, v9, v50 :: v_dual_add_f32 v9, v54, v53
	s_delay_alu instid0(VALU_DEP_1) | instskip(NEXT) | instid1(VALU_DEP_1)
	v_add_f32_e32 v50, v51, v8
	v_add_f32_e32 v52, v9, v50
	s_delay_alu instid0(VALU_DEP_1) | instskip(NEXT) | instid1(VALU_DEP_1)
	v_sub_f32_e32 v55, v52, v9
	v_sub_f32_e32 v56, v52, v55
	;; [unrolled: 1-line block ×4, first 2 shown]
	s_delay_alu instid0(VALU_DEP_2) | instskip(SKIP_1) | instid1(VALU_DEP_1)
	v_sub_f32_e32 v8, v8, v51
	v_sub_f32_e32 v54, v9, v54
	;; [unrolled: 1-line block ×3, first 2 shown]
	s_delay_alu instid0(VALU_DEP_1) | instskip(SKIP_1) | instid1(VALU_DEP_1)
	v_add_f32_e32 v51, v53, v8
	v_sub_f32_e32 v9, v9, v56
	v_add_f32_e32 v9, v50, v9
	s_delay_alu instid0(VALU_DEP_3) | instskip(NEXT) | instid1(VALU_DEP_1)
	v_sub_f32_e32 v50, v51, v53
	v_dual_sub_f32 v8, v8, v50 :: v_dual_add_f32 v9, v51, v9
	s_delay_alu instid0(VALU_DEP_1) | instskip(NEXT) | instid1(VALU_DEP_1)
	v_dual_sub_f32 v51, v51, v50 :: v_dual_add_f32 v54, v52, v9
	v_dual_sub_f32 v51, v53, v51 :: v_dual_sub_f32 v50, v54, v52
	s_delay_alu instid0(VALU_DEP_1) | instskip(NEXT) | instid1(VALU_DEP_1)
	v_dual_add_f32 v8, v8, v51 :: v_dual_sub_f32 v9, v9, v50
	v_add_f32_e32 v8, v8, v9
	s_delay_alu instid0(VALU_DEP_1) | instskip(NEXT) | instid1(VALU_DEP_1)
	v_add_f32_e32 v8, v54, v8
	v_cndmask_b32_e32 v49, v8, v49, vcc_lo
.LBB10_44:                              ;   in Loop: Header=BB10_12 Depth=1
	s_or_b32 exec_lo, exec_lo, s21
	v_and_b32_e32 v4, 0xffff0000, v4
	s_delay_alu instid0(VALU_DEP_1) | instskip(NEXT) | instid1(VALU_DEP_1)
	v_add_f32_e32 v50, s52, v4
	v_cmp_ge_f32_e32 vcc_lo, 0x41a00000, v50
	s_and_b32 s20, s63, vcc_lo
	s_delay_alu instid0(SALU_CYCLE_1)
	s_and_saveexec_b32 s21, s20
	s_cbranch_execz .LBB10_46
; %bb.45:                               ;   in Loop: Header=BB10_12 Depth=1
	v_mul_f32_e32 v4, 0x3fb8aa3b, v50
	v_cmp_ngt_f32_e32 vcc_lo, 0xc2ce8ed0, v50
	s_delay_alu instid0(VALU_DEP_2) | instskip(SKIP_1) | instid1(VALU_DEP_1)
	v_rndne_f32_e32 v8, v4
	v_fma_f32 v9, 0x3fb8aa3b, v50, -v4
	v_dual_sub_f32 v4, v4, v8 :: v_dual_fmac_f32 v9, 0x32a5705f, v50
	v_cvt_i32_f32_e32 v8, v8
	s_delay_alu instid0(VALU_DEP_2) | instskip(NEXT) | instid1(VALU_DEP_1)
	v_add_f32_e32 v4, v4, v9
	v_exp_f32_e32 v4, v4
	s_waitcnt_depctr 0xfff
	v_ldexp_f32 v4, v4, v8
	s_delay_alu instid0(VALU_DEP_1) | instskip(SKIP_1) | instid1(VALU_DEP_2)
	v_cndmask_b32_e32 v4, 0, v4, vcc_lo
	v_cmp_nlt_f32_e32 vcc_lo, 0x42b17218, v50
	v_cndmask_b32_e32 v4, 0x7f800000, v4, vcc_lo
	s_delay_alu instid0(VALU_DEP_1) | instskip(NEXT) | instid1(VALU_DEP_1)
	v_add_f32_e32 v50, 1.0, v4
	v_cvt_f64_f32_e32 v[8:9], v50
	s_delay_alu instid0(VALU_DEP_1) | instskip(SKIP_1) | instid1(VALU_DEP_1)
	v_frexp_exp_i32_f64_e32 v8, v[8:9]
	v_frexp_mant_f32_e32 v9, v50
	v_cmp_gt_f32_e32 vcc_lo, 0x3f2aaaab, v9
	v_add_f32_e32 v9, -1.0, v50
	s_delay_alu instid0(VALU_DEP_1) | instskip(NEXT) | instid1(VALU_DEP_1)
	v_dual_sub_f32 v52, v9, v50 :: v_dual_sub_f32 v9, v4, v9
	v_add_f32_e32 v52, 1.0, v52
	s_delay_alu instid0(VALU_DEP_1) | instskip(SKIP_1) | instid1(VALU_DEP_1)
	v_add_f32_e32 v9, v9, v52
	v_subrev_co_ci_u32_e32 v8, vcc_lo, 0, v8, vcc_lo
	v_sub_nc_u32_e32 v51, 0, v8
	v_cvt_f32_i32_e32 v8, v8
	s_delay_alu instid0(VALU_DEP_2) | instskip(SKIP_1) | instid1(VALU_DEP_2)
	v_ldexp_f32 v50, v50, v51
	v_ldexp_f32 v9, v9, v51
	v_add_f32_e32 v53, 1.0, v50
	v_add_f32_e32 v51, -1.0, v50
	v_cmp_eq_f32_e32 vcc_lo, 0x7f800000, v4
	v_cmp_gt_f32_e64 s20, 0x33800000, v4
	s_delay_alu instid0(VALU_DEP_4) | instskip(NEXT) | instid1(VALU_DEP_4)
	v_add_f32_e32 v52, -1.0, v53
	v_add_f32_e32 v54, 1.0, v51
	s_delay_alu instid0(VALU_DEP_3) | instskip(NEXT) | instid1(VALU_DEP_2)
	s_or_b32 vcc_lo, s20, vcc_lo
	v_sub_f32_e32 v52, v50, v52
	s_delay_alu instid0(VALU_DEP_2) | instskip(NEXT) | instid1(VALU_DEP_2)
	v_sub_f32_e32 v50, v50, v54
	v_add_f32_e32 v52, v9, v52
	s_delay_alu instid0(VALU_DEP_2) | instskip(NEXT) | instid1(VALU_DEP_1)
	v_add_f32_e32 v9, v9, v50
	v_add_f32_e32 v55, v51, v9
	s_delay_alu instid0(VALU_DEP_1) | instskip(NEXT) | instid1(VALU_DEP_1)
	v_dual_sub_f32 v51, v51, v55 :: v_dual_add_f32 v54, v53, v52
	v_add_f32_e32 v9, v9, v51
	s_delay_alu instid0(VALU_DEP_2) | instskip(SKIP_1) | instid1(VALU_DEP_1)
	v_rcp_f32_e32 v50, v54
	v_sub_f32_e32 v53, v53, v54
	v_add_f32_e32 v52, v52, v53
	s_waitcnt_depctr 0xfff
	v_mul_f32_e32 v56, v55, v50
	s_delay_alu instid0(VALU_DEP_1) | instskip(NEXT) | instid1(VALU_DEP_1)
	v_mul_f32_e32 v57, v54, v56
	v_fma_f32 v53, v56, v54, -v57
	s_delay_alu instid0(VALU_DEP_1) | instskip(NEXT) | instid1(VALU_DEP_1)
	v_fmac_f32_e32 v53, v56, v52
	v_add_f32_e32 v58, v57, v53
	s_delay_alu instid0(VALU_DEP_1) | instskip(SKIP_1) | instid1(VALU_DEP_2)
	v_sub_f32_e32 v59, v55, v58
	v_sub_f32_e32 v51, v58, v57
	;; [unrolled: 1-line block ×3, first 2 shown]
	s_delay_alu instid0(VALU_DEP_2) | instskip(NEXT) | instid1(VALU_DEP_2)
	v_sub_f32_e32 v51, v51, v53
	v_sub_f32_e32 v55, v55, v58
	s_delay_alu instid0(VALU_DEP_1) | instskip(NEXT) | instid1(VALU_DEP_1)
	v_add_f32_e32 v9, v9, v55
	v_add_f32_e32 v9, v51, v9
	s_delay_alu instid0(VALU_DEP_1) | instskip(NEXT) | instid1(VALU_DEP_1)
	v_add_f32_e32 v51, v59, v9
	v_mul_f32_e32 v53, v50, v51
	s_delay_alu instid0(VALU_DEP_1) | instskip(NEXT) | instid1(VALU_DEP_1)
	v_dual_sub_f32 v58, v59, v51 :: v_dual_mul_f32 v55, v54, v53
	v_add_f32_e32 v9, v9, v58
	s_delay_alu instid0(VALU_DEP_2) | instskip(NEXT) | instid1(VALU_DEP_1)
	v_fma_f32 v54, v53, v54, -v55
	v_fmac_f32_e32 v54, v53, v52
	s_delay_alu instid0(VALU_DEP_1) | instskip(NEXT) | instid1(VALU_DEP_1)
	v_add_f32_e32 v52, v55, v54
	v_sub_f32_e32 v57, v51, v52
	s_delay_alu instid0(VALU_DEP_1) | instskip(NEXT) | instid1(VALU_DEP_1)
	v_sub_f32_e32 v51, v51, v57
	v_sub_f32_e32 v51, v51, v52
	s_delay_alu instid0(VALU_DEP_1) | instskip(SKIP_2) | instid1(VALU_DEP_1)
	v_add_f32_e32 v9, v9, v51
	v_add_f32_e32 v51, v56, v53
	v_sub_f32_e32 v55, v52, v55
	v_sub_f32_e32 v52, v55, v54
	s_delay_alu instid0(VALU_DEP_1) | instskip(NEXT) | instid1(VALU_DEP_1)
	v_dual_add_f32 v9, v52, v9 :: v_dual_sub_f32 v52, v51, v56
	v_add_f32_e32 v9, v57, v9
	s_delay_alu instid0(VALU_DEP_1) | instskip(NEXT) | instid1(VALU_DEP_1)
	v_dual_sub_f32 v52, v53, v52 :: v_dual_mul_f32 v9, v50, v9
	v_add_f32_e32 v9, v52, v9
	s_delay_alu instid0(VALU_DEP_1) | instskip(NEXT) | instid1(VALU_DEP_1)
	v_add_f32_e32 v50, v51, v9
	v_mul_f32_e32 v52, v50, v50
	s_delay_alu instid0(VALU_DEP_1) | instskip(SKIP_1) | instid1(VALU_DEP_2)
	v_fmaak_f32 v53, s67, v52, 0x3ecc95a3
	v_mul_f32_e32 v54, v50, v52
	v_fmaak_f32 v52, v52, v53, 0x3f2aaada
	v_ldexp_f32 v53, v50, 1
	v_sub_f32_e32 v50, v50, v51
	s_delay_alu instid0(VALU_DEP_3) | instskip(SKIP_1) | instid1(VALU_DEP_2)
	v_mul_f32_e32 v52, v54, v52
	v_mul_f32_e32 v54, 0x3f317218, v8
	v_add_f32_e32 v51, v53, v52
	s_delay_alu instid0(VALU_DEP_1) | instskip(NEXT) | instid1(VALU_DEP_3)
	v_dual_sub_f32 v9, v9, v50 :: v_dual_sub_f32 v50, v51, v53
	v_fma_f32 v53, 0x3f317218, v8, -v54
	s_delay_alu instid0(VALU_DEP_2) | instskip(NEXT) | instid1(VALU_DEP_2)
	v_ldexp_f32 v9, v9, 1
	v_dual_sub_f32 v50, v52, v50 :: v_dual_fmac_f32 v53, 0xb102e308, v8
	s_delay_alu instid0(VALU_DEP_1) | instskip(NEXT) | instid1(VALU_DEP_1)
	v_dual_add_f32 v8, v9, v50 :: v_dual_add_f32 v9, v54, v53
	v_add_f32_e32 v50, v51, v8
	s_delay_alu instid0(VALU_DEP_1) | instskip(NEXT) | instid1(VALU_DEP_1)
	v_add_f32_e32 v52, v9, v50
	v_sub_f32_e32 v55, v52, v9
	s_delay_alu instid0(VALU_DEP_1) | instskip(SKIP_2) | instid1(VALU_DEP_2)
	v_sub_f32_e32 v56, v52, v55
	v_sub_f32_e32 v51, v50, v51
	;; [unrolled: 1-line block ×5, first 2 shown]
	s_delay_alu instid0(VALU_DEP_1) | instskip(NEXT) | instid1(VALU_DEP_1)
	v_sub_f32_e32 v53, v53, v54
	v_add_f32_e32 v51, v53, v8
	v_sub_f32_e32 v9, v9, v56
	s_delay_alu instid0(VALU_DEP_1) | instskip(NEXT) | instid1(VALU_DEP_3)
	v_add_f32_e32 v9, v50, v9
	v_sub_f32_e32 v50, v51, v53
	s_delay_alu instid0(VALU_DEP_1) | instskip(NEXT) | instid1(VALU_DEP_1)
	v_dual_sub_f32 v8, v8, v50 :: v_dual_add_f32 v9, v51, v9
	v_dual_sub_f32 v51, v51, v50 :: v_dual_add_f32 v54, v52, v9
	s_delay_alu instid0(VALU_DEP_1) | instskip(NEXT) | instid1(VALU_DEP_1)
	v_dual_sub_f32 v51, v53, v51 :: v_dual_sub_f32 v50, v54, v52
	v_dual_add_f32 v8, v8, v51 :: v_dual_sub_f32 v9, v9, v50
	s_delay_alu instid0(VALU_DEP_1) | instskip(NEXT) | instid1(VALU_DEP_1)
	v_add_f32_e32 v8, v8, v9
	v_add_f32_e32 v8, v54, v8
	s_delay_alu instid0(VALU_DEP_1)
	v_cndmask_b32_e32 v50, v8, v4, vcc_lo
.LBB10_46:                              ;   in Loop: Header=BB10_12 Depth=1
	s_or_b32 exec_lo, exec_lo, s21
	v_lshlrev_b32_e32 v4, 16, v5
	s_delay_alu instid0(VALU_DEP_1) | instskip(NEXT) | instid1(VALU_DEP_1)
	v_add_f32_e32 v51, s52, v4
	v_cmp_ge_f32_e32 vcc_lo, 0x41a00000, v51
	s_and_b32 s20, s63, vcc_lo
	s_delay_alu instid0(SALU_CYCLE_1)
	s_and_saveexec_b32 s21, s20
	s_cbranch_execz .LBB10_48
; %bb.47:                               ;   in Loop: Header=BB10_12 Depth=1
	v_mul_f32_e32 v4, 0x3fb8aa3b, v51
	v_cmp_ngt_f32_e32 vcc_lo, 0xc2ce8ed0, v51
	s_delay_alu instid0(VALU_DEP_2) | instskip(SKIP_1) | instid1(VALU_DEP_1)
	v_rndne_f32_e32 v8, v4
	v_fma_f32 v9, 0x3fb8aa3b, v51, -v4
	v_dual_sub_f32 v4, v4, v8 :: v_dual_fmac_f32 v9, 0x32a5705f, v51
	v_cvt_i32_f32_e32 v8, v8
	s_delay_alu instid0(VALU_DEP_2) | instskip(NEXT) | instid1(VALU_DEP_1)
	v_add_f32_e32 v4, v4, v9
	v_exp_f32_e32 v4, v4
	s_waitcnt_depctr 0xfff
	v_ldexp_f32 v4, v4, v8
	s_delay_alu instid0(VALU_DEP_1) | instskip(SKIP_1) | instid1(VALU_DEP_2)
	v_cndmask_b32_e32 v4, 0, v4, vcc_lo
	v_cmp_nlt_f32_e32 vcc_lo, 0x42b17218, v51
	v_cndmask_b32_e32 v4, 0x7f800000, v4, vcc_lo
	s_delay_alu instid0(VALU_DEP_1) | instskip(NEXT) | instid1(VALU_DEP_1)
	v_add_f32_e32 v51, 1.0, v4
	v_cvt_f64_f32_e32 v[8:9], v51
	s_delay_alu instid0(VALU_DEP_1) | instskip(SKIP_1) | instid1(VALU_DEP_1)
	v_frexp_exp_i32_f64_e32 v8, v[8:9]
	v_frexp_mant_f32_e32 v9, v51
	v_cmp_gt_f32_e32 vcc_lo, 0x3f2aaaab, v9
	v_add_f32_e32 v9, -1.0, v51
	s_delay_alu instid0(VALU_DEP_1) | instskip(NEXT) | instid1(VALU_DEP_1)
	v_sub_f32_e32 v53, v9, v51
	v_add_f32_e32 v53, 1.0, v53
	v_subrev_co_ci_u32_e32 v8, vcc_lo, 0, v8, vcc_lo
	s_delay_alu instid0(VALU_DEP_1) | instskip(SKIP_1) | instid1(VALU_DEP_2)
	v_sub_nc_u32_e32 v52, 0, v8
	v_cvt_f32_i32_e32 v8, v8
	v_ldexp_f32 v51, v51, v52
	s_delay_alu instid0(VALU_DEP_1) | instskip(NEXT) | instid1(VALU_DEP_1)
	v_dual_sub_f32 v9, v4, v9 :: v_dual_add_f32 v54, 1.0, v51
	v_add_f32_e32 v9, v9, v53
	v_cmp_eq_f32_e32 vcc_lo, 0x7f800000, v4
	v_cmp_gt_f32_e64 s20, 0x33800000, v4
	s_delay_alu instid0(VALU_DEP_4) | instskip(NEXT) | instid1(VALU_DEP_4)
	v_add_f32_e32 v53, -1.0, v54
	v_ldexp_f32 v9, v9, v52
	v_add_f32_e32 v52, -1.0, v51
	s_delay_alu instid0(VALU_DEP_4) | instskip(NEXT) | instid1(VALU_DEP_3)
	s_or_b32 vcc_lo, s20, vcc_lo
	v_sub_f32_e32 v53, v51, v53
	s_delay_alu instid0(VALU_DEP_2) | instskip(NEXT) | instid1(VALU_DEP_2)
	v_add_f32_e32 v55, 1.0, v52
	v_add_f32_e32 v53, v9, v53
	s_delay_alu instid0(VALU_DEP_2) | instskip(NEXT) | instid1(VALU_DEP_1)
	v_sub_f32_e32 v51, v51, v55
	v_add_f32_e32 v9, v9, v51
	s_delay_alu instid0(VALU_DEP_1) | instskip(NEXT) | instid1(VALU_DEP_1)
	v_add_f32_e32 v56, v52, v9
	v_dual_add_f32 v55, v54, v53 :: v_dual_sub_f32 v52, v52, v56
	s_delay_alu instid0(VALU_DEP_1) | instskip(SKIP_1) | instid1(VALU_DEP_1)
	v_rcp_f32_e32 v51, v55
	v_sub_f32_e32 v54, v54, v55
	v_add_f32_e32 v53, v53, v54
	s_waitcnt_depctr 0xfff
	v_mul_f32_e32 v57, v56, v51
	s_delay_alu instid0(VALU_DEP_1) | instskip(NEXT) | instid1(VALU_DEP_1)
	v_mul_f32_e32 v58, v55, v57
	v_fma_f32 v54, v57, v55, -v58
	s_delay_alu instid0(VALU_DEP_1) | instskip(SKIP_1) | instid1(VALU_DEP_2)
	v_fmac_f32_e32 v54, v57, v53
	v_add_f32_e32 v9, v9, v52
	v_add_f32_e32 v59, v58, v54
	s_delay_alu instid0(VALU_DEP_1) | instskip(SKIP_1) | instid1(VALU_DEP_2)
	v_sub_f32_e32 v60, v56, v59
	v_sub_f32_e32 v52, v59, v58
	;; [unrolled: 1-line block ×3, first 2 shown]
	s_delay_alu instid0(VALU_DEP_2) | instskip(NEXT) | instid1(VALU_DEP_2)
	v_sub_f32_e32 v52, v52, v54
	v_sub_f32_e32 v56, v56, v59
	s_delay_alu instid0(VALU_DEP_1) | instskip(NEXT) | instid1(VALU_DEP_1)
	v_add_f32_e32 v9, v9, v56
	v_add_f32_e32 v9, v52, v9
	s_delay_alu instid0(VALU_DEP_1) | instskip(NEXT) | instid1(VALU_DEP_1)
	v_add_f32_e32 v52, v60, v9
	v_mul_f32_e32 v54, v51, v52
	s_delay_alu instid0(VALU_DEP_1) | instskip(NEXT) | instid1(VALU_DEP_1)
	v_dual_sub_f32 v59, v60, v52 :: v_dual_mul_f32 v56, v55, v54
	v_add_f32_e32 v9, v9, v59
	s_delay_alu instid0(VALU_DEP_2) | instskip(NEXT) | instid1(VALU_DEP_1)
	v_fma_f32 v55, v54, v55, -v56
	v_fmac_f32_e32 v55, v54, v53
	s_delay_alu instid0(VALU_DEP_1) | instskip(NEXT) | instid1(VALU_DEP_1)
	v_add_f32_e32 v53, v56, v55
	v_sub_f32_e32 v58, v52, v53
	s_delay_alu instid0(VALU_DEP_1) | instskip(NEXT) | instid1(VALU_DEP_1)
	v_sub_f32_e32 v52, v52, v58
	v_sub_f32_e32 v52, v52, v53
	s_delay_alu instid0(VALU_DEP_1) | instskip(SKIP_2) | instid1(VALU_DEP_1)
	v_add_f32_e32 v9, v9, v52
	v_add_f32_e32 v52, v57, v54
	v_sub_f32_e32 v56, v53, v56
	v_sub_f32_e32 v53, v56, v55
	s_delay_alu instid0(VALU_DEP_1) | instskip(NEXT) | instid1(VALU_DEP_4)
	v_add_f32_e32 v9, v53, v9
	v_sub_f32_e32 v53, v52, v57
	s_delay_alu instid0(VALU_DEP_2) | instskip(NEXT) | instid1(VALU_DEP_2)
	v_add_f32_e32 v9, v58, v9
	v_sub_f32_e32 v53, v54, v53
	s_delay_alu instid0(VALU_DEP_2) | instskip(NEXT) | instid1(VALU_DEP_1)
	v_mul_f32_e32 v9, v51, v9
	v_add_f32_e32 v9, v53, v9
	s_delay_alu instid0(VALU_DEP_1) | instskip(NEXT) | instid1(VALU_DEP_1)
	v_add_f32_e32 v51, v52, v9
	v_mul_f32_e32 v53, v51, v51
	s_delay_alu instid0(VALU_DEP_1) | instskip(SKIP_1) | instid1(VALU_DEP_2)
	v_fmaak_f32 v54, s67, v53, 0x3ecc95a3
	v_mul_f32_e32 v55, v51, v53
	v_fmaak_f32 v53, v53, v54, 0x3f2aaada
	v_ldexp_f32 v54, v51, 1
	v_sub_f32_e32 v51, v51, v52
	s_delay_alu instid0(VALU_DEP_3) | instskip(SKIP_1) | instid1(VALU_DEP_2)
	v_mul_f32_e32 v53, v55, v53
	v_mul_f32_e32 v55, 0x3f317218, v8
	v_dual_sub_f32 v9, v9, v51 :: v_dual_add_f32 v52, v54, v53
	s_delay_alu instid0(VALU_DEP_1) | instskip(NEXT) | instid1(VALU_DEP_2)
	v_ldexp_f32 v9, v9, 1
	v_sub_f32_e32 v51, v52, v54
	s_delay_alu instid0(VALU_DEP_4) | instskip(NEXT) | instid1(VALU_DEP_1)
	v_fma_f32 v54, 0x3f317218, v8, -v55
	v_dual_sub_f32 v51, v53, v51 :: v_dual_fmac_f32 v54, 0xb102e308, v8
	s_delay_alu instid0(VALU_DEP_1) | instskip(NEXT) | instid1(VALU_DEP_1)
	v_dual_add_f32 v8, v9, v51 :: v_dual_add_f32 v9, v55, v54
	v_add_f32_e32 v51, v52, v8
	s_delay_alu instid0(VALU_DEP_2) | instskip(NEXT) | instid1(VALU_DEP_2)
	v_sub_f32_e32 v55, v9, v55
	v_dual_add_f32 v53, v9, v51 :: v_dual_sub_f32 v52, v51, v52
	s_delay_alu instid0(VALU_DEP_2) | instskip(NEXT) | instid1(VALU_DEP_2)
	v_sub_f32_e32 v54, v54, v55
	v_sub_f32_e32 v56, v53, v9
	s_delay_alu instid0(VALU_DEP_3) | instskip(NEXT) | instid1(VALU_DEP_2)
	v_sub_f32_e32 v8, v8, v52
	v_sub_f32_e32 v57, v53, v56
	;; [unrolled: 1-line block ×3, first 2 shown]
	s_delay_alu instid0(VALU_DEP_2) | instskip(NEXT) | instid1(VALU_DEP_1)
	v_dual_add_f32 v52, v54, v8 :: v_dual_sub_f32 v9, v9, v57
	v_add_f32_e32 v9, v51, v9
	s_delay_alu instid0(VALU_DEP_2) | instskip(NEXT) | instid1(VALU_DEP_2)
	v_sub_f32_e32 v51, v52, v54
	v_add_f32_e32 v9, v52, v9
	s_delay_alu instid0(VALU_DEP_2) | instskip(NEXT) | instid1(VALU_DEP_2)
	v_sub_f32_e32 v52, v52, v51
	v_dual_sub_f32 v8, v8, v51 :: v_dual_add_f32 v55, v53, v9
	s_delay_alu instid0(VALU_DEP_1) | instskip(NEXT) | instid1(VALU_DEP_1)
	v_dual_sub_f32 v52, v54, v52 :: v_dual_sub_f32 v51, v55, v53
	v_dual_add_f32 v8, v8, v52 :: v_dual_sub_f32 v9, v9, v51
	s_delay_alu instid0(VALU_DEP_1) | instskip(NEXT) | instid1(VALU_DEP_1)
	v_add_f32_e32 v8, v8, v9
	v_add_f32_e32 v8, v55, v8
	s_delay_alu instid0(VALU_DEP_1)
	v_cndmask_b32_e32 v51, v8, v4, vcc_lo
.LBB10_48:                              ;   in Loop: Header=BB10_12 Depth=1
	s_or_b32 exec_lo, exec_lo, s21
	v_and_b32_e32 v4, 0xffff0000, v5
	s_delay_alu instid0(VALU_DEP_1) | instskip(NEXT) | instid1(VALU_DEP_1)
	v_add_f32_e32 v52, s52, v4
	v_cmp_ge_f32_e32 vcc_lo, 0x41a00000, v52
	s_and_b32 s20, s63, vcc_lo
	s_delay_alu instid0(SALU_CYCLE_1)
	s_and_saveexec_b32 s21, s20
	s_cbranch_execz .LBB10_50
; %bb.49:                               ;   in Loop: Header=BB10_12 Depth=1
	v_mul_f32_e32 v4, 0x3fb8aa3b, v52
	v_cmp_ngt_f32_e32 vcc_lo, 0xc2ce8ed0, v52
	s_delay_alu instid0(VALU_DEP_2) | instskip(SKIP_1) | instid1(VALU_DEP_2)
	v_rndne_f32_e32 v5, v4
	v_fma_f32 v8, 0x3fb8aa3b, v52, -v4
	v_sub_f32_e32 v4, v4, v5
	s_delay_alu instid0(VALU_DEP_2) | instskip(SKIP_1) | instid1(VALU_DEP_2)
	v_fmac_f32_e32 v8, 0x32a5705f, v52
	v_cvt_i32_f32_e32 v5, v5
	v_add_f32_e32 v4, v4, v8
	s_delay_alu instid0(VALU_DEP_1) | instskip(SKIP_2) | instid1(VALU_DEP_1)
	v_exp_f32_e32 v4, v4
	s_waitcnt_depctr 0xfff
	v_ldexp_f32 v4, v4, v5
	v_cndmask_b32_e32 v4, 0, v4, vcc_lo
	v_cmp_nlt_f32_e32 vcc_lo, 0x42b17218, v52
	s_delay_alu instid0(VALU_DEP_2) | instskip(NEXT) | instid1(VALU_DEP_1)
	v_cndmask_b32_e32 v8, 0x7f800000, v4, vcc_lo
	v_add_f32_e32 v9, 1.0, v8
	s_delay_alu instid0(VALU_DEP_1) | instskip(NEXT) | instid1(VALU_DEP_1)
	v_cvt_f64_f32_e32 v[4:5], v9
	v_frexp_exp_i32_f64_e32 v4, v[4:5]
	v_frexp_mant_f32_e32 v5, v9
	s_delay_alu instid0(VALU_DEP_1) | instskip(SKIP_1) | instid1(VALU_DEP_1)
	v_cmp_gt_f32_e32 vcc_lo, 0x3f2aaaab, v5
	v_add_f32_e32 v5, -1.0, v9
	v_sub_f32_e32 v53, v5, v9
	v_sub_f32_e32 v5, v8, v5
	s_delay_alu instid0(VALU_DEP_2) | instskip(NEXT) | instid1(VALU_DEP_1)
	v_add_f32_e32 v53, 1.0, v53
	v_add_f32_e32 v5, v5, v53
	v_cmp_gt_f32_e64 s20, 0x33800000, v8
	v_subrev_co_ci_u32_e32 v4, vcc_lo, 0, v4, vcc_lo
	v_cmp_eq_f32_e32 vcc_lo, 0x7f800000, v8
	s_delay_alu instid0(VALU_DEP_2) | instskip(SKIP_2) | instid1(VALU_DEP_2)
	v_sub_nc_u32_e32 v52, 0, v4
	v_cvt_f32_i32_e32 v4, v4
	s_or_b32 vcc_lo, s20, vcc_lo
	v_ldexp_f32 v9, v9, v52
	v_ldexp_f32 v5, v5, v52
	s_delay_alu instid0(VALU_DEP_2) | instskip(NEXT) | instid1(VALU_DEP_1)
	v_add_f32_e32 v52, -1.0, v9
	v_dual_add_f32 v54, 1.0, v9 :: v_dual_add_f32 v55, 1.0, v52
	s_delay_alu instid0(VALU_DEP_1) | instskip(NEXT) | instid1(VALU_DEP_1)
	v_add_f32_e32 v53, -1.0, v54
	v_sub_f32_e32 v53, v9, v53
	s_delay_alu instid0(VALU_DEP_3) | instskip(NEXT) | instid1(VALU_DEP_2)
	v_sub_f32_e32 v9, v9, v55
	v_add_f32_e32 v53, v5, v53
	s_delay_alu instid0(VALU_DEP_2) | instskip(NEXT) | instid1(VALU_DEP_1)
	v_add_f32_e32 v5, v5, v9
	v_add_f32_e32 v56, v52, v5
	s_delay_alu instid0(VALU_DEP_1) | instskip(NEXT) | instid1(VALU_DEP_1)
	v_dual_add_f32 v55, v54, v53 :: v_dual_sub_f32 v52, v52, v56
	v_rcp_f32_e32 v9, v55
	v_sub_f32_e32 v54, v54, v55
	s_delay_alu instid0(VALU_DEP_1) | instskip(SKIP_2) | instid1(VALU_DEP_1)
	v_add_f32_e32 v53, v53, v54
	s_waitcnt_depctr 0xfff
	v_mul_f32_e32 v57, v56, v9
	v_mul_f32_e32 v58, v55, v57
	s_delay_alu instid0(VALU_DEP_1) | instskip(NEXT) | instid1(VALU_DEP_1)
	v_fma_f32 v54, v57, v55, -v58
	v_fmac_f32_e32 v54, v57, v53
	s_delay_alu instid0(VALU_DEP_1) | instskip(NEXT) | instid1(VALU_DEP_1)
	v_add_f32_e32 v59, v58, v54
	v_sub_f32_e32 v60, v56, v59
	s_delay_alu instid0(VALU_DEP_1) | instskip(SKIP_1) | instid1(VALU_DEP_2)
	v_sub_f32_e32 v56, v56, v60
	v_dual_add_f32 v5, v5, v52 :: v_dual_sub_f32 v52, v59, v58
	v_sub_f32_e32 v56, v56, v59
	s_delay_alu instid0(VALU_DEP_1) | instskip(NEXT) | instid1(VALU_DEP_1)
	v_dual_sub_f32 v52, v52, v54 :: v_dual_add_f32 v5, v5, v56
	v_add_f32_e32 v5, v52, v5
	s_delay_alu instid0(VALU_DEP_1) | instskip(NEXT) | instid1(VALU_DEP_1)
	v_add_f32_e32 v52, v60, v5
	v_mul_f32_e32 v54, v9, v52
	s_delay_alu instid0(VALU_DEP_1) | instskip(NEXT) | instid1(VALU_DEP_1)
	v_dual_sub_f32 v59, v60, v52 :: v_dual_mul_f32 v56, v55, v54
	v_add_f32_e32 v5, v5, v59
	s_delay_alu instid0(VALU_DEP_2) | instskip(NEXT) | instid1(VALU_DEP_1)
	v_fma_f32 v55, v54, v55, -v56
	v_fmac_f32_e32 v55, v54, v53
	s_delay_alu instid0(VALU_DEP_1) | instskip(NEXT) | instid1(VALU_DEP_1)
	v_add_f32_e32 v53, v56, v55
	v_sub_f32_e32 v58, v52, v53
	s_delay_alu instid0(VALU_DEP_1) | instskip(NEXT) | instid1(VALU_DEP_1)
	v_sub_f32_e32 v52, v52, v58
	v_sub_f32_e32 v52, v52, v53
	s_delay_alu instid0(VALU_DEP_1) | instskip(SKIP_2) | instid1(VALU_DEP_1)
	v_add_f32_e32 v5, v5, v52
	v_add_f32_e32 v52, v57, v54
	v_sub_f32_e32 v56, v53, v56
	v_sub_f32_e32 v53, v56, v55
	s_delay_alu instid0(VALU_DEP_1) | instskip(NEXT) | instid1(VALU_DEP_4)
	v_add_f32_e32 v5, v53, v5
	v_sub_f32_e32 v53, v52, v57
	s_delay_alu instid0(VALU_DEP_2) | instskip(NEXT) | instid1(VALU_DEP_2)
	v_add_f32_e32 v5, v58, v5
	v_sub_f32_e32 v53, v54, v53
	s_delay_alu instid0(VALU_DEP_2) | instskip(NEXT) | instid1(VALU_DEP_1)
	v_mul_f32_e32 v5, v9, v5
	v_add_f32_e32 v5, v53, v5
	s_delay_alu instid0(VALU_DEP_1) | instskip(NEXT) | instid1(VALU_DEP_1)
	v_add_f32_e32 v9, v52, v5
	v_mul_f32_e32 v53, v9, v9
	s_delay_alu instid0(VALU_DEP_1) | instskip(SKIP_1) | instid1(VALU_DEP_2)
	v_fmaak_f32 v54, s67, v53, 0x3ecc95a3
	v_mul_f32_e32 v55, v9, v53
	v_fmaak_f32 v53, v53, v54, 0x3f2aaada
	v_ldexp_f32 v54, v9, 1
	s_delay_alu instid0(VALU_DEP_2) | instskip(NEXT) | instid1(VALU_DEP_1)
	v_mul_f32_e32 v53, v55, v53
	v_dual_sub_f32 v9, v9, v52 :: v_dual_add_f32 v52, v54, v53
	s_delay_alu instid0(VALU_DEP_1) | instskip(NEXT) | instid1(VALU_DEP_2)
	v_sub_f32_e32 v5, v5, v9
	v_sub_f32_e32 v9, v52, v54
	s_delay_alu instid0(VALU_DEP_2) | instskip(NEXT) | instid1(VALU_DEP_2)
	v_ldexp_f32 v5, v5, 1
	v_sub_f32_e32 v9, v53, v9
	v_mul_f32_e32 v55, 0x3f317218, v4
	s_delay_alu instid0(VALU_DEP_1) | instskip(NEXT) | instid1(VALU_DEP_1)
	v_fma_f32 v54, 0x3f317218, v4, -v55
	v_fmac_f32_e32 v54, 0xb102e308, v4
	s_delay_alu instid0(VALU_DEP_1) | instskip(NEXT) | instid1(VALU_DEP_1)
	v_dual_add_f32 v4, v5, v9 :: v_dual_add_f32 v5, v55, v54
	v_add_f32_e32 v9, v52, v4
	s_delay_alu instid0(VALU_DEP_1) | instskip(SKIP_1) | instid1(VALU_DEP_2)
	v_add_f32_e32 v53, v5, v9
	v_sub_f32_e32 v52, v9, v52
	v_sub_f32_e32 v56, v53, v5
	s_delay_alu instid0(VALU_DEP_2) | instskip(NEXT) | instid1(VALU_DEP_2)
	v_dual_sub_f32 v4, v4, v52 :: v_dual_sub_f32 v55, v5, v55
	v_sub_f32_e32 v57, v53, v56
	s_delay_alu instid0(VALU_DEP_2) | instskip(NEXT) | instid1(VALU_DEP_1)
	v_dual_sub_f32 v9, v9, v56 :: v_dual_sub_f32 v54, v54, v55
	v_dual_sub_f32 v5, v5, v57 :: v_dual_add_f32 v52, v54, v4
	s_delay_alu instid0(VALU_DEP_1) | instskip(NEXT) | instid1(VALU_DEP_2)
	v_add_f32_e32 v5, v9, v5
	v_sub_f32_e32 v9, v52, v54
	s_delay_alu instid0(VALU_DEP_2) | instskip(NEXT) | instid1(VALU_DEP_2)
	v_add_f32_e32 v5, v52, v5
	v_sub_f32_e32 v52, v52, v9
	v_sub_f32_e32 v4, v4, v9
	s_delay_alu instid0(VALU_DEP_2) | instskip(NEXT) | instid1(VALU_DEP_1)
	v_dual_add_f32 v55, v53, v5 :: v_dual_sub_f32 v52, v54, v52
	v_dual_sub_f32 v9, v55, v53 :: v_dual_add_f32 v4, v4, v52
	s_delay_alu instid0(VALU_DEP_1) | instskip(NEXT) | instid1(VALU_DEP_1)
	v_sub_f32_e32 v5, v5, v9
	v_add_f32_e32 v4, v4, v5
	s_delay_alu instid0(VALU_DEP_1) | instskip(NEXT) | instid1(VALU_DEP_1)
	v_add_f32_e32 v4, v55, v4
	v_cndmask_b32_e32 v52, v4, v8, vcc_lo
.LBB10_50:                              ;   in Loop: Header=BB10_12 Depth=1
	s_or_b32 exec_lo, exec_lo, s21
	v_lshlrev_b32_e32 v4, 16, v6
	s_delay_alu instid0(VALU_DEP_1) | instskip(NEXT) | instid1(VALU_DEP_1)
	v_add_f32_e32 v53, s52, v4
	v_cmp_ge_f32_e32 vcc_lo, 0x41a00000, v53
	s_and_b32 s20, s63, vcc_lo
	s_delay_alu instid0(SALU_CYCLE_1)
	s_and_saveexec_b32 s21, s20
	s_cbranch_execz .LBB10_52
; %bb.51:                               ;   in Loop: Header=BB10_12 Depth=1
	v_mul_f32_e32 v4, 0x3fb8aa3b, v53
	v_cmp_ngt_f32_e32 vcc_lo, 0xc2ce8ed0, v53
	s_delay_alu instid0(VALU_DEP_2) | instskip(SKIP_1) | instid1(VALU_DEP_2)
	v_rndne_f32_e32 v5, v4
	v_fma_f32 v8, 0x3fb8aa3b, v53, -v4
	v_sub_f32_e32 v4, v4, v5
	s_delay_alu instid0(VALU_DEP_2) | instskip(SKIP_1) | instid1(VALU_DEP_2)
	v_fmac_f32_e32 v8, 0x32a5705f, v53
	v_cvt_i32_f32_e32 v5, v5
	v_add_f32_e32 v4, v4, v8
	s_delay_alu instid0(VALU_DEP_1) | instskip(SKIP_2) | instid1(VALU_DEP_1)
	v_exp_f32_e32 v4, v4
	s_waitcnt_depctr 0xfff
	v_ldexp_f32 v4, v4, v5
	v_cndmask_b32_e32 v4, 0, v4, vcc_lo
	v_cmp_nlt_f32_e32 vcc_lo, 0x42b17218, v53
	s_delay_alu instid0(VALU_DEP_2) | instskip(NEXT) | instid1(VALU_DEP_1)
	v_cndmask_b32_e32 v8, 0x7f800000, v4, vcc_lo
	v_add_f32_e32 v9, 1.0, v8
	s_delay_alu instid0(VALU_DEP_1) | instskip(NEXT) | instid1(VALU_DEP_1)
	v_cvt_f64_f32_e32 v[4:5], v9
	v_frexp_exp_i32_f64_e32 v4, v[4:5]
	v_frexp_mant_f32_e32 v5, v9
	s_delay_alu instid0(VALU_DEP_1) | instskip(SKIP_1) | instid1(VALU_DEP_1)
	v_cmp_gt_f32_e32 vcc_lo, 0x3f2aaaab, v5
	v_add_f32_e32 v5, -1.0, v9
	v_sub_f32_e32 v54, v5, v9
	v_subrev_co_ci_u32_e32 v4, vcc_lo, 0, v4, vcc_lo
	s_delay_alu instid0(VALU_DEP_1) | instskip(SKIP_1) | instid1(VALU_DEP_2)
	v_sub_nc_u32_e32 v53, 0, v4
	v_cvt_f32_i32_e32 v4, v4
	v_ldexp_f32 v9, v9, v53
	s_delay_alu instid0(VALU_DEP_1) | instskip(SKIP_3) | instid1(VALU_DEP_3)
	v_dual_add_f32 v54, 1.0, v54 :: v_dual_add_f32 v55, 1.0, v9
	v_sub_f32_e32 v5, v8, v5
	v_cmp_eq_f32_e32 vcc_lo, 0x7f800000, v8
	v_cmp_gt_f32_e64 s20, 0x33800000, v8
	v_add_f32_e32 v5, v5, v54
	s_delay_alu instid0(VALU_DEP_2) | instskip(NEXT) | instid1(VALU_DEP_1)
	s_or_b32 vcc_lo, s20, vcc_lo
	v_ldexp_f32 v5, v5, v53
	v_dual_add_f32 v53, -1.0, v9 :: v_dual_add_f32 v54, -1.0, v55
	s_delay_alu instid0(VALU_DEP_1) | instskip(NEXT) | instid1(VALU_DEP_2)
	v_add_f32_e32 v56, 1.0, v53
	v_sub_f32_e32 v54, v9, v54
	s_delay_alu instid0(VALU_DEP_2) | instskip(NEXT) | instid1(VALU_DEP_2)
	v_sub_f32_e32 v9, v9, v56
	v_add_f32_e32 v54, v5, v54
	s_delay_alu instid0(VALU_DEP_1) | instskip(NEXT) | instid1(VALU_DEP_1)
	v_dual_add_f32 v5, v5, v9 :: v_dual_add_f32 v56, v55, v54
	v_add_f32_e32 v57, v53, v5
	s_delay_alu instid0(VALU_DEP_2) | instskip(SKIP_1) | instid1(VALU_DEP_1)
	v_rcp_f32_e32 v9, v56
	v_sub_f32_e32 v55, v55, v56
	v_dual_sub_f32 v53, v53, v57 :: v_dual_add_f32 v54, v54, v55
	s_delay_alu instid0(VALU_DEP_1) | instskip(SKIP_2) | instid1(VALU_DEP_1)
	v_add_f32_e32 v5, v5, v53
	s_waitcnt_depctr 0xfff
	v_mul_f32_e32 v58, v57, v9
	v_mul_f32_e32 v59, v56, v58
	s_delay_alu instid0(VALU_DEP_1) | instskip(NEXT) | instid1(VALU_DEP_1)
	v_fma_f32 v55, v58, v56, -v59
	v_fmac_f32_e32 v55, v58, v54
	s_delay_alu instid0(VALU_DEP_1) | instskip(NEXT) | instid1(VALU_DEP_1)
	v_add_f32_e32 v60, v59, v55
	v_sub_f32_e32 v61, v57, v60
	v_sub_f32_e32 v53, v60, v59
	s_delay_alu instid0(VALU_DEP_2) | instskip(NEXT) | instid1(VALU_DEP_2)
	v_sub_f32_e32 v57, v57, v61
	v_sub_f32_e32 v53, v53, v55
	s_delay_alu instid0(VALU_DEP_2) | instskip(NEXT) | instid1(VALU_DEP_1)
	v_sub_f32_e32 v57, v57, v60
	v_add_f32_e32 v5, v5, v57
	s_delay_alu instid0(VALU_DEP_1) | instskip(NEXT) | instid1(VALU_DEP_1)
	v_add_f32_e32 v5, v53, v5
	v_add_f32_e32 v53, v61, v5
	s_delay_alu instid0(VALU_DEP_1) | instskip(NEXT) | instid1(VALU_DEP_1)
	v_mul_f32_e32 v55, v9, v53
	v_mul_f32_e32 v57, v56, v55
	s_delay_alu instid0(VALU_DEP_1) | instskip(NEXT) | instid1(VALU_DEP_1)
	v_fma_f32 v56, v55, v56, -v57
	v_fmac_f32_e32 v56, v55, v54
	v_sub_f32_e32 v60, v61, v53
	s_delay_alu instid0(VALU_DEP_2) | instskip(NEXT) | instid1(VALU_DEP_2)
	v_add_f32_e32 v54, v57, v56
	v_add_f32_e32 v5, v5, v60
	s_delay_alu instid0(VALU_DEP_2) | instskip(NEXT) | instid1(VALU_DEP_1)
	v_sub_f32_e32 v59, v53, v54
	v_sub_f32_e32 v53, v53, v59
	s_delay_alu instid0(VALU_DEP_1) | instskip(NEXT) | instid1(VALU_DEP_1)
	v_sub_f32_e32 v53, v53, v54
	v_add_f32_e32 v5, v5, v53
	v_add_f32_e32 v53, v58, v55
	v_sub_f32_e32 v57, v54, v57
	s_delay_alu instid0(VALU_DEP_1) | instskip(NEXT) | instid1(VALU_DEP_1)
	v_sub_f32_e32 v54, v57, v56
	v_dual_add_f32 v5, v54, v5 :: v_dual_sub_f32 v54, v53, v58
	s_delay_alu instid0(VALU_DEP_1) | instskip(NEXT) | instid1(VALU_DEP_1)
	v_add_f32_e32 v5, v59, v5
	v_dual_sub_f32 v54, v55, v54 :: v_dual_mul_f32 v5, v9, v5
	s_delay_alu instid0(VALU_DEP_1) | instskip(NEXT) | instid1(VALU_DEP_1)
	v_add_f32_e32 v5, v54, v5
	v_add_f32_e32 v9, v53, v5
	s_delay_alu instid0(VALU_DEP_1) | instskip(NEXT) | instid1(VALU_DEP_1)
	v_mul_f32_e32 v54, v9, v9
	v_fmaak_f32 v55, s67, v54, 0x3ecc95a3
	v_mul_f32_e32 v56, v9, v54
	s_delay_alu instid0(VALU_DEP_2) | instskip(SKIP_1) | instid1(VALU_DEP_2)
	v_fmaak_f32 v54, v54, v55, 0x3f2aaada
	v_ldexp_f32 v55, v9, 1
	v_dual_sub_f32 v9, v9, v53 :: v_dual_mul_f32 v54, v56, v54
	s_delay_alu instid0(VALU_DEP_1) | instskip(NEXT) | instid1(VALU_DEP_2)
	v_dual_mul_f32 v56, 0x3f317218, v4 :: v_dual_sub_f32 v5, v5, v9
	v_add_f32_e32 v53, v55, v54
	s_delay_alu instid0(VALU_DEP_2) | instskip(NEXT) | instid1(VALU_DEP_2)
	v_ldexp_f32 v5, v5, 1
	v_sub_f32_e32 v9, v53, v55
	s_delay_alu instid0(VALU_DEP_4) | instskip(NEXT) | instid1(VALU_DEP_2)
	v_fma_f32 v55, 0x3f317218, v4, -v56
	v_sub_f32_e32 v9, v54, v9
	s_delay_alu instid0(VALU_DEP_1) | instskip(NEXT) | instid1(VALU_DEP_1)
	v_dual_fmac_f32 v55, 0xb102e308, v4 :: v_dual_add_f32 v4, v5, v9
	v_add_f32_e32 v5, v56, v55
	s_delay_alu instid0(VALU_DEP_2) | instskip(NEXT) | instid1(VALU_DEP_2)
	v_add_f32_e32 v9, v53, v4
	v_sub_f32_e32 v56, v5, v56
	s_delay_alu instid0(VALU_DEP_1) | instskip(SKIP_1) | instid1(VALU_DEP_2)
	v_dual_add_f32 v54, v5, v9 :: v_dual_sub_f32 v55, v55, v56
	v_sub_f32_e32 v53, v9, v53
	v_sub_f32_e32 v57, v54, v5
	s_delay_alu instid0(VALU_DEP_2) | instskip(NEXT) | instid1(VALU_DEP_2)
	v_sub_f32_e32 v4, v4, v53
	v_sub_f32_e32 v58, v54, v57
	v_sub_f32_e32 v9, v9, v57
	s_delay_alu instid0(VALU_DEP_3) | instskip(NEXT) | instid1(VALU_DEP_3)
	v_add_f32_e32 v53, v55, v4
	v_sub_f32_e32 v5, v5, v58
	s_delay_alu instid0(VALU_DEP_1) | instskip(NEXT) | instid1(VALU_DEP_3)
	v_add_f32_e32 v5, v9, v5
	v_sub_f32_e32 v9, v53, v55
	s_delay_alu instid0(VALU_DEP_2) | instskip(NEXT) | instid1(VALU_DEP_2)
	v_add_f32_e32 v5, v53, v5
	v_sub_f32_e32 v53, v53, v9
	v_sub_f32_e32 v4, v4, v9
	s_delay_alu instid0(VALU_DEP_3) | instskip(NEXT) | instid1(VALU_DEP_3)
	v_add_f32_e32 v56, v54, v5
	v_sub_f32_e32 v53, v55, v53
	s_delay_alu instid0(VALU_DEP_2) | instskip(NEXT) | instid1(VALU_DEP_2)
	v_sub_f32_e32 v9, v56, v54
	v_add_f32_e32 v4, v4, v53
	s_delay_alu instid0(VALU_DEP_2) | instskip(NEXT) | instid1(VALU_DEP_1)
	v_sub_f32_e32 v5, v5, v9
	v_add_f32_e32 v4, v4, v5
	s_delay_alu instid0(VALU_DEP_1) | instskip(NEXT) | instid1(VALU_DEP_1)
	v_add_f32_e32 v4, v56, v4
	v_cndmask_b32_e32 v53, v4, v8, vcc_lo
.LBB10_52:                              ;   in Loop: Header=BB10_12 Depth=1
	s_or_b32 exec_lo, exec_lo, s21
	v_and_b32_e32 v4, 0xffff0000, v6
	s_delay_alu instid0(VALU_DEP_1) | instskip(NEXT) | instid1(VALU_DEP_1)
	v_add_f32_e32 v54, s52, v4
	v_cmp_ge_f32_e32 vcc_lo, 0x41a00000, v54
	s_and_b32 s20, s63, vcc_lo
	s_delay_alu instid0(SALU_CYCLE_1)
	s_and_saveexec_b32 s21, s20
	s_cbranch_execz .LBB10_54
; %bb.53:                               ;   in Loop: Header=BB10_12 Depth=1
	v_mul_f32_e32 v4, 0x3fb8aa3b, v54
	v_cmp_ngt_f32_e32 vcc_lo, 0xc2ce8ed0, v54
	s_delay_alu instid0(VALU_DEP_2) | instskip(SKIP_1) | instid1(VALU_DEP_2)
	v_rndne_f32_e32 v5, v4
	v_fma_f32 v6, 0x3fb8aa3b, v54, -v4
	v_sub_f32_e32 v4, v4, v5
	s_delay_alu instid0(VALU_DEP_2) | instskip(SKIP_1) | instid1(VALU_DEP_2)
	v_fmac_f32_e32 v6, 0x32a5705f, v54
	v_cvt_i32_f32_e32 v5, v5
	v_add_f32_e32 v4, v4, v6
	s_delay_alu instid0(VALU_DEP_1) | instskip(SKIP_2) | instid1(VALU_DEP_1)
	v_exp_f32_e32 v4, v4
	s_waitcnt_depctr 0xfff
	v_ldexp_f32 v4, v4, v5
	v_cndmask_b32_e32 v4, 0, v4, vcc_lo
	v_cmp_nlt_f32_e32 vcc_lo, 0x42b17218, v54
	s_delay_alu instid0(VALU_DEP_2) | instskip(NEXT) | instid1(VALU_DEP_1)
	v_cndmask_b32_e32 v6, 0x7f800000, v4, vcc_lo
	v_add_f32_e32 v8, 1.0, v6
	s_delay_alu instid0(VALU_DEP_1) | instskip(NEXT) | instid1(VALU_DEP_1)
	v_cvt_f64_f32_e32 v[4:5], v8
	v_frexp_exp_i32_f64_e32 v4, v[4:5]
	v_frexp_mant_f32_e32 v5, v8
	s_delay_alu instid0(VALU_DEP_1) | instskip(SKIP_1) | instid1(VALU_DEP_1)
	v_cmp_gt_f32_e32 vcc_lo, 0x3f2aaaab, v5
	v_add_f32_e32 v5, -1.0, v8
	v_dual_sub_f32 v54, v5, v8 :: v_dual_sub_f32 v5, v6, v5
	s_delay_alu instid0(VALU_DEP_1) | instskip(NEXT) | instid1(VALU_DEP_1)
	v_add_f32_e32 v54, 1.0, v54
	v_add_f32_e32 v5, v5, v54
	v_subrev_co_ci_u32_e32 v4, vcc_lo, 0, v4, vcc_lo
	s_delay_alu instid0(VALU_DEP_1) | instskip(SKIP_1) | instid1(VALU_DEP_2)
	v_sub_nc_u32_e32 v9, 0, v4
	v_cvt_f32_i32_e32 v4, v4
	v_ldexp_f32 v8, v8, v9
	v_ldexp_f32 v5, v5, v9
	s_delay_alu instid0(VALU_DEP_2) | instskip(NEXT) | instid1(VALU_DEP_1)
	v_add_f32_e32 v55, 1.0, v8
	v_dual_add_f32 v9, -1.0, v8 :: v_dual_add_f32 v54, -1.0, v55
	s_delay_alu instid0(VALU_DEP_1) | instskip(NEXT) | instid1(VALU_DEP_2)
	v_add_f32_e32 v56, 1.0, v9
	v_sub_f32_e32 v54, v8, v54
	s_delay_alu instid0(VALU_DEP_2) | instskip(NEXT) | instid1(VALU_DEP_2)
	v_sub_f32_e32 v8, v8, v56
	v_add_f32_e32 v54, v5, v54
	s_delay_alu instid0(VALU_DEP_2) | instskip(NEXT) | instid1(VALU_DEP_1)
	v_add_f32_e32 v5, v5, v8
	v_add_f32_e32 v57, v9, v5
	v_cmp_eq_f32_e32 vcc_lo, 0x7f800000, v6
	v_cmp_gt_f32_e64 s20, 0x33800000, v6
	s_delay_alu instid0(VALU_DEP_3) | instskip(NEXT) | instid1(VALU_DEP_2)
	v_dual_sub_f32 v9, v9, v57 :: v_dual_add_f32 v56, v55, v54
	s_or_b32 vcc_lo, s20, vcc_lo
	s_delay_alu instid0(VALU_DEP_1) | instskip(NEXT) | instid1(VALU_DEP_2)
	v_add_f32_e32 v5, v5, v9
	v_rcp_f32_e32 v8, v56
	v_sub_f32_e32 v55, v55, v56
	s_delay_alu instid0(VALU_DEP_1) | instskip(SKIP_2) | instid1(VALU_DEP_1)
	v_add_f32_e32 v54, v54, v55
	s_waitcnt_depctr 0xfff
	v_mul_f32_e32 v58, v57, v8
	v_mul_f32_e32 v59, v56, v58
	s_delay_alu instid0(VALU_DEP_1) | instskip(NEXT) | instid1(VALU_DEP_1)
	v_fma_f32 v55, v58, v56, -v59
	v_fmac_f32_e32 v55, v58, v54
	s_delay_alu instid0(VALU_DEP_1) | instskip(NEXT) | instid1(VALU_DEP_1)
	v_add_f32_e32 v60, v59, v55
	v_sub_f32_e32 v61, v57, v60
	s_delay_alu instid0(VALU_DEP_1) | instskip(NEXT) | instid1(VALU_DEP_1)
	v_sub_f32_e32 v57, v57, v61
	v_sub_f32_e32 v57, v57, v60
	s_delay_alu instid0(VALU_DEP_1) | instskip(SKIP_1) | instid1(VALU_DEP_1)
	v_add_f32_e32 v5, v5, v57
	v_sub_f32_e32 v9, v60, v59
	v_sub_f32_e32 v9, v9, v55
	s_delay_alu instid0(VALU_DEP_1) | instskip(NEXT) | instid1(VALU_DEP_1)
	v_add_f32_e32 v5, v9, v5
	v_add_f32_e32 v9, v61, v5
	s_delay_alu instid0(VALU_DEP_1) | instskip(NEXT) | instid1(VALU_DEP_1)
	v_mul_f32_e32 v55, v8, v9
	v_dual_sub_f32 v60, v61, v9 :: v_dual_mul_f32 v57, v56, v55
	s_delay_alu instid0(VALU_DEP_1) | instskip(NEXT) | instid1(VALU_DEP_2)
	v_add_f32_e32 v5, v5, v60
	v_fma_f32 v56, v55, v56, -v57
	s_delay_alu instid0(VALU_DEP_1) | instskip(NEXT) | instid1(VALU_DEP_1)
	v_fmac_f32_e32 v56, v55, v54
	v_add_f32_e32 v54, v57, v56
	s_delay_alu instid0(VALU_DEP_1) | instskip(NEXT) | instid1(VALU_DEP_1)
	v_sub_f32_e32 v59, v9, v54
	v_sub_f32_e32 v9, v9, v59
	s_delay_alu instid0(VALU_DEP_1) | instskip(NEXT) | instid1(VALU_DEP_1)
	v_sub_f32_e32 v9, v9, v54
	v_add_f32_e32 v5, v5, v9
	v_add_f32_e32 v9, v58, v55
	v_sub_f32_e32 v57, v54, v57
	s_delay_alu instid0(VALU_DEP_1) | instskip(NEXT) | instid1(VALU_DEP_1)
	v_sub_f32_e32 v54, v57, v56
	v_dual_add_f32 v5, v54, v5 :: v_dual_sub_f32 v54, v9, v58
	s_delay_alu instid0(VALU_DEP_1) | instskip(NEXT) | instid1(VALU_DEP_1)
	v_add_f32_e32 v5, v59, v5
	v_dual_sub_f32 v54, v55, v54 :: v_dual_mul_f32 v5, v8, v5
	s_delay_alu instid0(VALU_DEP_1) | instskip(NEXT) | instid1(VALU_DEP_1)
	v_add_f32_e32 v5, v54, v5
	v_add_f32_e32 v8, v9, v5
	s_delay_alu instid0(VALU_DEP_1) | instskip(NEXT) | instid1(VALU_DEP_1)
	v_mul_f32_e32 v54, v8, v8
	v_fmaak_f32 v55, s67, v54, 0x3ecc95a3
	v_mul_f32_e32 v56, v8, v54
	s_delay_alu instid0(VALU_DEP_2) | instskip(SKIP_1) | instid1(VALU_DEP_2)
	v_fmaak_f32 v54, v54, v55, 0x3f2aaada
	v_ldexp_f32 v55, v8, 1
	v_mul_f32_e32 v54, v56, v54
	v_sub_f32_e32 v8, v8, v9
	s_delay_alu instid0(VALU_DEP_2) | instskip(NEXT) | instid1(VALU_DEP_2)
	v_dual_mul_f32 v56, 0x3f317218, v4 :: v_dual_add_f32 v9, v55, v54
	v_sub_f32_e32 v5, v5, v8
	s_delay_alu instid0(VALU_DEP_2) | instskip(NEXT) | instid1(VALU_DEP_3)
	v_sub_f32_e32 v8, v9, v55
	v_fma_f32 v55, 0x3f317218, v4, -v56
	s_delay_alu instid0(VALU_DEP_3) | instskip(NEXT) | instid1(VALU_DEP_3)
	v_ldexp_f32 v5, v5, 1
	v_sub_f32_e32 v8, v54, v8
	s_delay_alu instid0(VALU_DEP_3) | instskip(NEXT) | instid1(VALU_DEP_2)
	v_fmac_f32_e32 v55, 0xb102e308, v4
	v_add_f32_e32 v4, v5, v8
	s_delay_alu instid0(VALU_DEP_1) | instskip(NEXT) | instid1(VALU_DEP_1)
	v_add_f32_e32 v8, v9, v4
	v_sub_f32_e32 v9, v8, v9
	s_delay_alu instid0(VALU_DEP_1) | instskip(SKIP_1) | instid1(VALU_DEP_1)
	v_sub_f32_e32 v4, v4, v9
	v_add_f32_e32 v5, v56, v55
	v_add_f32_e32 v54, v5, v8
	s_delay_alu instid0(VALU_DEP_1) | instskip(NEXT) | instid1(VALU_DEP_1)
	v_dual_sub_f32 v56, v5, v56 :: v_dual_sub_f32 v57, v54, v5
	v_dual_sub_f32 v55, v55, v56 :: v_dual_sub_f32 v8, v8, v57
	v_sub_f32_e32 v58, v54, v57
	s_delay_alu instid0(VALU_DEP_1) | instskip(NEXT) | instid1(VALU_DEP_1)
	v_sub_f32_e32 v5, v5, v58
	v_add_f32_e32 v5, v8, v5
	s_delay_alu instid0(VALU_DEP_4) | instskip(NEXT) | instid1(VALU_DEP_1)
	v_add_f32_e32 v9, v55, v4
	v_add_f32_e32 v5, v9, v5
	s_delay_alu instid0(VALU_DEP_1) | instskip(SKIP_1) | instid1(VALU_DEP_1)
	v_add_f32_e32 v56, v54, v5
	v_sub_f32_e32 v8, v9, v55
	v_sub_f32_e32 v9, v9, v8
	v_sub_f32_e32 v4, v4, v8
	s_delay_alu instid0(VALU_DEP_2) | instskip(NEXT) | instid1(VALU_DEP_1)
	v_dual_sub_f32 v8, v56, v54 :: v_dual_sub_f32 v9, v55, v9
	v_dual_sub_f32 v5, v5, v8 :: v_dual_add_f32 v4, v4, v9
	s_delay_alu instid0(VALU_DEP_1) | instskip(NEXT) | instid1(VALU_DEP_1)
	v_add_f32_e32 v4, v4, v5
	v_add_f32_e32 v4, v56, v4
	s_delay_alu instid0(VALU_DEP_1)
	v_cndmask_b32_e32 v54, v4, v6, vcc_lo
.LBB10_54:                              ;   in Loop: Header=BB10_12 Depth=1
	s_or_b32 exec_lo, exec_lo, s21
	v_lshlrev_b32_e32 v4, 16, v7
	s_delay_alu instid0(VALU_DEP_1) | instskip(NEXT) | instid1(VALU_DEP_1)
	v_add_f32_e32 v55, s52, v4
	v_cmp_ge_f32_e32 vcc_lo, 0x41a00000, v55
	s_and_b32 s20, s63, vcc_lo
	s_delay_alu instid0(SALU_CYCLE_1)
	s_and_saveexec_b32 s21, s20
	s_cbranch_execz .LBB10_56
; %bb.55:                               ;   in Loop: Header=BB10_12 Depth=1
	v_mul_f32_e32 v4, 0x3fb8aa3b, v55
	v_cmp_ngt_f32_e32 vcc_lo, 0xc2ce8ed0, v55
	s_delay_alu instid0(VALU_DEP_2) | instskip(SKIP_1) | instid1(VALU_DEP_2)
	v_rndne_f32_e32 v5, v4
	v_fma_f32 v6, 0x3fb8aa3b, v55, -v4
	v_sub_f32_e32 v4, v4, v5
	s_delay_alu instid0(VALU_DEP_2) | instskip(SKIP_1) | instid1(VALU_DEP_2)
	v_fmac_f32_e32 v6, 0x32a5705f, v55
	v_cvt_i32_f32_e32 v5, v5
	v_add_f32_e32 v4, v4, v6
	s_delay_alu instid0(VALU_DEP_1) | instskip(SKIP_2) | instid1(VALU_DEP_1)
	v_exp_f32_e32 v4, v4
	s_waitcnt_depctr 0xfff
	v_ldexp_f32 v4, v4, v5
	v_cndmask_b32_e32 v4, 0, v4, vcc_lo
	v_cmp_nlt_f32_e32 vcc_lo, 0x42b17218, v55
	s_delay_alu instid0(VALU_DEP_2) | instskip(NEXT) | instid1(VALU_DEP_1)
	v_cndmask_b32_e32 v6, 0x7f800000, v4, vcc_lo
	v_add_f32_e32 v8, 1.0, v6
	s_delay_alu instid0(VALU_DEP_1) | instskip(NEXT) | instid1(VALU_DEP_1)
	v_cvt_f64_f32_e32 v[4:5], v8
	v_frexp_exp_i32_f64_e32 v4, v[4:5]
	v_frexp_mant_f32_e32 v5, v8
	s_delay_alu instid0(VALU_DEP_1) | instskip(SKIP_1) | instid1(VALU_DEP_1)
	v_cmp_gt_f32_e32 vcc_lo, 0x3f2aaaab, v5
	v_add_f32_e32 v5, -1.0, v8
	v_sub_f32_e32 v55, v5, v8
	v_sub_f32_e32 v5, v6, v5
	s_delay_alu instid0(VALU_DEP_2) | instskip(NEXT) | instid1(VALU_DEP_1)
	v_add_f32_e32 v55, 1.0, v55
	v_add_f32_e32 v5, v5, v55
	v_cmp_gt_f32_e64 s20, 0x33800000, v6
	v_subrev_co_ci_u32_e32 v4, vcc_lo, 0, v4, vcc_lo
	v_cmp_eq_f32_e32 vcc_lo, 0x7f800000, v6
	s_delay_alu instid0(VALU_DEP_2) | instskip(SKIP_2) | instid1(VALU_DEP_2)
	v_sub_nc_u32_e32 v9, 0, v4
	v_cvt_f32_i32_e32 v4, v4
	s_or_b32 vcc_lo, s20, vcc_lo
	v_ldexp_f32 v8, v8, v9
	v_ldexp_f32 v5, v5, v9
	s_delay_alu instid0(VALU_DEP_2) | instskip(SKIP_1) | instid1(VALU_DEP_2)
	v_add_f32_e32 v56, 1.0, v8
	v_add_f32_e32 v9, -1.0, v8
	v_add_f32_e32 v55, -1.0, v56
	s_delay_alu instid0(VALU_DEP_2) | instskip(NEXT) | instid1(VALU_DEP_2)
	v_add_f32_e32 v57, 1.0, v9
	v_sub_f32_e32 v55, v8, v55
	s_delay_alu instid0(VALU_DEP_1) | instskip(NEXT) | instid1(VALU_DEP_1)
	v_dual_sub_f32 v8, v8, v57 :: v_dual_add_f32 v55, v5, v55
	v_add_f32_e32 v5, v5, v8
	s_delay_alu instid0(VALU_DEP_1) | instskip(NEXT) | instid1(VALU_DEP_1)
	v_dual_add_f32 v57, v56, v55 :: v_dual_add_f32 v58, v9, v5
	v_rcp_f32_e32 v8, v57
	s_delay_alu instid0(VALU_DEP_1) | instskip(NEXT) | instid1(VALU_DEP_1)
	v_dual_sub_f32 v56, v56, v57 :: v_dual_sub_f32 v9, v9, v58
	v_add_f32_e32 v55, v55, v56
	s_waitcnt_depctr 0xfff
	v_mul_f32_e32 v59, v58, v8
	s_delay_alu instid0(VALU_DEP_1) | instskip(NEXT) | instid1(VALU_DEP_1)
	v_mul_f32_e32 v60, v57, v59
	v_fma_f32 v56, v59, v57, -v60
	s_delay_alu instid0(VALU_DEP_1) | instskip(NEXT) | instid1(VALU_DEP_1)
	v_dual_fmac_f32 v56, v59, v55 :: v_dual_add_f32 v5, v5, v9
	v_add_f32_e32 v61, v60, v56
	s_delay_alu instid0(VALU_DEP_1) | instskip(NEXT) | instid1(VALU_DEP_1)
	v_sub_f32_e32 v62, v58, v61
	v_dual_sub_f32 v58, v58, v62 :: v_dual_sub_f32 v9, v61, v60
	s_delay_alu instid0(VALU_DEP_1) | instskip(NEXT) | instid1(VALU_DEP_1)
	v_dual_sub_f32 v58, v58, v61 :: v_dual_sub_f32 v9, v9, v56
	v_add_f32_e32 v5, v5, v58
	s_delay_alu instid0(VALU_DEP_1) | instskip(NEXT) | instid1(VALU_DEP_1)
	v_add_f32_e32 v5, v9, v5
	v_add_f32_e32 v9, v62, v5
	s_delay_alu instid0(VALU_DEP_1) | instskip(NEXT) | instid1(VALU_DEP_1)
	v_mul_f32_e32 v56, v8, v9
	v_dual_mul_f32 v58, v57, v56 :: v_dual_sub_f32 v61, v62, v9
	s_delay_alu instid0(VALU_DEP_1) | instskip(NEXT) | instid1(VALU_DEP_2)
	v_fma_f32 v57, v56, v57, -v58
	v_add_f32_e32 v5, v5, v61
	s_delay_alu instid0(VALU_DEP_2) | instskip(NEXT) | instid1(VALU_DEP_1)
	v_fmac_f32_e32 v57, v56, v55
	v_add_f32_e32 v55, v58, v57
	s_delay_alu instid0(VALU_DEP_1) | instskip(NEXT) | instid1(VALU_DEP_1)
	v_sub_f32_e32 v60, v9, v55
	v_dual_sub_f32 v58, v55, v58 :: v_dual_sub_f32 v9, v9, v60
	s_delay_alu instid0(VALU_DEP_1) | instskip(NEXT) | instid1(VALU_DEP_2)
	v_sub_f32_e32 v9, v9, v55
	v_sub_f32_e32 v55, v58, v57
	s_delay_alu instid0(VALU_DEP_2) | instskip(SKIP_1) | instid1(VALU_DEP_2)
	v_add_f32_e32 v5, v5, v9
	v_add_f32_e32 v9, v59, v56
	;; [unrolled: 1-line block ×3, first 2 shown]
	s_delay_alu instid0(VALU_DEP_2) | instskip(NEXT) | instid1(VALU_DEP_2)
	v_sub_f32_e32 v55, v9, v59
	v_add_f32_e32 v5, v60, v5
	s_delay_alu instid0(VALU_DEP_2) | instskip(NEXT) | instid1(VALU_DEP_2)
	v_sub_f32_e32 v55, v56, v55
	v_mul_f32_e32 v5, v8, v5
	s_delay_alu instid0(VALU_DEP_1) | instskip(NEXT) | instid1(VALU_DEP_1)
	v_add_f32_e32 v5, v55, v5
	v_add_f32_e32 v8, v9, v5
	s_delay_alu instid0(VALU_DEP_1) | instskip(NEXT) | instid1(VALU_DEP_1)
	v_mul_f32_e32 v55, v8, v8
	v_fmaak_f32 v56, s67, v55, 0x3ecc95a3
	v_mul_f32_e32 v57, v8, v55
	s_delay_alu instid0(VALU_DEP_2) | instskip(SKIP_1) | instid1(VALU_DEP_2)
	v_fmaak_f32 v55, v55, v56, 0x3f2aaada
	v_ldexp_f32 v56, v8, 1
	v_dual_sub_f32 v8, v8, v9 :: v_dual_mul_f32 v55, v57, v55
	v_mul_f32_e32 v57, 0x3f317218, v4
	s_delay_alu instid0(VALU_DEP_2) | instskip(NEXT) | instid1(VALU_DEP_3)
	v_sub_f32_e32 v5, v5, v8
	v_add_f32_e32 v9, v56, v55
	s_delay_alu instid0(VALU_DEP_2) | instskip(NEXT) | instid1(VALU_DEP_2)
	v_ldexp_f32 v5, v5, 1
	v_sub_f32_e32 v8, v9, v56
	v_fma_f32 v56, 0x3f317218, v4, -v57
	s_delay_alu instid0(VALU_DEP_2) | instskip(NEXT) | instid1(VALU_DEP_2)
	v_sub_f32_e32 v8, v55, v8
	v_fmac_f32_e32 v56, 0xb102e308, v4
	s_delay_alu instid0(VALU_DEP_2) | instskip(NEXT) | instid1(VALU_DEP_2)
	v_add_f32_e32 v4, v5, v8
	v_add_f32_e32 v5, v57, v56
	s_delay_alu instid0(VALU_DEP_2) | instskip(NEXT) | instid1(VALU_DEP_2)
	v_add_f32_e32 v8, v9, v4
	v_sub_f32_e32 v57, v5, v57
	s_delay_alu instid0(VALU_DEP_2) | instskip(SKIP_1) | instid1(VALU_DEP_3)
	v_add_f32_e32 v55, v5, v8
	v_sub_f32_e32 v9, v8, v9
	v_sub_f32_e32 v56, v56, v57
	s_delay_alu instid0(VALU_DEP_3) | instskip(NEXT) | instid1(VALU_DEP_1)
	v_sub_f32_e32 v58, v55, v5
	v_dual_sub_f32 v4, v4, v9 :: v_dual_sub_f32 v59, v55, v58
	v_sub_f32_e32 v8, v8, v58
	s_delay_alu instid0(VALU_DEP_2) | instskip(NEXT) | instid1(VALU_DEP_3)
	v_add_f32_e32 v9, v56, v4
	v_sub_f32_e32 v5, v5, v59
	s_delay_alu instid0(VALU_DEP_1) | instskip(NEXT) | instid1(VALU_DEP_1)
	v_dual_add_f32 v5, v8, v5 :: v_dual_sub_f32 v8, v9, v56
	v_add_f32_e32 v5, v9, v5
	s_delay_alu instid0(VALU_DEP_2) | instskip(NEXT) | instid1(VALU_DEP_2)
	v_sub_f32_e32 v9, v9, v8
	v_dual_sub_f32 v4, v4, v8 :: v_dual_add_f32 v57, v55, v5
	s_delay_alu instid0(VALU_DEP_1) | instskip(NEXT) | instid1(VALU_DEP_1)
	v_dual_sub_f32 v9, v56, v9 :: v_dual_sub_f32 v8, v57, v55
	v_dual_add_f32 v4, v4, v9 :: v_dual_sub_f32 v5, v5, v8
	s_delay_alu instid0(VALU_DEP_1) | instskip(NEXT) | instid1(VALU_DEP_1)
	v_add_f32_e32 v4, v4, v5
	v_add_f32_e32 v4, v57, v4
	s_delay_alu instid0(VALU_DEP_1)
	v_cndmask_b32_e32 v55, v4, v6, vcc_lo
.LBB10_56:                              ;   in Loop: Header=BB10_12 Depth=1
	s_or_b32 exec_lo, exec_lo, s21
	v_and_b32_e32 v4, 0xffff0000, v7
	s_delay_alu instid0(VALU_DEP_1) | instskip(NEXT) | instid1(VALU_DEP_1)
	v_add_f32_e32 v64, s52, v4
	v_cmp_ge_f32_e32 vcc_lo, 0x41a00000, v64
	s_and_b32 s20, s63, vcc_lo
	s_delay_alu instid0(SALU_CYCLE_1)
	s_and_saveexec_b32 s21, s20
	s_cbranch_execz .LBB10_58
; %bb.57:                               ;   in Loop: Header=BB10_12 Depth=1
	v_mul_f32_e32 v4, 0x3fb8aa3b, v64
	v_cmp_ngt_f32_e32 vcc_lo, 0xc2ce8ed0, v64
	s_delay_alu instid0(VALU_DEP_2) | instskip(SKIP_1) | instid1(VALU_DEP_2)
	v_rndne_f32_e32 v5, v4
	v_fma_f32 v6, 0x3fb8aa3b, v64, -v4
	v_sub_f32_e32 v4, v4, v5
	s_delay_alu instid0(VALU_DEP_2) | instskip(SKIP_1) | instid1(VALU_DEP_2)
	v_fmac_f32_e32 v6, 0x32a5705f, v64
	v_cvt_i32_f32_e32 v5, v5
	v_add_f32_e32 v4, v4, v6
	s_delay_alu instid0(VALU_DEP_1) | instskip(SKIP_2) | instid1(VALU_DEP_1)
	v_exp_f32_e32 v4, v4
	s_waitcnt_depctr 0xfff
	v_ldexp_f32 v4, v4, v5
	v_cndmask_b32_e32 v4, 0, v4, vcc_lo
	v_cmp_nlt_f32_e32 vcc_lo, 0x42b17218, v64
	s_delay_alu instid0(VALU_DEP_2) | instskip(NEXT) | instid1(VALU_DEP_1)
	v_cndmask_b32_e32 v6, 0x7f800000, v4, vcc_lo
	v_add_f32_e32 v7, 1.0, v6
	s_delay_alu instid0(VALU_DEP_1) | instskip(NEXT) | instid1(VALU_DEP_1)
	v_cvt_f64_f32_e32 v[4:5], v7
	v_frexp_exp_i32_f64_e32 v4, v[4:5]
	v_frexp_mant_f32_e32 v5, v7
	s_delay_alu instid0(VALU_DEP_1) | instskip(SKIP_1) | instid1(VALU_DEP_1)
	v_cmp_gt_f32_e32 vcc_lo, 0x3f2aaaab, v5
	v_add_f32_e32 v5, -1.0, v7
	v_sub_f32_e32 v9, v5, v7
	v_sub_f32_e32 v5, v6, v5
	s_delay_alu instid0(VALU_DEP_2) | instskip(NEXT) | instid1(VALU_DEP_1)
	v_add_f32_e32 v9, 1.0, v9
	v_add_f32_e32 v5, v5, v9
	v_cmp_gt_f32_e64 s20, 0x33800000, v6
	v_subrev_co_ci_u32_e32 v4, vcc_lo, 0, v4, vcc_lo
	v_cmp_eq_f32_e32 vcc_lo, 0x7f800000, v6
	s_delay_alu instid0(VALU_DEP_2) | instskip(SKIP_2) | instid1(VALU_DEP_2)
	v_sub_nc_u32_e32 v8, 0, v4
	v_cvt_f32_i32_e32 v4, v4
	s_or_b32 vcc_lo, s20, vcc_lo
	v_ldexp_f32 v7, v7, v8
	v_ldexp_f32 v5, v5, v8
	s_delay_alu instid0(VALU_DEP_2) | instskip(NEXT) | instid1(VALU_DEP_1)
	v_add_f32_e32 v56, 1.0, v7
	v_dual_add_f32 v8, -1.0, v7 :: v_dual_add_f32 v9, -1.0, v56
	s_delay_alu instid0(VALU_DEP_1) | instskip(NEXT) | instid1(VALU_DEP_2)
	v_add_f32_e32 v57, 1.0, v8
	v_sub_f32_e32 v9, v7, v9
	s_delay_alu instid0(VALU_DEP_2) | instskip(NEXT) | instid1(VALU_DEP_2)
	v_sub_f32_e32 v7, v7, v57
	v_add_f32_e32 v9, v5, v9
	s_delay_alu instid0(VALU_DEP_2) | instskip(NEXT) | instid1(VALU_DEP_1)
	v_add_f32_e32 v5, v5, v7
	v_add_f32_e32 v58, v8, v5
	s_delay_alu instid0(VALU_DEP_1) | instskip(NEXT) | instid1(VALU_DEP_4)
	v_sub_f32_e32 v8, v8, v58
	v_add_f32_e32 v57, v56, v9
	s_delay_alu instid0(VALU_DEP_1) | instskip(NEXT) | instid1(VALU_DEP_2)
	v_rcp_f32_e32 v7, v57
	v_dual_sub_f32 v56, v56, v57 :: v_dual_add_f32 v5, v5, v8
	s_delay_alu instid0(VALU_DEP_1) | instskip(SKIP_2) | instid1(VALU_DEP_1)
	v_add_f32_e32 v9, v9, v56
	s_waitcnt_depctr 0xfff
	v_mul_f32_e32 v59, v58, v7
	v_mul_f32_e32 v60, v57, v59
	s_delay_alu instid0(VALU_DEP_1) | instskip(NEXT) | instid1(VALU_DEP_1)
	v_fma_f32 v56, v59, v57, -v60
	v_fmac_f32_e32 v56, v59, v9
	s_delay_alu instid0(VALU_DEP_1) | instskip(NEXT) | instid1(VALU_DEP_1)
	v_add_f32_e32 v61, v60, v56
	v_sub_f32_e32 v62, v58, v61
	v_sub_f32_e32 v8, v61, v60
	s_delay_alu instid0(VALU_DEP_2) | instskip(NEXT) | instid1(VALU_DEP_1)
	v_sub_f32_e32 v58, v58, v62
	v_sub_f32_e32 v58, v58, v61
	s_delay_alu instid0(VALU_DEP_1) | instskip(NEXT) | instid1(VALU_DEP_1)
	v_dual_sub_f32 v8, v8, v56 :: v_dual_add_f32 v5, v5, v58
	v_add_f32_e32 v5, v8, v5
	s_delay_alu instid0(VALU_DEP_1) | instskip(NEXT) | instid1(VALU_DEP_1)
	v_add_f32_e32 v8, v62, v5
	v_mul_f32_e32 v56, v7, v8
	v_sub_f32_e32 v61, v62, v8
	s_delay_alu instid0(VALU_DEP_2) | instskip(NEXT) | instid1(VALU_DEP_2)
	v_mul_f32_e32 v58, v57, v56
	v_add_f32_e32 v5, v5, v61
	s_delay_alu instid0(VALU_DEP_2) | instskip(NEXT) | instid1(VALU_DEP_1)
	v_fma_f32 v57, v56, v57, -v58
	v_fmac_f32_e32 v57, v56, v9
	s_delay_alu instid0(VALU_DEP_1) | instskip(NEXT) | instid1(VALU_DEP_1)
	v_add_f32_e32 v9, v58, v57
	v_sub_f32_e32 v60, v8, v9
	s_delay_alu instid0(VALU_DEP_1) | instskip(NEXT) | instid1(VALU_DEP_1)
	v_sub_f32_e32 v8, v8, v60
	v_sub_f32_e32 v8, v8, v9
	s_delay_alu instid0(VALU_DEP_1) | instskip(SKIP_2) | instid1(VALU_DEP_1)
	v_add_f32_e32 v5, v5, v8
	v_add_f32_e32 v8, v59, v56
	v_sub_f32_e32 v58, v9, v58
	v_sub_f32_e32 v9, v58, v57
	s_delay_alu instid0(VALU_DEP_1) | instskip(NEXT) | instid1(VALU_DEP_4)
	v_add_f32_e32 v5, v9, v5
	v_sub_f32_e32 v9, v8, v59
	s_delay_alu instid0(VALU_DEP_2) | instskip(NEXT) | instid1(VALU_DEP_2)
	v_add_f32_e32 v5, v60, v5
	v_sub_f32_e32 v9, v56, v9
	s_delay_alu instid0(VALU_DEP_2) | instskip(NEXT) | instid1(VALU_DEP_1)
	v_mul_f32_e32 v5, v7, v5
	v_add_f32_e32 v5, v9, v5
	s_delay_alu instid0(VALU_DEP_1) | instskip(NEXT) | instid1(VALU_DEP_1)
	v_add_f32_e32 v7, v8, v5
	v_mul_f32_e32 v9, v7, v7
	s_delay_alu instid0(VALU_DEP_1) | instskip(SKIP_1) | instid1(VALU_DEP_2)
	v_fmaak_f32 v56, s67, v9, 0x3ecc95a3
	v_mul_f32_e32 v57, v7, v9
	v_fmaak_f32 v9, v9, v56, 0x3f2aaada
	v_ldexp_f32 v56, v7, 1
	v_sub_f32_e32 v7, v7, v8
	s_delay_alu instid0(VALU_DEP_3) | instskip(SKIP_1) | instid1(VALU_DEP_2)
	v_mul_f32_e32 v9, v57, v9
	v_mul_f32_e32 v57, 0x3f317218, v4
	v_dual_sub_f32 v5, v5, v7 :: v_dual_add_f32 v8, v56, v9
	s_delay_alu instid0(VALU_DEP_1) | instskip(NEXT) | instid1(VALU_DEP_2)
	v_ldexp_f32 v5, v5, 1
	v_sub_f32_e32 v7, v8, v56
	s_delay_alu instid0(VALU_DEP_4) | instskip(NEXT) | instid1(VALU_DEP_1)
	v_fma_f32 v56, 0x3f317218, v4, -v57
	v_dual_sub_f32 v7, v9, v7 :: v_dual_fmac_f32 v56, 0xb102e308, v4
	s_delay_alu instid0(VALU_DEP_1) | instskip(NEXT) | instid1(VALU_DEP_1)
	v_add_f32_e32 v4, v5, v7
	v_add_f32_e32 v7, v8, v4
	s_delay_alu instid0(VALU_DEP_1) | instskip(NEXT) | instid1(VALU_DEP_1)
	v_sub_f32_e32 v8, v7, v8
	v_sub_f32_e32 v4, v4, v8
	v_add_f32_e32 v5, v57, v56
	s_delay_alu instid0(VALU_DEP_1) | instskip(SKIP_1) | instid1(VALU_DEP_2)
	v_add_f32_e32 v9, v5, v7
	v_sub_f32_e32 v57, v5, v57
	v_sub_f32_e32 v58, v9, v5
	s_delay_alu instid0(VALU_DEP_1) | instskip(NEXT) | instid1(VALU_DEP_1)
	v_dual_sub_f32 v56, v56, v57 :: v_dual_sub_f32 v59, v9, v58
	v_dual_sub_f32 v7, v7, v58 :: v_dual_add_f32 v8, v56, v4
	s_delay_alu instid0(VALU_DEP_2) | instskip(NEXT) | instid1(VALU_DEP_1)
	v_sub_f32_e32 v5, v5, v59
	v_add_f32_e32 v5, v7, v5
	s_delay_alu instid0(VALU_DEP_3) | instskip(NEXT) | instid1(VALU_DEP_2)
	v_sub_f32_e32 v7, v8, v56
	v_add_f32_e32 v5, v8, v5
	s_delay_alu instid0(VALU_DEP_2) | instskip(NEXT) | instid1(VALU_DEP_2)
	v_sub_f32_e32 v8, v8, v7
	v_dual_sub_f32 v4, v4, v7 :: v_dual_add_f32 v57, v9, v5
	s_delay_alu instid0(VALU_DEP_1) | instskip(NEXT) | instid1(VALU_DEP_1)
	v_dual_sub_f32 v8, v56, v8 :: v_dual_sub_f32 v7, v57, v9
	v_dual_add_f32 v4, v4, v8 :: v_dual_sub_f32 v5, v5, v7
	s_delay_alu instid0(VALU_DEP_1) | instskip(NEXT) | instid1(VALU_DEP_1)
	v_add_f32_e32 v4, v4, v5
	v_add_f32_e32 v4, v57, v4
	s_delay_alu instid0(VALU_DEP_1)
	v_cndmask_b32_e32 v64, v4, v6, vcc_lo
.LBB10_58:                              ;   in Loop: Header=BB10_12 Depth=1
	s_or_b32 exec_lo, exec_lo, s21
	v_and_b32_e32 v5, 0xffff0000, v2
	v_and_b32_e32 v7, 0xffff0000, v3
	v_lshlrev_b32_e32 v2, 16, v2
	v_lshlrev_b32_e32 v4, 16, v3
	v_and_b32_e32 v6, 0xffff0000, v0
	v_and_b32_e32 v3, 0xffff0000, v1
	v_lshlrev_b32_e32 v1, 16, v1
	v_dual_mul_f32 v59, s53, v2 :: v_dual_lshlrev_b32 v0, 16, v0
	s_delay_alu instid0(VALU_DEP_4) | instskip(NEXT) | instid1(VALU_DEP_3)
	v_dual_mul_f32 v57, s53, v4 :: v_dual_mul_f32 v58, s53, v6
	v_dual_mul_f32 v61, s53, v3 :: v_dual_mul_f32 v62, s53, v1
	v_mul_f32_e32 v56, s53, v5
	s_delay_alu instid0(VALU_DEP_4)
	v_dual_mul_f32 v60, s53, v7 :: v_dual_mul_f32 v63, s53, v0
	s_and_b32 vcc_lo, exec_lo, s64
	s_barrier
	buffer_gl0_inv
	s_cbranch_vccz .LBB10_122
; %bb.59:                               ;   in Loop: Header=BB10_12 Depth=1
	v_dual_mul_f32 v65, v64, v7 :: v_dual_mul_f32 v70, v55, v4
	v_add_co_u32 v7, s20, s41, v47
	s_delay_alu instid0(VALU_DEP_1) | instskip(SKIP_1) | instid1(VALU_DEP_1)
	v_add_co_ci_u32_e64 v8, null, s51, 0, s20
	v_add_co_u32 v9, s20, s45, v47
	v_add_co_ci_u32_e64 v69, null, s48, 0, s20
	s_delay_alu instid0(VALU_DEP_4) | instskip(NEXT) | instid1(VALU_DEP_4)
	v_add_co_u32 v66, vcc_lo, v7, v48
	v_add_co_ci_u32_e32 v67, vcc_lo, 0, v8, vcc_lo
	s_delay_alu instid0(VALU_DEP_4) | instskip(NEXT) | instid1(VALU_DEP_4)
	v_add_co_u32 v68, vcc_lo, v9, v48
	v_add_co_ci_u32_e32 v69, vcc_lo, 0, v69, vcc_lo
	v_cmp_gt_u32_e32 vcc_lo, s23, v10
	s_cmp_lg_u32 s69, 0
	v_cmp_gt_u32_e64 s21, s23, v40
	s_cselect_b32 s31, -1, 0
	s_cmp_eq_u32 s69, s66
	v_cmp_gt_u32_e64 s22, s23, v41
	s_cselect_b32 s70, -1, 0
	s_or_b32 s20, s65, vcc_lo
	v_cmp_gt_u32_e32 vcc_lo, s23, v42
	v_cmp_gt_u32_e64 s24, s23, v43
	v_cmp_gt_u32_e64 s25, s23, v44
	;; [unrolled: 1-line block ×4, first 2 shown]
	v_dual_mul_f32 v71, v54, v5 :: v_dual_mul_f32 v72, v53, v2
	v_dual_mul_f32 v73, v52, v3 :: v_dual_mul_f32 v74, v51, v1
	;; [unrolled: 1-line block ×3, first 2 shown]
	s_mov_b32 s34, 0
	s_or_b32 s21, s65, s21
	s_or_b32 s22, s65, s22
	s_or_b32 s23, s65, vcc_lo
	s_or_b32 s24, s65, s24
	s_or_b32 s25, s65, s25
	;; [unrolled: 1-line block ×4, first 2 shown]
	s_mov_b32 s38, s34
	s_mov_b32 s42, s34
	;; [unrolled: 1-line block ×5, first 2 shown]
	s_branch .LBB10_61
.LBB10_60:                              ;   in Loop: Header=BB10_61 Depth=2
	s_or_b32 exec_lo, exec_lo, s28
	v_cndmask_b32_e64 v5, v94, v7, s11
	v_cndmask_b32_e64 v6, v93, v6, s11
	s_add_i32 s71, s71, -1
	s_add_i32 s72, s72, 8
	s_add_i32 s46, s46, s50
	v_fma_f32 v5, v5, v82, v80
	v_mul_f32_e32 v6, v6, v82
	s_add_i32 s42, s42, s44
	s_add_i32 s38, s38, s40
	;; [unrolled: 1-line block ×3, first 2 shown]
	v_cndmask_b32_e64 v5, v5, v80, s10
	v_cndmask_b32_e64 v6, v6, v82, s10
	s_cmp_eq_u32 s71, 0
	s_waitcnt lgkmcnt(0)
	s_delay_alu instid0(VALU_DEP_1) | instskip(NEXT) | instid1(VALU_DEP_1)
	v_dual_fmac_f32 v5, v4, v6 :: v_dual_and_b32 v4, 0xffff0000, v0
	v_fmac_f32_e32 v77, v5, v83
	s_delay_alu instid0(VALU_DEP_1) | instskip(SKIP_1) | instid1(VALU_DEP_1)
	v_dual_fmac_f32 v58, v77, v4 :: v_dual_and_b32 v7, 0xffff0000, v2
	v_fmac_f32_e32 v78, v77, v85
	v_dual_fmac_f32 v79, v78, v86 :: v_dual_and_b32 v6, 0xffff0000, v1
	s_delay_alu instid0(VALU_DEP_1) | instskip(SKIP_1) | instid1(VALU_DEP_3)
	v_fmac_f32_e32 v81, v79, v88
	v_lshlrev_b32_e32 v1, 16, v1
	v_dual_fmac_f32 v61, v79, v6 :: v_dual_and_b32 v8, 0xffff0000, v3
	s_delay_alu instid0(VALU_DEP_3) | instskip(SKIP_1) | instid1(VALU_DEP_4)
	v_fmac_f32_e32 v84, v81, v92
	v_lshlrev_b32_e32 v0, 16, v0
	v_dual_fmac_f32 v62, v78, v1 :: v_dual_lshlrev_b32 v3, 16, v3
	s_delay_alu instid0(VALU_DEP_3) | instskip(NEXT) | instid1(VALU_DEP_3)
	v_fmac_f32_e32 v87, v84, v90
	v_dual_fmac_f32 v63, v5, v0 :: v_dual_lshlrev_b32 v2, 16, v2
	v_fmac_f32_e32 v56, v84, v7
	s_delay_alu instid0(VALU_DEP_3) | instskip(NEXT) | instid1(VALU_DEP_3)
	v_fmac_f32_e32 v89, v87, v91
	v_fmac_f32_e32 v59, v81, v2
	s_delay_alu instid0(VALU_DEP_2)
	v_dual_fmac_f32 v57, v87, v3 :: v_dual_fmac_f32 v60, v89, v8
	s_cbranch_scc1 .LBB10_122
.LBB10_61:                              ;   Parent Loop BB10_12 Depth=1
                                        ; =>  This Inner Loop Header: Depth=2
	s_lshl_b64 s[28:29], s[34:35], 2
	s_mov_b32 s39, s35
	s_add_u32 s28, s58, s28
	s_addc_u32 s29, s59, s29
	v_dual_mov_b32 v2, 0 :: v_dual_mov_b32 v3, 0
	global_load_b32 v77, v13, s[28:29]
	s_lshl_b64 s[28:29], s[38:39], 1
	s_delay_alu instid0(SALU_CYCLE_1)
	v_add_co_u32 v0, vcc_lo, v66, s28
	v_add_co_ci_u32_e32 v1, vcc_lo, s29, v67, vcc_lo
	s_and_saveexec_b32 s28, s12
	s_cbranch_execz .LBB10_63
; %bb.62:                               ;   in Loop: Header=BB10_61 Depth=2
	global_load_u16 v3, v[0:1], off
.LBB10_63:                              ;   in Loop: Header=BB10_61 Depth=2
	s_or_b32 exec_lo, exec_lo, s28
	s_and_saveexec_b32 s28, s13
	s_cbranch_execz .LBB10_65
; %bb.64:                               ;   in Loop: Header=BB10_61 Depth=2
	global_load_u16 v2, v[0:1], off offset:64
.LBB10_65:                              ;   in Loop: Header=BB10_61 Depth=2
	s_or_b32 exec_lo, exec_lo, s28
	v_dual_mov_b32 v4, 0 :: v_dual_mov_b32 v5, 0
	s_and_saveexec_b32 s28, s14
	s_cbranch_execz .LBB10_67
; %bb.66:                               ;   in Loop: Header=BB10_61 Depth=2
	global_load_u16 v5, v[0:1], off offset:128
.LBB10_67:                              ;   in Loop: Header=BB10_61 Depth=2
	s_or_b32 exec_lo, exec_lo, s28
	s_and_saveexec_b32 s28, s15
	s_cbranch_execz .LBB10_69
; %bb.68:                               ;   in Loop: Header=BB10_61 Depth=2
	global_load_u16 v4, v[0:1], off offset:192
.LBB10_69:                              ;   in Loop: Header=BB10_61 Depth=2
	s_or_b32 exec_lo, exec_lo, s28
	v_dual_mov_b32 v6, 0 :: v_dual_mov_b32 v7, 0
	s_and_saveexec_b32 s28, s16
	s_cbranch_execz .LBB10_71
; %bb.70:                               ;   in Loop: Header=BB10_61 Depth=2
	global_load_u16 v7, v[0:1], off offset:256
.LBB10_71:                              ;   in Loop: Header=BB10_61 Depth=2
	;; [unrolled: 13-line block ×3, first 2 shown]
	s_or_b32 exec_lo, exec_lo, s28
	s_and_saveexec_b32 s28, s19
	s_cbranch_execz .LBB10_77
; %bb.76:                               ;   in Loop: Header=BB10_61 Depth=2
	global_load_u16 v8, v[0:1], off offset:448
.LBB10_77:                              ;   in Loop: Header=BB10_61 Depth=2
	s_or_b32 exec_lo, exec_lo, s28
	s_waitcnt vmcnt(0)
	ds_store_b16 v20, v3
	ds_store_b16 v20, v2 offset:64
	ds_store_b16 v21, v5 offset:128
	;; [unrolled: 1-line block ×7, first 2 shown]
	; wave barrier
	ds_load_b128 v[4:7], v27
	s_mov_b32 s43, s35
	v_dual_mov_b32 v2, 0 :: v_dual_mov_b32 v3, 0
	s_lshl_b64 s[28:29], s[42:43], 1
	s_delay_alu instid0(SALU_CYCLE_1)
	v_add_co_u32 v0, vcc_lo, v68, s28
	v_add_co_ci_u32_e32 v1, vcc_lo, s29, v69, vcc_lo
	s_and_saveexec_b32 s28, s12
	s_cbranch_execz .LBB10_79
; %bb.78:                               ;   in Loop: Header=BB10_61 Depth=2
	global_load_u16 v3, v[0:1], off
.LBB10_79:                              ;   in Loop: Header=BB10_61 Depth=2
	s_or_b32 exec_lo, exec_lo, s28
	s_and_saveexec_b32 s28, s13
	s_cbranch_execz .LBB10_81
; %bb.80:                               ;   in Loop: Header=BB10_61 Depth=2
	global_load_u16 v2, v[0:1], off offset:64
.LBB10_81:                              ;   in Loop: Header=BB10_61 Depth=2
	s_or_b32 exec_lo, exec_lo, s28
	v_dual_mov_b32 v8, 0 :: v_dual_mov_b32 v9, 0
	s_and_saveexec_b32 s28, s14
	s_cbranch_execz .LBB10_83
; %bb.82:                               ;   in Loop: Header=BB10_61 Depth=2
	global_load_u16 v9, v[0:1], off offset:128
.LBB10_83:                              ;   in Loop: Header=BB10_61 Depth=2
	s_or_b32 exec_lo, exec_lo, s28
	s_and_saveexec_b32 s28, s15
	s_cbranch_execz .LBB10_85
; %bb.84:                               ;   in Loop: Header=BB10_61 Depth=2
	global_load_u16 v8, v[0:1], off offset:192
.LBB10_85:                              ;   in Loop: Header=BB10_61 Depth=2
	s_or_b32 exec_lo, exec_lo, s28
	v_dual_mov_b32 v78, 0 :: v_dual_mov_b32 v79, 0
	s_and_saveexec_b32 s28, s16
	s_cbranch_execz .LBB10_87
; %bb.86:                               ;   in Loop: Header=BB10_61 Depth=2
	global_load_u16 v79, v[0:1], off offset:256
.LBB10_87:                              ;   in Loop: Header=BB10_61 Depth=2
	;; [unrolled: 13-line block ×3, first 2 shown]
	s_or_b32 exec_lo, exec_lo, s28
	s_and_saveexec_b32 s28, s19
	s_cbranch_execz .LBB10_93
; %bb.92:                               ;   in Loop: Header=BB10_61 Depth=2
	global_load_u16 v80, v[0:1], off offset:448
.LBB10_93:                              ;   in Loop: Header=BB10_61 Depth=2
	s_or_b32 exec_lo, exec_lo, s28
	s_waitcnt vmcnt(0)
	ds_store_b16 v20, v3 offset:1056
	ds_store_b16 v28, v2 offset:64
	;; [unrolled: 1-line block ×8, first 2 shown]
	; wave barrier
	ds_load_b128 v[0:3], v27 offset:1056
	s_and_not1_b32 vcc_lo, exec_lo, s31
	s_cbranch_vccnz .LBB10_95
; %bb.94:                               ;   in Loop: Header=BB10_61 Depth=2
	v_mov_b32_e32 v8, s72
	ds_load_b64 v[8:9], v8
	s_cbranch_execz .LBB10_96
	s_branch .LBB10_99
.LBB10_95:                              ;   in Loop: Header=BB10_61 Depth=2
                                        ; implicit-def: $vgpr8
.LBB10_96:                              ;   in Loop: Header=BB10_61 Depth=2
	s_waitcnt lgkmcnt(0)
	v_mov_b32_e32 v9, 0
	s_and_not1_b32 vcc_lo, exec_lo, s33
	s_cbranch_vccnz .LBB10_98
; %bb.97:                               ;   in Loop: Header=BB10_61 Depth=2
	s_mov_b32 s47, s35
	s_delay_alu instid0(SALU_CYCLE_1) | instskip(NEXT) | instid1(SALU_CYCLE_1)
	s_lshl_b64 s[28:29], s[46:47], 1
	s_add_u32 s28, s60, s28
	s_addc_u32 s29, s61, s29
	global_load_u16 v8, v13, s[28:29]
	s_waitcnt vmcnt(0)
	v_lshlrev_b32_e32 v9, 16, v8
.LBB10_98:                              ;   in Loop: Header=BB10_61 Depth=2
	v_mov_b32_e32 v8, 1.0
.LBB10_99:                              ;   in Loop: Header=BB10_61 Depth=2
	v_mul_f32_e32 v87, 0x3fb8aa3b, v77
	s_waitcnt lgkmcnt(9)
	v_lshlrev_b32_e32 v77, 16, v4
	v_and_b32_e32 v4, 0xffff0000, v4
	s_delay_alu instid0(VALU_DEP_1) | instskip(SKIP_1) | instid1(VALU_DEP_4)
	v_mul_f32_e32 v4, v75, v4
	v_mul_f32_e32 v78, v87, v49
	;; [unrolled: 1-line block ×3, first 2 shown]
	v_dual_mul_f32 v80, v87, v50 :: v_dual_lshlrev_b32 v79, 16, v5
	v_mul_f32_e32 v82, v87, v51
	s_delay_alu instid0(VALU_DEP_4) | instskip(SKIP_1) | instid1(VALU_DEP_4)
	v_cmp_gt_f32_e32 vcc_lo, 0xc2fc0000, v78
	v_dual_mul_f32 v84, v87, v52 :: v_dual_lshlrev_b32 v89, 16, v7
	v_cmp_gt_f32_e64 s28, 0xc2fc0000, v80
	s_delay_alu instid0(VALU_DEP_4)
	v_cmp_gt_f32_e64 s29, 0xc2fc0000, v82
	v_cndmask_b32_e64 v78, 0, 0x42800000, vcc_lo
	v_lshlrev_b32_e32 v81, 16, v6
	v_cndmask_b32_e64 v85, 1.0, 0x1f800000, vcc_lo
	v_cndmask_b32_e64 v80, 0, 0x42800000, s28
	v_and_b32_e32 v5, 0xffff0000, v5
	v_fmac_f32_e32 v78, v87, v49
	v_cndmask_b32_e64 v82, 0, 0x42800000, s29
	v_cndmask_b32_e64 v86, 1.0, 0x1f800000, s28
	v_fmac_f32_e32 v80, v87, v50
	v_cmp_gt_f32_e32 vcc_lo, 0xc2fc0000, v84
	v_exp_f32_e32 v78, v78
	v_and_b32_e32 v7, 0xffff0000, v7
	v_dual_fmac_f32 v82, v87, v51 :: v_dual_mul_f32 v5, v73, v5
	v_exp_f32_e32 v83, v80
	v_cndmask_b32_e64 v80, 0, v77, s20
	v_cndmask_b32_e64 v77, 0, v4, s21
	v_cndmask_b32_e64 v84, 0, 0x42800000, vcc_lo
	v_dual_mul_f32 v79, v74, v79 :: v_dual_and_b32 v6, 0xffff0000, v6
	s_delay_alu instid0(TRANS32_DEP_2) | instskip(SKIP_1) | instid1(VALU_DEP_3)
	v_mul_f32_e32 v4, v78, v85
	v_exp_f32_e32 v85, v82
	v_dual_fmac_f32 v84, v87, v52 :: v_dual_mul_f32 v89, v70, v89
	s_delay_alu instid0(TRANS32_DEP_2) | instskip(NEXT) | instid1(VALU_DEP_3)
	v_dual_mul_f32 v78, v83, v86 :: v_dual_mul_f32 v81, v72, v81
	v_cndmask_b32_e64 v82, 1.0, v4, s20
	v_dual_mul_f32 v4, v87, v53 :: v_dual_mul_f32 v7, v65, v7
	s_delay_alu instid0(VALU_DEP_3) | instskip(SKIP_2) | instid1(VALU_DEP_4)
	v_cndmask_b32_e64 v83, 1.0, v78, s21
	v_cndmask_b32_e64 v78, 1.0, 0x1f800000, s29
	v_mul_f32_e32 v86, v87, v54
	v_cmp_gt_f32_e64 s28, 0xc2fc0000, v4
	v_exp_f32_e32 v84, v84
	v_mul_f32_e32 v91, v87, v64
	v_mul_f32_e32 v85, v85, v78
	v_cndmask_b32_e64 v78, 0, v79, s22
	v_cndmask_b32_e64 v4, 0, 0x42800000, s28
	v_cndmask_b32_e64 v79, 1.0, 0x1f800000, vcc_lo
	v_cmp_gt_f32_e32 vcc_lo, 0xc2fc0000, v86
	v_mul_f32_e32 v6, v71, v6
	v_cndmask_b32_e64 v85, 1.0, v85, s22
	v_fmac_f32_e32 v4, v87, v53
	v_mul_f32_e32 v84, v84, v79
	v_cndmask_b32_e64 v88, 0, 0x42800000, vcc_lo
	v_cndmask_b32_e64 v79, 0, v5, s23
	v_cndmask_b32_e64 v5, 1.0, 0x1f800000, s28
	v_exp_f32_e32 v4, v4
	v_cndmask_b32_e64 v86, 1.0, v84, s23
	v_fmac_f32_e32 v88, v87, v54
	v_cmp_gt_f32_e64 s28, 0xc2fc0000, v91
	v_fma_f32 v91, v83, v80, v77
	v_cndmask_b32_e64 v81, 0, v81, s24
	s_delay_alu instid0(VALU_DEP_4) | instskip(SKIP_1) | instid1(TRANS32_DEP_2)
	v_exp_f32_e32 v84, v88
	v_mul_f32_e32 v88, v87, v55
	v_mul_f32_e32 v4, v4, v5
	v_cndmask_b32_e64 v5, 1.0, 0x1f800000, vcc_lo
	s_delay_alu instid0(VALU_DEP_3) | instskip(NEXT) | instid1(VALU_DEP_3)
	v_cmp_gt_f32_e32 vcc_lo, 0xc2fc0000, v88
	v_cndmask_b32_e64 v88, 1.0, v4, s24
	s_waitcnt_depctr 0xfff
	v_mul_f32_e32 v4, v84, v5
	v_cndmask_b32_e64 v90, 0, 0x42800000, vcc_lo
	v_cndmask_b32_e64 v84, 0, v6, s25
	v_cndmask_b32_e64 v5, 0, 0x42800000, s28
	v_mul_f32_e32 v6, v83, v82
	v_cndmask_b32_e64 v92, 1.0, v4, s25
	v_fmac_f32_e32 v90, v87, v55
	s_delay_alu instid0(VALU_DEP_3) | instskip(SKIP_1) | instid1(VALU_DEP_3)
	v_dual_fmac_f32 v5, v87, v64 :: v_dual_mul_f32 v4, v6, v85
	v_fma_f32 v6, v91, v85, v78
	v_exp_f32_e32 v90, v90
	v_cndmask_b32_e64 v87, 1.0, 0x1f800000, vcc_lo
	s_delay_alu instid0(VALU_DEP_3) | instskip(SKIP_2) | instid1(VALU_DEP_2)
	v_exp_f32_e32 v5, v5
	v_mul_f32_e32 v4, v4, v86
	v_fma_f32 v6, v6, v86, v79
	v_mul_f32_e32 v4, v4, v88
	s_delay_alu instid0(VALU_DEP_2) | instskip(NEXT) | instid1(TRANS32_DEP_2)
	v_fma_f32 v6, v6, v88, v81
	v_mul_f32_e32 v90, v90, v87
	v_cndmask_b32_e64 v87, 0, v89, s26
	v_cndmask_b32_e64 v89, 1.0, 0x1f800000, s28
	v_mul_f32_e32 v4, v4, v92
	v_fma_f32 v6, v6, v92, v84
	v_cndmask_b32_e64 v90, 1.0, v90, s26
	s_delay_alu instid0(VALU_DEP_4) | instskip(SKIP_1) | instid1(VALU_DEP_3)
	v_mul_f32_e32 v5, v5, v89
	v_cndmask_b32_e64 v89, 0, v7, s27
	v_mul_f32_e32 v4, v4, v90
	s_delay_alu instid0(VALU_DEP_3) | instskip(SKIP_1) | instid1(VALU_DEP_2)
	v_cndmask_b32_e64 v91, 1.0, v5, s27
	v_fma_f32 v5, v6, v90, v87
	v_mul_f32_e32 v4, v4, v91
	s_delay_alu instid0(VALU_DEP_2) | instskip(NEXT) | instid1(VALU_DEP_2)
	v_fma_f32 v5, v5, v91, v89
	v_mov_b32_dpp v7, v4 row_shr:1 row_mask:0xf bank_mask:0xf
	s_delay_alu instid0(VALU_DEP_2)
	v_mov_b32_dpp v6, v5 row_shr:1 row_mask:0xf bank_mask:0xf
	s_and_saveexec_b32 s28, s0
; %bb.100:                              ;   in Loop: Header=BB10_61 Depth=2
	s_delay_alu instid0(VALU_DEP_2) | instskip(NEXT) | instid1(VALU_DEP_1)
	v_mul_f32_e32 v7, v4, v7
	v_dual_fmac_f32 v5, v4, v6 :: v_dual_mov_b32 v4, v7
; %bb.101:                              ;   in Loop: Header=BB10_61 Depth=2
	s_or_b32 exec_lo, exec_lo, s28
	s_delay_alu instid0(VALU_DEP_1) | instskip(NEXT) | instid1(VALU_DEP_2)
	v_mov_b32_dpp v6, v4 row_shr:2 row_mask:0xf bank_mask:0xf
	v_mov_b32_dpp v7, v5 row_shr:2 row_mask:0xf bank_mask:0xf
	s_and_saveexec_b32 s28, s1
; %bb.102:                              ;   in Loop: Header=BB10_61 Depth=2
	s_delay_alu instid0(VALU_DEP_1) | instskip(NEXT) | instid1(VALU_DEP_3)
	v_fmac_f32_e32 v5, v4, v7
	v_mul_f32_e32 v4, v4, v6
; %bb.103:                              ;   in Loop: Header=BB10_61 Depth=2
	s_or_b32 exec_lo, exec_lo, s28
	s_delay_alu instid0(VALU_DEP_1) | instskip(NEXT) | instid1(VALU_DEP_3)
	v_mov_b32_dpp v6, v4 row_shr:4 row_mask:0xf bank_mask:0xf
	v_mov_b32_dpp v7, v5 row_shr:4 row_mask:0xf bank_mask:0xf
	s_and_saveexec_b32 s28, s2
; %bb.104:                              ;   in Loop: Header=BB10_61 Depth=2
	s_delay_alu instid0(VALU_DEP_1) | instskip(NEXT) | instid1(VALU_DEP_3)
	v_fmac_f32_e32 v5, v4, v7
	v_mul_f32_e32 v4, v4, v6
; %bb.105:                              ;   in Loop: Header=BB10_61 Depth=2
	s_or_b32 exec_lo, exec_lo, s28
	s_delay_alu instid0(VALU_DEP_1) | instskip(NEXT) | instid1(VALU_DEP_3)
	v_mov_b32_dpp v6, v4 row_shr:8 row_mask:0xf bank_mask:0xf
	v_mov_b32_dpp v7, v5 row_shr:8 row_mask:0xf bank_mask:0xf
	s_and_saveexec_b32 s28, s3
; %bb.106:                              ;   in Loop: Header=BB10_61 Depth=2
	s_delay_alu instid0(VALU_DEP_1) | instskip(NEXT) | instid1(VALU_DEP_3)
	v_fmac_f32_e32 v5, v4, v7
	v_mul_f32_e32 v4, v4, v6
; %bb.107:                              ;   in Loop: Header=BB10_61 Depth=2
	s_or_b32 exec_lo, exec_lo, s28
	ds_swizzle_b32 v7, v4 offset:swizzle(BROADCAST,32,15)
	ds_swizzle_b32 v6, v5 offset:swizzle(BROADCAST,32,15)
	s_and_saveexec_b32 s28, s4
	s_cbranch_execz .LBB10_109
; %bb.108:                              ;   in Loop: Header=BB10_61 Depth=2
	s_waitcnt lgkmcnt(1)
	v_mul_f32_e32 v7, v4, v7
	s_waitcnt lgkmcnt(0)
	s_delay_alu instid0(VALU_DEP_1)
	v_dual_fmac_f32 v5, v4, v6 :: v_dual_mov_b32 v4, v7
.LBB10_109:                             ;   in Loop: Header=BB10_61 Depth=2
	s_or_b32 exec_lo, exec_lo, s28
	s_and_saveexec_b32 s28, s5
	s_cbranch_execz .LBB10_111
; %bb.110:                              ;   in Loop: Header=BB10_61 Depth=2
	ds_store_b64 v35, v[4:5] offset:2112
.LBB10_111:                             ;   in Loop: Header=BB10_61 Depth=2
	s_or_b32 exec_lo, exec_lo, s28
	s_waitcnt lgkmcnt(0)
	s_waitcnt_vscnt null, 0x0
	s_barrier
	buffer_gl0_inv
	s_and_saveexec_b32 s28, s6
	s_cbranch_execz .LBB10_113
; %bb.112:                              ;   in Loop: Header=BB10_61 Depth=2
	ds_load_b64 v[6:7], v36 offset:2112
	s_waitcnt lgkmcnt(0)
	v_mov_b32_dpp v93, v6 row_shr:1 row_mask:0xf bank_mask:0xf
	v_mov_b32_dpp v94, v7 row_shr:1 row_mask:0xf bank_mask:0xf
	s_delay_alu instid0(VALU_DEP_2) | instskip(NEXT) | instid1(VALU_DEP_2)
	v_mul_f32_e32 v93, v6, v93
	v_fma_f32 v94, v6, v94, v7
	s_delay_alu instid0(VALU_DEP_2) | instskip(NEXT) | instid1(VALU_DEP_2)
	v_cndmask_b32_e64 v6, v93, v6, s7
	v_cndmask_b32_e64 v7, v94, v7, s7
	ds_store_b64 v36, v[6:7] offset:2112
.LBB10_113:                             ;   in Loop: Header=BB10_61 Depth=2
	s_or_b32 exec_lo, exec_lo, s28
	s_waitcnt lgkmcnt(0)
	s_barrier
	buffer_gl0_inv
                                        ; implicit-def: $vgpr7
	s_and_saveexec_b32 s28, s9
	s_cbranch_execz .LBB10_115
; %bb.114:                              ;   in Loop: Header=BB10_61 Depth=2
	ds_load_b64 v[6:7], v35 offset:2104
	s_waitcnt lgkmcnt(0)
	v_mul_f32_e32 v93, v4, v6
	s_delay_alu instid0(VALU_DEP_1)
	v_dual_fmac_f32 v5, v4, v7 :: v_dual_mov_b32 v4, v93
.LBB10_115:                             ;   in Loop: Header=BB10_61 Depth=2
	s_or_b32 exec_lo, exec_lo, s28
	ds_bpermute_b32 v93, v37, v4
	ds_bpermute_b32 v94, v37, v5
	s_and_saveexec_b32 s28, s8
	s_cbranch_execz .LBB10_119
; %bb.116:                              ;   in Loop: Header=BB10_61 Depth=2
	ds_load_b64 v[4:5], v13 offset:2120
	s_and_saveexec_b32 s29, s10
	s_cbranch_execz .LBB10_118
; %bb.117:                              ;   in Loop: Header=BB10_61 Depth=2
	ds_store_b64 v13, v[8:9] offset:2120
.LBB10_118:                             ;   in Loop: Header=BB10_61 Depth=2
	s_or_b32 exec_lo, exec_lo, s29
	s_waitcnt lgkmcnt(0)
	v_fmac_f32_e32 v5, v4, v9
	s_delay_alu instid0(VALU_DEP_1)
	v_dual_mul_f32 v8, v8, v4 :: v_dual_mov_b32 v9, v5
.LBB10_119:                             ;   in Loop: Header=BB10_61 Depth=2
	s_or_b32 exec_lo, exec_lo, s28
	s_waitcnt lgkmcnt(0)
	s_barrier
	buffer_gl0_inv
	ds_load_b32 v4, v13 offset:2124
	s_and_saveexec_b32 s28, s10
	s_cbranch_execz .LBB10_60
; %bb.120:                              ;   in Loop: Header=BB10_61 Depth=2
	v_mov_b32_e32 v5, s72
	s_and_not1_b32 vcc_lo, exec_lo, s70
	ds_store_b64 v5, v[8:9]
	s_cbranch_vccnz .LBB10_60
; %bb.121:                              ;   in Loop: Header=BB10_61 Depth=2
	v_bfe_u32 v5, v9, 16, 1
	v_cmp_o_f32_e32 vcc_lo, v9, v9
	s_mov_b32 s47, s35
	s_delay_alu instid0(SALU_CYCLE_1) | instskip(NEXT) | instid1(VALU_DEP_2)
	s_lshl_b64 s[74:75], s[46:47], 1
	v_add3_u32 v5, v9, v5, 0x7fff
	s_add_u32 s74, s60, s74
	s_addc_u32 s75, s61, s75
	s_delay_alu instid0(VALU_DEP_1) | instskip(NEXT) | instid1(VALU_DEP_1)
	v_lshrrev_b32_e32 v5, 16, v5
	v_cndmask_b32_e32 v5, 0x7fc0, v5, vcc_lo
	global_store_b16 v13, v5, s[74:75]
	s_branch .LBB10_60
.LBB10_122:                             ;   in Loop: Header=BB10_12 Depth=1
	v_bfe_u32 v0, v63, 16, 1
	v_bfe_u32 v2, v62, 16, 1
	;; [unrolled: 1-line block ×3, first 2 shown]
	v_cmp_o_f32_e32 vcc_lo, v63, v63
	v_bfe_u32 v4, v59, 16, 1
	v_add3_u32 v0, v63, v0, 0x7fff
	v_add3_u32 v2, v62, v2, 0x7fff
	;; [unrolled: 1-line block ×3, first 2 shown]
	v_bfe_u32 v5, v56, 16, 1
	v_bfe_u32 v6, v57, 16, 1
	v_lshrrev_b32_e32 v0, 16, v0
	v_lshrrev_b32_e32 v2, 16, v2
	v_lshrrev_b32_e32 v3, 16, v3
	v_bfe_u32 v7, v60, 16, 1
	v_add3_u32 v4, v59, v4, 0x7fff
	v_cndmask_b32_e32 v0, 0x7fc0, v0, vcc_lo
	v_cmp_o_f32_e32 vcc_lo, v62, v62
	v_add3_u32 v6, v57, v6, 0x7fff
	v_bfe_u32 v1, v58, 16, 1
	s_waitcnt_vscnt null, 0x0
	s_barrier
	v_cndmask_b32_e32 v8, 0x7fc0, v2, vcc_lo
	v_cmp_o_f32_e32 vcc_lo, v61, v61
	v_add3_u32 v2, v56, v5, 0x7fff
	v_add3_u32 v5, v60, v7, 0x7fff
	;; [unrolled: 1-line block ×3, first 2 shown]
	buffer_gl0_inv
	v_cndmask_b32_e32 v7, 0x7fc0, v3, vcc_lo
	v_lshrrev_b32_e32 v3, 16, v4
	v_cmp_o_f32_e32 vcc_lo, v59, v59
	v_lshrrev_b32_e32 v4, 16, v6
	v_lshrrev_b32_e32 v5, 16, v5
	;; [unrolled: 1-line block ×4, first 2 shown]
	v_cndmask_b32_e32 v6, 0x7fc0, v3, vcc_lo
	v_cmp_o_f32_e32 vcc_lo, v57, v57
	s_mov_b32 s31, s35
	s_delay_alu instid0(SALU_CYCLE_1) | instskip(SKIP_4) | instid1(VALU_DEP_2)
	s_lshl_b64 s[20:21], s[30:31], 1
	v_cndmask_b32_e32 v3, 0x7fc0, v4, vcc_lo
	v_cmp_o_f32_e32 vcc_lo, v60, v60
	v_cndmask_b32_e32 v4, 0x7fc0, v5, vcc_lo
	v_cmp_o_f32_e32 vcc_lo, v56, v56
	v_perm_b32 v3, v4, v3, 0x5040100
	v_cndmask_b32_e32 v2, 0x7fc0, v2, vcc_lo
	v_cmp_o_f32_e32 vcc_lo, v58, v58
	s_delay_alu instid0(VALU_DEP_2) | instskip(SKIP_2) | instid1(VALU_DEP_2)
	v_perm_b32 v2, v2, v6, 0x5040100
	v_cndmask_b32_e32 v5, 0x7fc0, v1, vcc_lo
	v_perm_b32 v1, v7, v8, 0x5040100
	v_perm_b32 v0, v5, v0, 0x5040100
	ds_store_b128 v27, v[0:3]
	; wave barrier
	ds_load_u16 v8, v20 offset:64
	ds_load_u16 v7, v21 offset:128
	;; [unrolled: 1-line block ×7, first 2 shown]
	v_add_co_u32 v0, vcc_lo, v38, s20
	v_add_co_ci_u32_e32 v1, vcc_lo, s21, v39, vcc_lo
	s_and_saveexec_b32 s20, s12
	s_cbranch_execnz .LBB10_132
; %bb.123:                              ;   in Loop: Header=BB10_12 Depth=1
	s_or_b32 exec_lo, exec_lo, s20
	s_and_saveexec_b32 s12, s13
	s_cbranch_execnz .LBB10_133
.LBB10_124:                             ;   in Loop: Header=BB10_12 Depth=1
	s_or_b32 exec_lo, exec_lo, s12
	s_and_saveexec_b32 s12, s14
	s_cbranch_execnz .LBB10_134
.LBB10_125:                             ;   in Loop: Header=BB10_12 Depth=1
	s_or_b32 exec_lo, exec_lo, s12
	s_and_saveexec_b32 s12, s15
	s_cbranch_execnz .LBB10_135
.LBB10_126:                             ;   in Loop: Header=BB10_12 Depth=1
	s_or_b32 exec_lo, exec_lo, s12
	s_and_saveexec_b32 s12, s16
	s_cbranch_execnz .LBB10_136
.LBB10_127:                             ;   in Loop: Header=BB10_12 Depth=1
	s_or_b32 exec_lo, exec_lo, s12
	s_and_saveexec_b32 s12, s17
	s_cbranch_execnz .LBB10_137
.LBB10_128:                             ;   in Loop: Header=BB10_12 Depth=1
	s_or_b32 exec_lo, exec_lo, s12
	s_and_saveexec_b32 s12, s18
	s_cbranch_execnz .LBB10_138
.LBB10_129:                             ;   in Loop: Header=BB10_12 Depth=1
	s_or_b32 exec_lo, exec_lo, s12
	s_and_saveexec_b32 s12, s19
	s_cbranch_execz .LBB10_11
	s_branch .LBB10_139
.LBB10_130:                             ;   in Loop: Header=BB10_12 Depth=1
	global_load_u16 v51, v[4:5], off offset:320
	s_or_b32 exec_lo, exec_lo, s20
	s_and_saveexec_b32 s20, s18
	s_cbranch_execz .LBB10_40
.LBB10_131:                             ;   in Loop: Header=BB10_12 Depth=1
	global_load_u16 v50, v[4:5], off offset:384
	s_or_b32 exec_lo, exec_lo, s20
	v_mov_b32_e32 v52, 0
	s_and_saveexec_b32 s20, s19
	s_cbranch_execnz .LBB10_41
	s_branch .LBB10_42
.LBB10_132:                             ;   in Loop: Header=BB10_12 Depth=1
	ds_load_u16 v9, v20
	s_waitcnt lgkmcnt(0)
	global_store_b16 v[0:1], v9, off
	s_or_b32 exec_lo, exec_lo, s20
	s_and_saveexec_b32 s12, s13
	s_cbranch_execz .LBB10_124
.LBB10_133:                             ;   in Loop: Header=BB10_12 Depth=1
	s_waitcnt lgkmcnt(6)
	global_store_b16 v[0:1], v8, off offset:64
	s_or_b32 exec_lo, exec_lo, s12
	s_and_saveexec_b32 s12, s14
	s_cbranch_execz .LBB10_125
.LBB10_134:                             ;   in Loop: Header=BB10_12 Depth=1
	s_waitcnt lgkmcnt(5)
	global_store_b16 v[0:1], v7, off offset:128
	s_or_b32 exec_lo, exec_lo, s12
	s_and_saveexec_b32 s12, s15
	s_cbranch_execz .LBB10_126
.LBB10_135:                             ;   in Loop: Header=BB10_12 Depth=1
	s_waitcnt lgkmcnt(4)
	global_store_b16 v[0:1], v6, off offset:192
	s_or_b32 exec_lo, exec_lo, s12
	s_and_saveexec_b32 s12, s16
	s_cbranch_execz .LBB10_127
.LBB10_136:                             ;   in Loop: Header=BB10_12 Depth=1
	s_waitcnt lgkmcnt(3)
	global_store_b16 v[0:1], v5, off offset:256
	s_or_b32 exec_lo, exec_lo, s12
	s_and_saveexec_b32 s12, s17
	s_cbranch_execz .LBB10_128
.LBB10_137:                             ;   in Loop: Header=BB10_12 Depth=1
	s_waitcnt lgkmcnt(2)
	global_store_b16 v[0:1], v4, off offset:320
	s_or_b32 exec_lo, exec_lo, s12
	s_and_saveexec_b32 s12, s18
	s_cbranch_execz .LBB10_129
.LBB10_138:                             ;   in Loop: Header=BB10_12 Depth=1
	s_waitcnt lgkmcnt(1)
	global_store_b16 v[0:1], v3, off offset:384
	s_or_b32 exec_lo, exec_lo, s12
	s_and_saveexec_b32 s12, s19
	s_cbranch_execz .LBB10_11
.LBB10_139:                             ;   in Loop: Header=BB10_12 Depth=1
	s_waitcnt lgkmcnt(0)
	global_store_b16 v[0:1], v2, off offset:448
	s_branch .LBB10_11
.LBB10_140:
	s_nop 0
	s_sendmsg sendmsg(MSG_DEALLOC_VGPRS)
	s_endpgm
	.section	.rodata,"a",@progbits
	.p2align	6, 0x0
	.amdhsa_kernel _Z25selective_scan_fwd_kernelI32Selective_Scan_fwd_kernel_traitsILi64ELi8ELi1ELb1ELb1ELb1ELb0ELb1EN3c108BFloat16EfS2_EEv13SSMParamsBase
		.amdhsa_group_segment_fixed_size 0
		.amdhsa_private_segment_fixed_size 0
		.amdhsa_kernarg_size 248
		.amdhsa_user_sgpr_count 14
		.amdhsa_user_sgpr_dispatch_ptr 0
		.amdhsa_user_sgpr_queue_ptr 0
		.amdhsa_user_sgpr_kernarg_segment_ptr 1
		.amdhsa_user_sgpr_dispatch_id 0
		.amdhsa_user_sgpr_private_segment_size 0
		.amdhsa_wavefront_size32 1
		.amdhsa_uses_dynamic_stack 0
		.amdhsa_enable_private_segment 0
		.amdhsa_system_sgpr_workgroup_id_x 1
		.amdhsa_system_sgpr_workgroup_id_y 1
		.amdhsa_system_sgpr_workgroup_id_z 0
		.amdhsa_system_sgpr_workgroup_info 0
		.amdhsa_system_vgpr_workitem_id 0
		.amdhsa_next_free_vgpr 95
		.amdhsa_next_free_sgpr 76
		.amdhsa_reserve_vcc 1
		.amdhsa_float_round_mode_32 0
		.amdhsa_float_round_mode_16_64 0
		.amdhsa_float_denorm_mode_32 3
		.amdhsa_float_denorm_mode_16_64 3
		.amdhsa_dx10_clamp 1
		.amdhsa_ieee_mode 1
		.amdhsa_fp16_overflow 0
		.amdhsa_workgroup_processor_mode 1
		.amdhsa_memory_ordered 1
		.amdhsa_forward_progress 0
		.amdhsa_shared_vgpr_count 0
		.amdhsa_exception_fp_ieee_invalid_op 0
		.amdhsa_exception_fp_denorm_src 0
		.amdhsa_exception_fp_ieee_div_zero 0
		.amdhsa_exception_fp_ieee_overflow 0
		.amdhsa_exception_fp_ieee_underflow 0
		.amdhsa_exception_fp_ieee_inexact 0
		.amdhsa_exception_int_div_zero 0
	.end_amdhsa_kernel
	.section	.text._Z25selective_scan_fwd_kernelI32Selective_Scan_fwd_kernel_traitsILi64ELi8ELi1ELb1ELb1ELb1ELb0ELb1EN3c108BFloat16EfS2_EEv13SSMParamsBase,"axG",@progbits,_Z25selective_scan_fwd_kernelI32Selective_Scan_fwd_kernel_traitsILi64ELi8ELi1ELb1ELb1ELb1ELb0ELb1EN3c108BFloat16EfS2_EEv13SSMParamsBase,comdat
.Lfunc_end10:
	.size	_Z25selective_scan_fwd_kernelI32Selective_Scan_fwd_kernel_traitsILi64ELi8ELi1ELb1ELb1ELb1ELb0ELb1EN3c108BFloat16EfS2_EEv13SSMParamsBase, .Lfunc_end10-_Z25selective_scan_fwd_kernelI32Selective_Scan_fwd_kernel_traitsILi64ELi8ELi1ELb1ELb1ELb1ELb0ELb1EN3c108BFloat16EfS2_EEv13SSMParamsBase
                                        ; -- End function
	.section	.AMDGPU.csdata,"",@progbits
; Kernel info:
; codeLenInByte = 11836
; NumSgprs: 78
; NumVgprs: 95
; ScratchSize: 0
; MemoryBound: 0
; FloatMode: 240
; IeeeMode: 1
; LDSByteSize: 0 bytes/workgroup (compile time only)
; SGPRBlocks: 9
; VGPRBlocks: 11
; NumSGPRsForWavesPerEU: 78
; NumVGPRsForWavesPerEU: 95
; Occupancy: 16
; WaveLimiterHint : 1
; COMPUTE_PGM_RSRC2:SCRATCH_EN: 0
; COMPUTE_PGM_RSRC2:USER_SGPR: 14
; COMPUTE_PGM_RSRC2:TRAP_HANDLER: 0
; COMPUTE_PGM_RSRC2:TGID_X_EN: 1
; COMPUTE_PGM_RSRC2:TGID_Y_EN: 1
; COMPUTE_PGM_RSRC2:TGID_Z_EN: 0
; COMPUTE_PGM_RSRC2:TIDIG_COMP_CNT: 0
	.section	.text._Z25selective_scan_fwd_kernelI32Selective_Scan_fwd_kernel_traitsILi64ELi8ELi1ELb1ELb1ELb1ELb0ELb0EN3c108BFloat16EfS2_EEv13SSMParamsBase,"axG",@progbits,_Z25selective_scan_fwd_kernelI32Selective_Scan_fwd_kernel_traitsILi64ELi8ELi1ELb1ELb1ELb1ELb0ELb0EN3c108BFloat16EfS2_EEv13SSMParamsBase,comdat
	.protected	_Z25selective_scan_fwd_kernelI32Selective_Scan_fwd_kernel_traitsILi64ELi8ELi1ELb1ELb1ELb1ELb0ELb0EN3c108BFloat16EfS2_EEv13SSMParamsBase ; -- Begin function _Z25selective_scan_fwd_kernelI32Selective_Scan_fwd_kernel_traitsILi64ELi8ELi1ELb1ELb1ELb1ELb0ELb0EN3c108BFloat16EfS2_EEv13SSMParamsBase
	.globl	_Z25selective_scan_fwd_kernelI32Selective_Scan_fwd_kernel_traitsILi64ELi8ELi1ELb1ELb1ELb1ELb0ELb0EN3c108BFloat16EfS2_EEv13SSMParamsBase
	.p2align	8
	.type	_Z25selective_scan_fwd_kernelI32Selective_Scan_fwd_kernel_traitsILi64ELi8ELi1ELb1ELb1ELb1ELb0ELb0EN3c108BFloat16EfS2_EEv13SSMParamsBase,@function
_Z25selective_scan_fwd_kernelI32Selective_Scan_fwd_kernel_traitsILi64ELi8ELi1ELb1ELb1ELb1ELb0ELb0EN3c108BFloat16EfS2_EEv13SSMParamsBase: ; @_Z25selective_scan_fwd_kernelI32Selective_Scan_fwd_kernel_traitsILi64ELi8ELi1ELb1ELb1ELb1ELb0ELb0EN3c108BFloat16EfS2_EEv13SSMParamsBase
; %bb.0:
	s_clause 0x1
	s_load_b32 s11, s[0:1], 0x18
	s_load_b128 s[4:7], s[0:1], 0xe8
	s_mov_b32 s8, s15
	s_mov_b32 s33, 0
	s_waitcnt lgkmcnt(0)
	s_abs_i32 s10, s11
	s_cmp_eq_u64 s[6:7], 0
	v_cvt_f32_u32_e32 v1, s10
	s_delay_alu instid0(VALU_DEP_1) | instskip(SKIP_2) | instid1(VALU_DEP_1)
	v_rcp_iflag_f32_e32 v1, v1
	s_waitcnt_depctr 0xfff
	v_mul_f32_e32 v1, 0x4f7ffffe, v1
	v_cvt_u32_f32_e32 v1, v1
	s_delay_alu instid0(VALU_DEP_1)
	v_readfirstlane_b32 s12, v1
	s_cbranch_scc1 .LBB11_2
; %bb.1:
	v_mov_b32_e32 v1, 0
	s_ashr_i32 s3, s14, 31
	s_add_u32 s2, s6, s14
	s_addc_u32 s3, s7, s3
	global_load_u8 v1, v1, s[2:3]
	s_waitcnt vmcnt(0)
	v_and_b32_e32 v1, 1, v1
	s_delay_alu instid0(VALU_DEP_1)
	v_cmp_eq_u32_e64 s33, 1, v1
.LBB11_2:
	s_load_b64 s[6:7], s[0:1], 0x20
	s_cmp_eq_u64 s[4:5], 0
	s_cbranch_scc1 .LBB11_4
; %bb.3:
	s_ashr_i32 s15, s14, 31
	s_delay_alu instid0(SALU_CYCLE_1) | instskip(NEXT) | instid1(SALU_CYCLE_1)
	s_lshl_b64 s[2:3], s[14:15], 2
	s_add_u32 s2, s4, s2
	s_addc_u32 s3, s5, s3
	s_load_b32 s2, s[2:3], 0x0
	s_waitcnt lgkmcnt(0)
	s_ashr_i32 s3, s2, 31
	s_delay_alu instid0(SALU_CYCLE_1)
	s_cmp_eq_u64 s[6:7], s[2:3]
	s_cbranch_scc0 .LBB11_5
	s_branch .LBB11_62
.LBB11_4:
	s_mov_b32 s2, s14
	s_delay_alu instid0(SALU_CYCLE_1)
	s_ashr_i32 s3, s2, 31
	s_waitcnt lgkmcnt(0)
	s_cmp_eq_u64 s[6:7], s[2:3]
	s_cbranch_scc1 .LBB11_62
.LBB11_5:
	s_clause 0x1
	s_load_b512 s[16:31], s[0:1], 0x88
	s_load_b64 s[34:35], s[0:1], 0x8
	s_mov_b32 s50, 0
	s_mov_b32 s51, 0
	s_waitcnt lgkmcnt(0)
	s_cmp_eq_u64 s[22:23], 0
	s_cbranch_scc1 .LBB11_7
; %bb.6:
	s_ashr_i32 s9, s8, 31
	s_delay_alu instid0(SALU_CYCLE_1) | instskip(NEXT) | instid1(SALU_CYCLE_1)
	s_lshl_b64 s[4:5], s[8:9], 2
	s_add_u32 s4, s22, s4
	s_addc_u32 s5, s23, s5
	s_load_b32 s51, s[4:5], 0x0
.LBB11_7:
	s_cmp_eq_u64 s[28:29], 0
	s_cbranch_scc1 .LBB11_9
; %bb.8:
	s_ashr_i32 s9, s8, 31
	s_delay_alu instid0(SALU_CYCLE_1) | instskip(NEXT) | instid1(SALU_CYCLE_1)
	s_lshl_b64 s[4:5], s[8:9], 2
	s_add_u32 s4, s28, s4
	s_addc_u32 s5, s29, s5
	s_load_b32 s50, s[4:5], 0x0
.LBB11_9:
	s_cmp_lt_i32 s34, 1
	s_cbranch_scc1 .LBB11_62
; %bb.10:
	s_sub_i32 s3, 0, s10
	s_clause 0x1
	s_load_b64 s[4:5], s[0:1], 0x5c
	s_load_b128 s[44:47], s[0:1], 0x4c
	s_mul_i32 s3, s3, s12
	s_abs_i32 s6, s8
	s_mul_hi_u32 s3, s12, s3
	s_ashr_i32 s9, s11, 31
	s_add_i32 s12, s12, s3
	s_ashr_i32 s3, s8, 31
	s_mul_hi_u32 s7, s6, s12
	s_xor_b32 s3, s3, s9
	s_mul_i32 s11, s7, s10
	s_add_i32 s9, s7, 1
	s_sub_i32 s6, s6, s11
	s_load_b256 s[36:43], s[0:1], 0x2c
	s_sub_i32 s11, s6, s10
	s_cmp_ge_u32 s6, s10
	s_mov_b32 s29, 0
	s_cselect_b32 s7, s9, s7
	s_cselect_b32 s6, s11, s6
	s_add_i32 s9, s7, 1
	s_cmp_ge_u32 s6, s10
	s_waitcnt lgkmcnt(0)
	s_mul_i32 s28, s46, s14
	s_cselect_b32 s6, s9, s7
	v_lshrrev_b32_e32 v1, 2, v0
	s_xor_b32 s9, s6, s3
	s_lshl_b64 s[6:7], s[28:29], 1
	s_sub_i32 s3, s9, s3
	s_mul_i32 s28, s47, s8
	s_add_u32 s9, s24, s6
	s_addc_u32 s10, s25, s7
	s_lshl_b64 s[6:7], s[28:29], 1
	s_mul_i32 s28, s4, s14
	s_add_u32 s46, s9, s6
	s_addc_u32 s47, s10, s7
	s_lshl_b64 s[6:7], s[28:29], 1
	;; [unrolled: 4-line block ×3, first 2 shown]
	s_load_b128 s[24:27], s[0:1], 0x7c
	s_mul_i32 s28, s36, s8
	s_add_u32 s48, s6, s4
	s_addc_u32 s49, s7, s5
	s_lshl_b64 s[4:5], s[28:29], 2
	s_mul_i32 s28, s38, s14
	s_load_b64 s[6:7], s[0:1], 0xc8
	s_add_u32 s23, s16, s4
	s_waitcnt lgkmcnt(0)
	s_addc_u32 s27, s17, s5
	s_lshl_b64 s[4:5], s[28:29], 1
	s_mul_i32 s28, s3, s41
	s_add_u32 s9, s18, s4
	s_addc_u32 s10, s19, s5
	s_lshl_b64 s[4:5], s[28:29], 1
	s_mul_i32 s28, s42, s14
	s_add_u32 s36, s9, s4
	s_load_b32 s9, s[0:1], 0x28
	s_addc_u32 s41, s10, s5
	s_load_b64 s[10:11], s[0:1], 0x6c
	s_lshl_b64 s[4:5], s[28:29], 1
	s_mul_i32 s28, s3, s45
	s_add_u32 s12, s20, s4
	s_addc_u32 s3, s21, s5
	s_lshl_b64 s[4:5], s[28:29], 1
	s_mul_i32 s28, s2, s24
	s_add_u32 s45, s12, s4
	s_addc_u32 s52, s3, s5
	;; [unrolled: 4-line block ×3, first 2 shown]
	s_lshl_b64 s[0:1], s[28:29], 1
	v_dual_mov_b32 v18, 0 :: v_dual_and_b32 v1, 8, v1
	s_add_u32 s53, s2, s0
	s_addc_u32 s54, s3, s1
	s_add_i32 s0, s34, 0x7ff
	v_or_b32_e32 v2, 31, v0
	s_lshr_b32 s55, s0, 11
	s_waitcnt lgkmcnt(0)
	s_bitcmp1_b32 s9, 0
	s_mul_i32 s28, s10, s14
	s_cselect_b32 s56, -1, 0
	s_cmp_gt_i32 s35, 0
	v_add_nc_u32_e32 v20, 0, v1
	s_cselect_b32 s57, -1, 0
	s_and_b32 s1, s34, 0x1ff
	v_lshlrev_b32_e32 v1, 4, v0
	s_cmp_eq_u32 s1, 0
	v_lshlrev_b32_e32 v19, 3, v0
	s_cselect_b32 s58, -1, 0
	s_lshl_b64 s[6:7], s[28:29], 1
	s_add_i32 s59, s55, -1
	s_mul_i32 s28, s11, s8
	s_add_u32 s9, s30, s6
	s_addc_u32 s8, s31, s7
	s_lshl_b64 s[6:7], s[28:29], 1
	v_cmp_gt_u32_e64 s0, 64, v0
	s_add_u32 s6, s9, s6
	s_addc_u32 s7, s8, s7
	v_add_co_u32 v22, s6, s6, v1
	v_cmp_eq_u32_e64 s1, v2, v0
	v_cmp_gt_u32_e64 s2, 2, v0
	v_add_nc_u32_e32 v21, 0, v19
	v_cmp_gt_u32_e64 s3, 32, v0
	v_cmp_lt_u32_e64 s4, 31, v0
	v_cmp_eq_u32_e64 s5, 0, v0
	v_add_co_ci_u32_e64 v23, null, s7, 0, s6
	v_or_b32_e32 v24, 1, v19
	v_or_b32_e32 v25, 2, v19
	;; [unrolled: 1-line block ×7, first 2 shown]
	v_lshlrev_b32_e32 v31, 4, v0
	v_mbcnt_lo_u32_b32 v32, -1, 0
	s_mov_b32 s60, 0x3e9b6dac
	s_add_i32 s61, 0, 0x850
	s_mov_b32 s62, 0
                                        ; implicit-def: $vgpr40
                                        ; implicit-def: $vgpr7
                                        ; implicit-def: $vgpr39
                                        ; implicit-def: $vgpr37
                                        ; implicit-def: $vgpr35
                                        ; implicit-def: $vgpr0
                                        ; implicit-def: $vgpr33
                                        ; implicit-def: $vgpr34
                                        ; implicit-def: $vgpr36
                                        ; implicit-def: $vgpr38
	s_branch .LBB11_12
.LBB11_11:                              ;   in Loop: Header=BB11_12 Depth=1
	v_bfe_u32 v8, v55, 16, 1
	v_bfe_u32 v9, v54, 16, 1
	;; [unrolled: 1-line block ×3, first 2 shown]
	v_cmp_o_f32_e32 vcc_lo, v55, v55
	v_bfe_u32 v11, v52, 16, 1
	v_add3_u32 v8, v55, v8, 0x7fff
	v_add3_u32 v9, v54, v9, 0x7fff
	;; [unrolled: 1-line block ×3, first 2 shown]
	v_bfe_u32 v12, v51, 16, 1
	v_add3_u32 v11, v52, v11, 0x7fff
	v_lshrrev_b32_e32 v8, 16, v8
	v_lshrrev_b32_e32 v9, 16, v9
	v_bfe_u32 v13, v48, 16, 1
	v_add3_u32 v12, v51, v12, 0x7fff
	v_lshrrev_b32_e32 v11, 16, v11
	v_cndmask_b32_e32 v8, 0x7fc0, v8, vcc_lo
	v_cmp_o_f32_e32 vcc_lo, v54, v54
	v_bfe_u32 v15, v50, 16, 1
	s_add_u32 s48, s48, 0x400
	s_addc_u32 s49, s49, 0
	s_mov_b32 s25, s29
	v_cndmask_b32_e32 v14, 0x7fc0, v9, vcc_lo
	v_lshrrev_b32_e32 v9, 16, v10
	v_cmp_o_f32_e32 vcc_lo, v53, v53
	v_bfe_u32 v10, v49, 16, 1
	s_add_u32 s46, s46, 0x400
	s_addc_u32 s47, s47, 0
	s_lshl_b64 s[6:7], s[24:25], 1
	v_cndmask_b32_e32 v9, 0x7fc0, v9, vcc_lo
	v_cmp_o_f32_e32 vcc_lo, v52, v52
	v_add3_u32 v10, v49, v10, 0x7fff
	s_add_u32 s36, s36, 0x400
	s_addc_u32 s41, s41, 0
	v_perm_b32 v8, v14, v8, 0x5040100
	v_cndmask_b32_e32 v16, 0x7fc0, v11, vcc_lo
	v_lshrrev_b32_e32 v11, 16, v12
	v_cmp_o_f32_e32 vcc_lo, v51, v51
	v_add3_u32 v12, v48, v13, 0x7fff
	v_add3_u32 v13, v50, v15, 0x7fff
	v_lshrrev_b32_e32 v10, 16, v10
	v_perm_b32 v9, v16, v9, 0x5040100
	v_cndmask_b32_e32 v15, 0x7fc0, v11, vcc_lo
	v_cmp_o_f32_e32 vcc_lo, v49, v49
	v_lshrrev_b32_e32 v11, 16, v12
	v_lshrrev_b32_e32 v12, 16, v13
	s_add_u32 s45, s45, 0x400
	s_addc_u32 s52, s52, 0
	v_cndmask_b32_e32 v10, 0x7fc0, v10, vcc_lo
	v_cmp_o_f32_e32 vcc_lo, v48, v48
	s_add_i32 s62, s62, 1
	s_waitcnt_vscnt null, 0x0
	s_cmp_eq_u32 s62, s55
	v_perm_b32 v10, v10, v15, 0x5040100
	v_cndmask_b32_e32 v11, 0x7fc0, v11, vcc_lo
	v_cmp_o_f32_e32 vcc_lo, v50, v50
	s_barrier
	buffer_gl0_inv
	v_cndmask_b32_e32 v17, 0x7fc0, v12, vcc_lo
	v_add_co_u32 v12, vcc_lo, v22, s6
	v_add_co_ci_u32_e32 v13, vcc_lo, s7, v23, vcc_lo
	s_delay_alu instid0(VALU_DEP_3)
	v_perm_b32 v11, v17, v11, 0x5040100
	global_store_b128 v[12:13], v[8:11], off
	s_cbranch_scc1 .LBB11_62
.LBB11_12:                              ; =>This Loop Header: Depth=1
                                        ;     Child Loop BB11_33 Depth 2
	s_waitcnt_vscnt null, 0x0
	s_barrier
	buffer_gl0_inv
	s_and_saveexec_b32 s6, s0
	s_cbranch_execz .LBB11_14
; %bb.13:                               ;   in Loop: Header=BB11_12 Depth=1
	s_clause 0x1
	global_load_b128 v[0:3], v31, s[46:47]
	global_load_b128 v[4:7], v31, s[48:49]
	s_waitcnt vmcnt(1)
	v_lshrrev_b32_e32 v33, 16, v0
	v_lshrrev_b32_e32 v34, 16, v1
	v_lshrrev_b32_e32 v36, 16, v2
	v_lshrrev_b32_e32 v38, 16, v3
	s_waitcnt vmcnt(0)
	v_lshrrev_b32_e32 v35, 16, v4
	v_lshrrev_b32_e32 v37, 16, v5
	;; [unrolled: 1-line block ×4, first 2 shown]
.LBB11_14:                              ;   in Loop: Header=BB11_12 Depth=1
	s_or_b32 exec_lo, exec_lo, s6
	v_lshlrev_b32_e32 v8, 16, v4
	s_delay_alu instid0(VALU_DEP_1) | instskip(NEXT) | instid1(VALU_DEP_1)
	v_add_f32_e32 v41, s50, v8
	v_cmp_ge_f32_e32 vcc_lo, 0x41a00000, v41
	s_and_b32 s6, s56, vcc_lo
	s_delay_alu instid0(SALU_CYCLE_1)
	s_and_saveexec_b32 s7, s6
	s_cbranch_execz .LBB11_16
; %bb.15:                               ;   in Loop: Header=BB11_12 Depth=1
	v_mul_f32_e32 v8, 0x3fb8aa3b, v41
	v_cmp_ngt_f32_e32 vcc_lo, 0xc2ce8ed0, v41
	s_delay_alu instid0(VALU_DEP_2) | instskip(SKIP_1) | instid1(VALU_DEP_2)
	v_rndne_f32_e32 v9, v8
	v_fma_f32 v10, 0x3fb8aa3b, v41, -v8
	v_sub_f32_e32 v8, v8, v9
	s_delay_alu instid0(VALU_DEP_2) | instskip(SKIP_1) | instid1(VALU_DEP_2)
	v_fmac_f32_e32 v10, 0x32a5705f, v41
	v_cvt_i32_f32_e32 v9, v9
	v_add_f32_e32 v8, v8, v10
	s_delay_alu instid0(VALU_DEP_1) | instskip(SKIP_2) | instid1(VALU_DEP_1)
	v_exp_f32_e32 v8, v8
	s_waitcnt_depctr 0xfff
	v_ldexp_f32 v8, v8, v9
	v_cndmask_b32_e32 v8, 0, v8, vcc_lo
	v_cmp_nlt_f32_e32 vcc_lo, 0x42b17218, v41
	s_delay_alu instid0(VALU_DEP_2) | instskip(NEXT) | instid1(VALU_DEP_1)
	v_cndmask_b32_e32 v10, 0x7f800000, v8, vcc_lo
	v_add_f32_e32 v11, 1.0, v10
	s_delay_alu instid0(VALU_DEP_1) | instskip(NEXT) | instid1(VALU_DEP_1)
	v_cvt_f64_f32_e32 v[8:9], v11
	v_frexp_exp_i32_f64_e32 v8, v[8:9]
	v_frexp_mant_f32_e32 v9, v11
	s_delay_alu instid0(VALU_DEP_1) | instskip(SKIP_1) | instid1(VALU_DEP_1)
	v_cmp_gt_f32_e32 vcc_lo, 0x3f2aaaab, v9
	v_add_f32_e32 v9, -1.0, v11
	v_sub_f32_e32 v13, v9, v11
	v_sub_f32_e32 v9, v10, v9
	s_delay_alu instid0(VALU_DEP_2) | instskip(NEXT) | instid1(VALU_DEP_1)
	v_add_f32_e32 v13, 1.0, v13
	v_add_f32_e32 v9, v9, v13
	v_cmp_gt_f32_e64 s6, 0x33800000, v10
	v_subrev_co_ci_u32_e32 v8, vcc_lo, 0, v8, vcc_lo
	v_cmp_eq_f32_e32 vcc_lo, 0x7f800000, v10
	s_delay_alu instid0(VALU_DEP_2) | instskip(SKIP_2) | instid1(VALU_DEP_2)
	v_sub_nc_u32_e32 v12, 0, v8
	v_cvt_f32_i32_e32 v8, v8
	s_or_b32 vcc_lo, s6, vcc_lo
	v_ldexp_f32 v11, v11, v12
	v_ldexp_f32 v9, v9, v12
	s_delay_alu instid0(VALU_DEP_2) | instskip(NEXT) | instid1(VALU_DEP_1)
	v_add_f32_e32 v14, 1.0, v11
	v_dual_add_f32 v12, -1.0, v11 :: v_dual_add_f32 v13, -1.0, v14
	s_delay_alu instid0(VALU_DEP_1) | instskip(NEXT) | instid1(VALU_DEP_2)
	v_add_f32_e32 v15, 1.0, v12
	v_sub_f32_e32 v13, v11, v13
	s_delay_alu instid0(VALU_DEP_2) | instskip(NEXT) | instid1(VALU_DEP_2)
	v_sub_f32_e32 v11, v11, v15
	v_add_f32_e32 v13, v9, v13
	s_delay_alu instid0(VALU_DEP_2) | instskip(NEXT) | instid1(VALU_DEP_2)
	v_add_f32_e32 v9, v9, v11
	v_add_f32_e32 v15, v14, v13
	s_delay_alu instid0(VALU_DEP_2) | instskip(NEXT) | instid1(VALU_DEP_2)
	v_add_f32_e32 v16, v12, v9
	v_rcp_f32_e32 v11, v15
	v_sub_f32_e32 v14, v14, v15
	s_delay_alu instid0(VALU_DEP_1) | instskip(SKIP_2) | instid1(VALU_DEP_1)
	v_dual_sub_f32 v12, v12, v16 :: v_dual_add_f32 v13, v13, v14
	s_waitcnt_depctr 0xfff
	v_mul_f32_e32 v17, v16, v11
	v_mul_f32_e32 v41, v15, v17
	s_delay_alu instid0(VALU_DEP_1) | instskip(NEXT) | instid1(VALU_DEP_1)
	v_fma_f32 v14, v17, v15, -v41
	v_fmac_f32_e32 v14, v17, v13
	s_delay_alu instid0(VALU_DEP_1) | instskip(NEXT) | instid1(VALU_DEP_1)
	v_add_f32_e32 v42, v41, v14
	v_sub_f32_e32 v43, v16, v42
	s_delay_alu instid0(VALU_DEP_1) | instskip(SKIP_1) | instid1(VALU_DEP_2)
	v_dual_sub_f32 v16, v16, v43 :: v_dual_add_f32 v9, v9, v12
	v_sub_f32_e32 v12, v42, v41
	v_sub_f32_e32 v16, v16, v42
	s_delay_alu instid0(VALU_DEP_1) | instskip(NEXT) | instid1(VALU_DEP_1)
	v_dual_sub_f32 v12, v12, v14 :: v_dual_add_f32 v9, v9, v16
	v_add_f32_e32 v9, v12, v9
	s_delay_alu instid0(VALU_DEP_1) | instskip(NEXT) | instid1(VALU_DEP_1)
	v_add_f32_e32 v12, v43, v9
	v_mul_f32_e32 v14, v11, v12
	v_sub_f32_e32 v42, v43, v12
	s_delay_alu instid0(VALU_DEP_2) | instskip(NEXT) | instid1(VALU_DEP_2)
	v_mul_f32_e32 v16, v15, v14
	v_add_f32_e32 v9, v9, v42
	s_delay_alu instid0(VALU_DEP_2) | instskip(NEXT) | instid1(VALU_DEP_1)
	v_fma_f32 v15, v14, v15, -v16
	v_fmac_f32_e32 v15, v14, v13
	s_delay_alu instid0(VALU_DEP_1) | instskip(NEXT) | instid1(VALU_DEP_1)
	v_add_f32_e32 v13, v16, v15
	v_sub_f32_e32 v41, v12, v13
	s_delay_alu instid0(VALU_DEP_1) | instskip(NEXT) | instid1(VALU_DEP_1)
	v_sub_f32_e32 v12, v12, v41
	v_sub_f32_e32 v12, v12, v13
	s_delay_alu instid0(VALU_DEP_1) | instskip(SKIP_2) | instid1(VALU_DEP_1)
	v_add_f32_e32 v9, v9, v12
	v_add_f32_e32 v12, v17, v14
	v_sub_f32_e32 v16, v13, v16
	v_sub_f32_e32 v13, v16, v15
	s_delay_alu instid0(VALU_DEP_1) | instskip(NEXT) | instid1(VALU_DEP_4)
	v_add_f32_e32 v9, v13, v9
	v_sub_f32_e32 v13, v12, v17
	s_delay_alu instid0(VALU_DEP_2) | instskip(NEXT) | instid1(VALU_DEP_2)
	v_add_f32_e32 v9, v41, v9
	v_sub_f32_e32 v13, v14, v13
	s_delay_alu instid0(VALU_DEP_2) | instskip(NEXT) | instid1(VALU_DEP_1)
	v_mul_f32_e32 v9, v11, v9
	v_add_f32_e32 v9, v13, v9
	s_delay_alu instid0(VALU_DEP_1) | instskip(NEXT) | instid1(VALU_DEP_1)
	v_add_f32_e32 v11, v12, v9
	v_mul_f32_e32 v13, v11, v11
	s_delay_alu instid0(VALU_DEP_1) | instskip(SKIP_1) | instid1(VALU_DEP_2)
	v_fmaak_f32 v14, s60, v13, 0x3ecc95a3
	v_mul_f32_e32 v15, v11, v13
	v_fmaak_f32 v13, v13, v14, 0x3f2aaada
	v_ldexp_f32 v14, v11, 1
	s_delay_alu instid0(VALU_DEP_2) | instskip(SKIP_1) | instid1(VALU_DEP_2)
	v_mul_f32_e32 v13, v15, v13
	v_sub_f32_e32 v11, v11, v12
	v_dual_mul_f32 v15, 0x3f317218, v8 :: v_dual_add_f32 v12, v14, v13
	s_delay_alu instid0(VALU_DEP_2) | instskip(NEXT) | instid1(VALU_DEP_2)
	v_sub_f32_e32 v9, v9, v11
	v_sub_f32_e32 v11, v12, v14
	s_delay_alu instid0(VALU_DEP_3) | instskip(NEXT) | instid1(VALU_DEP_3)
	v_fma_f32 v14, 0x3f317218, v8, -v15
	v_ldexp_f32 v9, v9, 1
	s_delay_alu instid0(VALU_DEP_2) | instskip(NEXT) | instid1(VALU_DEP_1)
	v_dual_sub_f32 v11, v13, v11 :: v_dual_fmac_f32 v14, 0xb102e308, v8
	v_dual_add_f32 v8, v9, v11 :: v_dual_add_f32 v9, v15, v14
	s_delay_alu instid0(VALU_DEP_1) | instskip(NEXT) | instid1(VALU_DEP_1)
	v_add_f32_e32 v11, v12, v8
	v_dual_add_f32 v13, v9, v11 :: v_dual_sub_f32 v12, v11, v12
	s_delay_alu instid0(VALU_DEP_1) | instskip(NEXT) | instid1(VALU_DEP_2)
	v_sub_f32_e32 v16, v13, v9
	v_dual_sub_f32 v15, v9, v15 :: v_dual_sub_f32 v8, v8, v12
	s_delay_alu instid0(VALU_DEP_1) | instskip(SKIP_1) | instid1(VALU_DEP_2)
	v_dual_sub_f32 v17, v13, v16 :: v_dual_sub_f32 v14, v14, v15
	v_sub_f32_e32 v11, v11, v16
	v_dual_sub_f32 v9, v9, v17 :: v_dual_add_f32 v12, v14, v8
	s_delay_alu instid0(VALU_DEP_1) | instskip(NEXT) | instid1(VALU_DEP_2)
	v_add_f32_e32 v9, v11, v9
	v_sub_f32_e32 v11, v12, v14
	s_delay_alu instid0(VALU_DEP_2) | instskip(NEXT) | instid1(VALU_DEP_2)
	v_add_f32_e32 v9, v12, v9
	v_sub_f32_e32 v12, v12, v11
	s_delay_alu instid0(VALU_DEP_2) | instskip(NEXT) | instid1(VALU_DEP_1)
	v_dual_sub_f32 v8, v8, v11 :: v_dual_add_f32 v15, v13, v9
	v_dual_sub_f32 v12, v14, v12 :: v_dual_sub_f32 v11, v15, v13
	s_delay_alu instid0(VALU_DEP_1) | instskip(NEXT) | instid1(VALU_DEP_1)
	v_dual_add_f32 v8, v8, v12 :: v_dual_sub_f32 v9, v9, v11
	v_add_f32_e32 v8, v8, v9
	s_delay_alu instid0(VALU_DEP_1) | instskip(NEXT) | instid1(VALU_DEP_1)
	v_add_f32_e32 v8, v15, v8
	v_cndmask_b32_e32 v41, v8, v10, vcc_lo
.LBB11_16:                              ;   in Loop: Header=BB11_12 Depth=1
	s_or_b32 exec_lo, exec_lo, s7
	v_lshlrev_b32_e32 v8, 16, v35
	s_delay_alu instid0(VALU_DEP_1) | instskip(NEXT) | instid1(VALU_DEP_1)
	v_add_f32_e32 v42, s50, v8
	v_cmp_ge_f32_e32 vcc_lo, 0x41a00000, v42
	s_and_b32 s6, s56, vcc_lo
	s_delay_alu instid0(SALU_CYCLE_1)
	s_and_saveexec_b32 s7, s6
	s_cbranch_execz .LBB11_18
; %bb.17:                               ;   in Loop: Header=BB11_12 Depth=1
	v_mul_f32_e32 v8, 0x3fb8aa3b, v42
	v_cmp_ngt_f32_e32 vcc_lo, 0xc2ce8ed0, v42
	s_delay_alu instid0(VALU_DEP_2) | instskip(SKIP_1) | instid1(VALU_DEP_2)
	v_rndne_f32_e32 v9, v8
	v_fma_f32 v10, 0x3fb8aa3b, v42, -v8
	v_sub_f32_e32 v8, v8, v9
	s_delay_alu instid0(VALU_DEP_2) | instskip(SKIP_1) | instid1(VALU_DEP_2)
	v_fmac_f32_e32 v10, 0x32a5705f, v42
	v_cvt_i32_f32_e32 v9, v9
	v_add_f32_e32 v8, v8, v10
	s_delay_alu instid0(VALU_DEP_1) | instskip(SKIP_2) | instid1(VALU_DEP_1)
	v_exp_f32_e32 v8, v8
	s_waitcnt_depctr 0xfff
	v_ldexp_f32 v8, v8, v9
	v_cndmask_b32_e32 v8, 0, v8, vcc_lo
	v_cmp_nlt_f32_e32 vcc_lo, 0x42b17218, v42
	s_delay_alu instid0(VALU_DEP_2) | instskip(NEXT) | instid1(VALU_DEP_1)
	v_cndmask_b32_e32 v10, 0x7f800000, v8, vcc_lo
	v_add_f32_e32 v11, 1.0, v10
	s_delay_alu instid0(VALU_DEP_1) | instskip(NEXT) | instid1(VALU_DEP_1)
	v_cvt_f64_f32_e32 v[8:9], v11
	v_frexp_exp_i32_f64_e32 v8, v[8:9]
	v_frexp_mant_f32_e32 v9, v11
	s_delay_alu instid0(VALU_DEP_1) | instskip(SKIP_1) | instid1(VALU_DEP_1)
	v_cmp_gt_f32_e32 vcc_lo, 0x3f2aaaab, v9
	v_add_f32_e32 v9, -1.0, v11
	v_sub_f32_e32 v13, v9, v11
	v_sub_f32_e32 v9, v10, v9
	s_delay_alu instid0(VALU_DEP_2) | instskip(NEXT) | instid1(VALU_DEP_1)
	v_add_f32_e32 v13, 1.0, v13
	v_add_f32_e32 v9, v9, v13
	v_cmp_gt_f32_e64 s6, 0x33800000, v10
	v_subrev_co_ci_u32_e32 v8, vcc_lo, 0, v8, vcc_lo
	v_cmp_eq_f32_e32 vcc_lo, 0x7f800000, v10
	s_delay_alu instid0(VALU_DEP_2) | instskip(SKIP_2) | instid1(VALU_DEP_2)
	v_sub_nc_u32_e32 v12, 0, v8
	v_cvt_f32_i32_e32 v8, v8
	s_or_b32 vcc_lo, s6, vcc_lo
	v_ldexp_f32 v11, v11, v12
	v_ldexp_f32 v9, v9, v12
	s_delay_alu instid0(VALU_DEP_2) | instskip(NEXT) | instid1(VALU_DEP_1)
	v_add_f32_e32 v14, 1.0, v11
	v_dual_add_f32 v12, -1.0, v11 :: v_dual_add_f32 v13, -1.0, v14
	s_delay_alu instid0(VALU_DEP_1) | instskip(NEXT) | instid1(VALU_DEP_2)
	v_add_f32_e32 v15, 1.0, v12
	v_sub_f32_e32 v13, v11, v13
	s_delay_alu instid0(VALU_DEP_2) | instskip(NEXT) | instid1(VALU_DEP_2)
	v_sub_f32_e32 v11, v11, v15
	v_add_f32_e32 v13, v9, v13
	s_delay_alu instid0(VALU_DEP_2) | instskip(NEXT) | instid1(VALU_DEP_1)
	v_add_f32_e32 v9, v9, v11
	v_add_f32_e32 v16, v12, v9
	s_delay_alu instid0(VALU_DEP_1) | instskip(NEXT) | instid1(VALU_DEP_1)
	v_dual_add_f32 v15, v14, v13 :: v_dual_sub_f32 v12, v12, v16
	v_rcp_f32_e32 v11, v15
	v_sub_f32_e32 v14, v14, v15
	s_delay_alu instid0(VALU_DEP_1) | instskip(SKIP_2) | instid1(VALU_DEP_1)
	v_add_f32_e32 v13, v13, v14
	s_waitcnt_depctr 0xfff
	v_mul_f32_e32 v17, v16, v11
	v_mul_f32_e32 v42, v15, v17
	s_delay_alu instid0(VALU_DEP_1) | instskip(NEXT) | instid1(VALU_DEP_1)
	v_fma_f32 v14, v17, v15, -v42
	v_fmac_f32_e32 v14, v17, v13
	s_delay_alu instid0(VALU_DEP_1) | instskip(NEXT) | instid1(VALU_DEP_1)
	v_add_f32_e32 v43, v42, v14
	v_sub_f32_e32 v44, v16, v43
	s_delay_alu instid0(VALU_DEP_1) | instskip(SKIP_1) | instid1(VALU_DEP_2)
	v_sub_f32_e32 v16, v16, v44
	v_dual_add_f32 v9, v9, v12 :: v_dual_sub_f32 v12, v43, v42
	v_sub_f32_e32 v16, v16, v43
	s_delay_alu instid0(VALU_DEP_1) | instskip(NEXT) | instid1(VALU_DEP_1)
	v_dual_sub_f32 v12, v12, v14 :: v_dual_add_f32 v9, v9, v16
	v_add_f32_e32 v9, v12, v9
	s_delay_alu instid0(VALU_DEP_1) | instskip(NEXT) | instid1(VALU_DEP_1)
	v_add_f32_e32 v12, v44, v9
	v_mul_f32_e32 v14, v11, v12
	s_delay_alu instid0(VALU_DEP_1) | instskip(NEXT) | instid1(VALU_DEP_1)
	v_dual_sub_f32 v43, v44, v12 :: v_dual_mul_f32 v16, v15, v14
	v_add_f32_e32 v9, v9, v43
	s_delay_alu instid0(VALU_DEP_2) | instskip(NEXT) | instid1(VALU_DEP_1)
	v_fma_f32 v15, v14, v15, -v16
	v_fmac_f32_e32 v15, v14, v13
	s_delay_alu instid0(VALU_DEP_1) | instskip(NEXT) | instid1(VALU_DEP_1)
	v_add_f32_e32 v13, v16, v15
	v_sub_f32_e32 v42, v12, v13
	s_delay_alu instid0(VALU_DEP_1) | instskip(NEXT) | instid1(VALU_DEP_1)
	v_sub_f32_e32 v12, v12, v42
	v_sub_f32_e32 v12, v12, v13
	s_delay_alu instid0(VALU_DEP_1) | instskip(SKIP_2) | instid1(VALU_DEP_1)
	v_add_f32_e32 v9, v9, v12
	v_add_f32_e32 v12, v17, v14
	v_sub_f32_e32 v16, v13, v16
	v_sub_f32_e32 v13, v16, v15
	s_delay_alu instid0(VALU_DEP_1) | instskip(NEXT) | instid1(VALU_DEP_4)
	v_add_f32_e32 v9, v13, v9
	v_sub_f32_e32 v13, v12, v17
	s_delay_alu instid0(VALU_DEP_2) | instskip(NEXT) | instid1(VALU_DEP_2)
	v_add_f32_e32 v9, v42, v9
	v_sub_f32_e32 v13, v14, v13
	s_delay_alu instid0(VALU_DEP_2) | instskip(NEXT) | instid1(VALU_DEP_1)
	v_mul_f32_e32 v9, v11, v9
	v_add_f32_e32 v9, v13, v9
	s_delay_alu instid0(VALU_DEP_1) | instskip(NEXT) | instid1(VALU_DEP_1)
	v_add_f32_e32 v11, v12, v9
	v_mul_f32_e32 v13, v11, v11
	s_delay_alu instid0(VALU_DEP_1) | instskip(SKIP_1) | instid1(VALU_DEP_2)
	v_fmaak_f32 v14, s60, v13, 0x3ecc95a3
	v_mul_f32_e32 v15, v11, v13
	v_fmaak_f32 v13, v13, v14, 0x3f2aaada
	v_ldexp_f32 v14, v11, 1
	s_delay_alu instid0(VALU_DEP_2) | instskip(SKIP_1) | instid1(VALU_DEP_2)
	v_mul_f32_e32 v13, v15, v13
	v_sub_f32_e32 v11, v11, v12
	v_dual_mul_f32 v15, 0x3f317218, v8 :: v_dual_add_f32 v12, v14, v13
	s_delay_alu instid0(VALU_DEP_2) | instskip(NEXT) | instid1(VALU_DEP_2)
	v_sub_f32_e32 v9, v9, v11
	v_sub_f32_e32 v11, v12, v14
	s_delay_alu instid0(VALU_DEP_3) | instskip(NEXT) | instid1(VALU_DEP_3)
	v_fma_f32 v14, 0x3f317218, v8, -v15
	v_ldexp_f32 v9, v9, 1
	s_delay_alu instid0(VALU_DEP_2) | instskip(NEXT) | instid1(VALU_DEP_1)
	v_dual_sub_f32 v11, v13, v11 :: v_dual_fmac_f32 v14, 0xb102e308, v8
	v_dual_add_f32 v8, v9, v11 :: v_dual_add_f32 v9, v15, v14
	s_delay_alu instid0(VALU_DEP_1) | instskip(NEXT) | instid1(VALU_DEP_1)
	v_add_f32_e32 v11, v12, v8
	v_dual_add_f32 v13, v9, v11 :: v_dual_sub_f32 v12, v11, v12
	s_delay_alu instid0(VALU_DEP_1) | instskip(NEXT) | instid1(VALU_DEP_2)
	v_sub_f32_e32 v16, v13, v9
	v_dual_sub_f32 v15, v9, v15 :: v_dual_sub_f32 v8, v8, v12
	s_delay_alu instid0(VALU_DEP_1) | instskip(SKIP_1) | instid1(VALU_DEP_2)
	v_dual_sub_f32 v17, v13, v16 :: v_dual_sub_f32 v14, v14, v15
	v_sub_f32_e32 v11, v11, v16
	v_dual_sub_f32 v9, v9, v17 :: v_dual_add_f32 v12, v14, v8
	s_delay_alu instid0(VALU_DEP_1) | instskip(NEXT) | instid1(VALU_DEP_2)
	v_add_f32_e32 v9, v11, v9
	v_sub_f32_e32 v11, v12, v14
	s_delay_alu instid0(VALU_DEP_2) | instskip(NEXT) | instid1(VALU_DEP_2)
	v_add_f32_e32 v9, v12, v9
	v_sub_f32_e32 v12, v12, v11
	s_delay_alu instid0(VALU_DEP_2) | instskip(NEXT) | instid1(VALU_DEP_1)
	v_dual_sub_f32 v8, v8, v11 :: v_dual_add_f32 v15, v13, v9
	v_dual_sub_f32 v12, v14, v12 :: v_dual_sub_f32 v11, v15, v13
	s_delay_alu instid0(VALU_DEP_1) | instskip(NEXT) | instid1(VALU_DEP_1)
	v_dual_add_f32 v8, v8, v12 :: v_dual_sub_f32 v9, v9, v11
	v_add_f32_e32 v8, v8, v9
	s_delay_alu instid0(VALU_DEP_1) | instskip(NEXT) | instid1(VALU_DEP_1)
	v_add_f32_e32 v8, v15, v8
	v_cndmask_b32_e32 v42, v8, v10, vcc_lo
.LBB11_18:                              ;   in Loop: Header=BB11_12 Depth=1
	s_or_b32 exec_lo, exec_lo, s7
	v_lshlrev_b32_e32 v8, 16, v5
	s_delay_alu instid0(VALU_DEP_1) | instskip(NEXT) | instid1(VALU_DEP_1)
	v_add_f32_e32 v43, s50, v8
	v_cmp_ge_f32_e32 vcc_lo, 0x41a00000, v43
	s_and_b32 s6, s56, vcc_lo
	s_delay_alu instid0(SALU_CYCLE_1)
	s_and_saveexec_b32 s7, s6
	s_cbranch_execz .LBB11_20
; %bb.19:                               ;   in Loop: Header=BB11_12 Depth=1
	v_mul_f32_e32 v8, 0x3fb8aa3b, v43
	v_cmp_ngt_f32_e32 vcc_lo, 0xc2ce8ed0, v43
	s_delay_alu instid0(VALU_DEP_2) | instskip(SKIP_1) | instid1(VALU_DEP_2)
	v_rndne_f32_e32 v9, v8
	v_fma_f32 v10, 0x3fb8aa3b, v43, -v8
	v_sub_f32_e32 v8, v8, v9
	s_delay_alu instid0(VALU_DEP_2) | instskip(SKIP_1) | instid1(VALU_DEP_2)
	v_fmac_f32_e32 v10, 0x32a5705f, v43
	v_cvt_i32_f32_e32 v9, v9
	v_add_f32_e32 v8, v8, v10
	s_delay_alu instid0(VALU_DEP_1) | instskip(SKIP_2) | instid1(VALU_DEP_1)
	v_exp_f32_e32 v8, v8
	s_waitcnt_depctr 0xfff
	v_ldexp_f32 v8, v8, v9
	v_cndmask_b32_e32 v8, 0, v8, vcc_lo
	v_cmp_nlt_f32_e32 vcc_lo, 0x42b17218, v43
	s_delay_alu instid0(VALU_DEP_2) | instskip(NEXT) | instid1(VALU_DEP_1)
	v_cndmask_b32_e32 v10, 0x7f800000, v8, vcc_lo
	v_add_f32_e32 v11, 1.0, v10
	s_delay_alu instid0(VALU_DEP_1) | instskip(NEXT) | instid1(VALU_DEP_1)
	v_cvt_f64_f32_e32 v[8:9], v11
	v_frexp_exp_i32_f64_e32 v8, v[8:9]
	v_frexp_mant_f32_e32 v9, v11
	s_delay_alu instid0(VALU_DEP_1) | instskip(SKIP_1) | instid1(VALU_DEP_1)
	v_cmp_gt_f32_e32 vcc_lo, 0x3f2aaaab, v9
	v_add_f32_e32 v9, -1.0, v11
	v_sub_f32_e32 v13, v9, v11
	v_sub_f32_e32 v9, v10, v9
	s_delay_alu instid0(VALU_DEP_2) | instskip(NEXT) | instid1(VALU_DEP_1)
	v_add_f32_e32 v13, 1.0, v13
	v_add_f32_e32 v9, v9, v13
	v_cmp_gt_f32_e64 s6, 0x33800000, v10
	v_subrev_co_ci_u32_e32 v8, vcc_lo, 0, v8, vcc_lo
	v_cmp_eq_f32_e32 vcc_lo, 0x7f800000, v10
	s_delay_alu instid0(VALU_DEP_2) | instskip(SKIP_2) | instid1(VALU_DEP_2)
	v_sub_nc_u32_e32 v12, 0, v8
	v_cvt_f32_i32_e32 v8, v8
	s_or_b32 vcc_lo, s6, vcc_lo
	v_ldexp_f32 v11, v11, v12
	v_ldexp_f32 v9, v9, v12
	s_delay_alu instid0(VALU_DEP_2) | instskip(NEXT) | instid1(VALU_DEP_1)
	v_add_f32_e32 v14, 1.0, v11
	v_dual_add_f32 v12, -1.0, v11 :: v_dual_add_f32 v13, -1.0, v14
	s_delay_alu instid0(VALU_DEP_1) | instskip(NEXT) | instid1(VALU_DEP_2)
	v_add_f32_e32 v15, 1.0, v12
	v_sub_f32_e32 v13, v11, v13
	s_delay_alu instid0(VALU_DEP_2) | instskip(NEXT) | instid1(VALU_DEP_2)
	v_sub_f32_e32 v11, v11, v15
	v_add_f32_e32 v13, v9, v13
	s_delay_alu instid0(VALU_DEP_2) | instskip(NEXT) | instid1(VALU_DEP_2)
	v_add_f32_e32 v9, v9, v11
	v_add_f32_e32 v15, v14, v13
	s_delay_alu instid0(VALU_DEP_2) | instskip(NEXT) | instid1(VALU_DEP_2)
	v_add_f32_e32 v16, v12, v9
	v_rcp_f32_e32 v11, v15
	v_sub_f32_e32 v14, v14, v15
	s_delay_alu instid0(VALU_DEP_1) | instskip(SKIP_2) | instid1(VALU_DEP_1)
	v_dual_sub_f32 v12, v12, v16 :: v_dual_add_f32 v13, v13, v14
	s_waitcnt_depctr 0xfff
	v_mul_f32_e32 v17, v16, v11
	v_mul_f32_e32 v43, v15, v17
	s_delay_alu instid0(VALU_DEP_1) | instskip(NEXT) | instid1(VALU_DEP_1)
	v_fma_f32 v14, v17, v15, -v43
	v_fmac_f32_e32 v14, v17, v13
	s_delay_alu instid0(VALU_DEP_1) | instskip(NEXT) | instid1(VALU_DEP_1)
	v_add_f32_e32 v44, v43, v14
	v_sub_f32_e32 v45, v16, v44
	s_delay_alu instid0(VALU_DEP_1) | instskip(NEXT) | instid1(VALU_DEP_1)
	v_sub_f32_e32 v16, v16, v45
	v_sub_f32_e32 v16, v16, v44
	v_dual_add_f32 v9, v9, v12 :: v_dual_sub_f32 v12, v44, v43
	s_delay_alu instid0(VALU_DEP_1) | instskip(NEXT) | instid1(VALU_DEP_1)
	v_dual_add_f32 v9, v9, v16 :: v_dual_sub_f32 v12, v12, v14
	v_add_f32_e32 v9, v12, v9
	s_delay_alu instid0(VALU_DEP_1) | instskip(NEXT) | instid1(VALU_DEP_1)
	v_add_f32_e32 v12, v45, v9
	v_mul_f32_e32 v14, v11, v12
	s_delay_alu instid0(VALU_DEP_1) | instskip(SKIP_1) | instid1(VALU_DEP_2)
	v_mul_f32_e32 v16, v15, v14
	v_sub_f32_e32 v44, v45, v12
	v_fma_f32 v15, v14, v15, -v16
	s_delay_alu instid0(VALU_DEP_2) | instskip(NEXT) | instid1(VALU_DEP_2)
	v_add_f32_e32 v9, v9, v44
	v_fmac_f32_e32 v15, v14, v13
	s_delay_alu instid0(VALU_DEP_1) | instskip(NEXT) | instid1(VALU_DEP_1)
	v_add_f32_e32 v13, v16, v15
	v_sub_f32_e32 v43, v12, v13
	s_delay_alu instid0(VALU_DEP_1) | instskip(NEXT) | instid1(VALU_DEP_1)
	v_sub_f32_e32 v12, v12, v43
	v_sub_f32_e32 v12, v12, v13
	s_delay_alu instid0(VALU_DEP_1) | instskip(SKIP_2) | instid1(VALU_DEP_1)
	v_add_f32_e32 v9, v9, v12
	v_add_f32_e32 v12, v17, v14
	v_sub_f32_e32 v16, v13, v16
	v_sub_f32_e32 v13, v16, v15
	s_delay_alu instid0(VALU_DEP_1) | instskip(NEXT) | instid1(VALU_DEP_4)
	v_add_f32_e32 v9, v13, v9
	v_sub_f32_e32 v13, v12, v17
	s_delay_alu instid0(VALU_DEP_2) | instskip(NEXT) | instid1(VALU_DEP_2)
	v_add_f32_e32 v9, v43, v9
	v_sub_f32_e32 v13, v14, v13
	s_delay_alu instid0(VALU_DEP_2) | instskip(NEXT) | instid1(VALU_DEP_1)
	v_mul_f32_e32 v9, v11, v9
	v_add_f32_e32 v9, v13, v9
	s_delay_alu instid0(VALU_DEP_1) | instskip(NEXT) | instid1(VALU_DEP_1)
	v_add_f32_e32 v11, v12, v9
	v_mul_f32_e32 v13, v11, v11
	s_delay_alu instid0(VALU_DEP_1) | instskip(SKIP_1) | instid1(VALU_DEP_2)
	v_fmaak_f32 v14, s60, v13, 0x3ecc95a3
	v_mul_f32_e32 v15, v11, v13
	v_fmaak_f32 v13, v13, v14, 0x3f2aaada
	v_ldexp_f32 v14, v11, 1
	s_delay_alu instid0(VALU_DEP_2) | instskip(SKIP_1) | instid1(VALU_DEP_2)
	v_mul_f32_e32 v13, v15, v13
	v_sub_f32_e32 v11, v11, v12
	v_dual_mul_f32 v15, 0x3f317218, v8 :: v_dual_add_f32 v12, v14, v13
	s_delay_alu instid0(VALU_DEP_2) | instskip(NEXT) | instid1(VALU_DEP_2)
	v_sub_f32_e32 v9, v9, v11
	v_sub_f32_e32 v11, v12, v14
	s_delay_alu instid0(VALU_DEP_3) | instskip(NEXT) | instid1(VALU_DEP_3)
	v_fma_f32 v14, 0x3f317218, v8, -v15
	v_ldexp_f32 v9, v9, 1
	s_delay_alu instid0(VALU_DEP_2) | instskip(NEXT) | instid1(VALU_DEP_1)
	v_dual_sub_f32 v11, v13, v11 :: v_dual_fmac_f32 v14, 0xb102e308, v8
	v_dual_add_f32 v8, v9, v11 :: v_dual_add_f32 v9, v15, v14
	s_delay_alu instid0(VALU_DEP_1) | instskip(NEXT) | instid1(VALU_DEP_1)
	v_add_f32_e32 v11, v12, v8
	v_dual_add_f32 v13, v9, v11 :: v_dual_sub_f32 v12, v11, v12
	s_delay_alu instid0(VALU_DEP_1) | instskip(NEXT) | instid1(VALU_DEP_2)
	v_sub_f32_e32 v16, v13, v9
	v_dual_sub_f32 v15, v9, v15 :: v_dual_sub_f32 v8, v8, v12
	s_delay_alu instid0(VALU_DEP_1) | instskip(SKIP_1) | instid1(VALU_DEP_2)
	v_dual_sub_f32 v17, v13, v16 :: v_dual_sub_f32 v14, v14, v15
	v_sub_f32_e32 v11, v11, v16
	v_dual_sub_f32 v9, v9, v17 :: v_dual_add_f32 v12, v14, v8
	s_delay_alu instid0(VALU_DEP_1) | instskip(NEXT) | instid1(VALU_DEP_2)
	v_add_f32_e32 v9, v11, v9
	v_sub_f32_e32 v11, v12, v14
	s_delay_alu instid0(VALU_DEP_2) | instskip(NEXT) | instid1(VALU_DEP_2)
	v_add_f32_e32 v9, v12, v9
	v_sub_f32_e32 v12, v12, v11
	s_delay_alu instid0(VALU_DEP_2) | instskip(NEXT) | instid1(VALU_DEP_1)
	v_dual_sub_f32 v8, v8, v11 :: v_dual_add_f32 v15, v13, v9
	v_dual_sub_f32 v12, v14, v12 :: v_dual_sub_f32 v11, v15, v13
	s_delay_alu instid0(VALU_DEP_1) | instskip(NEXT) | instid1(VALU_DEP_1)
	v_dual_add_f32 v8, v8, v12 :: v_dual_sub_f32 v9, v9, v11
	v_add_f32_e32 v8, v8, v9
	s_delay_alu instid0(VALU_DEP_1) | instskip(NEXT) | instid1(VALU_DEP_1)
	v_add_f32_e32 v8, v15, v8
	v_cndmask_b32_e32 v43, v8, v10, vcc_lo
.LBB11_20:                              ;   in Loop: Header=BB11_12 Depth=1
	s_or_b32 exec_lo, exec_lo, s7
	v_lshlrev_b32_e32 v8, 16, v37
	s_delay_alu instid0(VALU_DEP_1) | instskip(NEXT) | instid1(VALU_DEP_1)
	v_add_f32_e32 v44, s50, v8
	v_cmp_ge_f32_e32 vcc_lo, 0x41a00000, v44
	s_and_b32 s6, s56, vcc_lo
	s_delay_alu instid0(SALU_CYCLE_1)
	s_and_saveexec_b32 s7, s6
	s_cbranch_execz .LBB11_22
; %bb.21:                               ;   in Loop: Header=BB11_12 Depth=1
	v_mul_f32_e32 v8, 0x3fb8aa3b, v44
	v_cmp_ngt_f32_e32 vcc_lo, 0xc2ce8ed0, v44
	s_delay_alu instid0(VALU_DEP_2) | instskip(SKIP_1) | instid1(VALU_DEP_2)
	v_rndne_f32_e32 v9, v8
	v_fma_f32 v10, 0x3fb8aa3b, v44, -v8
	v_sub_f32_e32 v8, v8, v9
	s_delay_alu instid0(VALU_DEP_2) | instskip(SKIP_1) | instid1(VALU_DEP_2)
	v_fmac_f32_e32 v10, 0x32a5705f, v44
	v_cvt_i32_f32_e32 v9, v9
	v_add_f32_e32 v8, v8, v10
	s_delay_alu instid0(VALU_DEP_1) | instskip(SKIP_2) | instid1(VALU_DEP_1)
	v_exp_f32_e32 v8, v8
	s_waitcnt_depctr 0xfff
	v_ldexp_f32 v8, v8, v9
	v_cndmask_b32_e32 v8, 0, v8, vcc_lo
	v_cmp_nlt_f32_e32 vcc_lo, 0x42b17218, v44
	s_delay_alu instid0(VALU_DEP_2) | instskip(NEXT) | instid1(VALU_DEP_1)
	v_cndmask_b32_e32 v10, 0x7f800000, v8, vcc_lo
	v_add_f32_e32 v11, 1.0, v10
	s_delay_alu instid0(VALU_DEP_1) | instskip(NEXT) | instid1(VALU_DEP_1)
	v_cvt_f64_f32_e32 v[8:9], v11
	v_frexp_exp_i32_f64_e32 v8, v[8:9]
	v_frexp_mant_f32_e32 v9, v11
	s_delay_alu instid0(VALU_DEP_1) | instskip(SKIP_1) | instid1(VALU_DEP_1)
	v_cmp_gt_f32_e32 vcc_lo, 0x3f2aaaab, v9
	v_add_f32_e32 v9, -1.0, v11
	v_sub_f32_e32 v13, v9, v11
	v_sub_f32_e32 v9, v10, v9
	s_delay_alu instid0(VALU_DEP_2) | instskip(NEXT) | instid1(VALU_DEP_1)
	v_add_f32_e32 v13, 1.0, v13
	v_add_f32_e32 v9, v9, v13
	v_cmp_gt_f32_e64 s6, 0x33800000, v10
	v_subrev_co_ci_u32_e32 v8, vcc_lo, 0, v8, vcc_lo
	v_cmp_eq_f32_e32 vcc_lo, 0x7f800000, v10
	s_delay_alu instid0(VALU_DEP_2) | instskip(SKIP_2) | instid1(VALU_DEP_2)
	v_sub_nc_u32_e32 v12, 0, v8
	v_cvt_f32_i32_e32 v8, v8
	s_or_b32 vcc_lo, s6, vcc_lo
	v_ldexp_f32 v11, v11, v12
	v_ldexp_f32 v9, v9, v12
	s_delay_alu instid0(VALU_DEP_2) | instskip(NEXT) | instid1(VALU_DEP_1)
	v_add_f32_e32 v14, 1.0, v11
	v_dual_add_f32 v12, -1.0, v11 :: v_dual_add_f32 v13, -1.0, v14
	s_delay_alu instid0(VALU_DEP_1) | instskip(NEXT) | instid1(VALU_DEP_2)
	v_add_f32_e32 v15, 1.0, v12
	v_sub_f32_e32 v13, v11, v13
	s_delay_alu instid0(VALU_DEP_2) | instskip(NEXT) | instid1(VALU_DEP_2)
	v_sub_f32_e32 v11, v11, v15
	v_add_f32_e32 v13, v9, v13
	s_delay_alu instid0(VALU_DEP_2) | instskip(NEXT) | instid1(VALU_DEP_1)
	v_add_f32_e32 v9, v9, v11
	v_add_f32_e32 v16, v12, v9
	s_delay_alu instid0(VALU_DEP_1) | instskip(NEXT) | instid1(VALU_DEP_1)
	v_dual_add_f32 v15, v14, v13 :: v_dual_sub_f32 v12, v12, v16
	v_rcp_f32_e32 v11, v15
	v_sub_f32_e32 v14, v14, v15
	s_delay_alu instid0(VALU_DEP_1) | instskip(SKIP_2) | instid1(VALU_DEP_1)
	v_add_f32_e32 v13, v13, v14
	s_waitcnt_depctr 0xfff
	v_mul_f32_e32 v17, v16, v11
	v_dual_mul_f32 v44, v15, v17 :: v_dual_add_f32 v9, v9, v12
	s_delay_alu instid0(VALU_DEP_1) | instskip(NEXT) | instid1(VALU_DEP_1)
	v_fma_f32 v14, v17, v15, -v44
	v_fmac_f32_e32 v14, v17, v13
	s_delay_alu instid0(VALU_DEP_1) | instskip(NEXT) | instid1(VALU_DEP_1)
	v_add_f32_e32 v45, v44, v14
	v_sub_f32_e32 v46, v16, v45
	v_sub_f32_e32 v12, v45, v44
	s_delay_alu instid0(VALU_DEP_2) | instskip(NEXT) | instid1(VALU_DEP_1)
	v_sub_f32_e32 v16, v16, v46
	v_sub_f32_e32 v16, v16, v45
	s_delay_alu instid0(VALU_DEP_1) | instskip(NEXT) | instid1(VALU_DEP_1)
	v_dual_sub_f32 v12, v12, v14 :: v_dual_add_f32 v9, v9, v16
	v_add_f32_e32 v9, v12, v9
	s_delay_alu instid0(VALU_DEP_1) | instskip(NEXT) | instid1(VALU_DEP_1)
	v_add_f32_e32 v12, v46, v9
	v_mul_f32_e32 v14, v11, v12
	s_delay_alu instid0(VALU_DEP_1) | instskip(NEXT) | instid1(VALU_DEP_1)
	v_dual_sub_f32 v45, v46, v12 :: v_dual_mul_f32 v16, v15, v14
	v_add_f32_e32 v9, v9, v45
	s_delay_alu instid0(VALU_DEP_2) | instskip(NEXT) | instid1(VALU_DEP_1)
	v_fma_f32 v15, v14, v15, -v16
	v_fmac_f32_e32 v15, v14, v13
	s_delay_alu instid0(VALU_DEP_1) | instskip(NEXT) | instid1(VALU_DEP_1)
	v_add_f32_e32 v13, v16, v15
	v_sub_f32_e32 v44, v12, v13
	s_delay_alu instid0(VALU_DEP_1) | instskip(NEXT) | instid1(VALU_DEP_1)
	v_sub_f32_e32 v12, v12, v44
	v_sub_f32_e32 v12, v12, v13
	s_delay_alu instid0(VALU_DEP_1) | instskip(SKIP_2) | instid1(VALU_DEP_1)
	v_add_f32_e32 v9, v9, v12
	v_add_f32_e32 v12, v17, v14
	v_sub_f32_e32 v16, v13, v16
	v_sub_f32_e32 v13, v16, v15
	s_delay_alu instid0(VALU_DEP_1) | instskip(NEXT) | instid1(VALU_DEP_4)
	v_add_f32_e32 v9, v13, v9
	v_sub_f32_e32 v13, v12, v17
	s_delay_alu instid0(VALU_DEP_2) | instskip(NEXT) | instid1(VALU_DEP_2)
	v_add_f32_e32 v9, v44, v9
	v_sub_f32_e32 v13, v14, v13
	s_delay_alu instid0(VALU_DEP_2) | instskip(NEXT) | instid1(VALU_DEP_1)
	v_mul_f32_e32 v9, v11, v9
	v_add_f32_e32 v9, v13, v9
	s_delay_alu instid0(VALU_DEP_1) | instskip(NEXT) | instid1(VALU_DEP_1)
	v_add_f32_e32 v11, v12, v9
	v_mul_f32_e32 v13, v11, v11
	s_delay_alu instid0(VALU_DEP_1) | instskip(SKIP_1) | instid1(VALU_DEP_2)
	v_fmaak_f32 v14, s60, v13, 0x3ecc95a3
	v_mul_f32_e32 v15, v11, v13
	v_fmaak_f32 v13, v13, v14, 0x3f2aaada
	v_ldexp_f32 v14, v11, 1
	v_sub_f32_e32 v11, v11, v12
	s_delay_alu instid0(VALU_DEP_3) | instskip(SKIP_1) | instid1(VALU_DEP_2)
	v_mul_f32_e32 v13, v15, v13
	v_mul_f32_e32 v15, 0x3f317218, v8
	v_dual_sub_f32 v9, v9, v11 :: v_dual_add_f32 v12, v14, v13
	s_delay_alu instid0(VALU_DEP_1) | instskip(NEXT) | instid1(VALU_DEP_2)
	v_ldexp_f32 v9, v9, 1
	v_sub_f32_e32 v11, v12, v14
	s_delay_alu instid0(VALU_DEP_4) | instskip(NEXT) | instid1(VALU_DEP_1)
	v_fma_f32 v14, 0x3f317218, v8, -v15
	v_dual_sub_f32 v11, v13, v11 :: v_dual_fmac_f32 v14, 0xb102e308, v8
	s_delay_alu instid0(VALU_DEP_1) | instskip(NEXT) | instid1(VALU_DEP_1)
	v_dual_add_f32 v8, v9, v11 :: v_dual_add_f32 v9, v15, v14
	v_add_f32_e32 v11, v12, v8
	s_delay_alu instid0(VALU_DEP_2) | instskip(NEXT) | instid1(VALU_DEP_2)
	v_sub_f32_e32 v15, v9, v15
	v_dual_add_f32 v13, v9, v11 :: v_dual_sub_f32 v12, v11, v12
	s_delay_alu instid0(VALU_DEP_2) | instskip(NEXT) | instid1(VALU_DEP_2)
	v_sub_f32_e32 v14, v14, v15
	v_sub_f32_e32 v16, v13, v9
	s_delay_alu instid0(VALU_DEP_3) | instskip(NEXT) | instid1(VALU_DEP_2)
	v_sub_f32_e32 v8, v8, v12
	v_sub_f32_e32 v17, v13, v16
	;; [unrolled: 1-line block ×3, first 2 shown]
	s_delay_alu instid0(VALU_DEP_2) | instskip(NEXT) | instid1(VALU_DEP_1)
	v_dual_add_f32 v12, v14, v8 :: v_dual_sub_f32 v9, v9, v17
	v_add_f32_e32 v9, v11, v9
	s_delay_alu instid0(VALU_DEP_2) | instskip(NEXT) | instid1(VALU_DEP_2)
	v_sub_f32_e32 v11, v12, v14
	v_add_f32_e32 v9, v12, v9
	s_delay_alu instid0(VALU_DEP_2) | instskip(NEXT) | instid1(VALU_DEP_2)
	v_sub_f32_e32 v12, v12, v11
	v_dual_sub_f32 v8, v8, v11 :: v_dual_add_f32 v15, v13, v9
	s_delay_alu instid0(VALU_DEP_1) | instskip(NEXT) | instid1(VALU_DEP_1)
	v_dual_sub_f32 v12, v14, v12 :: v_dual_sub_f32 v11, v15, v13
	v_dual_add_f32 v8, v8, v12 :: v_dual_sub_f32 v9, v9, v11
	s_delay_alu instid0(VALU_DEP_1) | instskip(NEXT) | instid1(VALU_DEP_1)
	v_add_f32_e32 v8, v8, v9
	v_add_f32_e32 v8, v15, v8
	s_delay_alu instid0(VALU_DEP_1)
	v_cndmask_b32_e32 v44, v8, v10, vcc_lo
.LBB11_22:                              ;   in Loop: Header=BB11_12 Depth=1
	s_or_b32 exec_lo, exec_lo, s7
	v_lshlrev_b32_e32 v8, 16, v6
	s_delay_alu instid0(VALU_DEP_1) | instskip(NEXT) | instid1(VALU_DEP_1)
	v_add_f32_e32 v45, s50, v8
	v_cmp_ge_f32_e32 vcc_lo, 0x41a00000, v45
	s_and_b32 s6, s56, vcc_lo
	s_delay_alu instid0(SALU_CYCLE_1)
	s_and_saveexec_b32 s7, s6
	s_cbranch_execz .LBB11_24
; %bb.23:                               ;   in Loop: Header=BB11_12 Depth=1
	v_mul_f32_e32 v8, 0x3fb8aa3b, v45
	v_cmp_ngt_f32_e32 vcc_lo, 0xc2ce8ed0, v45
	s_delay_alu instid0(VALU_DEP_2) | instskip(SKIP_1) | instid1(VALU_DEP_2)
	v_rndne_f32_e32 v9, v8
	v_fma_f32 v10, 0x3fb8aa3b, v45, -v8
	v_sub_f32_e32 v8, v8, v9
	s_delay_alu instid0(VALU_DEP_2) | instskip(SKIP_1) | instid1(VALU_DEP_2)
	v_fmac_f32_e32 v10, 0x32a5705f, v45
	v_cvt_i32_f32_e32 v9, v9
	v_add_f32_e32 v8, v8, v10
	s_delay_alu instid0(VALU_DEP_1) | instskip(SKIP_2) | instid1(VALU_DEP_1)
	v_exp_f32_e32 v8, v8
	s_waitcnt_depctr 0xfff
	v_ldexp_f32 v8, v8, v9
	v_cndmask_b32_e32 v8, 0, v8, vcc_lo
	v_cmp_nlt_f32_e32 vcc_lo, 0x42b17218, v45
	s_delay_alu instid0(VALU_DEP_2) | instskip(NEXT) | instid1(VALU_DEP_1)
	v_cndmask_b32_e32 v10, 0x7f800000, v8, vcc_lo
	v_add_f32_e32 v11, 1.0, v10
	s_delay_alu instid0(VALU_DEP_1) | instskip(NEXT) | instid1(VALU_DEP_1)
	v_cvt_f64_f32_e32 v[8:9], v11
	v_frexp_exp_i32_f64_e32 v8, v[8:9]
	v_frexp_mant_f32_e32 v9, v11
	s_delay_alu instid0(VALU_DEP_1) | instskip(SKIP_1) | instid1(VALU_DEP_1)
	v_cmp_gt_f32_e32 vcc_lo, 0x3f2aaaab, v9
	v_add_f32_e32 v9, -1.0, v11
	v_sub_f32_e32 v13, v9, v11
	v_sub_f32_e32 v9, v10, v9
	s_delay_alu instid0(VALU_DEP_2) | instskip(NEXT) | instid1(VALU_DEP_1)
	v_add_f32_e32 v13, 1.0, v13
	v_add_f32_e32 v9, v9, v13
	v_cmp_gt_f32_e64 s6, 0x33800000, v10
	v_subrev_co_ci_u32_e32 v8, vcc_lo, 0, v8, vcc_lo
	v_cmp_eq_f32_e32 vcc_lo, 0x7f800000, v10
	s_delay_alu instid0(VALU_DEP_2) | instskip(SKIP_2) | instid1(VALU_DEP_2)
	v_sub_nc_u32_e32 v12, 0, v8
	v_cvt_f32_i32_e32 v8, v8
	s_or_b32 vcc_lo, s6, vcc_lo
	v_ldexp_f32 v11, v11, v12
	v_ldexp_f32 v9, v9, v12
	s_delay_alu instid0(VALU_DEP_2) | instskip(NEXT) | instid1(VALU_DEP_1)
	v_add_f32_e32 v14, 1.0, v11
	v_dual_add_f32 v12, -1.0, v11 :: v_dual_add_f32 v13, -1.0, v14
	s_delay_alu instid0(VALU_DEP_1) | instskip(NEXT) | instid1(VALU_DEP_2)
	v_add_f32_e32 v15, 1.0, v12
	v_sub_f32_e32 v13, v11, v13
	s_delay_alu instid0(VALU_DEP_2) | instskip(NEXT) | instid1(VALU_DEP_2)
	v_sub_f32_e32 v11, v11, v15
	v_add_f32_e32 v13, v9, v13
	s_delay_alu instid0(VALU_DEP_2) | instskip(NEXT) | instid1(VALU_DEP_2)
	v_add_f32_e32 v9, v9, v11
	v_add_f32_e32 v15, v14, v13
	s_delay_alu instid0(VALU_DEP_2) | instskip(NEXT) | instid1(VALU_DEP_2)
	v_add_f32_e32 v16, v12, v9
	v_rcp_f32_e32 v11, v15
	v_sub_f32_e32 v14, v14, v15
	s_delay_alu instid0(VALU_DEP_1) | instskip(SKIP_2) | instid1(VALU_DEP_1)
	v_dual_sub_f32 v12, v12, v16 :: v_dual_add_f32 v13, v13, v14
	s_waitcnt_depctr 0xfff
	v_mul_f32_e32 v17, v16, v11
	v_mul_f32_e32 v45, v15, v17
	s_delay_alu instid0(VALU_DEP_1) | instskip(NEXT) | instid1(VALU_DEP_1)
	v_fma_f32 v14, v17, v15, -v45
	v_fmac_f32_e32 v14, v17, v13
	s_delay_alu instid0(VALU_DEP_1) | instskip(NEXT) | instid1(VALU_DEP_1)
	v_add_f32_e32 v46, v45, v14
	v_sub_f32_e32 v47, v16, v46
	s_delay_alu instid0(VALU_DEP_1) | instskip(SKIP_1) | instid1(VALU_DEP_2)
	v_dual_sub_f32 v16, v16, v47 :: v_dual_add_f32 v9, v9, v12
	v_sub_f32_e32 v12, v46, v45
	v_sub_f32_e32 v16, v16, v46
	s_delay_alu instid0(VALU_DEP_1) | instskip(NEXT) | instid1(VALU_DEP_1)
	v_dual_sub_f32 v12, v12, v14 :: v_dual_add_f32 v9, v9, v16
	v_add_f32_e32 v9, v12, v9
	s_delay_alu instid0(VALU_DEP_1) | instskip(NEXT) | instid1(VALU_DEP_1)
	v_add_f32_e32 v12, v47, v9
	v_mul_f32_e32 v14, v11, v12
	v_sub_f32_e32 v46, v47, v12
	s_delay_alu instid0(VALU_DEP_2) | instskip(NEXT) | instid1(VALU_DEP_2)
	v_mul_f32_e32 v16, v15, v14
	v_add_f32_e32 v9, v9, v46
	s_delay_alu instid0(VALU_DEP_2) | instskip(NEXT) | instid1(VALU_DEP_1)
	v_fma_f32 v15, v14, v15, -v16
	v_fmac_f32_e32 v15, v14, v13
	s_delay_alu instid0(VALU_DEP_1) | instskip(NEXT) | instid1(VALU_DEP_1)
	v_add_f32_e32 v13, v16, v15
	v_sub_f32_e32 v45, v12, v13
	s_delay_alu instid0(VALU_DEP_1) | instskip(NEXT) | instid1(VALU_DEP_1)
	v_sub_f32_e32 v12, v12, v45
	v_sub_f32_e32 v12, v12, v13
	s_delay_alu instid0(VALU_DEP_1) | instskip(SKIP_2) | instid1(VALU_DEP_1)
	v_add_f32_e32 v9, v9, v12
	v_add_f32_e32 v12, v17, v14
	v_sub_f32_e32 v16, v13, v16
	v_sub_f32_e32 v13, v16, v15
	s_delay_alu instid0(VALU_DEP_1) | instskip(NEXT) | instid1(VALU_DEP_4)
	v_add_f32_e32 v9, v13, v9
	v_sub_f32_e32 v13, v12, v17
	s_delay_alu instid0(VALU_DEP_2) | instskip(NEXT) | instid1(VALU_DEP_2)
	v_add_f32_e32 v9, v45, v9
	v_sub_f32_e32 v13, v14, v13
	s_delay_alu instid0(VALU_DEP_2) | instskip(NEXT) | instid1(VALU_DEP_1)
	v_mul_f32_e32 v9, v11, v9
	v_add_f32_e32 v9, v13, v9
	s_delay_alu instid0(VALU_DEP_1) | instskip(NEXT) | instid1(VALU_DEP_1)
	v_add_f32_e32 v11, v12, v9
	v_mul_f32_e32 v13, v11, v11
	s_delay_alu instid0(VALU_DEP_1) | instskip(SKIP_1) | instid1(VALU_DEP_2)
	v_fmaak_f32 v14, s60, v13, 0x3ecc95a3
	v_mul_f32_e32 v15, v11, v13
	v_fmaak_f32 v13, v13, v14, 0x3f2aaada
	v_ldexp_f32 v14, v11, 1
	s_delay_alu instid0(VALU_DEP_2) | instskip(SKIP_1) | instid1(VALU_DEP_2)
	v_mul_f32_e32 v13, v15, v13
	v_sub_f32_e32 v11, v11, v12
	v_dual_mul_f32 v15, 0x3f317218, v8 :: v_dual_add_f32 v12, v14, v13
	s_delay_alu instid0(VALU_DEP_2) | instskip(NEXT) | instid1(VALU_DEP_2)
	v_sub_f32_e32 v9, v9, v11
	v_sub_f32_e32 v11, v12, v14
	s_delay_alu instid0(VALU_DEP_3) | instskip(NEXT) | instid1(VALU_DEP_3)
	v_fma_f32 v14, 0x3f317218, v8, -v15
	v_ldexp_f32 v9, v9, 1
	s_delay_alu instid0(VALU_DEP_2) | instskip(NEXT) | instid1(VALU_DEP_1)
	v_dual_sub_f32 v11, v13, v11 :: v_dual_fmac_f32 v14, 0xb102e308, v8
	v_dual_add_f32 v8, v9, v11 :: v_dual_add_f32 v9, v15, v14
	s_delay_alu instid0(VALU_DEP_1) | instskip(NEXT) | instid1(VALU_DEP_1)
	v_add_f32_e32 v11, v12, v8
	v_dual_add_f32 v13, v9, v11 :: v_dual_sub_f32 v12, v11, v12
	s_delay_alu instid0(VALU_DEP_1) | instskip(NEXT) | instid1(VALU_DEP_2)
	v_sub_f32_e32 v16, v13, v9
	v_dual_sub_f32 v15, v9, v15 :: v_dual_sub_f32 v8, v8, v12
	s_delay_alu instid0(VALU_DEP_1) | instskip(SKIP_1) | instid1(VALU_DEP_2)
	v_dual_sub_f32 v17, v13, v16 :: v_dual_sub_f32 v14, v14, v15
	v_sub_f32_e32 v11, v11, v16
	v_dual_sub_f32 v9, v9, v17 :: v_dual_add_f32 v12, v14, v8
	s_delay_alu instid0(VALU_DEP_1) | instskip(NEXT) | instid1(VALU_DEP_2)
	v_add_f32_e32 v9, v11, v9
	v_sub_f32_e32 v11, v12, v14
	s_delay_alu instid0(VALU_DEP_2) | instskip(NEXT) | instid1(VALU_DEP_2)
	v_add_f32_e32 v9, v12, v9
	v_sub_f32_e32 v12, v12, v11
	s_delay_alu instid0(VALU_DEP_2) | instskip(NEXT) | instid1(VALU_DEP_1)
	v_dual_sub_f32 v8, v8, v11 :: v_dual_add_f32 v15, v13, v9
	v_dual_sub_f32 v12, v14, v12 :: v_dual_sub_f32 v11, v15, v13
	s_delay_alu instid0(VALU_DEP_1) | instskip(NEXT) | instid1(VALU_DEP_1)
	v_dual_add_f32 v8, v8, v12 :: v_dual_sub_f32 v9, v9, v11
	v_add_f32_e32 v8, v8, v9
	s_delay_alu instid0(VALU_DEP_1) | instskip(NEXT) | instid1(VALU_DEP_1)
	v_add_f32_e32 v8, v15, v8
	v_cndmask_b32_e32 v45, v8, v10, vcc_lo
.LBB11_24:                              ;   in Loop: Header=BB11_12 Depth=1
	s_or_b32 exec_lo, exec_lo, s7
	v_lshlrev_b32_e32 v8, 16, v39
	s_delay_alu instid0(VALU_DEP_1) | instskip(NEXT) | instid1(VALU_DEP_1)
	v_add_f32_e32 v46, s50, v8
	v_cmp_ge_f32_e32 vcc_lo, 0x41a00000, v46
	s_and_b32 s6, s56, vcc_lo
	s_delay_alu instid0(SALU_CYCLE_1)
	s_and_saveexec_b32 s7, s6
	s_cbranch_execz .LBB11_26
; %bb.25:                               ;   in Loop: Header=BB11_12 Depth=1
	v_mul_f32_e32 v8, 0x3fb8aa3b, v46
	v_cmp_ngt_f32_e32 vcc_lo, 0xc2ce8ed0, v46
	s_delay_alu instid0(VALU_DEP_2) | instskip(SKIP_1) | instid1(VALU_DEP_2)
	v_rndne_f32_e32 v9, v8
	v_fma_f32 v10, 0x3fb8aa3b, v46, -v8
	v_sub_f32_e32 v8, v8, v9
	s_delay_alu instid0(VALU_DEP_2) | instskip(SKIP_1) | instid1(VALU_DEP_2)
	v_fmac_f32_e32 v10, 0x32a5705f, v46
	v_cvt_i32_f32_e32 v9, v9
	v_add_f32_e32 v8, v8, v10
	s_delay_alu instid0(VALU_DEP_1) | instskip(SKIP_2) | instid1(VALU_DEP_1)
	v_exp_f32_e32 v8, v8
	s_waitcnt_depctr 0xfff
	v_ldexp_f32 v8, v8, v9
	v_cndmask_b32_e32 v8, 0, v8, vcc_lo
	v_cmp_nlt_f32_e32 vcc_lo, 0x42b17218, v46
	s_delay_alu instid0(VALU_DEP_2) | instskip(NEXT) | instid1(VALU_DEP_1)
	v_cndmask_b32_e32 v10, 0x7f800000, v8, vcc_lo
	v_add_f32_e32 v11, 1.0, v10
	s_delay_alu instid0(VALU_DEP_1) | instskip(NEXT) | instid1(VALU_DEP_1)
	v_cvt_f64_f32_e32 v[8:9], v11
	v_frexp_exp_i32_f64_e32 v8, v[8:9]
	v_frexp_mant_f32_e32 v9, v11
	s_delay_alu instid0(VALU_DEP_1) | instskip(SKIP_1) | instid1(VALU_DEP_1)
	v_cmp_gt_f32_e32 vcc_lo, 0x3f2aaaab, v9
	v_add_f32_e32 v9, -1.0, v11
	v_sub_f32_e32 v13, v9, v11
	v_sub_f32_e32 v9, v10, v9
	s_delay_alu instid0(VALU_DEP_2) | instskip(NEXT) | instid1(VALU_DEP_1)
	v_add_f32_e32 v13, 1.0, v13
	v_add_f32_e32 v9, v9, v13
	v_cmp_gt_f32_e64 s6, 0x33800000, v10
	v_subrev_co_ci_u32_e32 v8, vcc_lo, 0, v8, vcc_lo
	v_cmp_eq_f32_e32 vcc_lo, 0x7f800000, v10
	s_delay_alu instid0(VALU_DEP_2) | instskip(SKIP_2) | instid1(VALU_DEP_2)
	v_sub_nc_u32_e32 v12, 0, v8
	v_cvt_f32_i32_e32 v8, v8
	s_or_b32 vcc_lo, s6, vcc_lo
	v_ldexp_f32 v11, v11, v12
	v_ldexp_f32 v9, v9, v12
	s_delay_alu instid0(VALU_DEP_2) | instskip(NEXT) | instid1(VALU_DEP_1)
	v_add_f32_e32 v14, 1.0, v11
	v_dual_add_f32 v12, -1.0, v11 :: v_dual_add_f32 v13, -1.0, v14
	s_delay_alu instid0(VALU_DEP_1) | instskip(NEXT) | instid1(VALU_DEP_2)
	v_add_f32_e32 v15, 1.0, v12
	v_sub_f32_e32 v13, v11, v13
	s_delay_alu instid0(VALU_DEP_2) | instskip(NEXT) | instid1(VALU_DEP_2)
	v_sub_f32_e32 v11, v11, v15
	v_add_f32_e32 v13, v9, v13
	s_delay_alu instid0(VALU_DEP_2) | instskip(NEXT) | instid1(VALU_DEP_1)
	v_add_f32_e32 v9, v9, v11
	v_add_f32_e32 v16, v12, v9
	s_delay_alu instid0(VALU_DEP_1) | instskip(NEXT) | instid1(VALU_DEP_1)
	v_dual_add_f32 v15, v14, v13 :: v_dual_sub_f32 v12, v12, v16
	v_rcp_f32_e32 v11, v15
	v_sub_f32_e32 v14, v14, v15
	s_delay_alu instid0(VALU_DEP_1) | instskip(SKIP_2) | instid1(VALU_DEP_1)
	v_add_f32_e32 v13, v13, v14
	s_waitcnt_depctr 0xfff
	v_mul_f32_e32 v17, v16, v11
	v_mul_f32_e32 v46, v15, v17
	s_delay_alu instid0(VALU_DEP_1) | instskip(NEXT) | instid1(VALU_DEP_1)
	v_fma_f32 v14, v17, v15, -v46
	v_fmac_f32_e32 v14, v17, v13
	s_delay_alu instid0(VALU_DEP_1) | instskip(NEXT) | instid1(VALU_DEP_1)
	v_add_f32_e32 v47, v46, v14
	v_sub_f32_e32 v48, v16, v47
	s_delay_alu instid0(VALU_DEP_1) | instskip(SKIP_1) | instid1(VALU_DEP_2)
	v_sub_f32_e32 v16, v16, v48
	v_dual_add_f32 v9, v9, v12 :: v_dual_sub_f32 v12, v47, v46
	v_sub_f32_e32 v16, v16, v47
	s_delay_alu instid0(VALU_DEP_1) | instskip(NEXT) | instid1(VALU_DEP_1)
	v_dual_sub_f32 v12, v12, v14 :: v_dual_add_f32 v9, v9, v16
	v_add_f32_e32 v9, v12, v9
	s_delay_alu instid0(VALU_DEP_1) | instskip(NEXT) | instid1(VALU_DEP_1)
	v_add_f32_e32 v12, v48, v9
	v_mul_f32_e32 v14, v11, v12
	s_delay_alu instid0(VALU_DEP_1) | instskip(NEXT) | instid1(VALU_DEP_1)
	v_dual_sub_f32 v47, v48, v12 :: v_dual_mul_f32 v16, v15, v14
	v_add_f32_e32 v9, v9, v47
	s_delay_alu instid0(VALU_DEP_2) | instskip(NEXT) | instid1(VALU_DEP_1)
	v_fma_f32 v15, v14, v15, -v16
	v_fmac_f32_e32 v15, v14, v13
	s_delay_alu instid0(VALU_DEP_1) | instskip(NEXT) | instid1(VALU_DEP_1)
	v_add_f32_e32 v13, v16, v15
	v_sub_f32_e32 v46, v12, v13
	s_delay_alu instid0(VALU_DEP_1) | instskip(NEXT) | instid1(VALU_DEP_1)
	v_sub_f32_e32 v12, v12, v46
	v_sub_f32_e32 v12, v12, v13
	s_delay_alu instid0(VALU_DEP_1) | instskip(SKIP_2) | instid1(VALU_DEP_1)
	v_add_f32_e32 v9, v9, v12
	v_add_f32_e32 v12, v17, v14
	v_sub_f32_e32 v16, v13, v16
	v_sub_f32_e32 v13, v16, v15
	s_delay_alu instid0(VALU_DEP_1) | instskip(NEXT) | instid1(VALU_DEP_4)
	v_add_f32_e32 v9, v13, v9
	v_sub_f32_e32 v13, v12, v17
	s_delay_alu instid0(VALU_DEP_2) | instskip(NEXT) | instid1(VALU_DEP_2)
	v_add_f32_e32 v9, v46, v9
	v_sub_f32_e32 v13, v14, v13
	s_delay_alu instid0(VALU_DEP_2) | instskip(NEXT) | instid1(VALU_DEP_1)
	v_mul_f32_e32 v9, v11, v9
	v_add_f32_e32 v9, v13, v9
	s_delay_alu instid0(VALU_DEP_1) | instskip(NEXT) | instid1(VALU_DEP_1)
	v_add_f32_e32 v11, v12, v9
	v_mul_f32_e32 v13, v11, v11
	s_delay_alu instid0(VALU_DEP_1) | instskip(SKIP_1) | instid1(VALU_DEP_2)
	v_fmaak_f32 v14, s60, v13, 0x3ecc95a3
	v_mul_f32_e32 v15, v11, v13
	v_fmaak_f32 v13, v13, v14, 0x3f2aaada
	v_ldexp_f32 v14, v11, 1
	s_delay_alu instid0(VALU_DEP_2) | instskip(SKIP_1) | instid1(VALU_DEP_2)
	v_mul_f32_e32 v13, v15, v13
	v_sub_f32_e32 v11, v11, v12
	v_dual_mul_f32 v15, 0x3f317218, v8 :: v_dual_add_f32 v12, v14, v13
	s_delay_alu instid0(VALU_DEP_2) | instskip(NEXT) | instid1(VALU_DEP_2)
	v_sub_f32_e32 v9, v9, v11
	v_sub_f32_e32 v11, v12, v14
	s_delay_alu instid0(VALU_DEP_3) | instskip(NEXT) | instid1(VALU_DEP_3)
	v_fma_f32 v14, 0x3f317218, v8, -v15
	v_ldexp_f32 v9, v9, 1
	s_delay_alu instid0(VALU_DEP_2) | instskip(NEXT) | instid1(VALU_DEP_1)
	v_dual_sub_f32 v11, v13, v11 :: v_dual_fmac_f32 v14, 0xb102e308, v8
	v_dual_add_f32 v8, v9, v11 :: v_dual_add_f32 v9, v15, v14
	s_delay_alu instid0(VALU_DEP_1) | instskip(NEXT) | instid1(VALU_DEP_1)
	v_add_f32_e32 v11, v12, v8
	v_dual_add_f32 v13, v9, v11 :: v_dual_sub_f32 v12, v11, v12
	s_delay_alu instid0(VALU_DEP_1) | instskip(NEXT) | instid1(VALU_DEP_2)
	v_sub_f32_e32 v16, v13, v9
	v_dual_sub_f32 v15, v9, v15 :: v_dual_sub_f32 v8, v8, v12
	s_delay_alu instid0(VALU_DEP_1) | instskip(SKIP_1) | instid1(VALU_DEP_2)
	v_dual_sub_f32 v17, v13, v16 :: v_dual_sub_f32 v14, v14, v15
	v_sub_f32_e32 v11, v11, v16
	v_dual_sub_f32 v9, v9, v17 :: v_dual_add_f32 v12, v14, v8
	s_delay_alu instid0(VALU_DEP_1) | instskip(NEXT) | instid1(VALU_DEP_2)
	v_add_f32_e32 v9, v11, v9
	v_sub_f32_e32 v11, v12, v14
	s_delay_alu instid0(VALU_DEP_2) | instskip(NEXT) | instid1(VALU_DEP_2)
	v_add_f32_e32 v9, v12, v9
	v_sub_f32_e32 v12, v12, v11
	s_delay_alu instid0(VALU_DEP_2) | instskip(NEXT) | instid1(VALU_DEP_1)
	v_dual_sub_f32 v8, v8, v11 :: v_dual_add_f32 v15, v13, v9
	v_dual_sub_f32 v12, v14, v12 :: v_dual_sub_f32 v11, v15, v13
	s_delay_alu instid0(VALU_DEP_1) | instskip(NEXT) | instid1(VALU_DEP_1)
	v_dual_add_f32 v8, v8, v12 :: v_dual_sub_f32 v9, v9, v11
	v_add_f32_e32 v8, v8, v9
	s_delay_alu instid0(VALU_DEP_1) | instskip(NEXT) | instid1(VALU_DEP_1)
	v_add_f32_e32 v8, v15, v8
	v_cndmask_b32_e32 v46, v8, v10, vcc_lo
.LBB11_26:                              ;   in Loop: Header=BB11_12 Depth=1
	s_or_b32 exec_lo, exec_lo, s7
	v_lshlrev_b32_e32 v8, 16, v7
	s_delay_alu instid0(VALU_DEP_1) | instskip(NEXT) | instid1(VALU_DEP_1)
	v_add_f32_e32 v47, s50, v8
	v_cmp_ge_f32_e32 vcc_lo, 0x41a00000, v47
	s_and_b32 s6, s56, vcc_lo
	s_delay_alu instid0(SALU_CYCLE_1)
	s_and_saveexec_b32 s7, s6
	s_cbranch_execz .LBB11_28
; %bb.27:                               ;   in Loop: Header=BB11_12 Depth=1
	v_mul_f32_e32 v8, 0x3fb8aa3b, v47
	v_cmp_ngt_f32_e32 vcc_lo, 0xc2ce8ed0, v47
	s_delay_alu instid0(VALU_DEP_2) | instskip(SKIP_1) | instid1(VALU_DEP_2)
	v_rndne_f32_e32 v9, v8
	v_fma_f32 v10, 0x3fb8aa3b, v47, -v8
	v_sub_f32_e32 v8, v8, v9
	s_delay_alu instid0(VALU_DEP_2) | instskip(SKIP_1) | instid1(VALU_DEP_2)
	v_fmac_f32_e32 v10, 0x32a5705f, v47
	v_cvt_i32_f32_e32 v9, v9
	v_add_f32_e32 v8, v8, v10
	s_delay_alu instid0(VALU_DEP_1) | instskip(SKIP_2) | instid1(VALU_DEP_1)
	v_exp_f32_e32 v8, v8
	s_waitcnt_depctr 0xfff
	v_ldexp_f32 v8, v8, v9
	v_cndmask_b32_e32 v8, 0, v8, vcc_lo
	v_cmp_nlt_f32_e32 vcc_lo, 0x42b17218, v47
	s_delay_alu instid0(VALU_DEP_2) | instskip(NEXT) | instid1(VALU_DEP_1)
	v_cndmask_b32_e32 v10, 0x7f800000, v8, vcc_lo
	v_add_f32_e32 v11, 1.0, v10
	s_delay_alu instid0(VALU_DEP_1) | instskip(NEXT) | instid1(VALU_DEP_1)
	v_cvt_f64_f32_e32 v[8:9], v11
	v_frexp_exp_i32_f64_e32 v8, v[8:9]
	v_frexp_mant_f32_e32 v9, v11
	s_delay_alu instid0(VALU_DEP_1) | instskip(SKIP_1) | instid1(VALU_DEP_1)
	v_cmp_gt_f32_e32 vcc_lo, 0x3f2aaaab, v9
	v_add_f32_e32 v9, -1.0, v11
	v_sub_f32_e32 v13, v9, v11
	v_sub_f32_e32 v9, v10, v9
	s_delay_alu instid0(VALU_DEP_2) | instskip(NEXT) | instid1(VALU_DEP_1)
	v_add_f32_e32 v13, 1.0, v13
	v_add_f32_e32 v9, v9, v13
	v_cmp_gt_f32_e64 s6, 0x33800000, v10
	v_subrev_co_ci_u32_e32 v8, vcc_lo, 0, v8, vcc_lo
	v_cmp_eq_f32_e32 vcc_lo, 0x7f800000, v10
	s_delay_alu instid0(VALU_DEP_2) | instskip(SKIP_2) | instid1(VALU_DEP_2)
	v_sub_nc_u32_e32 v12, 0, v8
	v_cvt_f32_i32_e32 v8, v8
	s_or_b32 vcc_lo, s6, vcc_lo
	v_ldexp_f32 v11, v11, v12
	v_ldexp_f32 v9, v9, v12
	s_delay_alu instid0(VALU_DEP_2) | instskip(NEXT) | instid1(VALU_DEP_1)
	v_add_f32_e32 v14, 1.0, v11
	v_dual_add_f32 v12, -1.0, v11 :: v_dual_add_f32 v13, -1.0, v14
	s_delay_alu instid0(VALU_DEP_1) | instskip(NEXT) | instid1(VALU_DEP_2)
	v_add_f32_e32 v15, 1.0, v12
	v_sub_f32_e32 v13, v11, v13
	s_delay_alu instid0(VALU_DEP_2) | instskip(NEXT) | instid1(VALU_DEP_2)
	v_sub_f32_e32 v11, v11, v15
	v_add_f32_e32 v13, v9, v13
	s_delay_alu instid0(VALU_DEP_2) | instskip(NEXT) | instid1(VALU_DEP_2)
	v_add_f32_e32 v9, v9, v11
	v_add_f32_e32 v15, v14, v13
	s_delay_alu instid0(VALU_DEP_2) | instskip(NEXT) | instid1(VALU_DEP_2)
	v_add_f32_e32 v16, v12, v9
	v_rcp_f32_e32 v11, v15
	v_sub_f32_e32 v14, v14, v15
	s_delay_alu instid0(VALU_DEP_1) | instskip(SKIP_2) | instid1(VALU_DEP_1)
	v_dual_sub_f32 v12, v12, v16 :: v_dual_add_f32 v13, v13, v14
	s_waitcnt_depctr 0xfff
	v_mul_f32_e32 v17, v16, v11
	v_mul_f32_e32 v47, v15, v17
	s_delay_alu instid0(VALU_DEP_1) | instskip(NEXT) | instid1(VALU_DEP_1)
	v_fma_f32 v14, v17, v15, -v47
	v_fmac_f32_e32 v14, v17, v13
	s_delay_alu instid0(VALU_DEP_1) | instskip(NEXT) | instid1(VALU_DEP_1)
	v_add_f32_e32 v48, v47, v14
	v_sub_f32_e32 v49, v16, v48
	s_delay_alu instid0(VALU_DEP_1) | instskip(NEXT) | instid1(VALU_DEP_1)
	v_sub_f32_e32 v16, v16, v49
	v_sub_f32_e32 v16, v16, v48
	v_dual_add_f32 v9, v9, v12 :: v_dual_sub_f32 v12, v48, v47
	s_delay_alu instid0(VALU_DEP_1) | instskip(NEXT) | instid1(VALU_DEP_1)
	v_dual_add_f32 v9, v9, v16 :: v_dual_sub_f32 v12, v12, v14
	v_add_f32_e32 v9, v12, v9
	s_delay_alu instid0(VALU_DEP_1) | instskip(NEXT) | instid1(VALU_DEP_1)
	v_add_f32_e32 v12, v49, v9
	v_mul_f32_e32 v14, v11, v12
	s_delay_alu instid0(VALU_DEP_1) | instskip(SKIP_1) | instid1(VALU_DEP_2)
	v_mul_f32_e32 v16, v15, v14
	v_sub_f32_e32 v48, v49, v12
	v_fma_f32 v15, v14, v15, -v16
	s_delay_alu instid0(VALU_DEP_2) | instskip(NEXT) | instid1(VALU_DEP_2)
	v_add_f32_e32 v9, v9, v48
	v_fmac_f32_e32 v15, v14, v13
	s_delay_alu instid0(VALU_DEP_1) | instskip(NEXT) | instid1(VALU_DEP_1)
	v_add_f32_e32 v13, v16, v15
	v_sub_f32_e32 v47, v12, v13
	s_delay_alu instid0(VALU_DEP_1) | instskip(NEXT) | instid1(VALU_DEP_1)
	v_sub_f32_e32 v12, v12, v47
	v_sub_f32_e32 v12, v12, v13
	s_delay_alu instid0(VALU_DEP_1) | instskip(SKIP_2) | instid1(VALU_DEP_1)
	v_add_f32_e32 v9, v9, v12
	v_add_f32_e32 v12, v17, v14
	v_sub_f32_e32 v16, v13, v16
	v_sub_f32_e32 v13, v16, v15
	s_delay_alu instid0(VALU_DEP_1) | instskip(NEXT) | instid1(VALU_DEP_4)
	v_add_f32_e32 v9, v13, v9
	v_sub_f32_e32 v13, v12, v17
	s_delay_alu instid0(VALU_DEP_2) | instskip(NEXT) | instid1(VALU_DEP_2)
	v_add_f32_e32 v9, v47, v9
	v_sub_f32_e32 v13, v14, v13
	s_delay_alu instid0(VALU_DEP_2) | instskip(NEXT) | instid1(VALU_DEP_1)
	v_mul_f32_e32 v9, v11, v9
	v_add_f32_e32 v9, v13, v9
	s_delay_alu instid0(VALU_DEP_1) | instskip(NEXT) | instid1(VALU_DEP_1)
	v_add_f32_e32 v11, v12, v9
	v_mul_f32_e32 v13, v11, v11
	s_delay_alu instid0(VALU_DEP_1) | instskip(SKIP_1) | instid1(VALU_DEP_2)
	v_fmaak_f32 v14, s60, v13, 0x3ecc95a3
	v_mul_f32_e32 v15, v11, v13
	v_fmaak_f32 v13, v13, v14, 0x3f2aaada
	v_ldexp_f32 v14, v11, 1
	s_delay_alu instid0(VALU_DEP_2) | instskip(SKIP_1) | instid1(VALU_DEP_2)
	v_mul_f32_e32 v13, v15, v13
	v_sub_f32_e32 v11, v11, v12
	v_dual_mul_f32 v15, 0x3f317218, v8 :: v_dual_add_f32 v12, v14, v13
	s_delay_alu instid0(VALU_DEP_2) | instskip(NEXT) | instid1(VALU_DEP_2)
	v_sub_f32_e32 v9, v9, v11
	v_sub_f32_e32 v11, v12, v14
	s_delay_alu instid0(VALU_DEP_3) | instskip(NEXT) | instid1(VALU_DEP_3)
	v_fma_f32 v14, 0x3f317218, v8, -v15
	v_ldexp_f32 v9, v9, 1
	s_delay_alu instid0(VALU_DEP_2) | instskip(NEXT) | instid1(VALU_DEP_1)
	v_dual_sub_f32 v11, v13, v11 :: v_dual_fmac_f32 v14, 0xb102e308, v8
	v_dual_add_f32 v8, v9, v11 :: v_dual_add_f32 v9, v15, v14
	s_delay_alu instid0(VALU_DEP_1) | instskip(NEXT) | instid1(VALU_DEP_1)
	v_add_f32_e32 v11, v12, v8
	v_dual_add_f32 v13, v9, v11 :: v_dual_sub_f32 v12, v11, v12
	s_delay_alu instid0(VALU_DEP_1) | instskip(NEXT) | instid1(VALU_DEP_2)
	v_sub_f32_e32 v16, v13, v9
	v_dual_sub_f32 v15, v9, v15 :: v_dual_sub_f32 v8, v8, v12
	s_delay_alu instid0(VALU_DEP_1) | instskip(SKIP_1) | instid1(VALU_DEP_2)
	v_dual_sub_f32 v17, v13, v16 :: v_dual_sub_f32 v14, v14, v15
	v_sub_f32_e32 v11, v11, v16
	v_dual_sub_f32 v9, v9, v17 :: v_dual_add_f32 v12, v14, v8
	s_delay_alu instid0(VALU_DEP_1) | instskip(NEXT) | instid1(VALU_DEP_2)
	v_add_f32_e32 v9, v11, v9
	v_sub_f32_e32 v11, v12, v14
	s_delay_alu instid0(VALU_DEP_2) | instskip(NEXT) | instid1(VALU_DEP_2)
	v_add_f32_e32 v9, v12, v9
	v_sub_f32_e32 v12, v12, v11
	s_delay_alu instid0(VALU_DEP_2) | instskip(NEXT) | instid1(VALU_DEP_1)
	v_dual_sub_f32 v8, v8, v11 :: v_dual_add_f32 v15, v13, v9
	v_dual_sub_f32 v12, v14, v12 :: v_dual_sub_f32 v11, v15, v13
	s_delay_alu instid0(VALU_DEP_1) | instskip(NEXT) | instid1(VALU_DEP_1)
	v_dual_add_f32 v8, v8, v12 :: v_dual_sub_f32 v9, v9, v11
	v_add_f32_e32 v8, v8, v9
	s_delay_alu instid0(VALU_DEP_1) | instskip(NEXT) | instid1(VALU_DEP_1)
	v_add_f32_e32 v8, v15, v8
	v_cndmask_b32_e32 v47, v8, v10, vcc_lo
.LBB11_28:                              ;   in Loop: Header=BB11_12 Depth=1
	s_or_b32 exec_lo, exec_lo, s7
	v_lshlrev_b32_e32 v8, 16, v40
	s_delay_alu instid0(VALU_DEP_1) | instskip(NEXT) | instid1(VALU_DEP_1)
	v_add_f32_e32 v56, s50, v8
	v_cmp_ge_f32_e32 vcc_lo, 0x41a00000, v56
	s_and_b32 s6, s56, vcc_lo
	s_delay_alu instid0(SALU_CYCLE_1)
	s_and_saveexec_b32 s7, s6
	s_cbranch_execz .LBB11_30
; %bb.29:                               ;   in Loop: Header=BB11_12 Depth=1
	v_mul_f32_e32 v8, 0x3fb8aa3b, v56
	v_cmp_ngt_f32_e32 vcc_lo, 0xc2ce8ed0, v56
	s_delay_alu instid0(VALU_DEP_2) | instskip(SKIP_1) | instid1(VALU_DEP_2)
	v_rndne_f32_e32 v9, v8
	v_fma_f32 v10, 0x3fb8aa3b, v56, -v8
	v_sub_f32_e32 v8, v8, v9
	s_delay_alu instid0(VALU_DEP_2) | instskip(SKIP_1) | instid1(VALU_DEP_2)
	v_fmac_f32_e32 v10, 0x32a5705f, v56
	v_cvt_i32_f32_e32 v9, v9
	v_add_f32_e32 v8, v8, v10
	s_delay_alu instid0(VALU_DEP_1) | instskip(SKIP_2) | instid1(VALU_DEP_1)
	v_exp_f32_e32 v8, v8
	s_waitcnt_depctr 0xfff
	v_ldexp_f32 v8, v8, v9
	v_cndmask_b32_e32 v8, 0, v8, vcc_lo
	v_cmp_nlt_f32_e32 vcc_lo, 0x42b17218, v56
	s_delay_alu instid0(VALU_DEP_2) | instskip(NEXT) | instid1(VALU_DEP_1)
	v_cndmask_b32_e32 v10, 0x7f800000, v8, vcc_lo
	v_add_f32_e32 v11, 1.0, v10
	s_delay_alu instid0(VALU_DEP_1) | instskip(NEXT) | instid1(VALU_DEP_1)
	v_cvt_f64_f32_e32 v[8:9], v11
	v_frexp_exp_i32_f64_e32 v8, v[8:9]
	v_frexp_mant_f32_e32 v9, v11
	s_delay_alu instid0(VALU_DEP_1) | instskip(SKIP_1) | instid1(VALU_DEP_1)
	v_cmp_gt_f32_e32 vcc_lo, 0x3f2aaaab, v9
	v_add_f32_e32 v9, -1.0, v11
	v_sub_f32_e32 v13, v9, v11
	v_sub_f32_e32 v9, v10, v9
	s_delay_alu instid0(VALU_DEP_2) | instskip(NEXT) | instid1(VALU_DEP_1)
	v_add_f32_e32 v13, 1.0, v13
	v_add_f32_e32 v9, v9, v13
	v_cmp_gt_f32_e64 s6, 0x33800000, v10
	v_subrev_co_ci_u32_e32 v8, vcc_lo, 0, v8, vcc_lo
	v_cmp_eq_f32_e32 vcc_lo, 0x7f800000, v10
	s_delay_alu instid0(VALU_DEP_2) | instskip(SKIP_2) | instid1(VALU_DEP_2)
	v_sub_nc_u32_e32 v12, 0, v8
	v_cvt_f32_i32_e32 v8, v8
	s_or_b32 vcc_lo, s6, vcc_lo
	v_ldexp_f32 v11, v11, v12
	v_ldexp_f32 v9, v9, v12
	s_delay_alu instid0(VALU_DEP_2) | instskip(NEXT) | instid1(VALU_DEP_1)
	v_add_f32_e32 v14, 1.0, v11
	v_dual_add_f32 v12, -1.0, v11 :: v_dual_add_f32 v13, -1.0, v14
	s_delay_alu instid0(VALU_DEP_1) | instskip(NEXT) | instid1(VALU_DEP_2)
	v_add_f32_e32 v15, 1.0, v12
	v_sub_f32_e32 v13, v11, v13
	s_delay_alu instid0(VALU_DEP_2) | instskip(NEXT) | instid1(VALU_DEP_2)
	v_sub_f32_e32 v11, v11, v15
	v_add_f32_e32 v13, v9, v13
	s_delay_alu instid0(VALU_DEP_2) | instskip(NEXT) | instid1(VALU_DEP_1)
	v_add_f32_e32 v9, v9, v11
	v_add_f32_e32 v16, v12, v9
	s_delay_alu instid0(VALU_DEP_1) | instskip(NEXT) | instid1(VALU_DEP_1)
	v_dual_add_f32 v15, v14, v13 :: v_dual_sub_f32 v12, v12, v16
	v_rcp_f32_e32 v11, v15
	v_sub_f32_e32 v14, v14, v15
	s_delay_alu instid0(VALU_DEP_1) | instskip(SKIP_2) | instid1(VALU_DEP_1)
	v_add_f32_e32 v13, v13, v14
	s_waitcnt_depctr 0xfff
	v_mul_f32_e32 v17, v16, v11
	v_dual_mul_f32 v48, v15, v17 :: v_dual_add_f32 v9, v9, v12
	s_delay_alu instid0(VALU_DEP_1) | instskip(NEXT) | instid1(VALU_DEP_1)
	v_fma_f32 v14, v17, v15, -v48
	v_fmac_f32_e32 v14, v17, v13
	s_delay_alu instid0(VALU_DEP_1) | instskip(NEXT) | instid1(VALU_DEP_1)
	v_add_f32_e32 v49, v48, v14
	v_sub_f32_e32 v50, v16, v49
	v_sub_f32_e32 v12, v49, v48
	s_delay_alu instid0(VALU_DEP_2) | instskip(NEXT) | instid1(VALU_DEP_1)
	v_sub_f32_e32 v16, v16, v50
	v_sub_f32_e32 v16, v16, v49
	s_delay_alu instid0(VALU_DEP_1) | instskip(NEXT) | instid1(VALU_DEP_1)
	v_dual_sub_f32 v12, v12, v14 :: v_dual_add_f32 v9, v9, v16
	v_add_f32_e32 v9, v12, v9
	s_delay_alu instid0(VALU_DEP_1) | instskip(NEXT) | instid1(VALU_DEP_1)
	v_add_f32_e32 v12, v50, v9
	v_mul_f32_e32 v14, v11, v12
	s_delay_alu instid0(VALU_DEP_1) | instskip(NEXT) | instid1(VALU_DEP_1)
	v_dual_sub_f32 v49, v50, v12 :: v_dual_mul_f32 v16, v15, v14
	v_add_f32_e32 v9, v9, v49
	s_delay_alu instid0(VALU_DEP_2) | instskip(NEXT) | instid1(VALU_DEP_1)
	v_fma_f32 v15, v14, v15, -v16
	v_fmac_f32_e32 v15, v14, v13
	s_delay_alu instid0(VALU_DEP_1) | instskip(NEXT) | instid1(VALU_DEP_1)
	v_add_f32_e32 v13, v16, v15
	v_sub_f32_e32 v48, v12, v13
	s_delay_alu instid0(VALU_DEP_1) | instskip(NEXT) | instid1(VALU_DEP_1)
	v_sub_f32_e32 v12, v12, v48
	v_sub_f32_e32 v12, v12, v13
	s_delay_alu instid0(VALU_DEP_1) | instskip(SKIP_2) | instid1(VALU_DEP_1)
	v_add_f32_e32 v9, v9, v12
	v_add_f32_e32 v12, v17, v14
	v_sub_f32_e32 v16, v13, v16
	v_sub_f32_e32 v13, v16, v15
	s_delay_alu instid0(VALU_DEP_1) | instskip(NEXT) | instid1(VALU_DEP_4)
	v_add_f32_e32 v9, v13, v9
	v_sub_f32_e32 v13, v12, v17
	s_delay_alu instid0(VALU_DEP_2) | instskip(NEXT) | instid1(VALU_DEP_2)
	v_add_f32_e32 v9, v48, v9
	v_sub_f32_e32 v13, v14, v13
	s_delay_alu instid0(VALU_DEP_2) | instskip(NEXT) | instid1(VALU_DEP_1)
	v_mul_f32_e32 v9, v11, v9
	v_add_f32_e32 v9, v13, v9
	s_delay_alu instid0(VALU_DEP_1) | instskip(NEXT) | instid1(VALU_DEP_1)
	v_add_f32_e32 v11, v12, v9
	v_mul_f32_e32 v13, v11, v11
	s_delay_alu instid0(VALU_DEP_1) | instskip(SKIP_1) | instid1(VALU_DEP_2)
	v_fmaak_f32 v14, s60, v13, 0x3ecc95a3
	v_mul_f32_e32 v15, v11, v13
	v_fmaak_f32 v13, v13, v14, 0x3f2aaada
	v_ldexp_f32 v14, v11, 1
	v_sub_f32_e32 v11, v11, v12
	s_delay_alu instid0(VALU_DEP_3) | instskip(SKIP_1) | instid1(VALU_DEP_2)
	v_mul_f32_e32 v13, v15, v13
	v_mul_f32_e32 v15, 0x3f317218, v8
	v_dual_sub_f32 v9, v9, v11 :: v_dual_add_f32 v12, v14, v13
	s_delay_alu instid0(VALU_DEP_1) | instskip(NEXT) | instid1(VALU_DEP_2)
	v_ldexp_f32 v9, v9, 1
	v_sub_f32_e32 v11, v12, v14
	s_delay_alu instid0(VALU_DEP_4) | instskip(NEXT) | instid1(VALU_DEP_1)
	v_fma_f32 v14, 0x3f317218, v8, -v15
	v_dual_sub_f32 v11, v13, v11 :: v_dual_fmac_f32 v14, 0xb102e308, v8
	s_delay_alu instid0(VALU_DEP_1) | instskip(NEXT) | instid1(VALU_DEP_1)
	v_dual_add_f32 v8, v9, v11 :: v_dual_add_f32 v9, v15, v14
	v_add_f32_e32 v11, v12, v8
	s_delay_alu instid0(VALU_DEP_2) | instskip(NEXT) | instid1(VALU_DEP_2)
	v_sub_f32_e32 v15, v9, v15
	v_dual_add_f32 v13, v9, v11 :: v_dual_sub_f32 v12, v11, v12
	s_delay_alu instid0(VALU_DEP_2) | instskip(NEXT) | instid1(VALU_DEP_2)
	v_sub_f32_e32 v14, v14, v15
	v_sub_f32_e32 v16, v13, v9
	s_delay_alu instid0(VALU_DEP_3) | instskip(NEXT) | instid1(VALU_DEP_2)
	v_sub_f32_e32 v8, v8, v12
	v_sub_f32_e32 v17, v13, v16
	;; [unrolled: 1-line block ×3, first 2 shown]
	s_delay_alu instid0(VALU_DEP_2) | instskip(NEXT) | instid1(VALU_DEP_1)
	v_dual_add_f32 v12, v14, v8 :: v_dual_sub_f32 v9, v9, v17
	v_add_f32_e32 v9, v11, v9
	s_delay_alu instid0(VALU_DEP_2) | instskip(NEXT) | instid1(VALU_DEP_2)
	v_sub_f32_e32 v11, v12, v14
	v_add_f32_e32 v9, v12, v9
	s_delay_alu instid0(VALU_DEP_2) | instskip(NEXT) | instid1(VALU_DEP_2)
	v_sub_f32_e32 v12, v12, v11
	v_dual_sub_f32 v8, v8, v11 :: v_dual_add_f32 v15, v13, v9
	s_delay_alu instid0(VALU_DEP_1) | instskip(NEXT) | instid1(VALU_DEP_1)
	v_dual_sub_f32 v12, v14, v12 :: v_dual_sub_f32 v11, v15, v13
	v_dual_add_f32 v8, v8, v12 :: v_dual_sub_f32 v9, v9, v11
	s_delay_alu instid0(VALU_DEP_1) | instskip(NEXT) | instid1(VALU_DEP_1)
	v_add_f32_e32 v8, v8, v9
	v_add_f32_e32 v8, v15, v8
	s_delay_alu instid0(VALU_DEP_1)
	v_cndmask_b32_e32 v56, v8, v10, vcc_lo
.LBB11_30:                              ;   in Loop: Header=BB11_12 Depth=1
	s_or_b32 exec_lo, exec_lo, s7
	v_lshlrev_b32_e32 v15, 16, v0
	v_lshlrev_b32_e32 v12, 16, v34
	s_lshl_b32 s24, s62, 9
	s_and_b32 vcc_lo, exec_lo, s57
	s_delay_alu instid0(VALU_DEP_2) | instskip(NEXT) | instid1(VALU_DEP_2)
	v_mul_f32_e32 v55, s51, v15
	v_dual_mul_f32 v52, s51, v12 :: v_dual_lshlrev_b32 v13, 16, v1
	v_lshlrev_b32_e32 v10, 16, v2
	s_barrier
	buffer_gl0_inv
	v_mul_f32_e32 v53, s51, v13
	v_dual_mul_f32 v51, s51, v10 :: v_dual_lshlrev_b32 v14, 16, v33
	s_delay_alu instid0(VALU_DEP_1) | instskip(NEXT) | instid1(VALU_DEP_1)
	v_dual_mul_f32 v54, s51, v14 :: v_dual_lshlrev_b32 v9, 16, v36
	v_dual_mul_f32 v49, s51, v9 :: v_dual_lshlrev_b32 v8, 16, v3
	s_delay_alu instid0(VALU_DEP_1) | instskip(NEXT) | instid1(VALU_DEP_1)
	v_dual_mul_f32 v48, s51, v8 :: v_dual_lshlrev_b32 v11, 16, v38
	v_mul_f32_e32 v50, s51, v11
	s_cbranch_vccz .LBB11_11
; %bb.31:                               ;   in Loop: Header=BB11_12 Depth=1
	v_dual_mul_f32 v59, v46, v9 :: v_dual_mul_f32 v60, v45, v10
	v_add_nc_u32_e32 v9, -1, v32
	s_sub_i32 s16, s34, s24
	s_cmp_lg_u32 s62, 0
	v_dual_mul_f32 v57, v56, v11 :: v_dual_mul_f32 v58, v47, v8
	s_delay_alu instid0(VALU_DEP_2)
	v_cmp_gt_i32_e32 vcc_lo, 0, v9
	v_and_b32_e32 v8, 15, v32
	v_and_b32_e32 v10, 16, v32
	;; [unrolled: 1-line block ×3, first 2 shown]
	v_add_co_u32 v65, s6, s36, v31
	v_cndmask_b32_e32 v9, v9, v32, vcc_lo
	v_cmp_gt_u32_e32 vcc_lo, s16, v19
	s_cselect_b32 s25, -1, 0
	s_cmp_eq_u32 s62, s59
	v_add_co_ci_u32_e64 v66, null, s41, 0, s6
	v_add_co_u32 v67, s6, s45, v31
	v_cmp_gt_u32_e64 s14, s16, v24
	v_cmp_gt_u32_e64 s15, s16, v25
	s_cselect_b32 s63, -1, 0
	s_or_b32 s13, s58, vcc_lo
	v_cmp_gt_u32_e32 vcc_lo, s16, v26
	v_cmp_gt_u32_e64 s17, s16, v27
	v_cmp_gt_u32_e64 s18, s16, v28
	;; [unrolled: 1-line block ×4, first 2 shown]
	v_dual_mul_f32 v61, v44, v12 :: v_dual_mul_f32 v62, v43, v13
	v_dual_mul_f32 v63, v42, v14 :: v_dual_mul_f32 v64, v41, v15
	v_add_co_ci_u32_e64 v68, null, s52, 0, s6
	v_cmp_ne_u32_e64 s6, 0, v8
	v_cmp_lt_u32_e64 s7, 1, v8
	v_cmp_lt_u32_e64 s8, 3, v8
	;; [unrolled: 1-line block ×3, first 2 shown]
	v_cmp_ne_u32_e64 s10, 0, v10
	v_cmp_eq_u32_e64 s11, 0, v11
	v_lshlrev_b32_e32 v69, 2, v9
	v_cmp_eq_u32_e64 s12, 0, v32
	s_mov_b32 s28, 0
	s_or_b32 s14, s58, s14
	s_or_b32 s15, s58, s15
	s_or_b32 s16, s58, vcc_lo
	s_or_b32 s17, s58, s17
	s_or_b32 s18, s58, s18
	s_or_b32 s19, s58, s19
	s_or_b32 s20, s58, s20
	s_mov_b32 s30, s28
	s_mov_b32 s38, s28
	;; [unrolled: 1-line block ×5, first 2 shown]
	s_branch .LBB11_33
.LBB11_32:                              ;   in Loop: Header=BB11_33 Depth=2
	s_or_b32 exec_lo, exec_lo, s21
	v_cndmask_b32_e64 v13, v87, v15, s12
	v_cndmask_b32_e64 v14, v86, v14, s12
	s_add_i32 s64, s64, -1
	s_add_i32 s65, s65, 8
	s_add_i32 s42, s42, s26
	v_fma_f32 v13, v13, v75, v73
	v_mul_f32_e32 v14, v14, v75
	s_add_i32 s38, s38, s44
	s_add_i32 s30, s30, s40
	;; [unrolled: 1-line block ×3, first 2 shown]
	v_cndmask_b32_e64 v13, v13, v73, s5
	v_cndmask_b32_e64 v14, v14, v75, s5
	s_cmp_eq_u32 s64, 0
	v_and_b32_e32 v15, 0xffff0000, v10
	s_waitcnt lgkmcnt(0)
	s_delay_alu instid0(VALU_DEP_2) | instskip(NEXT) | instid1(VALU_DEP_1)
	v_dual_fmac_f32 v13, v12, v14 :: v_dual_and_b32 v12, 0xffff0000, v8
	v_fmac_f32_e32 v70, v13, v76
	s_delay_alu instid0(VALU_DEP_1) | instskip(NEXT) | instid1(VALU_DEP_1)
	v_fmac_f32_e32 v71, v70, v78
	v_fmac_f32_e32 v72, v71, v79
	s_delay_alu instid0(VALU_DEP_1) | instskip(SKIP_2) | instid1(VALU_DEP_3)
	v_fmac_f32_e32 v74, v72, v81
	v_and_b32_e32 v16, 0xffff0000, v11
	v_lshlrev_b32_e32 v11, 16, v11
	v_dual_fmac_f32 v77, v74, v85 :: v_dual_lshlrev_b32 v8, 16, v8
	v_and_b32_e32 v14, 0xffff0000, v9
	v_lshlrev_b32_e32 v9, 16, v9
	s_delay_alu instid0(VALU_DEP_3) | instskip(NEXT) | instid1(VALU_DEP_4)
	v_dual_fmac_f32 v55, v13, v8 :: v_dual_lshlrev_b32 v10, 16, v10
	v_fmac_f32_e32 v80, v77, v83
	v_dual_fmac_f32 v54, v70, v12 :: v_dual_fmac_f32 v49, v77, v15
	s_delay_alu instid0(VALU_DEP_4) | instskip(NEXT) | instid1(VALU_DEP_3)
	v_dual_fmac_f32 v53, v71, v9 :: v_dual_fmac_f32 v52, v72, v14
	v_dual_fmac_f32 v82, v80, v84 :: v_dual_fmac_f32 v51, v74, v10
	v_fmac_f32_e32 v48, v80, v11
	s_delay_alu instid0(VALU_DEP_2)
	v_fmac_f32_e32 v50, v82, v16
	s_cbranch_scc1 .LBB11_11
.LBB11_33:                              ;   Parent Loop BB11_12 Depth=1
                                        ; =>  This Inner Loop Header: Depth=2
	s_lshl_b64 s[66:67], s[28:29], 2
	s_mov_b32 s31, s29
	s_add_u32 s66, s23, s66
	s_addc_u32 s67, s27, s67
	s_lshl_b64 s[68:69], s[30:31], 1
	s_mov_b32 s39, s29
	v_add_co_u32 v8, vcc_lo, v65, s68
	v_add_co_ci_u32_e32 v9, vcc_lo, s69, v66, vcc_lo
	s_lshl_b64 s[68:69], s[38:39], 1
	s_delay_alu instid0(SALU_CYCLE_1)
	v_add_co_u32 v10, vcc_lo, v67, s68
	v_add_co_ci_u32_e32 v11, vcc_lo, s69, v68, vcc_lo
	global_load_b32 v70, v18, s[66:67]
	global_load_b128 v[12:15], v[8:9], off
	global_load_b128 v[8:11], v[10:11], off
	s_and_not1_b32 vcc_lo, exec_lo, s25
	s_cbranch_vccnz .LBB11_35
; %bb.34:                               ;   in Loop: Header=BB11_33 Depth=2
	v_mov_b32_e32 v16, s65
	ds_load_b64 v[16:17], v16
	s_cbranch_execz .LBB11_36
	s_branch .LBB11_39
.LBB11_35:                              ;   in Loop: Header=BB11_33 Depth=2
                                        ; implicit-def: $vgpr16
.LBB11_36:                              ;   in Loop: Header=BB11_33 Depth=2
	s_waitcnt lgkmcnt(0)
	v_mov_b32_e32 v17, 0
	s_and_not1_b32 vcc_lo, exec_lo, s33
	s_cbranch_vccnz .LBB11_38
; %bb.37:                               ;   in Loop: Header=BB11_33 Depth=2
	s_mov_b32 s43, s29
	s_delay_alu instid0(SALU_CYCLE_1) | instskip(NEXT) | instid1(SALU_CYCLE_1)
	s_lshl_b64 s[66:67], s[42:43], 1
	s_add_u32 s66, s53, s66
	s_addc_u32 s67, s54, s67
	global_load_u16 v16, v18, s[66:67]
	s_waitcnt vmcnt(0)
	v_lshlrev_b32_e32 v17, 16, v16
.LBB11_38:                              ;   in Loop: Header=BB11_33 Depth=2
	v_mov_b32_e32 v16, 1.0
.LBB11_39:                              ;   in Loop: Header=BB11_33 Depth=2
	s_waitcnt vmcnt(2)
	v_mul_f32_e32 v80, 0x3fb8aa3b, v70
	s_waitcnt vmcnt(1)
	v_lshlrev_b32_e32 v70, 16, v12
	s_delay_alu instid0(VALU_DEP_2) | instskip(NEXT) | instid1(VALU_DEP_1)
	v_dual_mul_f32 v73, v80, v42 :: v_dual_and_b32 v12, 0xffff0000, v12
	v_dual_mul_f32 v71, v80, v41 :: v_dual_mul_f32 v12, v63, v12
	s_delay_alu instid0(VALU_DEP_3) | instskip(NEXT) | instid1(VALU_DEP_3)
	v_mul_f32_e32 v70, v64, v70
	v_cmp_gt_f32_e64 s21, 0xc2fc0000, v73
	s_delay_alu instid0(VALU_DEP_3) | instskip(NEXT) | instid1(VALU_DEP_2)
	v_cmp_gt_f32_e32 vcc_lo, 0xc2fc0000, v71
	v_cndmask_b32_e64 v73, 0, 0x42800000, s21
	v_cndmask_b32_e64 v71, 0, 0x42800000, vcc_lo
	v_lshlrev_b32_e32 v72, 16, v13
	v_lshlrev_b32_e32 v74, 16, v14
	v_and_b32_e32 v13, 0xffff0000, v13
	v_fmac_f32_e32 v73, v80, v42
	v_fmac_f32_e32 v71, v80, v41
	v_cndmask_b32_e64 v78, 1.0, 0x1f800000, vcc_lo
	v_cndmask_b32_e64 v79, 1.0, 0x1f800000, s21
	v_mul_f32_e32 v72, v62, v72
	v_exp_f32_e32 v76, v73
	v_exp_f32_e32 v71, v71
	v_cndmask_b32_e64 v73, 0, v70, s13
	v_cndmask_b32_e64 v70, 0, v12, s14
	s_waitcnt_depctr 0xfff
	v_dual_mul_f32 v13, v61, v13 :: v_dual_mul_f32 v12, v71, v78
	v_dual_mul_f32 v71, v76, v79 :: v_dual_and_b32 v14, 0xffff0000, v14
	v_mul_f32_e32 v75, v80, v43
	v_dual_mul_f32 v77, v80, v44 :: v_dual_lshlrev_b32 v82, 16, v15
	v_and_b32_e32 v15, 0xffff0000, v15
	s_delay_alu instid0(VALU_DEP_4) | instskip(NEXT) | instid1(VALU_DEP_4)
	v_cndmask_b32_e64 v76, 1.0, v71, s14
	v_cmp_gt_f32_e64 s22, 0xc2fc0000, v75
	v_mul_f32_e32 v79, v80, v46
	v_cmp_gt_f32_e32 vcc_lo, 0xc2fc0000, v77
	v_mul_f32_e32 v84, v80, v56
	v_mul_f32_e32 v14, v59, v14
	v_cndmask_b32_e64 v75, 0, 0x42800000, s22
	v_cndmask_b32_e64 v71, 1.0, 0x1f800000, s22
	v_cndmask_b32_e64 v77, 0, 0x42800000, vcc_lo
	s_delay_alu instid0(VALU_DEP_3) | instskip(NEXT) | instid1(VALU_DEP_2)
	v_dual_mul_f32 v82, v58, v82 :: v_dual_fmac_f32 v75, v80, v43
	v_fmac_f32_e32 v77, v80, v44
	s_delay_alu instid0(VALU_DEP_2) | instskip(SKIP_2) | instid1(VALU_DEP_3)
	v_exp_f32_e32 v78, v75
	v_cndmask_b32_e64 v75, 1.0, v12, s13
	v_mul_f32_e32 v12, v80, v45
	v_exp_f32_e32 v77, v77
	v_mul_f32_e32 v15, v57, v15
	s_delay_alu instid0(VALU_DEP_2)
	v_cmp_gt_f32_e64 s21, 0xc2fc0000, v12
	s_waitcnt_depctr 0xfff
	v_mul_f32_e32 v78, v78, v71
	v_cndmask_b32_e64 v71, 0, v72, s15
	v_cndmask_b32_e64 v12, 0, 0x42800000, s21
	v_cndmask_b32_e64 v72, 1.0, 0x1f800000, vcc_lo
	v_cmp_gt_f32_e32 vcc_lo, 0xc2fc0000, v79
	v_cndmask_b32_e64 v78, 1.0, v78, s15
	s_delay_alu instid0(VALU_DEP_3) | instskip(SKIP_3) | instid1(VALU_DEP_4)
	v_dual_fmac_f32 v12, v80, v45 :: v_dual_mul_f32 v77, v77, v72
	v_cndmask_b32_e64 v81, 0, 0x42800000, vcc_lo
	v_cndmask_b32_e64 v72, 0, v13, s16
	v_cndmask_b32_e64 v13, 1.0, 0x1f800000, s21
	v_exp_f32_e32 v12, v12
	v_cndmask_b32_e64 v79, 1.0, v77, s16
	v_cmp_gt_f32_e64 s21, 0xc2fc0000, v84
	v_fma_f32 v84, v76, v73, v70
	s_waitcnt_depctr 0xfff
	v_mul_f32_e32 v12, v12, v13
	v_cndmask_b32_e64 v13, 1.0, 0x1f800000, vcc_lo
	v_fmac_f32_e32 v81, v80, v46
	s_delay_alu instid0(VALU_DEP_1) | instskip(SKIP_1) | instid1(VALU_DEP_1)
	v_exp_f32_e32 v77, v81
	v_mul_f32_e32 v81, v80, v47
	v_cmp_gt_f32_e32 vcc_lo, 0xc2fc0000, v81
	v_cndmask_b32_e64 v81, 1.0, v12, s17
	s_waitcnt_depctr 0xfff
	v_mul_f32_e32 v12, v77, v13
	v_cndmask_b32_e64 v83, 0, 0x42800000, vcc_lo
	v_cndmask_b32_e64 v77, 0, v14, s18
	v_mul_f32_e32 v14, v76, v75
	v_cndmask_b32_e64 v13, 0, 0x42800000, s21
	v_cndmask_b32_e64 v85, 1.0, v12, s18
	s_delay_alu instid0(VALU_DEP_3) | instskip(NEXT) | instid1(VALU_DEP_3)
	v_dual_fmac_f32 v83, v80, v47 :: v_dual_mul_f32 v12, v14, v78
	v_fmac_f32_e32 v13, v80, v56
	v_fma_f32 v14, v84, v78, v71
	s_delay_alu instid0(VALU_DEP_3)
	v_exp_f32_e32 v83, v83
	v_cndmask_b32_e64 v80, 1.0, 0x1f800000, vcc_lo
	v_mul_f32_e32 v74, v60, v74
	v_exp_f32_e32 v13, v13
	v_mul_f32_e32 v12, v12, v79
	v_fma_f32 v14, v14, v79, v72
	s_waitcnt_depctr 0xfff
	v_dual_mul_f32 v12, v12, v81 :: v_dual_mul_f32 v83, v83, v80
	v_cndmask_b32_e64 v74, 0, v74, s17
	v_cndmask_b32_e64 v80, 0, v82, s19
	v_cndmask_b32_e64 v82, 1.0, 0x1f800000, s21
	s_delay_alu instid0(VALU_DEP_4) | instskip(SKIP_2) | instid1(VALU_DEP_4)
	v_mul_f32_e32 v12, v12, v85
	v_cndmask_b32_e64 v83, 1.0, v83, s19
	v_fma_f32 v14, v14, v81, v74
	v_mul_f32_e32 v13, v13, v82
	v_cndmask_b32_e64 v82, 0, v15, s20
	s_delay_alu instid0(VALU_DEP_4) | instskip(NEXT) | instid1(VALU_DEP_4)
	v_mul_f32_e32 v12, v12, v83
	v_fma_f32 v14, v14, v85, v77
	s_delay_alu instid0(VALU_DEP_4) | instskip(NEXT) | instid1(VALU_DEP_2)
	v_cndmask_b32_e64 v84, 1.0, v13, s20
	v_fma_f32 v13, v14, v83, v80
	s_delay_alu instid0(VALU_DEP_2) | instskip(NEXT) | instid1(VALU_DEP_2)
	v_mul_f32_e32 v12, v12, v84
	v_fma_f32 v13, v13, v84, v82
	s_delay_alu instid0(VALU_DEP_2) | instskip(NEXT) | instid1(VALU_DEP_2)
	v_mov_b32_dpp v15, v12 row_shr:1 row_mask:0xf bank_mask:0xf
	v_mov_b32_dpp v14, v13 row_shr:1 row_mask:0xf bank_mask:0xf
	s_and_saveexec_b32 s21, s6
; %bb.40:                               ;   in Loop: Header=BB11_33 Depth=2
	s_delay_alu instid0(VALU_DEP_2) | instskip(NEXT) | instid1(VALU_DEP_1)
	v_mul_f32_e32 v15, v12, v15
	v_dual_fmac_f32 v13, v12, v14 :: v_dual_mov_b32 v12, v15
; %bb.41:                               ;   in Loop: Header=BB11_33 Depth=2
	s_or_b32 exec_lo, exec_lo, s21
	s_delay_alu instid0(VALU_DEP_1) | instskip(NEXT) | instid1(VALU_DEP_2)
	v_mov_b32_dpp v14, v12 row_shr:2 row_mask:0xf bank_mask:0xf
	v_mov_b32_dpp v15, v13 row_shr:2 row_mask:0xf bank_mask:0xf
	s_and_saveexec_b32 s21, s7
; %bb.42:                               ;   in Loop: Header=BB11_33 Depth=2
	s_delay_alu instid0(VALU_DEP_1) | instskip(NEXT) | instid1(VALU_DEP_3)
	v_fmac_f32_e32 v13, v12, v15
	v_mul_f32_e32 v12, v12, v14
; %bb.43:                               ;   in Loop: Header=BB11_33 Depth=2
	s_or_b32 exec_lo, exec_lo, s21
	s_delay_alu instid0(VALU_DEP_1) | instskip(NEXT) | instid1(VALU_DEP_3)
	v_mov_b32_dpp v14, v12 row_shr:4 row_mask:0xf bank_mask:0xf
	v_mov_b32_dpp v15, v13 row_shr:4 row_mask:0xf bank_mask:0xf
	s_and_saveexec_b32 s21, s8
; %bb.44:                               ;   in Loop: Header=BB11_33 Depth=2
	s_delay_alu instid0(VALU_DEP_1) | instskip(NEXT) | instid1(VALU_DEP_3)
	v_fmac_f32_e32 v13, v12, v15
	v_mul_f32_e32 v12, v12, v14
; %bb.45:                               ;   in Loop: Header=BB11_33 Depth=2
	s_or_b32 exec_lo, exec_lo, s21
	s_delay_alu instid0(VALU_DEP_1) | instskip(NEXT) | instid1(VALU_DEP_3)
	v_mov_b32_dpp v14, v12 row_shr:8 row_mask:0xf bank_mask:0xf
	v_mov_b32_dpp v15, v13 row_shr:8 row_mask:0xf bank_mask:0xf
	s_and_saveexec_b32 s21, s9
; %bb.46:                               ;   in Loop: Header=BB11_33 Depth=2
	s_delay_alu instid0(VALU_DEP_1) | instskip(NEXT) | instid1(VALU_DEP_3)
	v_fmac_f32_e32 v13, v12, v15
	v_mul_f32_e32 v12, v12, v14
; %bb.47:                               ;   in Loop: Header=BB11_33 Depth=2
	s_or_b32 exec_lo, exec_lo, s21
	ds_swizzle_b32 v15, v12 offset:swizzle(BROADCAST,32,15)
	ds_swizzle_b32 v14, v13 offset:swizzle(BROADCAST,32,15)
	s_and_saveexec_b32 s21, s10
	s_cbranch_execz .LBB11_49
; %bb.48:                               ;   in Loop: Header=BB11_33 Depth=2
	s_waitcnt lgkmcnt(1)
	v_mul_f32_e32 v15, v12, v15
	s_waitcnt lgkmcnt(0)
	s_delay_alu instid0(VALU_DEP_1)
	v_dual_fmac_f32 v13, v12, v14 :: v_dual_mov_b32 v12, v15
.LBB11_49:                              ;   in Loop: Header=BB11_33 Depth=2
	s_or_b32 exec_lo, exec_lo, s21
	s_and_saveexec_b32 s21, s1
	s_cbranch_execz .LBB11_51
; %bb.50:                               ;   in Loop: Header=BB11_33 Depth=2
	ds_store_b64 v20, v[12:13] offset:2112
.LBB11_51:                              ;   in Loop: Header=BB11_33 Depth=2
	s_or_b32 exec_lo, exec_lo, s21
	s_waitcnt vmcnt(0) lgkmcnt(0)
	s_waitcnt_vscnt null, 0x0
	s_barrier
	buffer_gl0_inv
	s_and_saveexec_b32 s21, s2
	s_cbranch_execz .LBB11_53
; %bb.52:                               ;   in Loop: Header=BB11_33 Depth=2
	ds_load_b64 v[14:15], v21 offset:2112
	s_waitcnt lgkmcnt(0)
	v_mov_b32_dpp v86, v14 row_shr:1 row_mask:0xf bank_mask:0xf
	v_mov_b32_dpp v87, v15 row_shr:1 row_mask:0xf bank_mask:0xf
	s_delay_alu instid0(VALU_DEP_2) | instskip(NEXT) | instid1(VALU_DEP_2)
	v_mul_f32_e32 v86, v14, v86
	v_fma_f32 v87, v14, v87, v15
	s_delay_alu instid0(VALU_DEP_2) | instskip(NEXT) | instid1(VALU_DEP_2)
	v_cndmask_b32_e64 v14, v86, v14, s11
	v_cndmask_b32_e64 v15, v87, v15, s11
	ds_store_b64 v21, v[14:15] offset:2112
.LBB11_53:                              ;   in Loop: Header=BB11_33 Depth=2
	s_or_b32 exec_lo, exec_lo, s21
	s_waitcnt lgkmcnt(0)
	s_barrier
	buffer_gl0_inv
                                        ; implicit-def: $vgpr15
	s_and_saveexec_b32 s21, s4
	s_cbranch_execz .LBB11_55
; %bb.54:                               ;   in Loop: Header=BB11_33 Depth=2
	ds_load_b64 v[14:15], v20 offset:2104
	s_waitcnt lgkmcnt(0)
	v_mul_f32_e32 v86, v12, v14
	s_delay_alu instid0(VALU_DEP_1)
	v_dual_fmac_f32 v13, v12, v15 :: v_dual_mov_b32 v12, v86
.LBB11_55:                              ;   in Loop: Header=BB11_33 Depth=2
	s_or_b32 exec_lo, exec_lo, s21
	ds_bpermute_b32 v86, v69, v12
	ds_bpermute_b32 v87, v69, v13
	s_and_saveexec_b32 s21, s3
	s_cbranch_execz .LBB11_59
; %bb.56:                               ;   in Loop: Header=BB11_33 Depth=2
	ds_load_b64 v[12:13], v18 offset:2120
	s_and_saveexec_b32 s22, s5
	s_cbranch_execz .LBB11_58
; %bb.57:                               ;   in Loop: Header=BB11_33 Depth=2
	ds_store_b64 v18, v[16:17] offset:2120
.LBB11_58:                              ;   in Loop: Header=BB11_33 Depth=2
	s_or_b32 exec_lo, exec_lo, s22
	s_waitcnt lgkmcnt(0)
	v_fmac_f32_e32 v13, v12, v17
	s_delay_alu instid0(VALU_DEP_1)
	v_dual_mul_f32 v16, v16, v12 :: v_dual_mov_b32 v17, v13
.LBB11_59:                              ;   in Loop: Header=BB11_33 Depth=2
	s_or_b32 exec_lo, exec_lo, s21
	s_waitcnt lgkmcnt(0)
	s_barrier
	buffer_gl0_inv
	ds_load_b32 v12, v18 offset:2124
	s_and_saveexec_b32 s21, s5
	s_cbranch_execz .LBB11_32
; %bb.60:                               ;   in Loop: Header=BB11_33 Depth=2
	v_mov_b32_e32 v13, s65
	s_and_not1_b32 vcc_lo, exec_lo, s63
	ds_store_b64 v13, v[16:17]
	s_cbranch_vccnz .LBB11_32
; %bb.61:                               ;   in Loop: Header=BB11_33 Depth=2
	v_bfe_u32 v13, v17, 16, 1
	v_cmp_o_f32_e32 vcc_lo, v17, v17
	s_mov_b32 s43, s29
	s_delay_alu instid0(SALU_CYCLE_1) | instskip(NEXT) | instid1(VALU_DEP_2)
	s_lshl_b64 s[66:67], s[42:43], 1
	v_add3_u32 v13, v17, v13, 0x7fff
	s_add_u32 s66, s53, s66
	s_addc_u32 s67, s54, s67
	s_delay_alu instid0(VALU_DEP_1) | instskip(NEXT) | instid1(VALU_DEP_1)
	v_lshrrev_b32_e32 v13, 16, v13
	v_cndmask_b32_e32 v13, 0x7fc0, v13, vcc_lo
	global_store_b16 v18, v13, s[66:67]
	s_branch .LBB11_32
.LBB11_62:
	s_nop 0
	s_sendmsg sendmsg(MSG_DEALLOC_VGPRS)
	s_endpgm
	.section	.rodata,"a",@progbits
	.p2align	6, 0x0
	.amdhsa_kernel _Z25selective_scan_fwd_kernelI32Selective_Scan_fwd_kernel_traitsILi64ELi8ELi1ELb1ELb1ELb1ELb0ELb0EN3c108BFloat16EfS2_EEv13SSMParamsBase
		.amdhsa_group_segment_fixed_size 0
		.amdhsa_private_segment_fixed_size 0
		.amdhsa_kernarg_size 248
		.amdhsa_user_sgpr_count 14
		.amdhsa_user_sgpr_dispatch_ptr 0
		.amdhsa_user_sgpr_queue_ptr 0
		.amdhsa_user_sgpr_kernarg_segment_ptr 1
		.amdhsa_user_sgpr_dispatch_id 0
		.amdhsa_user_sgpr_private_segment_size 0
		.amdhsa_wavefront_size32 1
		.amdhsa_uses_dynamic_stack 0
		.amdhsa_enable_private_segment 0
		.amdhsa_system_sgpr_workgroup_id_x 1
		.amdhsa_system_sgpr_workgroup_id_y 1
		.amdhsa_system_sgpr_workgroup_id_z 0
		.amdhsa_system_sgpr_workgroup_info 0
		.amdhsa_system_vgpr_workitem_id 0
		.amdhsa_next_free_vgpr 88
		.amdhsa_next_free_sgpr 70
		.amdhsa_reserve_vcc 1
		.amdhsa_float_round_mode_32 0
		.amdhsa_float_round_mode_16_64 0
		.amdhsa_float_denorm_mode_32 3
		.amdhsa_float_denorm_mode_16_64 3
		.amdhsa_dx10_clamp 1
		.amdhsa_ieee_mode 1
		.amdhsa_fp16_overflow 0
		.amdhsa_workgroup_processor_mode 1
		.amdhsa_memory_ordered 1
		.amdhsa_forward_progress 0
		.amdhsa_shared_vgpr_count 0
		.amdhsa_exception_fp_ieee_invalid_op 0
		.amdhsa_exception_fp_denorm_src 0
		.amdhsa_exception_fp_ieee_div_zero 0
		.amdhsa_exception_fp_ieee_overflow 0
		.amdhsa_exception_fp_ieee_underflow 0
		.amdhsa_exception_fp_ieee_inexact 0
		.amdhsa_exception_int_div_zero 0
	.end_amdhsa_kernel
	.section	.text._Z25selective_scan_fwd_kernelI32Selective_Scan_fwd_kernel_traitsILi64ELi8ELi1ELb1ELb1ELb1ELb0ELb0EN3c108BFloat16EfS2_EEv13SSMParamsBase,"axG",@progbits,_Z25selective_scan_fwd_kernelI32Selective_Scan_fwd_kernel_traitsILi64ELi8ELi1ELb1ELb1ELb1ELb0ELb0EN3c108BFloat16EfS2_EEv13SSMParamsBase,comdat
.Lfunc_end11:
	.size	_Z25selective_scan_fwd_kernelI32Selective_Scan_fwd_kernel_traitsILi64ELi8ELi1ELb1ELb1ELb1ELb0ELb0EN3c108BFloat16EfS2_EEv13SSMParamsBase, .Lfunc_end11-_Z25selective_scan_fwd_kernelI32Selective_Scan_fwd_kernel_traitsILi64ELi8ELi1ELb1ELb1ELb1ELb0ELb0EN3c108BFloat16EfS2_EEv13SSMParamsBase
                                        ; -- End function
	.section	.AMDGPU.csdata,"",@progbits
; Kernel info:
; codeLenInByte = 9948
; NumSgprs: 72
; NumVgprs: 88
; ScratchSize: 0
; MemoryBound: 0
; FloatMode: 240
; IeeeMode: 1
; LDSByteSize: 0 bytes/workgroup (compile time only)
; SGPRBlocks: 8
; VGPRBlocks: 10
; NumSGPRsForWavesPerEU: 72
; NumVGPRsForWavesPerEU: 88
; Occupancy: 16
; WaveLimiterHint : 0
; COMPUTE_PGM_RSRC2:SCRATCH_EN: 0
; COMPUTE_PGM_RSRC2:USER_SGPR: 14
; COMPUTE_PGM_RSRC2:TRAP_HANDLER: 0
; COMPUTE_PGM_RSRC2:TGID_X_EN: 1
; COMPUTE_PGM_RSRC2:TGID_Y_EN: 1
; COMPUTE_PGM_RSRC2:TGID_Z_EN: 0
; COMPUTE_PGM_RSRC2:TIDIG_COMP_CNT: 0
	.section	.text._Z25selective_scan_fwd_kernelI32Selective_Scan_fwd_kernel_traitsILi64ELi8ELi1ELb0ELb1ELb1ELb1ELb1EN3c108BFloat16EfS2_EEv13SSMParamsBase,"axG",@progbits,_Z25selective_scan_fwd_kernelI32Selective_Scan_fwd_kernel_traitsILi64ELi8ELi1ELb0ELb1ELb1ELb1ELb1EN3c108BFloat16EfS2_EEv13SSMParamsBase,comdat
	.protected	_Z25selective_scan_fwd_kernelI32Selective_Scan_fwd_kernel_traitsILi64ELi8ELi1ELb0ELb1ELb1ELb1ELb1EN3c108BFloat16EfS2_EEv13SSMParamsBase ; -- Begin function _Z25selective_scan_fwd_kernelI32Selective_Scan_fwd_kernel_traitsILi64ELi8ELi1ELb0ELb1ELb1ELb1ELb1EN3c108BFloat16EfS2_EEv13SSMParamsBase
	.globl	_Z25selective_scan_fwd_kernelI32Selective_Scan_fwd_kernel_traitsILi64ELi8ELi1ELb0ELb1ELb1ELb1ELb1EN3c108BFloat16EfS2_EEv13SSMParamsBase
	.p2align	8
	.type	_Z25selective_scan_fwd_kernelI32Selective_Scan_fwd_kernel_traitsILi64ELi8ELi1ELb0ELb1ELb1ELb1ELb1EN3c108BFloat16EfS2_EEv13SSMParamsBase,@function
_Z25selective_scan_fwd_kernelI32Selective_Scan_fwd_kernel_traitsILi64ELi8ELi1ELb0ELb1ELb1ELb1ELb1EN3c108BFloat16EfS2_EEv13SSMParamsBase: ; @_Z25selective_scan_fwd_kernelI32Selective_Scan_fwd_kernel_traitsILi64ELi8ELi1ELb0ELb1ELb1ELb1ELb1EN3c108BFloat16EfS2_EEv13SSMParamsBase
; %bb.0:
	s_clause 0x2
	s_load_b32 s11, s[0:1], 0x18
	s_load_b256 s[52:59], s[0:1], 0xc8
	s_load_b128 s[4:7], s[0:1], 0xe8
	s_mov_b32 s12, s15
	s_ashr_i32 s15, s14, 31
	s_mov_b32 s33, 0
	s_lshl_b64 s[8:9], s[14:15], 2
	s_waitcnt lgkmcnt(0)
	s_abs_i32 s10, s11
	s_add_u32 s2, s58, s8
	v_cvt_f32_u32_e32 v1, s10
	s_addc_u32 s3, s59, s9
	s_cmp_eq_u64 s[6:7], 0
	s_delay_alu instid0(VALU_DEP_1) | instskip(SKIP_2) | instid1(VALU_DEP_1)
	v_rcp_iflag_f32_e32 v1, v1
	s_waitcnt_depctr 0xfff
	v_mul_f32_e32 v1, 0x4f7ffffe, v1
	v_cvt_u32_f32_e32 v1, v1
	s_delay_alu instid0(VALU_DEP_1)
	v_readfirstlane_b32 s34, v1
	s_cbranch_scc1 .LBB12_2
; %bb.1:
	v_mov_b32_e32 v1, 0
	s_add_u32 s6, s6, s14
	s_addc_u32 s7, s7, s15
	global_load_u8 v1, v1, s[6:7]
	s_waitcnt vmcnt(0)
	v_and_b32_e32 v1, 1, v1
	s_delay_alu instid0(VALU_DEP_1)
	v_cmp_eq_u32_e64 s33, 1, v1
.LBB12_2:
	s_load_b64 s[6:7], s[0:1], 0x20
	s_cmp_eq_u64 s[4:5], 0
	s_cbranch_scc1 .LBB12_4
; %bb.3:
	s_add_u32 s4, s4, s8
	s_addc_u32 s5, s5, s9
	s_load_b32 s14, s[4:5], 0x0
	s_waitcnt lgkmcnt(0)
	s_ashr_i32 s15, s14, 31
.LBB12_4:
	s_waitcnt lgkmcnt(0)
	s_cmp_eq_u64 s[6:7], s[14:15]
	s_cbranch_scc1 .LBB12_172
; %bb.5:
	s_load_b512 s[16:31], s[0:1], 0x88
	s_load_b64 s[58:59], s[2:3], 0x0
	s_mov_b32 s60, 0
	s_mov_b32 s61, 0
	s_waitcnt lgkmcnt(0)
	s_cmp_eq_u64 s[22:23], 0
	s_cbranch_scc1 .LBB12_7
; %bb.6:
	s_ashr_i32 s13, s12, 31
	s_delay_alu instid0(SALU_CYCLE_1) | instskip(NEXT) | instid1(SALU_CYCLE_1)
	s_lshl_b64 s[2:3], s[12:13], 2
	s_add_u32 s2, s22, s2
	s_addc_u32 s3, s23, s3
	s_load_b32 s61, s[2:3], 0x0
.LBB12_7:
	s_cmp_eq_u64 s[28:29], 0
	s_cbranch_scc1 .LBB12_9
; %bb.8:
	s_ashr_i32 s13, s12, 31
	s_delay_alu instid0(SALU_CYCLE_1) | instskip(NEXT) | instid1(SALU_CYCLE_1)
	s_lshl_b64 s[2:3], s[12:13], 2
	s_add_u32 s2, s28, s2
	s_addc_u32 s3, s29, s3
	s_load_b32 s60, s[2:3], 0x0
.LBB12_9:
	s_sub_i32 s59, s59, s58
	s_delay_alu instid0(SALU_CYCLE_1)
	s_cmp_lt_i32 s59, 1
	s_cbranch_scc1 .LBB12_172
; %bb.10:
	s_sub_i32 s2, 0, s10
	s_load_b256 s[36:43], s[0:1], 0x4c
	s_mul_i32 s2, s2, s34
	s_abs_i32 s3, s12
	s_mul_hi_u32 s2, s34, s2
	s_ashr_i32 s5, s11, 31
	s_add_i32 s34, s34, s2
	s_ashr_i32 s2, s12, 31
	s_mul_hi_u32 s4, s3, s34
	s_xor_b32 s5, s2, s5
	s_mul_i32 s6, s4, s10
	s_load_b256 s[44:51], s[0:1], 0x2c
	s_sub_i32 s2, s3, s6
	s_add_i32 s3, s4, 1
	s_sub_i32 s6, s2, s10
	s_cmp_ge_u32 s2, s10
	s_mov_b32 s35, 0
	s_cselect_b32 s3, s3, s4
	s_cselect_b32 s2, s6, s2
	s_add_i32 s4, s3, 1
	s_cmp_ge_u32 s2, s10
	s_waitcnt lgkmcnt(0)
	s_mul_i32 s34, s58, s38
	s_cselect_b32 s4, s4, s3
	s_lshl_b64 s[2:3], s[34:35], 1
	s_xor_b32 s4, s4, s5
	s_mul_i32 s34, s39, s12
	s_sub_i32 s6, s4, s5
	s_add_u32 s4, s24, s2
	s_addc_u32 s5, s25, s3
	s_lshl_b64 s[2:3], s[34:35], 1
	s_mul_i32 s34, s58, s40
	s_add_u32 s47, s4, s2
	s_addc_u32 s51, s5, s3
	s_lshl_b64 s[2:3], s[34:35], 1
	s_mul_i32 s34, s41, s12
	s_add_u32 s4, s26, s2
	s_addc_u32 s5, s27, s3
	s_lshl_b64 s[2:3], s[34:35], 1
	s_mul_i32 s34, s44, s12
	s_add_u32 s62, s4, s2
	s_addc_u32 s44, s5, s3
	s_lshl_b64 s[2:3], s[34:35], 2
	s_mul_i32 s34, s58, s46
	s_add_u32 s63, s16, s2
	s_addc_u32 s64, s17, s3
	s_load_b64 s[2:3], s[0:1], 0x7c
	s_lshl_b64 s[4:5], s[34:35], 1
	s_mul_i32 s34, s6, s49
	s_add_u32 s7, s18, s4
	s_addc_u32 s8, s19, s5
	s_load_b128 s[16:19], s[0:1], 0x6c
	s_lshl_b64 s[4:5], s[34:35], 1
	s_mul_i32 s34, s58, s50
	s_add_u32 s46, s7, s4
	v_dual_mov_b32 v13, 0 :: v_dual_lshlrev_b32 v10, 3, v0
	s_addc_u32 s49, s8, s5
	s_lshl_b64 s[4:5], s[34:35], 1
	s_mul_i32 s34, s6, s37
	s_add_u32 s7, s20, s4
	s_addc_u32 s6, s21, s5
	s_lshl_b64 s[4:5], s[34:35], 1
	v_mbcnt_lo_u32_b32 v1, -1, 0
	v_and_b32_e32 v2, 0x100, v10
	s_add_u32 s50, s7, s4
	s_waitcnt lgkmcnt(0)
	s_mul_i32 s34, s14, s2
	s_addc_u32 s65, s6, s5
	s_lshl_b64 s[4:5], s[34:35], 1
	s_load_b32 s37, s[0:1], 0x84
	s_add_u32 s4, s52, s4
	s_clause 0x1
	s_load_b32 s52, s[0:1], 0xc
	s_load_b32 s0, s[0:1], 0x28
	v_or_b32_e32 v11, v1, v2
	s_mul_i32 s34, s3, s12
	s_addc_u32 s5, s53, s5
	s_lshl_b64 s[2:3], s[34:35], 1
	v_and_b32_e32 v6, 32, v0
	v_or_b32_e32 v12, 0x60, v11
	v_or_b32_e32 v17, 0xa0, v11
	;; [unrolled: 1-line block ×3, first 2 shown]
	s_add_u32 s53, s4, s2
	v_or_b32_e32 v15, 64, v11
	v_lshrrev_b32_e32 v3, 5, v12
	v_or_b32_e32 v16, 0x80, v11
	v_or_b32_e32 v18, 0xc0, v11
	v_lshrrev_b32_e32 v7, 5, v17
	v_lshrrev_b32_e32 v24, 5, v19
	v_and_b32_e32 v3, 10, v3
	s_addc_u32 s66, s5, s3
	s_add_i32 s1, s59, 0x7ff
	v_lshrrev_b32_e32 v4, 5, v2
	s_lshr_b32 s67, s1, 11
	s_waitcnt lgkmcnt(0)
	s_bitcmp1_b32 s0, 0
	v_lshrrev_b32_e32 v5, 5, v15
	v_add_lshl_u32 v3, v3, v11, 1
	v_lshrrev_b32_e32 v8, 5, v16
	v_or_b32_e32 v9, v1, v6
	v_and_b32_e32 v7, 12, v7
	v_lshrrev_b32_e32 v23, 5, v18
	v_and_b32_e32 v26, 14, v24
	s_cselect_b32 s68, -1, 0
	s_cmp_gt_i32 s52, 0
	v_add_lshl_u32 v4, v4, v11, 1
	s_cselect_b32 s69, -1, 0
	s_add_i32 s0, 0, 0x420
	v_add_lshl_u32 v5, v5, v11, 1
	v_add_nc_u32_e32 v22, 0, v3
	v_add_lshl_u32 v8, v8, v11, 1
	v_lshrrev_b32_e32 v25, 2, v9
	v_add_lshl_u32 v7, v7, v11, 1
	v_add_lshl_u32 v33, v23, v11, 1
	;; [unrolled: 1-line block ×3, first 2 shown]
	v_add_nc_u32_e32 v30, s0, v3
	v_and_b32_e32 v3, 15, v1
	s_and_b32 s1, s59, 0x1ff
	v_and_b32_e32 v27, 14, v25
	v_add_nc_u32_e32 v25, 0, v33
	v_add_nc_u32_e32 v26, 0, v34
	;; [unrolled: 1-line block ×7, first 2 shown]
	s_cmp_eq_u32 s1, 0
	v_add_nc_u32_e32 v34, s0, v34
	v_cmp_ne_u32_e64 s0, 0, v3
	v_cmp_lt_u32_e64 s1, 1, v3
	v_cmp_lt_u32_e64 s2, 3, v3
	;; [unrolled: 1-line block ×3, first 2 shown]
	v_add_nc_u32_e32 v3, -1, v1
	v_add_nc_u32_e32 v20, 0, v4
	v_lshrrev_b32_e32 v4, 2, v0
	s_mul_i32 s34, s58, s16
	v_or_b32_e32 v6, 31, v6
	v_cmp_gt_i32_e32 vcc_lo, 0, v3
	s_cselect_b32 s70, -1, 0
	s_lshl_b64 s[14:15], s[34:35], 1
	v_and_b32_e32 v4, 8, v4
	s_add_i32 s71, s67, -1
	v_cndmask_b32_e32 v3, v3, v1, vcc_lo
	s_mul_i32 s34, s17, s12
	s_add_u32 s13, s30, s14
	s_addc_u32 s16, s31, s15
	s_lshl_b64 s[14:15], s[34:35], 1
	v_cmp_eq_u32_e64 s5, v6, v0
	v_cmp_gt_u32_e64 s6, 2, v0
	v_cmp_gt_u32_e64 s8, 32, v0
	v_cmp_lt_u32_e64 s9, 31, v0
	v_cmp_eq_u32_e64 s10, 0, v0
	s_mul_i32 s34, s58, s42
	v_lshlrev_b32_e32 v0, 1, v1
	s_add_u32 s13, s13, s14
	v_add_nc_u32_e32 v35, 0, v4
	v_and_b32_e32 v4, 1, v1
	s_addc_u32 s16, s16, s15
	s_lshl_b64 s[14:15], s[34:35], 1
	v_add_nc_u32_e32 v21, 0, v5
	v_and_b32_e32 v5, 16, v1
	s_mul_i32 s34, s43, s12
	s_add_u32 s17, s54, s14
	v_lshlrev_b32_e32 v37, 2, v3
	s_addc_u32 s20, s55, s15
	s_lshl_b64 s[14:15], s[34:35], 1
	v_add_co_u32 v3, s13, s13, v0
	s_mul_i32 s34, s58, s18
	v_cmp_eq_u32_e64 s7, 0, v4
	v_add_co_ci_u32_e64 v4, null, s16, 0, s13
	s_add_u32 s16, s17, s14
	v_cmp_ne_u32_e64 s4, 0, v5
	s_addc_u32 s17, s20, s15
	s_lshl_b64 s[14:15], s[34:35], 1
	v_lshlrev_b32_e32 v5, 1, v2
	s_mul_i32 s34, s19, s12
	s_add_u32 s14, s56, s14
	s_addc_u32 s15, s57, s15
	s_lshl_b64 s[12:13], s[34:35], 1
	v_add_co_u32 v38, vcc_lo, v3, v5
	s_add_u32 s12, s14, s12
	v_add_co_u32 v3, s14, s16, v0
	v_add_co_ci_u32_e32 v39, vcc_lo, 0, v4, vcc_lo
	v_add_co_ci_u32_e64 v4, null, s17, 0, s14
	s_addc_u32 s13, s15, s13
	v_add_co_u32 v0, s12, s12, v0
	v_lshl_add_u32 v9, v9, 3, v27
	v_add_co_ci_u32_e64 v6, null, s13, 0, s12
	v_add_co_u32 v40, vcc_lo, v3, v5
	v_add_co_ci_u32_e32 v41, vcc_lo, 0, v4, vcc_lo
	v_add_co_u32 v42, vcc_lo, v0, v5
	v_or_b32_e32 v14, 32, v11
	v_add_nc_u32_e32 v23, 0, v8
	v_add_nc_u32_e32 v24, 0, v7
	v_lshl_add_u32 v27, v9, 1, 0
	v_add_nc_u32_e32 v36, 0, v10
	v_cmp_eq_u32_e64 s11, 0, v1
	v_add_co_ci_u32_e32 v43, vcc_lo, 0, v6, vcc_lo
	v_or_b32_e32 v44, 1, v10
	v_or_b32_e32 v45, 2, v10
	;; [unrolled: 1-line block ×7, first 2 shown]
	v_lshlrev_b32_e32 v51, 1, v1
	v_lshlrev_b32_e32 v52, 1, v2
	s_mov_b32 s54, 0x3e9b6dac
	s_add_i32 s55, 0, 0x850
	s_mov_b32 s56, 0
	s_branch .LBB12_12
.LBB12_11:                              ;   in Loop: Header=BB12_12 Depth=1
	s_or_b32 exec_lo, exec_lo, s12
	s_add_u32 s62, s62, 0x400
	s_addc_u32 s44, s44, 0
	s_add_u32 s47, s47, 0x400
	s_addc_u32 s51, s51, 0
	;; [unrolled: 2-line block ×4, first 2 shown]
	s_add_i32 s56, s56, 1
	s_delay_alu instid0(SALU_CYCLE_1)
	s_cmp_lg_u32 s56, s67
	s_cbranch_scc0 .LBB12_172
.LBB12_12:                              ; =>This Loop Header: Depth=1
                                        ;     Child Loop BB12_61 Depth 2
	v_add_co_u32 v0, s12, s47, v51
	s_delay_alu instid0(VALU_DEP_1) | instskip(SKIP_1) | instid1(VALU_DEP_2)
	v_add_co_ci_u32_e64 v1, null, s51, 0, s12
	s_lshl_b32 s30, s56, 9
	v_add_co_u32 v0, vcc_lo, v0, v52
	s_sub_i32 s23, s59, s30
	s_delay_alu instid0(VALU_DEP_2)
	v_add_co_ci_u32_e32 v1, vcc_lo, 0, v1, vcc_lo
	v_cmp_gt_u32_e64 s12, s23, v11
	s_waitcnt lgkmcnt(0)
	v_mov_b32_e32 v2, 0
	s_waitcnt_vscnt null, 0x0
	s_barrier
	buffer_gl0_inv
	s_and_saveexec_b32 s13, s12
	s_cbranch_execz .LBB12_14
; %bb.13:                               ;   in Loop: Header=BB12_12 Depth=1
	global_load_u16 v2, v[0:1], off
.LBB12_14:                              ;   in Loop: Header=BB12_12 Depth=1
	s_or_b32 exec_lo, exec_lo, s13
	v_cmp_gt_u32_e64 s13, s23, v14
	v_dual_mov_b32 v3, 0 :: v_dual_mov_b32 v4, 0
	s_delay_alu instid0(VALU_DEP_2)
	s_and_saveexec_b32 s14, s13
	s_cbranch_execz .LBB12_16
; %bb.15:                               ;   in Loop: Header=BB12_12 Depth=1
	global_load_u16 v4, v[0:1], off offset:64
.LBB12_16:                              ;   in Loop: Header=BB12_12 Depth=1
	s_or_b32 exec_lo, exec_lo, s14
	v_cmp_gt_u32_e64 s14, s23, v15
	s_delay_alu instid0(VALU_DEP_1)
	s_and_saveexec_b32 s15, s14
	s_cbranch_execz .LBB12_18
; %bb.17:                               ;   in Loop: Header=BB12_12 Depth=1
	global_load_u16 v3, v[0:1], off offset:128
.LBB12_18:                              ;   in Loop: Header=BB12_12 Depth=1
	s_or_b32 exec_lo, exec_lo, s15
	v_cmp_gt_u32_e64 s15, s23, v12
	v_mov_b32_e32 v5, 0
	v_mov_b32_e32 v7, 0
	s_delay_alu instid0(VALU_DEP_3)
	s_and_saveexec_b32 s16, s15
	s_cbranch_execz .LBB12_20
; %bb.19:                               ;   in Loop: Header=BB12_12 Depth=1
	global_load_u16 v7, v[0:1], off offset:192
.LBB12_20:                              ;   in Loop: Header=BB12_12 Depth=1
	s_or_b32 exec_lo, exec_lo, s16
	v_cmp_gt_u32_e64 s16, s23, v16
	s_delay_alu instid0(VALU_DEP_1)
	s_and_saveexec_b32 s17, s16
	s_cbranch_execz .LBB12_22
; %bb.21:                               ;   in Loop: Header=BB12_12 Depth=1
	global_load_u16 v5, v[0:1], off offset:256
.LBB12_22:                              ;   in Loop: Header=BB12_12 Depth=1
	s_or_b32 exec_lo, exec_lo, s17
	v_cmp_gt_u32_e64 s17, s23, v17
	v_dual_mov_b32 v8, 0 :: v_dual_mov_b32 v9, 0
	s_delay_alu instid0(VALU_DEP_2)
	s_and_saveexec_b32 s18, s17
	s_cbranch_execz .LBB12_24
; %bb.23:                               ;   in Loop: Header=BB12_12 Depth=1
	global_load_u16 v9, v[0:1], off offset:320
.LBB12_24:                              ;   in Loop: Header=BB12_12 Depth=1
	s_or_b32 exec_lo, exec_lo, s18
	v_cmp_gt_u32_e64 s18, s23, v18
	s_delay_alu instid0(VALU_DEP_1)
	s_and_saveexec_b32 s19, s18
	s_cbranch_execz .LBB12_26
; %bb.25:                               ;   in Loop: Header=BB12_12 Depth=1
	global_load_u16 v8, v[0:1], off offset:384
.LBB12_26:                              ;   in Loop: Header=BB12_12 Depth=1
	s_or_b32 exec_lo, exec_lo, s19
	v_cmp_gt_u32_e64 s19, s23, v19
	v_dual_mov_b32 v6, 0 :: v_dual_mov_b32 v53, 0
	s_delay_alu instid0(VALU_DEP_2)
	s_and_saveexec_b32 s20, s19
	s_cbranch_execz .LBB12_28
; %bb.27:                               ;   in Loop: Header=BB12_12 Depth=1
	global_load_u16 v53, v[0:1], off offset:448
.LBB12_28:                              ;   in Loop: Header=BB12_12 Depth=1
	s_or_b32 exec_lo, exec_lo, s20
	s_waitcnt vmcnt(0)
	ds_store_b16 v20, v2
	ds_store_b16 v20, v4 offset:64
	ds_store_b16 v21, v3 offset:128
	;; [unrolled: 1-line block ×7, first 2 shown]
	; wave barrier
	ds_load_b128 v[0:3], v27
	v_add_co_u32 v4, s20, s62, v51
	s_delay_alu instid0(VALU_DEP_1) | instskip(SKIP_1) | instid1(VALU_DEP_2)
	v_add_co_ci_u32_e64 v5, null, s44, 0, s20
	s_waitcnt lgkmcnt(0)
	v_add_co_u32 v4, vcc_lo, v4, v52
	s_delay_alu instid0(VALU_DEP_2)
	v_add_co_ci_u32_e32 v5, vcc_lo, 0, v5, vcc_lo
	s_barrier
	buffer_gl0_inv
	s_and_saveexec_b32 s20, s12
	s_cbranch_execz .LBB12_30
; %bb.29:                               ;   in Loop: Header=BB12_12 Depth=1
	global_load_u16 v6, v[4:5], off
.LBB12_30:                              ;   in Loop: Header=BB12_12 Depth=1
	s_or_b32 exec_lo, exec_lo, s20
	v_dual_mov_b32 v7, 0 :: v_dual_mov_b32 v8, 0
	s_and_saveexec_b32 s20, s13
	s_cbranch_execz .LBB12_32
; %bb.31:                               ;   in Loop: Header=BB12_12 Depth=1
	global_load_u16 v8, v[4:5], off offset:64
.LBB12_32:                              ;   in Loop: Header=BB12_12 Depth=1
	s_or_b32 exec_lo, exec_lo, s20
	s_and_saveexec_b32 s20, s14
	s_cbranch_execz .LBB12_34
; %bb.33:                               ;   in Loop: Header=BB12_12 Depth=1
	global_load_u16 v7, v[4:5], off offset:128
.LBB12_34:                              ;   in Loop: Header=BB12_12 Depth=1
	s_or_b32 exec_lo, exec_lo, s20
	v_mov_b32_e32 v9, 0
	v_mov_b32_e32 v53, 0
	s_and_saveexec_b32 s20, s15
	s_cbranch_execz .LBB12_36
; %bb.35:                               ;   in Loop: Header=BB12_12 Depth=1
	global_load_u16 v53, v[4:5], off offset:192
.LBB12_36:                              ;   in Loop: Header=BB12_12 Depth=1
	s_or_b32 exec_lo, exec_lo, s20
	s_and_saveexec_b32 s20, s16
	s_cbranch_execz .LBB12_38
; %bb.37:                               ;   in Loop: Header=BB12_12 Depth=1
	global_load_u16 v9, v[4:5], off offset:256
.LBB12_38:                              ;   in Loop: Header=BB12_12 Depth=1
	s_or_b32 exec_lo, exec_lo, s20
	v_dual_mov_b32 v54, 0 :: v_dual_mov_b32 v55, 0
	s_and_saveexec_b32 s20, s17
	s_cbranch_execnz .LBB12_155
; %bb.39:                               ;   in Loop: Header=BB12_12 Depth=1
	s_or_b32 exec_lo, exec_lo, s20
	s_and_saveexec_b32 s20, s18
	s_cbranch_execnz .LBB12_156
.LBB12_40:                              ;   in Loop: Header=BB12_12 Depth=1
	s_or_b32 exec_lo, exec_lo, s20
	v_mov_b32_e32 v56, 0
	s_and_saveexec_b32 s20, s19
	s_cbranch_execz .LBB12_42
.LBB12_41:                              ;   in Loop: Header=BB12_12 Depth=1
	global_load_u16 v56, v[4:5], off offset:448
.LBB12_42:                              ;   in Loop: Header=BB12_12 Depth=1
	s_or_b32 exec_lo, exec_lo, s20
	s_waitcnt vmcnt(0)
	ds_store_b16 v20, v6
	ds_store_b16 v20, v8 offset:64
	ds_store_b16 v21, v7 offset:128
	;; [unrolled: 1-line block ×7, first 2 shown]
	; wave barrier
	ds_load_b128 v[4:7], v27
	s_waitcnt lgkmcnt(0)
	v_lshlrev_b32_e32 v8, 16, v4
	s_delay_alu instid0(VALU_DEP_1) | instskip(NEXT) | instid1(VALU_DEP_1)
	v_add_f32_e32 v53, s60, v8
	v_cmp_ge_f32_e32 vcc_lo, 0x41a00000, v53
	s_and_b32 s20, s68, vcc_lo
	s_delay_alu instid0(SALU_CYCLE_1)
	s_and_saveexec_b32 s21, s20
	s_cbranch_execz .LBB12_44
; %bb.43:                               ;   in Loop: Header=BB12_12 Depth=1
	v_mul_f32_e32 v8, 0x3fb8aa3b, v53
	v_cmp_ngt_f32_e32 vcc_lo, 0xc2ce8ed0, v53
	s_delay_alu instid0(VALU_DEP_2) | instskip(SKIP_1) | instid1(VALU_DEP_2)
	v_rndne_f32_e32 v9, v8
	v_fma_f32 v54, 0x3fb8aa3b, v53, -v8
	v_sub_f32_e32 v8, v8, v9
	s_delay_alu instid0(VALU_DEP_2) | instskip(SKIP_1) | instid1(VALU_DEP_2)
	v_fmac_f32_e32 v54, 0x32a5705f, v53
	v_cvt_i32_f32_e32 v9, v9
	v_add_f32_e32 v8, v8, v54
	s_delay_alu instid0(VALU_DEP_1) | instskip(SKIP_2) | instid1(VALU_DEP_1)
	v_exp_f32_e32 v8, v8
	s_waitcnt_depctr 0xfff
	v_ldexp_f32 v8, v8, v9
	v_cndmask_b32_e32 v8, 0, v8, vcc_lo
	v_cmp_nlt_f32_e32 vcc_lo, 0x42b17218, v53
	s_delay_alu instid0(VALU_DEP_2) | instskip(NEXT) | instid1(VALU_DEP_1)
	v_cndmask_b32_e32 v53, 0x7f800000, v8, vcc_lo
	v_add_f32_e32 v54, 1.0, v53
	s_delay_alu instid0(VALU_DEP_1) | instskip(NEXT) | instid1(VALU_DEP_1)
	v_cvt_f64_f32_e32 v[8:9], v54
	v_frexp_exp_i32_f64_e32 v8, v[8:9]
	v_frexp_mant_f32_e32 v9, v54
	s_delay_alu instid0(VALU_DEP_1) | instskip(SKIP_1) | instid1(VALU_DEP_1)
	v_cmp_gt_f32_e32 vcc_lo, 0x3f2aaaab, v9
	v_add_f32_e32 v9, -1.0, v54
	v_sub_f32_e32 v56, v9, v54
	v_sub_f32_e32 v9, v53, v9
	v_cmp_gt_f32_e64 s20, 0x33800000, v53
	s_delay_alu instid0(VALU_DEP_3) | instskip(NEXT) | instid1(VALU_DEP_1)
	v_add_f32_e32 v56, 1.0, v56
	v_add_f32_e32 v9, v9, v56
	v_subrev_co_ci_u32_e32 v8, vcc_lo, 0, v8, vcc_lo
	v_cmp_eq_f32_e32 vcc_lo, 0x7f800000, v53
	s_delay_alu instid0(VALU_DEP_2) | instskip(SKIP_2) | instid1(VALU_DEP_2)
	v_sub_nc_u32_e32 v55, 0, v8
	v_cvt_f32_i32_e32 v8, v8
	s_or_b32 vcc_lo, s20, vcc_lo
	v_ldexp_f32 v54, v54, v55
	v_ldexp_f32 v9, v9, v55
	s_delay_alu instid0(VALU_DEP_2) | instskip(NEXT) | instid1(VALU_DEP_1)
	v_add_f32_e32 v57, 1.0, v54
	v_dual_add_f32 v55, -1.0, v54 :: v_dual_add_f32 v56, -1.0, v57
	s_delay_alu instid0(VALU_DEP_1) | instskip(NEXT) | instid1(VALU_DEP_2)
	v_add_f32_e32 v58, 1.0, v55
	v_sub_f32_e32 v56, v54, v56
	s_delay_alu instid0(VALU_DEP_2) | instskip(NEXT) | instid1(VALU_DEP_2)
	v_sub_f32_e32 v54, v54, v58
	v_add_f32_e32 v56, v9, v56
	s_delay_alu instid0(VALU_DEP_2) | instskip(NEXT) | instid1(VALU_DEP_1)
	v_add_f32_e32 v9, v9, v54
	v_dual_add_f32 v59, v55, v9 :: v_dual_add_f32 v58, v57, v56
	s_delay_alu instid0(VALU_DEP_1) | instskip(NEXT) | instid1(VALU_DEP_2)
	v_sub_f32_e32 v55, v55, v59
	v_rcp_f32_e32 v54, v58
	v_sub_f32_e32 v57, v57, v58
	s_delay_alu instid0(VALU_DEP_1) | instskip(SKIP_2) | instid1(VALU_DEP_1)
	v_dual_add_f32 v9, v9, v55 :: v_dual_add_f32 v56, v56, v57
	s_waitcnt_depctr 0xfff
	v_mul_f32_e32 v60, v59, v54
	v_mul_f32_e32 v61, v58, v60
	s_delay_alu instid0(VALU_DEP_1) | instskip(NEXT) | instid1(VALU_DEP_1)
	v_fma_f32 v57, v60, v58, -v61
	v_fmac_f32_e32 v57, v60, v56
	s_delay_alu instid0(VALU_DEP_1) | instskip(NEXT) | instid1(VALU_DEP_1)
	v_add_f32_e32 v62, v61, v57
	v_sub_f32_e32 v63, v59, v62
	s_delay_alu instid0(VALU_DEP_1) | instskip(NEXT) | instid1(VALU_DEP_1)
	v_sub_f32_e32 v59, v59, v63
	v_sub_f32_e32 v59, v59, v62
	;; [unrolled: 1-line block ×3, first 2 shown]
	s_delay_alu instid0(VALU_DEP_2) | instskip(NEXT) | instid1(VALU_DEP_2)
	v_add_f32_e32 v9, v9, v59
	v_sub_f32_e32 v55, v55, v57
	s_delay_alu instid0(VALU_DEP_1) | instskip(NEXT) | instid1(VALU_DEP_1)
	v_add_f32_e32 v9, v55, v9
	v_add_f32_e32 v55, v63, v9
	s_delay_alu instid0(VALU_DEP_1) | instskip(NEXT) | instid1(VALU_DEP_1)
	v_mul_f32_e32 v57, v54, v55
	v_dual_sub_f32 v62, v63, v55 :: v_dual_mul_f32 v59, v58, v57
	s_delay_alu instid0(VALU_DEP_1) | instskip(NEXT) | instid1(VALU_DEP_2)
	v_add_f32_e32 v9, v9, v62
	v_fma_f32 v58, v57, v58, -v59
	s_delay_alu instid0(VALU_DEP_1) | instskip(NEXT) | instid1(VALU_DEP_1)
	v_fmac_f32_e32 v58, v57, v56
	v_add_f32_e32 v56, v59, v58
	s_delay_alu instid0(VALU_DEP_1) | instskip(NEXT) | instid1(VALU_DEP_1)
	v_sub_f32_e32 v61, v55, v56
	v_sub_f32_e32 v55, v55, v61
	s_delay_alu instid0(VALU_DEP_1) | instskip(NEXT) | instid1(VALU_DEP_1)
	v_sub_f32_e32 v55, v55, v56
	v_add_f32_e32 v9, v9, v55
	v_add_f32_e32 v55, v60, v57
	v_sub_f32_e32 v59, v56, v59
	s_delay_alu instid0(VALU_DEP_1) | instskip(NEXT) | instid1(VALU_DEP_1)
	v_sub_f32_e32 v56, v59, v58
	v_dual_add_f32 v9, v56, v9 :: v_dual_sub_f32 v56, v55, v60
	s_delay_alu instid0(VALU_DEP_1) | instskip(NEXT) | instid1(VALU_DEP_1)
	v_add_f32_e32 v9, v61, v9
	v_dual_sub_f32 v56, v57, v56 :: v_dual_mul_f32 v9, v54, v9
	s_delay_alu instid0(VALU_DEP_1) | instskip(NEXT) | instid1(VALU_DEP_1)
	v_add_f32_e32 v9, v56, v9
	v_add_f32_e32 v54, v55, v9
	s_delay_alu instid0(VALU_DEP_1) | instskip(NEXT) | instid1(VALU_DEP_1)
	v_mul_f32_e32 v56, v54, v54
	v_fmaak_f32 v57, s54, v56, 0x3ecc95a3
	v_mul_f32_e32 v58, v54, v56
	s_delay_alu instid0(VALU_DEP_2) | instskip(SKIP_2) | instid1(VALU_DEP_3)
	v_fmaak_f32 v56, v56, v57, 0x3f2aaada
	v_ldexp_f32 v57, v54, 1
	v_sub_f32_e32 v54, v54, v55
	v_mul_f32_e32 v56, v58, v56
	v_mul_f32_e32 v58, 0x3f317218, v8
	s_delay_alu instid0(VALU_DEP_2) | instskip(NEXT) | instid1(VALU_DEP_1)
	v_add_f32_e32 v55, v57, v56
	v_dual_sub_f32 v9, v9, v54 :: v_dual_sub_f32 v54, v55, v57
	s_delay_alu instid0(VALU_DEP_3) | instskip(NEXT) | instid1(VALU_DEP_2)
	v_fma_f32 v57, 0x3f317218, v8, -v58
	v_ldexp_f32 v9, v9, 1
	s_delay_alu instid0(VALU_DEP_2) | instskip(NEXT) | instid1(VALU_DEP_1)
	v_dual_sub_f32 v54, v56, v54 :: v_dual_fmac_f32 v57, 0xb102e308, v8
	v_dual_add_f32 v8, v9, v54 :: v_dual_add_f32 v9, v58, v57
	s_delay_alu instid0(VALU_DEP_1) | instskip(NEXT) | instid1(VALU_DEP_1)
	v_add_f32_e32 v54, v55, v8
	v_add_f32_e32 v56, v9, v54
	s_delay_alu instid0(VALU_DEP_1) | instskip(NEXT) | instid1(VALU_DEP_1)
	v_sub_f32_e32 v59, v56, v9
	v_sub_f32_e32 v60, v56, v59
	;; [unrolled: 1-line block ×4, first 2 shown]
	s_delay_alu instid0(VALU_DEP_2) | instskip(SKIP_1) | instid1(VALU_DEP_1)
	v_sub_f32_e32 v8, v8, v55
	v_sub_f32_e32 v58, v9, v58
	;; [unrolled: 1-line block ×3, first 2 shown]
	s_delay_alu instid0(VALU_DEP_1) | instskip(SKIP_1) | instid1(VALU_DEP_1)
	v_add_f32_e32 v55, v57, v8
	v_sub_f32_e32 v9, v9, v60
	v_add_f32_e32 v9, v54, v9
	s_delay_alu instid0(VALU_DEP_3) | instskip(NEXT) | instid1(VALU_DEP_1)
	v_sub_f32_e32 v54, v55, v57
	v_dual_sub_f32 v8, v8, v54 :: v_dual_add_f32 v9, v55, v9
	s_delay_alu instid0(VALU_DEP_1) | instskip(NEXT) | instid1(VALU_DEP_1)
	v_dual_sub_f32 v55, v55, v54 :: v_dual_add_f32 v58, v56, v9
	v_dual_sub_f32 v55, v57, v55 :: v_dual_sub_f32 v54, v58, v56
	s_delay_alu instid0(VALU_DEP_1) | instskip(NEXT) | instid1(VALU_DEP_1)
	v_dual_add_f32 v8, v8, v55 :: v_dual_sub_f32 v9, v9, v54
	v_add_f32_e32 v8, v8, v9
	s_delay_alu instid0(VALU_DEP_1) | instskip(NEXT) | instid1(VALU_DEP_1)
	v_add_f32_e32 v8, v58, v8
	v_cndmask_b32_e32 v53, v8, v53, vcc_lo
.LBB12_44:                              ;   in Loop: Header=BB12_12 Depth=1
	s_or_b32 exec_lo, exec_lo, s21
	v_and_b32_e32 v4, 0xffff0000, v4
	s_delay_alu instid0(VALU_DEP_1) | instskip(NEXT) | instid1(VALU_DEP_1)
	v_add_f32_e32 v54, s60, v4
	v_cmp_ge_f32_e32 vcc_lo, 0x41a00000, v54
	s_and_b32 s20, s68, vcc_lo
	s_delay_alu instid0(SALU_CYCLE_1)
	s_and_saveexec_b32 s21, s20
	s_cbranch_execz .LBB12_46
; %bb.45:                               ;   in Loop: Header=BB12_12 Depth=1
	v_mul_f32_e32 v4, 0x3fb8aa3b, v54
	v_cmp_ngt_f32_e32 vcc_lo, 0xc2ce8ed0, v54
	s_delay_alu instid0(VALU_DEP_2) | instskip(SKIP_1) | instid1(VALU_DEP_1)
	v_rndne_f32_e32 v8, v4
	v_fma_f32 v9, 0x3fb8aa3b, v54, -v4
	v_dual_sub_f32 v4, v4, v8 :: v_dual_fmac_f32 v9, 0x32a5705f, v54
	v_cvt_i32_f32_e32 v8, v8
	s_delay_alu instid0(VALU_DEP_2) | instskip(NEXT) | instid1(VALU_DEP_1)
	v_add_f32_e32 v4, v4, v9
	v_exp_f32_e32 v4, v4
	s_waitcnt_depctr 0xfff
	v_ldexp_f32 v4, v4, v8
	s_delay_alu instid0(VALU_DEP_1) | instskip(SKIP_1) | instid1(VALU_DEP_2)
	v_cndmask_b32_e32 v4, 0, v4, vcc_lo
	v_cmp_nlt_f32_e32 vcc_lo, 0x42b17218, v54
	v_cndmask_b32_e32 v4, 0x7f800000, v4, vcc_lo
	s_delay_alu instid0(VALU_DEP_1) | instskip(NEXT) | instid1(VALU_DEP_1)
	v_add_f32_e32 v54, 1.0, v4
	v_cvt_f64_f32_e32 v[8:9], v54
	s_delay_alu instid0(VALU_DEP_1) | instskip(SKIP_1) | instid1(VALU_DEP_1)
	v_frexp_exp_i32_f64_e32 v8, v[8:9]
	v_frexp_mant_f32_e32 v9, v54
	v_cmp_gt_f32_e32 vcc_lo, 0x3f2aaaab, v9
	v_add_f32_e32 v9, -1.0, v54
	s_delay_alu instid0(VALU_DEP_1) | instskip(NEXT) | instid1(VALU_DEP_1)
	v_dual_sub_f32 v56, v9, v54 :: v_dual_sub_f32 v9, v4, v9
	v_add_f32_e32 v56, 1.0, v56
	s_delay_alu instid0(VALU_DEP_1) | instskip(SKIP_1) | instid1(VALU_DEP_1)
	v_add_f32_e32 v9, v9, v56
	v_subrev_co_ci_u32_e32 v8, vcc_lo, 0, v8, vcc_lo
	v_sub_nc_u32_e32 v55, 0, v8
	v_cvt_f32_i32_e32 v8, v8
	s_delay_alu instid0(VALU_DEP_2) | instskip(SKIP_1) | instid1(VALU_DEP_2)
	v_ldexp_f32 v54, v54, v55
	v_ldexp_f32 v9, v9, v55
	v_add_f32_e32 v57, 1.0, v54
	v_add_f32_e32 v55, -1.0, v54
	v_cmp_eq_f32_e32 vcc_lo, 0x7f800000, v4
	v_cmp_gt_f32_e64 s20, 0x33800000, v4
	s_delay_alu instid0(VALU_DEP_4) | instskip(NEXT) | instid1(VALU_DEP_4)
	v_add_f32_e32 v56, -1.0, v57
	v_add_f32_e32 v58, 1.0, v55
	s_delay_alu instid0(VALU_DEP_3) | instskip(NEXT) | instid1(VALU_DEP_2)
	s_or_b32 vcc_lo, s20, vcc_lo
	v_sub_f32_e32 v56, v54, v56
	s_delay_alu instid0(VALU_DEP_2) | instskip(NEXT) | instid1(VALU_DEP_2)
	v_sub_f32_e32 v54, v54, v58
	v_add_f32_e32 v56, v9, v56
	s_delay_alu instid0(VALU_DEP_2) | instskip(NEXT) | instid1(VALU_DEP_1)
	v_add_f32_e32 v9, v9, v54
	v_add_f32_e32 v59, v55, v9
	s_delay_alu instid0(VALU_DEP_1) | instskip(NEXT) | instid1(VALU_DEP_1)
	v_dual_sub_f32 v55, v55, v59 :: v_dual_add_f32 v58, v57, v56
	v_add_f32_e32 v9, v9, v55
	s_delay_alu instid0(VALU_DEP_2) | instskip(SKIP_1) | instid1(VALU_DEP_1)
	v_rcp_f32_e32 v54, v58
	v_sub_f32_e32 v57, v57, v58
	v_add_f32_e32 v56, v56, v57
	s_waitcnt_depctr 0xfff
	v_mul_f32_e32 v60, v59, v54
	s_delay_alu instid0(VALU_DEP_1) | instskip(NEXT) | instid1(VALU_DEP_1)
	v_mul_f32_e32 v61, v58, v60
	v_fma_f32 v57, v60, v58, -v61
	s_delay_alu instid0(VALU_DEP_1) | instskip(NEXT) | instid1(VALU_DEP_1)
	v_fmac_f32_e32 v57, v60, v56
	v_add_f32_e32 v62, v61, v57
	s_delay_alu instid0(VALU_DEP_1) | instskip(SKIP_1) | instid1(VALU_DEP_2)
	v_sub_f32_e32 v63, v59, v62
	v_sub_f32_e32 v55, v62, v61
	;; [unrolled: 1-line block ×3, first 2 shown]
	s_delay_alu instid0(VALU_DEP_2) | instskip(NEXT) | instid1(VALU_DEP_2)
	v_sub_f32_e32 v55, v55, v57
	v_sub_f32_e32 v59, v59, v62
	s_delay_alu instid0(VALU_DEP_1) | instskip(NEXT) | instid1(VALU_DEP_1)
	v_add_f32_e32 v9, v9, v59
	v_add_f32_e32 v9, v55, v9
	s_delay_alu instid0(VALU_DEP_1) | instskip(NEXT) | instid1(VALU_DEP_1)
	v_add_f32_e32 v55, v63, v9
	v_mul_f32_e32 v57, v54, v55
	s_delay_alu instid0(VALU_DEP_1) | instskip(NEXT) | instid1(VALU_DEP_1)
	v_dual_sub_f32 v62, v63, v55 :: v_dual_mul_f32 v59, v58, v57
	v_add_f32_e32 v9, v9, v62
	s_delay_alu instid0(VALU_DEP_2) | instskip(NEXT) | instid1(VALU_DEP_1)
	v_fma_f32 v58, v57, v58, -v59
	v_fmac_f32_e32 v58, v57, v56
	s_delay_alu instid0(VALU_DEP_1) | instskip(NEXT) | instid1(VALU_DEP_1)
	v_add_f32_e32 v56, v59, v58
	v_sub_f32_e32 v61, v55, v56
	s_delay_alu instid0(VALU_DEP_1) | instskip(NEXT) | instid1(VALU_DEP_1)
	v_sub_f32_e32 v55, v55, v61
	v_sub_f32_e32 v55, v55, v56
	s_delay_alu instid0(VALU_DEP_1) | instskip(SKIP_2) | instid1(VALU_DEP_1)
	v_add_f32_e32 v9, v9, v55
	v_add_f32_e32 v55, v60, v57
	v_sub_f32_e32 v59, v56, v59
	v_sub_f32_e32 v56, v59, v58
	s_delay_alu instid0(VALU_DEP_1) | instskip(NEXT) | instid1(VALU_DEP_1)
	v_dual_add_f32 v9, v56, v9 :: v_dual_sub_f32 v56, v55, v60
	v_add_f32_e32 v9, v61, v9
	s_delay_alu instid0(VALU_DEP_1) | instskip(NEXT) | instid1(VALU_DEP_1)
	v_dual_sub_f32 v56, v57, v56 :: v_dual_mul_f32 v9, v54, v9
	v_add_f32_e32 v9, v56, v9
	s_delay_alu instid0(VALU_DEP_1) | instskip(NEXT) | instid1(VALU_DEP_1)
	v_add_f32_e32 v54, v55, v9
	v_mul_f32_e32 v56, v54, v54
	s_delay_alu instid0(VALU_DEP_1) | instskip(SKIP_1) | instid1(VALU_DEP_2)
	v_fmaak_f32 v57, s54, v56, 0x3ecc95a3
	v_mul_f32_e32 v58, v54, v56
	v_fmaak_f32 v56, v56, v57, 0x3f2aaada
	v_ldexp_f32 v57, v54, 1
	v_sub_f32_e32 v54, v54, v55
	s_delay_alu instid0(VALU_DEP_3) | instskip(SKIP_1) | instid1(VALU_DEP_2)
	v_mul_f32_e32 v56, v58, v56
	v_mul_f32_e32 v58, 0x3f317218, v8
	v_add_f32_e32 v55, v57, v56
	s_delay_alu instid0(VALU_DEP_1) | instskip(NEXT) | instid1(VALU_DEP_3)
	v_dual_sub_f32 v9, v9, v54 :: v_dual_sub_f32 v54, v55, v57
	v_fma_f32 v57, 0x3f317218, v8, -v58
	s_delay_alu instid0(VALU_DEP_2) | instskip(NEXT) | instid1(VALU_DEP_2)
	v_ldexp_f32 v9, v9, 1
	v_dual_sub_f32 v54, v56, v54 :: v_dual_fmac_f32 v57, 0xb102e308, v8
	s_delay_alu instid0(VALU_DEP_1) | instskip(NEXT) | instid1(VALU_DEP_1)
	v_dual_add_f32 v8, v9, v54 :: v_dual_add_f32 v9, v58, v57
	v_add_f32_e32 v54, v55, v8
	s_delay_alu instid0(VALU_DEP_1) | instskip(NEXT) | instid1(VALU_DEP_1)
	v_add_f32_e32 v56, v9, v54
	v_sub_f32_e32 v59, v56, v9
	s_delay_alu instid0(VALU_DEP_1) | instskip(SKIP_2) | instid1(VALU_DEP_2)
	v_sub_f32_e32 v60, v56, v59
	v_sub_f32_e32 v55, v54, v55
	;; [unrolled: 1-line block ×5, first 2 shown]
	s_delay_alu instid0(VALU_DEP_1) | instskip(NEXT) | instid1(VALU_DEP_1)
	v_sub_f32_e32 v57, v57, v58
	v_add_f32_e32 v55, v57, v8
	v_sub_f32_e32 v9, v9, v60
	s_delay_alu instid0(VALU_DEP_1) | instskip(NEXT) | instid1(VALU_DEP_3)
	v_add_f32_e32 v9, v54, v9
	v_sub_f32_e32 v54, v55, v57
	s_delay_alu instid0(VALU_DEP_1) | instskip(NEXT) | instid1(VALU_DEP_1)
	v_dual_sub_f32 v8, v8, v54 :: v_dual_add_f32 v9, v55, v9
	v_dual_sub_f32 v55, v55, v54 :: v_dual_add_f32 v58, v56, v9
	s_delay_alu instid0(VALU_DEP_1) | instskip(NEXT) | instid1(VALU_DEP_1)
	v_dual_sub_f32 v55, v57, v55 :: v_dual_sub_f32 v54, v58, v56
	v_dual_add_f32 v8, v8, v55 :: v_dual_sub_f32 v9, v9, v54
	s_delay_alu instid0(VALU_DEP_1) | instskip(NEXT) | instid1(VALU_DEP_1)
	v_add_f32_e32 v8, v8, v9
	v_add_f32_e32 v8, v58, v8
	s_delay_alu instid0(VALU_DEP_1)
	v_cndmask_b32_e32 v54, v8, v4, vcc_lo
.LBB12_46:                              ;   in Loop: Header=BB12_12 Depth=1
	s_or_b32 exec_lo, exec_lo, s21
	v_lshlrev_b32_e32 v4, 16, v5
	s_delay_alu instid0(VALU_DEP_1) | instskip(NEXT) | instid1(VALU_DEP_1)
	v_add_f32_e32 v55, s60, v4
	v_cmp_ge_f32_e32 vcc_lo, 0x41a00000, v55
	s_and_b32 s20, s68, vcc_lo
	s_delay_alu instid0(SALU_CYCLE_1)
	s_and_saveexec_b32 s21, s20
	s_cbranch_execz .LBB12_48
; %bb.47:                               ;   in Loop: Header=BB12_12 Depth=1
	v_mul_f32_e32 v4, 0x3fb8aa3b, v55
	v_cmp_ngt_f32_e32 vcc_lo, 0xc2ce8ed0, v55
	s_delay_alu instid0(VALU_DEP_2) | instskip(SKIP_1) | instid1(VALU_DEP_1)
	v_rndne_f32_e32 v8, v4
	v_fma_f32 v9, 0x3fb8aa3b, v55, -v4
	v_dual_sub_f32 v4, v4, v8 :: v_dual_fmac_f32 v9, 0x32a5705f, v55
	v_cvt_i32_f32_e32 v8, v8
	s_delay_alu instid0(VALU_DEP_2) | instskip(NEXT) | instid1(VALU_DEP_1)
	v_add_f32_e32 v4, v4, v9
	v_exp_f32_e32 v4, v4
	s_waitcnt_depctr 0xfff
	v_ldexp_f32 v4, v4, v8
	s_delay_alu instid0(VALU_DEP_1) | instskip(SKIP_1) | instid1(VALU_DEP_2)
	v_cndmask_b32_e32 v4, 0, v4, vcc_lo
	v_cmp_nlt_f32_e32 vcc_lo, 0x42b17218, v55
	v_cndmask_b32_e32 v4, 0x7f800000, v4, vcc_lo
	s_delay_alu instid0(VALU_DEP_1) | instskip(NEXT) | instid1(VALU_DEP_1)
	v_add_f32_e32 v55, 1.0, v4
	v_cvt_f64_f32_e32 v[8:9], v55
	s_delay_alu instid0(VALU_DEP_1) | instskip(SKIP_1) | instid1(VALU_DEP_1)
	v_frexp_exp_i32_f64_e32 v8, v[8:9]
	v_frexp_mant_f32_e32 v9, v55
	v_cmp_gt_f32_e32 vcc_lo, 0x3f2aaaab, v9
	v_add_f32_e32 v9, -1.0, v55
	s_delay_alu instid0(VALU_DEP_1) | instskip(NEXT) | instid1(VALU_DEP_1)
	v_sub_f32_e32 v57, v9, v55
	v_add_f32_e32 v57, 1.0, v57
	v_subrev_co_ci_u32_e32 v8, vcc_lo, 0, v8, vcc_lo
	s_delay_alu instid0(VALU_DEP_1) | instskip(SKIP_1) | instid1(VALU_DEP_2)
	v_sub_nc_u32_e32 v56, 0, v8
	v_cvt_f32_i32_e32 v8, v8
	v_ldexp_f32 v55, v55, v56
	s_delay_alu instid0(VALU_DEP_1) | instskip(NEXT) | instid1(VALU_DEP_1)
	v_dual_sub_f32 v9, v4, v9 :: v_dual_add_f32 v58, 1.0, v55
	v_add_f32_e32 v9, v9, v57
	v_cmp_eq_f32_e32 vcc_lo, 0x7f800000, v4
	v_cmp_gt_f32_e64 s20, 0x33800000, v4
	s_delay_alu instid0(VALU_DEP_4) | instskip(NEXT) | instid1(VALU_DEP_4)
	v_add_f32_e32 v57, -1.0, v58
	v_ldexp_f32 v9, v9, v56
	v_add_f32_e32 v56, -1.0, v55
	s_delay_alu instid0(VALU_DEP_4) | instskip(NEXT) | instid1(VALU_DEP_3)
	s_or_b32 vcc_lo, s20, vcc_lo
	v_sub_f32_e32 v57, v55, v57
	s_delay_alu instid0(VALU_DEP_2) | instskip(NEXT) | instid1(VALU_DEP_2)
	v_add_f32_e32 v59, 1.0, v56
	v_add_f32_e32 v57, v9, v57
	s_delay_alu instid0(VALU_DEP_2) | instskip(NEXT) | instid1(VALU_DEP_1)
	v_sub_f32_e32 v55, v55, v59
	v_add_f32_e32 v9, v9, v55
	s_delay_alu instid0(VALU_DEP_1) | instskip(NEXT) | instid1(VALU_DEP_1)
	v_add_f32_e32 v60, v56, v9
	v_dual_add_f32 v59, v58, v57 :: v_dual_sub_f32 v56, v56, v60
	s_delay_alu instid0(VALU_DEP_1) | instskip(SKIP_1) | instid1(VALU_DEP_1)
	v_rcp_f32_e32 v55, v59
	v_sub_f32_e32 v58, v58, v59
	v_add_f32_e32 v57, v57, v58
	s_waitcnt_depctr 0xfff
	v_mul_f32_e32 v61, v60, v55
	s_delay_alu instid0(VALU_DEP_1) | instskip(NEXT) | instid1(VALU_DEP_1)
	v_mul_f32_e32 v62, v59, v61
	v_fma_f32 v58, v61, v59, -v62
	s_delay_alu instid0(VALU_DEP_1) | instskip(SKIP_1) | instid1(VALU_DEP_2)
	v_fmac_f32_e32 v58, v61, v57
	v_add_f32_e32 v9, v9, v56
	v_add_f32_e32 v63, v62, v58
	s_delay_alu instid0(VALU_DEP_1) | instskip(SKIP_1) | instid1(VALU_DEP_2)
	v_sub_f32_e32 v64, v60, v63
	v_sub_f32_e32 v56, v63, v62
	;; [unrolled: 1-line block ×3, first 2 shown]
	s_delay_alu instid0(VALU_DEP_2) | instskip(NEXT) | instid1(VALU_DEP_2)
	v_sub_f32_e32 v56, v56, v58
	v_sub_f32_e32 v60, v60, v63
	s_delay_alu instid0(VALU_DEP_1) | instskip(NEXT) | instid1(VALU_DEP_1)
	v_add_f32_e32 v9, v9, v60
	v_add_f32_e32 v9, v56, v9
	s_delay_alu instid0(VALU_DEP_1) | instskip(NEXT) | instid1(VALU_DEP_1)
	v_add_f32_e32 v56, v64, v9
	v_mul_f32_e32 v58, v55, v56
	s_delay_alu instid0(VALU_DEP_1) | instskip(NEXT) | instid1(VALU_DEP_1)
	v_dual_sub_f32 v63, v64, v56 :: v_dual_mul_f32 v60, v59, v58
	v_add_f32_e32 v9, v9, v63
	s_delay_alu instid0(VALU_DEP_2) | instskip(NEXT) | instid1(VALU_DEP_1)
	v_fma_f32 v59, v58, v59, -v60
	v_fmac_f32_e32 v59, v58, v57
	s_delay_alu instid0(VALU_DEP_1) | instskip(NEXT) | instid1(VALU_DEP_1)
	v_add_f32_e32 v57, v60, v59
	v_sub_f32_e32 v62, v56, v57
	s_delay_alu instid0(VALU_DEP_1) | instskip(NEXT) | instid1(VALU_DEP_1)
	v_sub_f32_e32 v56, v56, v62
	v_sub_f32_e32 v56, v56, v57
	s_delay_alu instid0(VALU_DEP_1) | instskip(SKIP_2) | instid1(VALU_DEP_1)
	v_add_f32_e32 v9, v9, v56
	v_add_f32_e32 v56, v61, v58
	v_sub_f32_e32 v60, v57, v60
	v_sub_f32_e32 v57, v60, v59
	s_delay_alu instid0(VALU_DEP_1) | instskip(NEXT) | instid1(VALU_DEP_4)
	v_add_f32_e32 v9, v57, v9
	v_sub_f32_e32 v57, v56, v61
	s_delay_alu instid0(VALU_DEP_2) | instskip(NEXT) | instid1(VALU_DEP_2)
	v_add_f32_e32 v9, v62, v9
	v_sub_f32_e32 v57, v58, v57
	s_delay_alu instid0(VALU_DEP_2) | instskip(NEXT) | instid1(VALU_DEP_1)
	v_mul_f32_e32 v9, v55, v9
	v_add_f32_e32 v9, v57, v9
	s_delay_alu instid0(VALU_DEP_1) | instskip(NEXT) | instid1(VALU_DEP_1)
	v_add_f32_e32 v55, v56, v9
	v_mul_f32_e32 v57, v55, v55
	s_delay_alu instid0(VALU_DEP_1) | instskip(SKIP_1) | instid1(VALU_DEP_2)
	v_fmaak_f32 v58, s54, v57, 0x3ecc95a3
	v_mul_f32_e32 v59, v55, v57
	v_fmaak_f32 v57, v57, v58, 0x3f2aaada
	v_ldexp_f32 v58, v55, 1
	v_sub_f32_e32 v55, v55, v56
	s_delay_alu instid0(VALU_DEP_3) | instskip(SKIP_1) | instid1(VALU_DEP_2)
	v_mul_f32_e32 v57, v59, v57
	v_mul_f32_e32 v59, 0x3f317218, v8
	v_dual_sub_f32 v9, v9, v55 :: v_dual_add_f32 v56, v58, v57
	s_delay_alu instid0(VALU_DEP_1) | instskip(NEXT) | instid1(VALU_DEP_2)
	v_ldexp_f32 v9, v9, 1
	v_sub_f32_e32 v55, v56, v58
	s_delay_alu instid0(VALU_DEP_4) | instskip(NEXT) | instid1(VALU_DEP_1)
	v_fma_f32 v58, 0x3f317218, v8, -v59
	v_dual_sub_f32 v55, v57, v55 :: v_dual_fmac_f32 v58, 0xb102e308, v8
	s_delay_alu instid0(VALU_DEP_1) | instskip(NEXT) | instid1(VALU_DEP_1)
	v_dual_add_f32 v8, v9, v55 :: v_dual_add_f32 v9, v59, v58
	v_add_f32_e32 v55, v56, v8
	s_delay_alu instid0(VALU_DEP_2) | instskip(NEXT) | instid1(VALU_DEP_2)
	v_sub_f32_e32 v59, v9, v59
	v_dual_add_f32 v57, v9, v55 :: v_dual_sub_f32 v56, v55, v56
	s_delay_alu instid0(VALU_DEP_2) | instskip(NEXT) | instid1(VALU_DEP_2)
	v_sub_f32_e32 v58, v58, v59
	v_sub_f32_e32 v60, v57, v9
	s_delay_alu instid0(VALU_DEP_3) | instskip(NEXT) | instid1(VALU_DEP_2)
	v_sub_f32_e32 v8, v8, v56
	v_sub_f32_e32 v61, v57, v60
	;; [unrolled: 1-line block ×3, first 2 shown]
	s_delay_alu instid0(VALU_DEP_2) | instskip(NEXT) | instid1(VALU_DEP_1)
	v_dual_add_f32 v56, v58, v8 :: v_dual_sub_f32 v9, v9, v61
	v_add_f32_e32 v9, v55, v9
	s_delay_alu instid0(VALU_DEP_2) | instskip(NEXT) | instid1(VALU_DEP_2)
	v_sub_f32_e32 v55, v56, v58
	v_add_f32_e32 v9, v56, v9
	s_delay_alu instid0(VALU_DEP_2) | instskip(NEXT) | instid1(VALU_DEP_2)
	v_sub_f32_e32 v56, v56, v55
	v_dual_sub_f32 v8, v8, v55 :: v_dual_add_f32 v59, v57, v9
	s_delay_alu instid0(VALU_DEP_1) | instskip(NEXT) | instid1(VALU_DEP_1)
	v_dual_sub_f32 v56, v58, v56 :: v_dual_sub_f32 v55, v59, v57
	v_dual_add_f32 v8, v8, v56 :: v_dual_sub_f32 v9, v9, v55
	s_delay_alu instid0(VALU_DEP_1) | instskip(NEXT) | instid1(VALU_DEP_1)
	v_add_f32_e32 v8, v8, v9
	v_add_f32_e32 v8, v59, v8
	s_delay_alu instid0(VALU_DEP_1)
	v_cndmask_b32_e32 v55, v8, v4, vcc_lo
.LBB12_48:                              ;   in Loop: Header=BB12_12 Depth=1
	s_or_b32 exec_lo, exec_lo, s21
	v_and_b32_e32 v4, 0xffff0000, v5
	s_delay_alu instid0(VALU_DEP_1) | instskip(NEXT) | instid1(VALU_DEP_1)
	v_add_f32_e32 v58, s60, v4
	v_cmp_ge_f32_e32 vcc_lo, 0x41a00000, v58
	s_and_b32 s20, s68, vcc_lo
	s_delay_alu instid0(SALU_CYCLE_1)
	s_and_saveexec_b32 s21, s20
	s_cbranch_execz .LBB12_50
; %bb.49:                               ;   in Loop: Header=BB12_12 Depth=1
	v_mul_f32_e32 v4, 0x3fb8aa3b, v58
	v_cmp_ngt_f32_e32 vcc_lo, 0xc2ce8ed0, v58
	s_delay_alu instid0(VALU_DEP_2) | instskip(SKIP_1) | instid1(VALU_DEP_2)
	v_rndne_f32_e32 v5, v4
	v_fma_f32 v8, 0x3fb8aa3b, v58, -v4
	v_sub_f32_e32 v4, v4, v5
	s_delay_alu instid0(VALU_DEP_2) | instskip(SKIP_1) | instid1(VALU_DEP_2)
	v_fmac_f32_e32 v8, 0x32a5705f, v58
	v_cvt_i32_f32_e32 v5, v5
	v_add_f32_e32 v4, v4, v8
	s_delay_alu instid0(VALU_DEP_1) | instskip(SKIP_2) | instid1(VALU_DEP_1)
	v_exp_f32_e32 v4, v4
	s_waitcnt_depctr 0xfff
	v_ldexp_f32 v4, v4, v5
	v_cndmask_b32_e32 v4, 0, v4, vcc_lo
	v_cmp_nlt_f32_e32 vcc_lo, 0x42b17218, v58
	s_delay_alu instid0(VALU_DEP_2) | instskip(NEXT) | instid1(VALU_DEP_1)
	v_cndmask_b32_e32 v8, 0x7f800000, v4, vcc_lo
	v_add_f32_e32 v9, 1.0, v8
	s_delay_alu instid0(VALU_DEP_1) | instskip(NEXT) | instid1(VALU_DEP_1)
	v_cvt_f64_f32_e32 v[4:5], v9
	v_frexp_exp_i32_f64_e32 v4, v[4:5]
	v_frexp_mant_f32_e32 v5, v9
	s_delay_alu instid0(VALU_DEP_1) | instskip(SKIP_1) | instid1(VALU_DEP_1)
	v_cmp_gt_f32_e32 vcc_lo, 0x3f2aaaab, v5
	v_add_f32_e32 v5, -1.0, v9
	v_sub_f32_e32 v57, v5, v9
	s_delay_alu instid0(VALU_DEP_1) | instskip(SKIP_2) | instid1(VALU_DEP_2)
	v_add_f32_e32 v57, 1.0, v57
	v_sub_f32_e32 v5, v8, v5
	v_cmp_gt_f32_e64 s20, 0x33800000, v8
	v_add_f32_e32 v5, v5, v57
	v_subrev_co_ci_u32_e32 v4, vcc_lo, 0, v4, vcc_lo
	v_cmp_eq_f32_e32 vcc_lo, 0x7f800000, v8
	s_delay_alu instid0(VALU_DEP_2) | instskip(SKIP_2) | instid1(VALU_DEP_2)
	v_sub_nc_u32_e32 v56, 0, v4
	v_cvt_f32_i32_e32 v4, v4
	s_or_b32 vcc_lo, s20, vcc_lo
	v_ldexp_f32 v9, v9, v56
	v_ldexp_f32 v5, v5, v56
	s_delay_alu instid0(VALU_DEP_2) | instskip(NEXT) | instid1(VALU_DEP_1)
	v_add_f32_e32 v56, -1.0, v9
	v_dual_add_f32 v58, 1.0, v9 :: v_dual_add_f32 v59, 1.0, v56
	s_delay_alu instid0(VALU_DEP_1) | instskip(NEXT) | instid1(VALU_DEP_1)
	v_add_f32_e32 v57, -1.0, v58
	v_sub_f32_e32 v57, v9, v57
	s_delay_alu instid0(VALU_DEP_3) | instskip(NEXT) | instid1(VALU_DEP_2)
	v_sub_f32_e32 v9, v9, v59
	v_add_f32_e32 v57, v5, v57
	s_delay_alu instid0(VALU_DEP_2) | instskip(NEXT) | instid1(VALU_DEP_1)
	v_add_f32_e32 v5, v5, v9
	v_add_f32_e32 v60, v56, v5
	s_delay_alu instid0(VALU_DEP_1) | instskip(NEXT) | instid1(VALU_DEP_1)
	v_dual_sub_f32 v56, v56, v60 :: v_dual_add_f32 v59, v58, v57
	v_add_f32_e32 v5, v5, v56
	s_delay_alu instid0(VALU_DEP_2) | instskip(SKIP_1) | instid1(VALU_DEP_1)
	v_rcp_f32_e32 v9, v59
	v_sub_f32_e32 v58, v58, v59
	v_add_f32_e32 v57, v57, v58
	s_waitcnt_depctr 0xfff
	v_mul_f32_e32 v61, v60, v9
	s_delay_alu instid0(VALU_DEP_1) | instskip(NEXT) | instid1(VALU_DEP_1)
	v_mul_f32_e32 v62, v59, v61
	v_fma_f32 v58, v61, v59, -v62
	s_delay_alu instid0(VALU_DEP_1) | instskip(NEXT) | instid1(VALU_DEP_1)
	v_fmac_f32_e32 v58, v61, v57
	v_add_f32_e32 v63, v62, v58
	s_delay_alu instid0(VALU_DEP_1) | instskip(SKIP_1) | instid1(VALU_DEP_2)
	v_sub_f32_e32 v64, v60, v63
	v_sub_f32_e32 v56, v63, v62
	;; [unrolled: 1-line block ×3, first 2 shown]
	s_delay_alu instid0(VALU_DEP_1) | instskip(NEXT) | instid1(VALU_DEP_1)
	v_sub_f32_e32 v60, v60, v63
	v_dual_sub_f32 v56, v56, v58 :: v_dual_add_f32 v5, v5, v60
	s_delay_alu instid0(VALU_DEP_1) | instskip(NEXT) | instid1(VALU_DEP_1)
	v_add_f32_e32 v5, v56, v5
	v_add_f32_e32 v56, v64, v5
	s_delay_alu instid0(VALU_DEP_1) | instskip(NEXT) | instid1(VALU_DEP_1)
	v_mul_f32_e32 v58, v9, v56
	v_dual_sub_f32 v63, v64, v56 :: v_dual_mul_f32 v60, v59, v58
	s_delay_alu instid0(VALU_DEP_1) | instskip(NEXT) | instid1(VALU_DEP_2)
	v_add_f32_e32 v5, v5, v63
	v_fma_f32 v59, v58, v59, -v60
	s_delay_alu instid0(VALU_DEP_1) | instskip(NEXT) | instid1(VALU_DEP_1)
	v_fmac_f32_e32 v59, v58, v57
	v_add_f32_e32 v57, v60, v59
	s_delay_alu instid0(VALU_DEP_1) | instskip(NEXT) | instid1(VALU_DEP_1)
	v_sub_f32_e32 v62, v56, v57
	v_sub_f32_e32 v56, v56, v62
	s_delay_alu instid0(VALU_DEP_1) | instskip(NEXT) | instid1(VALU_DEP_1)
	v_sub_f32_e32 v56, v56, v57
	v_add_f32_e32 v5, v5, v56
	v_add_f32_e32 v56, v61, v58
	v_sub_f32_e32 v60, v57, v60
	s_delay_alu instid0(VALU_DEP_1) | instskip(NEXT) | instid1(VALU_DEP_1)
	v_sub_f32_e32 v57, v60, v59
	v_add_f32_e32 v5, v57, v5
	s_delay_alu instid0(VALU_DEP_4) | instskip(NEXT) | instid1(VALU_DEP_2)
	v_sub_f32_e32 v57, v56, v61
	v_add_f32_e32 v5, v62, v5
	s_delay_alu instid0(VALU_DEP_2) | instskip(NEXT) | instid1(VALU_DEP_2)
	v_sub_f32_e32 v57, v58, v57
	v_mul_f32_e32 v5, v9, v5
	s_delay_alu instid0(VALU_DEP_1) | instskip(NEXT) | instid1(VALU_DEP_1)
	v_add_f32_e32 v5, v57, v5
	v_add_f32_e32 v9, v56, v5
	s_delay_alu instid0(VALU_DEP_1) | instskip(NEXT) | instid1(VALU_DEP_1)
	v_mul_f32_e32 v57, v9, v9
	v_fmaak_f32 v58, s54, v57, 0x3ecc95a3
	v_mul_f32_e32 v59, v9, v57
	s_delay_alu instid0(VALU_DEP_2) | instskip(SKIP_1) | instid1(VALU_DEP_2)
	v_fmaak_f32 v57, v57, v58, 0x3f2aaada
	v_ldexp_f32 v58, v9, 1
	v_mul_f32_e32 v57, v59, v57
	s_delay_alu instid0(VALU_DEP_1) | instskip(NEXT) | instid1(VALU_DEP_1)
	v_dual_sub_f32 v9, v9, v56 :: v_dual_add_f32 v56, v58, v57
	v_sub_f32_e32 v5, v5, v9
	s_delay_alu instid0(VALU_DEP_2) | instskip(NEXT) | instid1(VALU_DEP_2)
	v_sub_f32_e32 v9, v56, v58
	v_ldexp_f32 v5, v5, 1
	s_delay_alu instid0(VALU_DEP_2) | instskip(SKIP_1) | instid1(VALU_DEP_1)
	v_sub_f32_e32 v9, v57, v9
	v_mul_f32_e32 v59, 0x3f317218, v4
	v_fma_f32 v58, 0x3f317218, v4, -v59
	s_delay_alu instid0(VALU_DEP_1) | instskip(NEXT) | instid1(VALU_DEP_1)
	v_fmac_f32_e32 v58, 0xb102e308, v4
	v_dual_add_f32 v4, v5, v9 :: v_dual_add_f32 v5, v59, v58
	s_delay_alu instid0(VALU_DEP_1) | instskip(NEXT) | instid1(VALU_DEP_1)
	v_add_f32_e32 v9, v56, v4
	v_add_f32_e32 v57, v5, v9
	v_sub_f32_e32 v56, v9, v56
	s_delay_alu instid0(VALU_DEP_2) | instskip(NEXT) | instid1(VALU_DEP_2)
	v_sub_f32_e32 v60, v57, v5
	v_dual_sub_f32 v4, v4, v56 :: v_dual_sub_f32 v59, v5, v59
	s_delay_alu instid0(VALU_DEP_2) | instskip(NEXT) | instid1(VALU_DEP_2)
	v_sub_f32_e32 v61, v57, v60
	v_dual_sub_f32 v9, v9, v60 :: v_dual_sub_f32 v58, v58, v59
	s_delay_alu instid0(VALU_DEP_1) | instskip(NEXT) | instid1(VALU_DEP_1)
	v_dual_sub_f32 v5, v5, v61 :: v_dual_add_f32 v56, v58, v4
	v_add_f32_e32 v5, v9, v5
	s_delay_alu instid0(VALU_DEP_2) | instskip(NEXT) | instid1(VALU_DEP_2)
	v_sub_f32_e32 v9, v56, v58
	v_add_f32_e32 v5, v56, v5
	s_delay_alu instid0(VALU_DEP_2) | instskip(SKIP_1) | instid1(VALU_DEP_2)
	v_sub_f32_e32 v56, v56, v9
	v_sub_f32_e32 v4, v4, v9
	v_dual_add_f32 v59, v57, v5 :: v_dual_sub_f32 v56, v58, v56
	s_delay_alu instid0(VALU_DEP_1) | instskip(NEXT) | instid1(VALU_DEP_1)
	v_dual_sub_f32 v9, v59, v57 :: v_dual_add_f32 v4, v4, v56
	v_sub_f32_e32 v5, v5, v9
	s_delay_alu instid0(VALU_DEP_1) | instskip(NEXT) | instid1(VALU_DEP_1)
	v_add_f32_e32 v4, v4, v5
	v_add_f32_e32 v4, v59, v4
	s_delay_alu instid0(VALU_DEP_1)
	v_cndmask_b32_e32 v58, v4, v8, vcc_lo
.LBB12_50:                              ;   in Loop: Header=BB12_12 Depth=1
	s_or_b32 exec_lo, exec_lo, s21
	v_lshlrev_b32_e32 v4, 16, v6
	s_delay_alu instid0(VALU_DEP_1) | instskip(NEXT) | instid1(VALU_DEP_1)
	v_add_f32_e32 v65, s60, v4
	v_cmp_ge_f32_e32 vcc_lo, 0x41a00000, v65
	s_and_b32 s20, s68, vcc_lo
	s_delay_alu instid0(SALU_CYCLE_1)
	s_and_saveexec_b32 s21, s20
	s_cbranch_execz .LBB12_52
; %bb.51:                               ;   in Loop: Header=BB12_12 Depth=1
	v_mul_f32_e32 v4, 0x3fb8aa3b, v65
	v_cmp_ngt_f32_e32 vcc_lo, 0xc2ce8ed0, v65
	s_delay_alu instid0(VALU_DEP_2) | instskip(SKIP_1) | instid1(VALU_DEP_2)
	v_rndne_f32_e32 v5, v4
	v_fma_f32 v8, 0x3fb8aa3b, v65, -v4
	v_sub_f32_e32 v4, v4, v5
	s_delay_alu instid0(VALU_DEP_2) | instskip(SKIP_1) | instid1(VALU_DEP_2)
	v_fmac_f32_e32 v8, 0x32a5705f, v65
	v_cvt_i32_f32_e32 v5, v5
	v_add_f32_e32 v4, v4, v8
	s_delay_alu instid0(VALU_DEP_1) | instskip(SKIP_2) | instid1(VALU_DEP_1)
	v_exp_f32_e32 v4, v4
	s_waitcnt_depctr 0xfff
	v_ldexp_f32 v4, v4, v5
	v_cndmask_b32_e32 v4, 0, v4, vcc_lo
	v_cmp_nlt_f32_e32 vcc_lo, 0x42b17218, v65
	s_delay_alu instid0(VALU_DEP_2) | instskip(NEXT) | instid1(VALU_DEP_1)
	v_cndmask_b32_e32 v8, 0x7f800000, v4, vcc_lo
	v_add_f32_e32 v9, 1.0, v8
	s_delay_alu instid0(VALU_DEP_1) | instskip(NEXT) | instid1(VALU_DEP_1)
	v_cvt_f64_f32_e32 v[4:5], v9
	v_frexp_exp_i32_f64_e32 v4, v[4:5]
	v_frexp_mant_f32_e32 v5, v9
	s_delay_alu instid0(VALU_DEP_1) | instskip(SKIP_1) | instid1(VALU_DEP_1)
	v_cmp_gt_f32_e32 vcc_lo, 0x3f2aaaab, v5
	v_add_f32_e32 v5, -1.0, v9
	v_sub_f32_e32 v57, v5, v9
	s_delay_alu instid0(VALU_DEP_1) | instskip(SKIP_2) | instid1(VALU_DEP_2)
	v_add_f32_e32 v57, 1.0, v57
	v_sub_f32_e32 v5, v8, v5
	v_cmp_gt_f32_e64 s20, 0x33800000, v8
	v_add_f32_e32 v5, v5, v57
	v_subrev_co_ci_u32_e32 v4, vcc_lo, 0, v4, vcc_lo
	v_cmp_eq_f32_e32 vcc_lo, 0x7f800000, v8
	s_delay_alu instid0(VALU_DEP_2) | instskip(SKIP_2) | instid1(VALU_DEP_2)
	v_sub_nc_u32_e32 v56, 0, v4
	v_cvt_f32_i32_e32 v4, v4
	s_or_b32 vcc_lo, s20, vcc_lo
	v_ldexp_f32 v9, v9, v56
	v_ldexp_f32 v5, v5, v56
	s_delay_alu instid0(VALU_DEP_2) | instskip(NEXT) | instid1(VALU_DEP_1)
	v_add_f32_e32 v59, 1.0, v9
	v_dual_add_f32 v56, -1.0, v9 :: v_dual_add_f32 v57, -1.0, v59
	s_delay_alu instid0(VALU_DEP_1) | instskip(NEXT) | instid1(VALU_DEP_1)
	v_dual_add_f32 v60, 1.0, v56 :: v_dual_sub_f32 v57, v9, v57
	v_sub_f32_e32 v9, v9, v60
	s_delay_alu instid0(VALU_DEP_2) | instskip(NEXT) | instid1(VALU_DEP_2)
	v_add_f32_e32 v57, v5, v57
	v_add_f32_e32 v5, v5, v9
	s_delay_alu instid0(VALU_DEP_2) | instskip(NEXT) | instid1(VALU_DEP_1)
	v_add_f32_e32 v60, v59, v57
	v_sub_f32_e32 v59, v59, v60
	s_delay_alu instid0(VALU_DEP_3) | instskip(NEXT) | instid1(VALU_DEP_2)
	v_add_f32_e32 v61, v56, v5
	v_add_f32_e32 v57, v57, v59
	v_rcp_f32_e32 v9, v60
	s_delay_alu instid0(VALU_DEP_2) | instskip(NEXT) | instid1(VALU_DEP_1)
	v_sub_f32_e32 v56, v56, v61
	v_add_f32_e32 v5, v5, v56
	s_waitcnt_depctr 0xfff
	v_mul_f32_e32 v62, v61, v9
	s_delay_alu instid0(VALU_DEP_1) | instskip(NEXT) | instid1(VALU_DEP_1)
	v_mul_f32_e32 v63, v60, v62
	v_fma_f32 v59, v62, v60, -v63
	s_delay_alu instid0(VALU_DEP_1) | instskip(NEXT) | instid1(VALU_DEP_1)
	v_fmac_f32_e32 v59, v62, v57
	v_add_f32_e32 v64, v63, v59
	s_delay_alu instid0(VALU_DEP_1) | instskip(NEXT) | instid1(VALU_DEP_1)
	v_dual_sub_f32 v65, v61, v64 :: v_dual_sub_f32 v56, v64, v63
	v_dual_sub_f32 v61, v61, v65 :: v_dual_sub_f32 v56, v56, v59
	s_delay_alu instid0(VALU_DEP_1) | instskip(NEXT) | instid1(VALU_DEP_1)
	v_sub_f32_e32 v61, v61, v64
	v_add_f32_e32 v5, v5, v61
	s_delay_alu instid0(VALU_DEP_1) | instskip(NEXT) | instid1(VALU_DEP_1)
	v_add_f32_e32 v5, v56, v5
	v_add_f32_e32 v56, v65, v5
	s_delay_alu instid0(VALU_DEP_1) | instskip(NEXT) | instid1(VALU_DEP_1)
	v_mul_f32_e32 v59, v9, v56
	v_dual_sub_f32 v64, v65, v56 :: v_dual_mul_f32 v61, v60, v59
	s_delay_alu instid0(VALU_DEP_1) | instskip(NEXT) | instid1(VALU_DEP_2)
	v_add_f32_e32 v5, v5, v64
	v_fma_f32 v60, v59, v60, -v61
	s_delay_alu instid0(VALU_DEP_1) | instskip(NEXT) | instid1(VALU_DEP_1)
	v_fmac_f32_e32 v60, v59, v57
	v_add_f32_e32 v57, v61, v60
	s_delay_alu instid0(VALU_DEP_1) | instskip(NEXT) | instid1(VALU_DEP_1)
	v_sub_f32_e32 v63, v56, v57
	v_dual_sub_f32 v61, v57, v61 :: v_dual_sub_f32 v56, v56, v63
	s_delay_alu instid0(VALU_DEP_1) | instskip(NEXT) | instid1(VALU_DEP_1)
	v_dual_sub_f32 v56, v56, v57 :: v_dual_sub_f32 v57, v61, v60
	v_dual_add_f32 v5, v5, v56 :: v_dual_add_f32 v56, v62, v59
	s_delay_alu instid0(VALU_DEP_1) | instskip(NEXT) | instid1(VALU_DEP_2)
	v_add_f32_e32 v5, v57, v5
	v_sub_f32_e32 v57, v56, v62
	s_delay_alu instid0(VALU_DEP_2) | instskip(NEXT) | instid1(VALU_DEP_2)
	v_add_f32_e32 v5, v63, v5
	v_sub_f32_e32 v57, v59, v57
	s_delay_alu instid0(VALU_DEP_2) | instskip(NEXT) | instid1(VALU_DEP_1)
	v_mul_f32_e32 v5, v9, v5
	v_add_f32_e32 v5, v57, v5
	s_delay_alu instid0(VALU_DEP_1) | instskip(NEXT) | instid1(VALU_DEP_1)
	v_add_f32_e32 v9, v56, v5
	v_mul_f32_e32 v57, v9, v9
	s_delay_alu instid0(VALU_DEP_1) | instskip(SKIP_1) | instid1(VALU_DEP_2)
	v_fmaak_f32 v59, s54, v57, 0x3ecc95a3
	v_mul_f32_e32 v60, v9, v57
	v_fmaak_f32 v57, v57, v59, 0x3f2aaada
	v_ldexp_f32 v59, v9, 1
	v_sub_f32_e32 v9, v9, v56
	s_delay_alu instid0(VALU_DEP_3) | instskip(NEXT) | instid1(VALU_DEP_2)
	v_dual_mul_f32 v57, v60, v57 :: v_dual_mul_f32 v60, 0x3f317218, v4
	v_sub_f32_e32 v5, v5, v9
	s_delay_alu instid0(VALU_DEP_2) | instskip(NEXT) | instid1(VALU_DEP_2)
	v_add_f32_e32 v56, v59, v57
	v_ldexp_f32 v5, v5, 1
	s_delay_alu instid0(VALU_DEP_2) | instskip(SKIP_1) | instid1(VALU_DEP_2)
	v_sub_f32_e32 v9, v56, v59
	v_fma_f32 v59, 0x3f317218, v4, -v60
	v_sub_f32_e32 v9, v57, v9
	s_delay_alu instid0(VALU_DEP_1) | instskip(NEXT) | instid1(VALU_DEP_1)
	v_dual_fmac_f32 v59, 0xb102e308, v4 :: v_dual_add_f32 v4, v5, v9
	v_add_f32_e32 v5, v60, v59
	s_delay_alu instid0(VALU_DEP_2) | instskip(NEXT) | instid1(VALU_DEP_2)
	v_add_f32_e32 v9, v56, v4
	v_sub_f32_e32 v60, v5, v60
	s_delay_alu instid0(VALU_DEP_2) | instskip(SKIP_1) | instid1(VALU_DEP_1)
	v_add_f32_e32 v57, v5, v9
	v_sub_f32_e32 v56, v9, v56
	v_dual_sub_f32 v61, v57, v5 :: v_dual_sub_f32 v4, v4, v56
	s_delay_alu instid0(VALU_DEP_1) | instskip(SKIP_1) | instid1(VALU_DEP_2)
	v_dual_sub_f32 v62, v57, v61 :: v_dual_sub_f32 v59, v59, v60
	v_sub_f32_e32 v9, v9, v61
	v_dual_sub_f32 v5, v5, v62 :: v_dual_add_f32 v56, v59, v4
	s_delay_alu instid0(VALU_DEP_1) | instskip(NEXT) | instid1(VALU_DEP_2)
	v_add_f32_e32 v5, v9, v5
	v_sub_f32_e32 v9, v56, v59
	s_delay_alu instid0(VALU_DEP_2) | instskip(NEXT) | instid1(VALU_DEP_2)
	v_add_f32_e32 v5, v56, v5
	v_sub_f32_e32 v56, v56, v9
	v_sub_f32_e32 v4, v4, v9
	s_delay_alu instid0(VALU_DEP_3) | instskip(NEXT) | instid1(VALU_DEP_1)
	v_add_f32_e32 v60, v57, v5
	v_dual_sub_f32 v56, v59, v56 :: v_dual_sub_f32 v9, v60, v57
	s_delay_alu instid0(VALU_DEP_1) | instskip(NEXT) | instid1(VALU_DEP_1)
	v_dual_add_f32 v4, v4, v56 :: v_dual_sub_f32 v5, v5, v9
	v_add_f32_e32 v4, v4, v5
	s_delay_alu instid0(VALU_DEP_1) | instskip(NEXT) | instid1(VALU_DEP_1)
	v_add_f32_e32 v4, v60, v4
	v_cndmask_b32_e32 v65, v4, v8, vcc_lo
.LBB12_52:                              ;   in Loop: Header=BB12_12 Depth=1
	s_or_b32 exec_lo, exec_lo, s21
	v_and_b32_e32 v4, 0xffff0000, v6
	s_delay_alu instid0(VALU_DEP_1) | instskip(NEXT) | instid1(VALU_DEP_1)
	v_add_f32_e32 v66, s60, v4
	v_cmp_ge_f32_e32 vcc_lo, 0x41a00000, v66
	s_and_b32 s20, s68, vcc_lo
	s_delay_alu instid0(SALU_CYCLE_1)
	s_and_saveexec_b32 s21, s20
	s_cbranch_execz .LBB12_54
; %bb.53:                               ;   in Loop: Header=BB12_12 Depth=1
	v_mul_f32_e32 v4, 0x3fb8aa3b, v66
	v_cmp_ngt_f32_e32 vcc_lo, 0xc2ce8ed0, v66
	s_delay_alu instid0(VALU_DEP_2) | instskip(SKIP_1) | instid1(VALU_DEP_2)
	v_rndne_f32_e32 v5, v4
	v_fma_f32 v6, 0x3fb8aa3b, v66, -v4
	v_sub_f32_e32 v4, v4, v5
	s_delay_alu instid0(VALU_DEP_2) | instskip(SKIP_1) | instid1(VALU_DEP_2)
	v_fmac_f32_e32 v6, 0x32a5705f, v66
	v_cvt_i32_f32_e32 v5, v5
	v_add_f32_e32 v4, v4, v6
	s_delay_alu instid0(VALU_DEP_1) | instskip(SKIP_2) | instid1(VALU_DEP_1)
	v_exp_f32_e32 v4, v4
	s_waitcnt_depctr 0xfff
	v_ldexp_f32 v4, v4, v5
	v_cndmask_b32_e32 v4, 0, v4, vcc_lo
	v_cmp_nlt_f32_e32 vcc_lo, 0x42b17218, v66
	s_delay_alu instid0(VALU_DEP_2) | instskip(NEXT) | instid1(VALU_DEP_1)
	v_cndmask_b32_e32 v6, 0x7f800000, v4, vcc_lo
	v_add_f32_e32 v8, 1.0, v6
	s_delay_alu instid0(VALU_DEP_1) | instskip(NEXT) | instid1(VALU_DEP_1)
	v_cvt_f64_f32_e32 v[4:5], v8
	v_frexp_exp_i32_f64_e32 v4, v[4:5]
	v_frexp_mant_f32_e32 v5, v8
	s_delay_alu instid0(VALU_DEP_1) | instskip(SKIP_1) | instid1(VALU_DEP_1)
	v_cmp_gt_f32_e32 vcc_lo, 0x3f2aaaab, v5
	v_add_f32_e32 v5, -1.0, v8
	v_dual_sub_f32 v56, v5, v8 :: v_dual_sub_f32 v5, v6, v5
	s_delay_alu instid0(VALU_DEP_1) | instskip(NEXT) | instid1(VALU_DEP_1)
	v_add_f32_e32 v56, 1.0, v56
	v_add_f32_e32 v5, v5, v56
	v_subrev_co_ci_u32_e32 v4, vcc_lo, 0, v4, vcc_lo
	s_delay_alu instid0(VALU_DEP_1) | instskip(SKIP_1) | instid1(VALU_DEP_2)
	v_sub_nc_u32_e32 v9, 0, v4
	v_cvt_f32_i32_e32 v4, v4
	v_ldexp_f32 v8, v8, v9
	v_ldexp_f32 v5, v5, v9
	s_delay_alu instid0(VALU_DEP_2) | instskip(NEXT) | instid1(VALU_DEP_1)
	v_add_f32_e32 v57, 1.0, v8
	v_dual_add_f32 v9, -1.0, v8 :: v_dual_add_f32 v56, -1.0, v57
	s_delay_alu instid0(VALU_DEP_1) | instskip(NEXT) | instid1(VALU_DEP_1)
	v_dual_add_f32 v59, 1.0, v9 :: v_dual_sub_f32 v56, v8, v56
	v_sub_f32_e32 v8, v8, v59
	s_delay_alu instid0(VALU_DEP_2) | instskip(NEXT) | instid1(VALU_DEP_1)
	v_add_f32_e32 v56, v5, v56
	v_add_f32_e32 v59, v57, v56
	s_delay_alu instid0(VALU_DEP_3) | instskip(NEXT) | instid1(VALU_DEP_2)
	v_add_f32_e32 v5, v5, v8
	v_rcp_f32_e32 v8, v59
	s_delay_alu instid0(VALU_DEP_1) | instskip(SKIP_3) | instid1(VALU_DEP_3)
	v_add_f32_e32 v60, v9, v5
	v_sub_f32_e32 v57, v57, v59
	v_cmp_eq_f32_e32 vcc_lo, 0x7f800000, v6
	v_cmp_gt_f32_e64 s20, 0x33800000, v6
	v_dual_sub_f32 v9, v9, v60 :: v_dual_add_f32 v56, v56, v57
	s_delay_alu instid0(VALU_DEP_2) | instskip(SKIP_2) | instid1(VALU_DEP_1)
	s_or_b32 vcc_lo, s20, vcc_lo
	s_waitcnt_depctr 0xfff
	v_mul_f32_e32 v61, v60, v8
	v_mul_f32_e32 v62, v59, v61
	v_add_f32_e32 v5, v5, v9
	s_delay_alu instid0(VALU_DEP_2) | instskip(NEXT) | instid1(VALU_DEP_1)
	v_fma_f32 v57, v61, v59, -v62
	v_fmac_f32_e32 v57, v61, v56
	s_delay_alu instid0(VALU_DEP_1) | instskip(NEXT) | instid1(VALU_DEP_1)
	v_add_f32_e32 v63, v62, v57
	v_dual_sub_f32 v9, v63, v62 :: v_dual_sub_f32 v64, v60, v63
	s_delay_alu instid0(VALU_DEP_1) | instskip(NEXT) | instid1(VALU_DEP_1)
	v_dual_sub_f32 v9, v9, v57 :: v_dual_sub_f32 v60, v60, v64
	v_sub_f32_e32 v60, v60, v63
	s_delay_alu instid0(VALU_DEP_1) | instskip(NEXT) | instid1(VALU_DEP_1)
	v_add_f32_e32 v5, v5, v60
	v_add_f32_e32 v5, v9, v5
	s_delay_alu instid0(VALU_DEP_1) | instskip(NEXT) | instid1(VALU_DEP_1)
	v_add_f32_e32 v9, v64, v5
	v_mul_f32_e32 v57, v8, v9
	s_delay_alu instid0(VALU_DEP_1) | instskip(NEXT) | instid1(VALU_DEP_1)
	v_mul_f32_e32 v60, v59, v57
	v_fma_f32 v59, v57, v59, -v60
	s_delay_alu instid0(VALU_DEP_1) | instskip(NEXT) | instid1(VALU_DEP_1)
	v_fmac_f32_e32 v59, v57, v56
	v_add_f32_e32 v56, v60, v59
	s_delay_alu instid0(VALU_DEP_1) | instskip(NEXT) | instid1(VALU_DEP_1)
	v_dual_sub_f32 v62, v9, v56 :: v_dual_sub_f32 v63, v64, v9
	v_dual_sub_f32 v60, v56, v60 :: v_dual_sub_f32 v9, v9, v62
	s_delay_alu instid0(VALU_DEP_2) | instskip(NEXT) | instid1(VALU_DEP_2)
	v_add_f32_e32 v5, v5, v63
	v_dual_sub_f32 v9, v9, v56 :: v_dual_sub_f32 v56, v60, v59
	s_delay_alu instid0(VALU_DEP_1) | instskip(SKIP_1) | instid1(VALU_DEP_2)
	v_add_f32_e32 v5, v5, v9
	v_add_f32_e32 v9, v61, v57
	;; [unrolled: 1-line block ×3, first 2 shown]
	s_delay_alu instid0(VALU_DEP_2) | instskip(NEXT) | instid1(VALU_DEP_1)
	v_sub_f32_e32 v56, v9, v61
	v_dual_add_f32 v5, v62, v5 :: v_dual_sub_f32 v56, v57, v56
	s_delay_alu instid0(VALU_DEP_1) | instskip(NEXT) | instid1(VALU_DEP_1)
	v_mul_f32_e32 v5, v8, v5
	v_add_f32_e32 v5, v56, v5
	s_delay_alu instid0(VALU_DEP_1) | instskip(NEXT) | instid1(VALU_DEP_1)
	v_add_f32_e32 v8, v9, v5
	v_mul_f32_e32 v56, v8, v8
	s_delay_alu instid0(VALU_DEP_1) | instskip(SKIP_1) | instid1(VALU_DEP_2)
	v_fmaak_f32 v57, s54, v56, 0x3ecc95a3
	v_mul_f32_e32 v59, v8, v56
	v_fmaak_f32 v56, v56, v57, 0x3f2aaada
	v_ldexp_f32 v57, v8, 1
	v_sub_f32_e32 v8, v8, v9
	s_delay_alu instid0(VALU_DEP_1) | instskip(NEXT) | instid1(VALU_DEP_4)
	v_sub_f32_e32 v5, v5, v8
	v_mul_f32_e32 v56, v59, v56
	v_mul_f32_e32 v59, 0x3f317218, v4
	s_delay_alu instid0(VALU_DEP_3) | instskip(NEXT) | instid1(VALU_DEP_3)
	v_ldexp_f32 v5, v5, 1
	v_add_f32_e32 v9, v57, v56
	s_delay_alu instid0(VALU_DEP_1) | instskip(NEXT) | instid1(VALU_DEP_4)
	v_sub_f32_e32 v8, v9, v57
	v_fma_f32 v57, 0x3f317218, v4, -v59
	s_delay_alu instid0(VALU_DEP_2) | instskip(NEXT) | instid1(VALU_DEP_2)
	v_sub_f32_e32 v8, v56, v8
	v_fmac_f32_e32 v57, 0xb102e308, v4
	s_delay_alu instid0(VALU_DEP_1) | instskip(NEXT) | instid1(VALU_DEP_1)
	v_dual_add_f32 v4, v5, v8 :: v_dual_add_f32 v5, v59, v57
	v_add_f32_e32 v8, v9, v4
	s_delay_alu instid0(VALU_DEP_2) | instskip(NEXT) | instid1(VALU_DEP_2)
	v_sub_f32_e32 v59, v5, v59
	v_dual_add_f32 v56, v5, v8 :: v_dual_sub_f32 v9, v8, v9
	s_delay_alu instid0(VALU_DEP_1) | instskip(NEXT) | instid1(VALU_DEP_2)
	v_dual_sub_f32 v57, v57, v59 :: v_dual_sub_f32 v60, v56, v5
	v_sub_f32_e32 v4, v4, v9
	s_delay_alu instid0(VALU_DEP_2) | instskip(NEXT) | instid1(VALU_DEP_2)
	v_sub_f32_e32 v8, v8, v60
	v_add_f32_e32 v9, v57, v4
	v_sub_f32_e32 v61, v56, v60
	s_delay_alu instid0(VALU_DEP_1) | instskip(NEXT) | instid1(VALU_DEP_1)
	v_sub_f32_e32 v5, v5, v61
	v_add_f32_e32 v5, v8, v5
	s_delay_alu instid0(VALU_DEP_4) | instskip(NEXT) | instid1(VALU_DEP_2)
	v_sub_f32_e32 v8, v9, v57
	v_add_f32_e32 v5, v9, v5
	s_delay_alu instid0(VALU_DEP_2) | instskip(SKIP_1) | instid1(VALU_DEP_3)
	v_sub_f32_e32 v9, v9, v8
	v_sub_f32_e32 v4, v4, v8
	v_add_f32_e32 v59, v56, v5
	s_delay_alu instid0(VALU_DEP_1) | instskip(NEXT) | instid1(VALU_DEP_1)
	v_dual_sub_f32 v9, v57, v9 :: v_dual_sub_f32 v8, v59, v56
	v_dual_add_f32 v4, v4, v9 :: v_dual_sub_f32 v5, v5, v8
	s_delay_alu instid0(VALU_DEP_1) | instskip(NEXT) | instid1(VALU_DEP_1)
	v_add_f32_e32 v4, v4, v5
	v_add_f32_e32 v4, v59, v4
	s_delay_alu instid0(VALU_DEP_1)
	v_cndmask_b32_e32 v66, v4, v6, vcc_lo
.LBB12_54:                              ;   in Loop: Header=BB12_12 Depth=1
	s_or_b32 exec_lo, exec_lo, s21
	v_lshlrev_b32_e32 v4, 16, v7
	s_delay_alu instid0(VALU_DEP_1) | instskip(NEXT) | instid1(VALU_DEP_1)
	v_add_f32_e32 v67, s60, v4
	v_cmp_ge_f32_e32 vcc_lo, 0x41a00000, v67
	s_and_b32 s20, s68, vcc_lo
	s_delay_alu instid0(SALU_CYCLE_1)
	s_and_saveexec_b32 s21, s20
	s_cbranch_execz .LBB12_56
; %bb.55:                               ;   in Loop: Header=BB12_12 Depth=1
	v_mul_f32_e32 v4, 0x3fb8aa3b, v67
	v_cmp_ngt_f32_e32 vcc_lo, 0xc2ce8ed0, v67
	s_delay_alu instid0(VALU_DEP_2) | instskip(SKIP_1) | instid1(VALU_DEP_2)
	v_rndne_f32_e32 v5, v4
	v_fma_f32 v6, 0x3fb8aa3b, v67, -v4
	v_sub_f32_e32 v4, v4, v5
	s_delay_alu instid0(VALU_DEP_2) | instskip(SKIP_1) | instid1(VALU_DEP_2)
	v_fmac_f32_e32 v6, 0x32a5705f, v67
	v_cvt_i32_f32_e32 v5, v5
	v_add_f32_e32 v4, v4, v6
	s_delay_alu instid0(VALU_DEP_1) | instskip(SKIP_2) | instid1(VALU_DEP_1)
	v_exp_f32_e32 v4, v4
	s_waitcnt_depctr 0xfff
	v_ldexp_f32 v4, v4, v5
	v_cndmask_b32_e32 v4, 0, v4, vcc_lo
	v_cmp_nlt_f32_e32 vcc_lo, 0x42b17218, v67
	s_delay_alu instid0(VALU_DEP_2) | instskip(NEXT) | instid1(VALU_DEP_1)
	v_cndmask_b32_e32 v6, 0x7f800000, v4, vcc_lo
	v_add_f32_e32 v8, 1.0, v6
	s_delay_alu instid0(VALU_DEP_1) | instskip(NEXT) | instid1(VALU_DEP_1)
	v_cvt_f64_f32_e32 v[4:5], v8
	v_frexp_exp_i32_f64_e32 v4, v[4:5]
	v_frexp_mant_f32_e32 v5, v8
	s_delay_alu instid0(VALU_DEP_1) | instskip(SKIP_1) | instid1(VALU_DEP_1)
	v_cmp_gt_f32_e32 vcc_lo, 0x3f2aaaab, v5
	v_add_f32_e32 v5, -1.0, v8
	v_dual_sub_f32 v56, v5, v8 :: v_dual_sub_f32 v5, v6, v5
	s_delay_alu instid0(VALU_DEP_1) | instskip(NEXT) | instid1(VALU_DEP_1)
	v_add_f32_e32 v56, 1.0, v56
	v_add_f32_e32 v5, v5, v56
	v_subrev_co_ci_u32_e32 v4, vcc_lo, 0, v4, vcc_lo
	s_delay_alu instid0(VALU_DEP_1) | instskip(SKIP_1) | instid1(VALU_DEP_2)
	v_sub_nc_u32_e32 v9, 0, v4
	v_cvt_f32_i32_e32 v4, v4
	v_ldexp_f32 v8, v8, v9
	v_ldexp_f32 v5, v5, v9
	s_delay_alu instid0(VALU_DEP_2) | instskip(NEXT) | instid1(VALU_DEP_1)
	v_add_f32_e32 v57, 1.0, v8
	v_dual_add_f32 v9, -1.0, v8 :: v_dual_add_f32 v56, -1.0, v57
	s_delay_alu instid0(VALU_DEP_1) | instskip(NEXT) | instid1(VALU_DEP_1)
	v_dual_add_f32 v59, 1.0, v9 :: v_dual_sub_f32 v56, v8, v56
	v_sub_f32_e32 v8, v8, v59
	s_delay_alu instid0(VALU_DEP_2) | instskip(NEXT) | instid1(VALU_DEP_1)
	v_add_f32_e32 v56, v5, v56
	v_add_f32_e32 v59, v57, v56
	s_delay_alu instid0(VALU_DEP_3) | instskip(NEXT) | instid1(VALU_DEP_2)
	v_add_f32_e32 v5, v5, v8
	v_rcp_f32_e32 v8, v59
	s_delay_alu instid0(VALU_DEP_1) | instskip(SKIP_3) | instid1(VALU_DEP_3)
	v_add_f32_e32 v60, v9, v5
	v_sub_f32_e32 v57, v57, v59
	v_cmp_eq_f32_e32 vcc_lo, 0x7f800000, v6
	v_cmp_gt_f32_e64 s20, 0x33800000, v6
	v_dual_sub_f32 v9, v9, v60 :: v_dual_add_f32 v56, v56, v57
	s_delay_alu instid0(VALU_DEP_2) | instskip(SKIP_2) | instid1(VALU_DEP_1)
	s_or_b32 vcc_lo, s20, vcc_lo
	s_waitcnt_depctr 0xfff
	v_mul_f32_e32 v61, v60, v8
	v_mul_f32_e32 v62, v59, v61
	v_add_f32_e32 v5, v5, v9
	s_delay_alu instid0(VALU_DEP_2) | instskip(NEXT) | instid1(VALU_DEP_1)
	v_fma_f32 v57, v61, v59, -v62
	v_fmac_f32_e32 v57, v61, v56
	s_delay_alu instid0(VALU_DEP_1) | instskip(NEXT) | instid1(VALU_DEP_1)
	v_add_f32_e32 v63, v62, v57
	v_dual_sub_f32 v9, v63, v62 :: v_dual_sub_f32 v64, v60, v63
	s_delay_alu instid0(VALU_DEP_1) | instskip(NEXT) | instid1(VALU_DEP_1)
	v_dual_sub_f32 v9, v9, v57 :: v_dual_sub_f32 v60, v60, v64
	v_sub_f32_e32 v60, v60, v63
	s_delay_alu instid0(VALU_DEP_1) | instskip(NEXT) | instid1(VALU_DEP_1)
	v_add_f32_e32 v5, v5, v60
	v_add_f32_e32 v5, v9, v5
	s_delay_alu instid0(VALU_DEP_1) | instskip(NEXT) | instid1(VALU_DEP_1)
	v_add_f32_e32 v9, v64, v5
	v_mul_f32_e32 v57, v8, v9
	s_delay_alu instid0(VALU_DEP_1) | instskip(NEXT) | instid1(VALU_DEP_1)
	v_mul_f32_e32 v60, v59, v57
	v_fma_f32 v59, v57, v59, -v60
	s_delay_alu instid0(VALU_DEP_1) | instskip(NEXT) | instid1(VALU_DEP_1)
	v_fmac_f32_e32 v59, v57, v56
	v_add_f32_e32 v56, v60, v59
	s_delay_alu instid0(VALU_DEP_1) | instskip(NEXT) | instid1(VALU_DEP_1)
	v_dual_sub_f32 v62, v9, v56 :: v_dual_sub_f32 v63, v64, v9
	v_dual_sub_f32 v60, v56, v60 :: v_dual_sub_f32 v9, v9, v62
	s_delay_alu instid0(VALU_DEP_2) | instskip(NEXT) | instid1(VALU_DEP_2)
	v_add_f32_e32 v5, v5, v63
	v_dual_sub_f32 v9, v9, v56 :: v_dual_sub_f32 v56, v60, v59
	s_delay_alu instid0(VALU_DEP_1) | instskip(SKIP_1) | instid1(VALU_DEP_2)
	v_add_f32_e32 v5, v5, v9
	v_add_f32_e32 v9, v61, v57
	;; [unrolled: 1-line block ×3, first 2 shown]
	s_delay_alu instid0(VALU_DEP_2) | instskip(NEXT) | instid1(VALU_DEP_1)
	v_sub_f32_e32 v56, v9, v61
	v_dual_add_f32 v5, v62, v5 :: v_dual_sub_f32 v56, v57, v56
	s_delay_alu instid0(VALU_DEP_1) | instskip(NEXT) | instid1(VALU_DEP_1)
	v_mul_f32_e32 v5, v8, v5
	v_add_f32_e32 v5, v56, v5
	s_delay_alu instid0(VALU_DEP_1) | instskip(NEXT) | instid1(VALU_DEP_1)
	v_add_f32_e32 v8, v9, v5
	v_mul_f32_e32 v56, v8, v8
	s_delay_alu instid0(VALU_DEP_1) | instskip(SKIP_1) | instid1(VALU_DEP_2)
	v_fmaak_f32 v57, s54, v56, 0x3ecc95a3
	v_mul_f32_e32 v59, v8, v56
	v_fmaak_f32 v56, v56, v57, 0x3f2aaada
	v_ldexp_f32 v57, v8, 1
	v_sub_f32_e32 v8, v8, v9
	s_delay_alu instid0(VALU_DEP_1) | instskip(NEXT) | instid1(VALU_DEP_4)
	v_sub_f32_e32 v5, v5, v8
	v_mul_f32_e32 v56, v59, v56
	v_mul_f32_e32 v59, 0x3f317218, v4
	s_delay_alu instid0(VALU_DEP_3) | instskip(NEXT) | instid1(VALU_DEP_3)
	v_ldexp_f32 v5, v5, 1
	v_add_f32_e32 v9, v57, v56
	s_delay_alu instid0(VALU_DEP_1) | instskip(NEXT) | instid1(VALU_DEP_4)
	v_sub_f32_e32 v8, v9, v57
	v_fma_f32 v57, 0x3f317218, v4, -v59
	s_delay_alu instid0(VALU_DEP_2) | instskip(NEXT) | instid1(VALU_DEP_2)
	v_sub_f32_e32 v8, v56, v8
	v_fmac_f32_e32 v57, 0xb102e308, v4
	s_delay_alu instid0(VALU_DEP_1) | instskip(NEXT) | instid1(VALU_DEP_1)
	v_dual_add_f32 v4, v5, v8 :: v_dual_add_f32 v5, v59, v57
	v_add_f32_e32 v8, v9, v4
	s_delay_alu instid0(VALU_DEP_2) | instskip(NEXT) | instid1(VALU_DEP_2)
	v_sub_f32_e32 v59, v5, v59
	v_dual_add_f32 v56, v5, v8 :: v_dual_sub_f32 v9, v8, v9
	s_delay_alu instid0(VALU_DEP_1) | instskip(NEXT) | instid1(VALU_DEP_2)
	v_dual_sub_f32 v57, v57, v59 :: v_dual_sub_f32 v60, v56, v5
	v_sub_f32_e32 v4, v4, v9
	s_delay_alu instid0(VALU_DEP_2) | instskip(NEXT) | instid1(VALU_DEP_2)
	v_sub_f32_e32 v8, v8, v60
	v_add_f32_e32 v9, v57, v4
	v_sub_f32_e32 v61, v56, v60
	s_delay_alu instid0(VALU_DEP_1) | instskip(NEXT) | instid1(VALU_DEP_1)
	v_sub_f32_e32 v5, v5, v61
	v_add_f32_e32 v5, v8, v5
	s_delay_alu instid0(VALU_DEP_4) | instskip(NEXT) | instid1(VALU_DEP_1)
	v_sub_f32_e32 v8, v9, v57
	v_dual_add_f32 v5, v9, v5 :: v_dual_sub_f32 v4, v4, v8
	v_sub_f32_e32 v9, v9, v8
	s_delay_alu instid0(VALU_DEP_2) | instskip(NEXT) | instid1(VALU_DEP_1)
	v_add_f32_e32 v59, v56, v5
	v_dual_sub_f32 v9, v57, v9 :: v_dual_sub_f32 v8, v59, v56
	s_delay_alu instid0(VALU_DEP_1) | instskip(NEXT) | instid1(VALU_DEP_1)
	v_dual_add_f32 v4, v4, v9 :: v_dual_sub_f32 v5, v5, v8
	v_add_f32_e32 v4, v4, v5
	s_delay_alu instid0(VALU_DEP_1) | instskip(NEXT) | instid1(VALU_DEP_1)
	v_add_f32_e32 v4, v59, v4
	v_cndmask_b32_e32 v67, v4, v6, vcc_lo
.LBB12_56:                              ;   in Loop: Header=BB12_12 Depth=1
	s_or_b32 exec_lo, exec_lo, s21
	v_and_b32_e32 v4, 0xffff0000, v7
	s_delay_alu instid0(VALU_DEP_1) | instskip(NEXT) | instid1(VALU_DEP_1)
	v_add_f32_e32 v68, s60, v4
	v_cmp_ge_f32_e32 vcc_lo, 0x41a00000, v68
	s_and_b32 s20, s68, vcc_lo
	s_delay_alu instid0(SALU_CYCLE_1)
	s_and_saveexec_b32 s21, s20
	s_cbranch_execz .LBB12_58
; %bb.57:                               ;   in Loop: Header=BB12_12 Depth=1
	v_mul_f32_e32 v4, 0x3fb8aa3b, v68
	v_cmp_ngt_f32_e32 vcc_lo, 0xc2ce8ed0, v68
	s_delay_alu instid0(VALU_DEP_2) | instskip(SKIP_1) | instid1(VALU_DEP_2)
	v_rndne_f32_e32 v5, v4
	v_fma_f32 v6, 0x3fb8aa3b, v68, -v4
	v_sub_f32_e32 v4, v4, v5
	s_delay_alu instid0(VALU_DEP_2) | instskip(SKIP_1) | instid1(VALU_DEP_2)
	v_fmac_f32_e32 v6, 0x32a5705f, v68
	v_cvt_i32_f32_e32 v5, v5
	v_add_f32_e32 v4, v4, v6
	s_delay_alu instid0(VALU_DEP_1) | instskip(SKIP_2) | instid1(VALU_DEP_1)
	v_exp_f32_e32 v4, v4
	s_waitcnt_depctr 0xfff
	v_ldexp_f32 v4, v4, v5
	v_cndmask_b32_e32 v4, 0, v4, vcc_lo
	v_cmp_nlt_f32_e32 vcc_lo, 0x42b17218, v68
	s_delay_alu instid0(VALU_DEP_2) | instskip(NEXT) | instid1(VALU_DEP_1)
	v_cndmask_b32_e32 v6, 0x7f800000, v4, vcc_lo
	v_add_f32_e32 v7, 1.0, v6
	s_delay_alu instid0(VALU_DEP_1) | instskip(NEXT) | instid1(VALU_DEP_1)
	v_cvt_f64_f32_e32 v[4:5], v7
	v_frexp_exp_i32_f64_e32 v4, v[4:5]
	v_frexp_mant_f32_e32 v5, v7
	s_delay_alu instid0(VALU_DEP_1) | instskip(SKIP_1) | instid1(VALU_DEP_1)
	v_cmp_gt_f32_e32 vcc_lo, 0x3f2aaaab, v5
	v_add_f32_e32 v5, -1.0, v7
	v_sub_f32_e32 v9, v5, v7
	v_sub_f32_e32 v5, v6, v5
	s_delay_alu instid0(VALU_DEP_2) | instskip(NEXT) | instid1(VALU_DEP_1)
	v_add_f32_e32 v9, 1.0, v9
	v_add_f32_e32 v5, v5, v9
	v_cmp_gt_f32_e64 s20, 0x33800000, v6
	v_subrev_co_ci_u32_e32 v4, vcc_lo, 0, v4, vcc_lo
	v_cmp_eq_f32_e32 vcc_lo, 0x7f800000, v6
	s_delay_alu instid0(VALU_DEP_2) | instskip(SKIP_2) | instid1(VALU_DEP_2)
	v_sub_nc_u32_e32 v8, 0, v4
	v_cvt_f32_i32_e32 v4, v4
	s_or_b32 vcc_lo, s20, vcc_lo
	v_ldexp_f32 v7, v7, v8
	v_ldexp_f32 v5, v5, v8
	s_delay_alu instid0(VALU_DEP_2) | instskip(NEXT) | instid1(VALU_DEP_1)
	v_add_f32_e32 v56, 1.0, v7
	v_dual_add_f32 v8, -1.0, v7 :: v_dual_add_f32 v9, -1.0, v56
	s_delay_alu instid0(VALU_DEP_1) | instskip(NEXT) | instid1(VALU_DEP_2)
	v_add_f32_e32 v57, 1.0, v8
	v_sub_f32_e32 v9, v7, v9
	s_delay_alu instid0(VALU_DEP_2) | instskip(NEXT) | instid1(VALU_DEP_2)
	v_sub_f32_e32 v7, v7, v57
	v_add_f32_e32 v9, v5, v9
	s_delay_alu instid0(VALU_DEP_2) | instskip(NEXT) | instid1(VALU_DEP_1)
	v_add_f32_e32 v5, v5, v7
	v_add_f32_e32 v59, v8, v5
	s_delay_alu instid0(VALU_DEP_1) | instskip(NEXT) | instid1(VALU_DEP_4)
	v_sub_f32_e32 v8, v8, v59
	v_add_f32_e32 v57, v56, v9
	s_delay_alu instid0(VALU_DEP_1) | instskip(NEXT) | instid1(VALU_DEP_2)
	v_rcp_f32_e32 v7, v57
	v_dual_sub_f32 v56, v56, v57 :: v_dual_add_f32 v5, v5, v8
	s_waitcnt_depctr 0xfff
	v_dual_add_f32 v9, v9, v56 :: v_dual_mul_f32 v60, v59, v7
	s_delay_alu instid0(VALU_DEP_1) | instskip(NEXT) | instid1(VALU_DEP_1)
	v_mul_f32_e32 v61, v57, v60
	v_fma_f32 v56, v60, v57, -v61
	s_delay_alu instid0(VALU_DEP_1) | instskip(NEXT) | instid1(VALU_DEP_1)
	v_fmac_f32_e32 v56, v60, v9
	v_add_f32_e32 v62, v61, v56
	s_delay_alu instid0(VALU_DEP_1) | instskip(NEXT) | instid1(VALU_DEP_1)
	v_dual_sub_f32 v8, v62, v61 :: v_dual_sub_f32 v63, v59, v62
	v_dual_sub_f32 v8, v8, v56 :: v_dual_sub_f32 v59, v59, v63
	s_delay_alu instid0(VALU_DEP_1) | instskip(NEXT) | instid1(VALU_DEP_1)
	v_sub_f32_e32 v59, v59, v62
	v_add_f32_e32 v5, v5, v59
	s_delay_alu instid0(VALU_DEP_1) | instskip(NEXT) | instid1(VALU_DEP_1)
	v_add_f32_e32 v5, v8, v5
	v_add_f32_e32 v8, v63, v5
	s_delay_alu instid0(VALU_DEP_1) | instskip(NEXT) | instid1(VALU_DEP_1)
	v_mul_f32_e32 v56, v7, v8
	v_mul_f32_e32 v59, v57, v56
	v_sub_f32_e32 v62, v63, v8
	s_delay_alu instid0(VALU_DEP_2) | instskip(NEXT) | instid1(VALU_DEP_2)
	v_fma_f32 v57, v56, v57, -v59
	v_add_f32_e32 v5, v5, v62
	s_delay_alu instid0(VALU_DEP_2) | instskip(NEXT) | instid1(VALU_DEP_1)
	v_fmac_f32_e32 v57, v56, v9
	v_add_f32_e32 v9, v59, v57
	s_delay_alu instid0(VALU_DEP_1) | instskip(NEXT) | instid1(VALU_DEP_1)
	v_sub_f32_e32 v61, v8, v9
	v_dual_sub_f32 v59, v9, v59 :: v_dual_sub_f32 v8, v8, v61
	s_delay_alu instid0(VALU_DEP_1) | instskip(NEXT) | instid1(VALU_DEP_2)
	v_sub_f32_e32 v8, v8, v9
	v_sub_f32_e32 v9, v59, v57
	s_delay_alu instid0(VALU_DEP_2) | instskip(NEXT) | instid1(VALU_DEP_1)
	v_add_f32_e32 v5, v5, v8
	v_dual_add_f32 v8, v60, v56 :: v_dual_add_f32 v5, v9, v5
	s_delay_alu instid0(VALU_DEP_1) | instskip(NEXT) | instid1(VALU_DEP_2)
	v_sub_f32_e32 v9, v8, v60
	v_add_f32_e32 v5, v61, v5
	s_delay_alu instid0(VALU_DEP_2) | instskip(NEXT) | instid1(VALU_DEP_2)
	v_sub_f32_e32 v9, v56, v9
	v_mul_f32_e32 v5, v7, v5
	s_delay_alu instid0(VALU_DEP_1) | instskip(NEXT) | instid1(VALU_DEP_1)
	v_add_f32_e32 v5, v9, v5
	v_add_f32_e32 v7, v8, v5
	s_delay_alu instid0(VALU_DEP_1) | instskip(NEXT) | instid1(VALU_DEP_1)
	v_mul_f32_e32 v9, v7, v7
	v_fmaak_f32 v56, s54, v9, 0x3ecc95a3
	v_mul_f32_e32 v57, v7, v9
	s_delay_alu instid0(VALU_DEP_2) | instskip(SKIP_2) | instid1(VALU_DEP_3)
	v_fmaak_f32 v9, v9, v56, 0x3f2aaada
	v_ldexp_f32 v56, v7, 1
	v_sub_f32_e32 v7, v7, v8
	v_mul_f32_e32 v9, v57, v9
	v_mul_f32_e32 v57, 0x3f317218, v4
	s_delay_alu instid0(VALU_DEP_2) | instskip(NEXT) | instid1(VALU_DEP_1)
	v_dual_sub_f32 v5, v5, v7 :: v_dual_add_f32 v8, v56, v9
	v_ldexp_f32 v5, v5, 1
	s_delay_alu instid0(VALU_DEP_2) | instskip(NEXT) | instid1(VALU_DEP_4)
	v_sub_f32_e32 v7, v8, v56
	v_fma_f32 v56, 0x3f317218, v4, -v57
	s_delay_alu instid0(VALU_DEP_1) | instskip(NEXT) | instid1(VALU_DEP_1)
	v_dual_sub_f32 v7, v9, v7 :: v_dual_fmac_f32 v56, 0xb102e308, v4
	v_add_f32_e32 v4, v5, v7
	s_delay_alu instid0(VALU_DEP_2) | instskip(NEXT) | instid1(VALU_DEP_2)
	v_add_f32_e32 v5, v57, v56
	v_add_f32_e32 v7, v8, v4
	s_delay_alu instid0(VALU_DEP_2) | instskip(NEXT) | instid1(VALU_DEP_2)
	v_sub_f32_e32 v57, v5, v57
	v_dual_add_f32 v9, v5, v7 :: v_dual_sub_f32 v8, v7, v8
	s_delay_alu instid0(VALU_DEP_2) | instskip(NEXT) | instid1(VALU_DEP_2)
	v_sub_f32_e32 v56, v56, v57
	v_dual_sub_f32 v59, v9, v5 :: v_dual_sub_f32 v4, v4, v8
	s_delay_alu instid0(VALU_DEP_1) | instskip(NEXT) | instid1(VALU_DEP_2)
	v_sub_f32_e32 v60, v9, v59
	v_dual_sub_f32 v7, v7, v59 :: v_dual_add_f32 v8, v56, v4
	s_delay_alu instid0(VALU_DEP_2) | instskip(NEXT) | instid1(VALU_DEP_1)
	v_sub_f32_e32 v5, v5, v60
	v_add_f32_e32 v5, v7, v5
	s_delay_alu instid0(VALU_DEP_3) | instskip(NEXT) | instid1(VALU_DEP_2)
	v_sub_f32_e32 v7, v8, v56
	v_add_f32_e32 v5, v8, v5
	s_delay_alu instid0(VALU_DEP_2) | instskip(NEXT) | instid1(VALU_DEP_2)
	v_sub_f32_e32 v8, v8, v7
	v_dual_sub_f32 v4, v4, v7 :: v_dual_add_f32 v57, v9, v5
	s_delay_alu instid0(VALU_DEP_1) | instskip(NEXT) | instid1(VALU_DEP_1)
	v_dual_sub_f32 v8, v56, v8 :: v_dual_sub_f32 v7, v57, v9
	v_dual_add_f32 v4, v4, v8 :: v_dual_sub_f32 v5, v5, v7
	s_delay_alu instid0(VALU_DEP_1) | instskip(NEXT) | instid1(VALU_DEP_1)
	v_add_f32_e32 v4, v4, v5
	v_add_f32_e32 v4, v57, v4
	s_delay_alu instid0(VALU_DEP_1)
	v_cndmask_b32_e32 v68, v4, v6, vcc_lo
.LBB12_58:                              ;   in Loop: Header=BB12_12 Depth=1
	s_or_b32 exec_lo, exec_lo, s21
	v_and_b32_e32 v6, 0xffff0000, v0
	v_and_b32_e32 v5, 0xffff0000, v2
	v_lshlrev_b32_e32 v4, 16, v3
	v_and_b32_e32 v7, 0xffff0000, v3
	v_lshlrev_b32_e32 v0, 16, v0
	v_dual_mul_f32 v64, s61, v6 :: v_dual_and_b32 v3, 0xffff0000, v1
	s_delay_alu instid0(VALU_DEP_3) | instskip(SKIP_1) | instid1(VALU_DEP_3)
	v_dual_mul_f32 v57, s61, v5 :: v_dual_mul_f32 v60, s61, v7
	v_dual_mul_f32 v56, s61, v4 :: v_dual_lshlrev_b32 v1, 16, v1
	v_mul_f32_e32 v62, s61, v3
	v_dual_mul_f32 v63, s61, v0 :: v_dual_lshlrev_b32 v2, 16, v2
	s_delay_alu instid0(VALU_DEP_3) | instskip(SKIP_1) | instid1(VALU_DEP_2)
	v_mul_f32_e32 v61, s61, v1
	s_and_b32 vcc_lo, exec_lo, s69
	v_mul_f32_e32 v59, s61, v2
	s_barrier
	buffer_gl0_inv
	s_cbranch_vccz .LBB12_122
; %bb.59:                               ;   in Loop: Header=BB12_12 Depth=1
	v_dual_mul_f32 v69, v68, v7 :: v_dual_mul_f32 v74, v67, v4
	v_add_co_u32 v7, s20, s46, v51
	s_delay_alu instid0(VALU_DEP_1) | instskip(SKIP_1) | instid1(VALU_DEP_1)
	v_add_co_ci_u32_e64 v8, null, s49, 0, s20
	v_add_co_u32 v9, s20, s50, v51
	v_add_co_ci_u32_e64 v73, null, s65, 0, s20
	s_delay_alu instid0(VALU_DEP_4) | instskip(NEXT) | instid1(VALU_DEP_4)
	v_add_co_u32 v70, vcc_lo, v7, v52
	v_add_co_ci_u32_e32 v71, vcc_lo, 0, v8, vcc_lo
	s_delay_alu instid0(VALU_DEP_4) | instskip(NEXT) | instid1(VALU_DEP_4)
	v_add_co_u32 v72, vcc_lo, v9, v52
	v_add_co_ci_u32_e32 v73, vcc_lo, 0, v73, vcc_lo
	v_cmp_gt_u32_e32 vcc_lo, s23, v10
	s_cmp_lg_u32 s56, 0
	v_cmp_gt_u32_e64 s21, s23, v44
	s_cselect_b32 s31, -1, 0
	s_cmp_eq_u32 s56, s71
	v_cmp_gt_u32_e64 s22, s23, v45
	s_cselect_b32 s57, -1, 0
	s_or_b32 s20, s70, vcc_lo
	v_cmp_gt_u32_e32 vcc_lo, s23, v46
	v_cmp_gt_u32_e64 s24, s23, v47
	v_cmp_gt_u32_e64 s25, s23, v48
	;; [unrolled: 1-line block ×4, first 2 shown]
	v_dual_mul_f32 v75, v66, v5 :: v_dual_mul_f32 v76, v65, v2
	v_dual_mul_f32 v77, v58, v3 :: v_dual_mul_f32 v78, v55, v1
	;; [unrolled: 1-line block ×3, first 2 shown]
	s_mov_b32 s34, 0
	s_or_b32 s21, s70, s21
	s_or_b32 s22, s70, s22
	s_or_b32 s23, s70, vcc_lo
	s_or_b32 s24, s70, s24
	s_or_b32 s25, s70, s25
	;; [unrolled: 1-line block ×4, first 2 shown]
	s_mov_b32 s38, s34
	s_mov_b32 s40, s34
	;; [unrolled: 1-line block ×5, first 2 shown]
	s_branch .LBB12_61
.LBB12_60:                              ;   in Loop: Header=BB12_61 Depth=2
	s_or_b32 exec_lo, exec_lo, s28
	v_cndmask_b32_e64 v5, v98, v7, s11
	v_cndmask_b32_e64 v6, v97, v6, s11
	s_add_i32 s58, s58, -1
	s_add_i32 s72, s72, 8
	s_add_i32 s42, s42, s37
	v_fma_f32 v5, v5, v86, v84
	v_mul_f32_e32 v6, v6, v86
	s_add_i32 s40, s40, s36
	s_add_i32 s38, s38, s48
	;; [unrolled: 1-line block ×3, first 2 shown]
	v_cndmask_b32_e64 v5, v5, v84, s10
	v_cndmask_b32_e64 v6, v6, v86, s10
	s_cmp_eq_u32 s58, 0
	s_waitcnt lgkmcnt(0)
	s_delay_alu instid0(VALU_DEP_1) | instskip(NEXT) | instid1(VALU_DEP_1)
	v_dual_fmac_f32 v5, v4, v6 :: v_dual_and_b32 v4, 0xffff0000, v0
	v_fmac_f32_e32 v81, v5, v87
	s_delay_alu instid0(VALU_DEP_1) | instskip(SKIP_1) | instid1(VALU_DEP_1)
	v_dual_fmac_f32 v64, v81, v4 :: v_dual_and_b32 v7, 0xffff0000, v2
	v_fmac_f32_e32 v82, v81, v89
	v_dual_fmac_f32 v83, v82, v90 :: v_dual_and_b32 v6, 0xffff0000, v1
	s_delay_alu instid0(VALU_DEP_1) | instskip(NEXT) | instid1(VALU_DEP_2)
	v_fmac_f32_e32 v85, v83, v92
	v_dual_fmac_f32 v62, v83, v6 :: v_dual_lshlrev_b32 v1, 16, v1
	s_delay_alu instid0(VALU_DEP_2) | instskip(SKIP_1) | instid1(VALU_DEP_3)
	v_fmac_f32_e32 v88, v85, v96
	v_lshlrev_b32_e32 v0, 16, v0
	v_dual_fmac_f32 v61, v82, v1 :: v_dual_and_b32 v8, 0xffff0000, v3
	v_lshlrev_b32_e32 v3, 16, v3
	s_delay_alu instid0(VALU_DEP_4) | instskip(NEXT) | instid1(VALU_DEP_4)
	v_fmac_f32_e32 v91, v88, v94
	v_dual_fmac_f32 v63, v5, v0 :: v_dual_lshlrev_b32 v2, 16, v2
	s_delay_alu instid0(VALU_DEP_2) | instskip(NEXT) | instid1(VALU_DEP_2)
	v_fmac_f32_e32 v93, v91, v95
	v_dual_fmac_f32 v59, v85, v2 :: v_dual_fmac_f32 v56, v91, v3
	s_delay_alu instid0(VALU_DEP_2)
	v_dual_fmac_f32 v57, v88, v7 :: v_dual_fmac_f32 v60, v93, v8
	s_cbranch_scc1 .LBB12_122
.LBB12_61:                              ;   Parent Loop BB12_12 Depth=1
                                        ; =>  This Inner Loop Header: Depth=2
	s_lshl_b64 s[28:29], s[34:35], 2
	s_mov_b32 s39, s35
	s_add_u32 s28, s63, s28
	s_addc_u32 s29, s64, s29
	v_dual_mov_b32 v2, 0 :: v_dual_mov_b32 v3, 0
	global_load_b32 v81, v13, s[28:29]
	s_lshl_b64 s[28:29], s[38:39], 1
	s_delay_alu instid0(SALU_CYCLE_1)
	v_add_co_u32 v0, vcc_lo, v70, s28
	v_add_co_ci_u32_e32 v1, vcc_lo, s29, v71, vcc_lo
	s_and_saveexec_b32 s28, s12
	s_cbranch_execz .LBB12_63
; %bb.62:                               ;   in Loop: Header=BB12_61 Depth=2
	global_load_u16 v3, v[0:1], off
.LBB12_63:                              ;   in Loop: Header=BB12_61 Depth=2
	s_or_b32 exec_lo, exec_lo, s28
	s_and_saveexec_b32 s28, s13
	s_cbranch_execz .LBB12_65
; %bb.64:                               ;   in Loop: Header=BB12_61 Depth=2
	global_load_u16 v2, v[0:1], off offset:64
.LBB12_65:                              ;   in Loop: Header=BB12_61 Depth=2
	s_or_b32 exec_lo, exec_lo, s28
	v_dual_mov_b32 v4, 0 :: v_dual_mov_b32 v5, 0
	s_and_saveexec_b32 s28, s14
	s_cbranch_execz .LBB12_67
; %bb.66:                               ;   in Loop: Header=BB12_61 Depth=2
	global_load_u16 v5, v[0:1], off offset:128
.LBB12_67:                              ;   in Loop: Header=BB12_61 Depth=2
	s_or_b32 exec_lo, exec_lo, s28
	s_and_saveexec_b32 s28, s15
	s_cbranch_execz .LBB12_69
; %bb.68:                               ;   in Loop: Header=BB12_61 Depth=2
	global_load_u16 v4, v[0:1], off offset:192
.LBB12_69:                              ;   in Loop: Header=BB12_61 Depth=2
	s_or_b32 exec_lo, exec_lo, s28
	v_dual_mov_b32 v6, 0 :: v_dual_mov_b32 v7, 0
	s_and_saveexec_b32 s28, s16
	s_cbranch_execz .LBB12_71
; %bb.70:                               ;   in Loop: Header=BB12_61 Depth=2
	global_load_u16 v7, v[0:1], off offset:256
.LBB12_71:                              ;   in Loop: Header=BB12_61 Depth=2
	;; [unrolled: 13-line block ×3, first 2 shown]
	s_or_b32 exec_lo, exec_lo, s28
	s_and_saveexec_b32 s28, s19
	s_cbranch_execz .LBB12_77
; %bb.76:                               ;   in Loop: Header=BB12_61 Depth=2
	global_load_u16 v8, v[0:1], off offset:448
.LBB12_77:                              ;   in Loop: Header=BB12_61 Depth=2
	s_or_b32 exec_lo, exec_lo, s28
	s_waitcnt vmcnt(0)
	ds_store_b16 v20, v3
	ds_store_b16 v20, v2 offset:64
	ds_store_b16 v21, v5 offset:128
	;; [unrolled: 1-line block ×7, first 2 shown]
	; wave barrier
	ds_load_b128 v[4:7], v27
	s_mov_b32 s41, s35
	v_dual_mov_b32 v2, 0 :: v_dual_mov_b32 v3, 0
	s_lshl_b64 s[28:29], s[40:41], 1
	s_delay_alu instid0(SALU_CYCLE_1)
	v_add_co_u32 v0, vcc_lo, v72, s28
	v_add_co_ci_u32_e32 v1, vcc_lo, s29, v73, vcc_lo
	s_and_saveexec_b32 s28, s12
	s_cbranch_execz .LBB12_79
; %bb.78:                               ;   in Loop: Header=BB12_61 Depth=2
	global_load_u16 v3, v[0:1], off
.LBB12_79:                              ;   in Loop: Header=BB12_61 Depth=2
	s_or_b32 exec_lo, exec_lo, s28
	s_and_saveexec_b32 s28, s13
	s_cbranch_execz .LBB12_81
; %bb.80:                               ;   in Loop: Header=BB12_61 Depth=2
	global_load_u16 v2, v[0:1], off offset:64
.LBB12_81:                              ;   in Loop: Header=BB12_61 Depth=2
	s_or_b32 exec_lo, exec_lo, s28
	v_dual_mov_b32 v8, 0 :: v_dual_mov_b32 v9, 0
	s_and_saveexec_b32 s28, s14
	s_cbranch_execz .LBB12_83
; %bb.82:                               ;   in Loop: Header=BB12_61 Depth=2
	global_load_u16 v9, v[0:1], off offset:128
.LBB12_83:                              ;   in Loop: Header=BB12_61 Depth=2
	s_or_b32 exec_lo, exec_lo, s28
	s_and_saveexec_b32 s28, s15
	s_cbranch_execz .LBB12_85
; %bb.84:                               ;   in Loop: Header=BB12_61 Depth=2
	global_load_u16 v8, v[0:1], off offset:192
.LBB12_85:                              ;   in Loop: Header=BB12_61 Depth=2
	s_or_b32 exec_lo, exec_lo, s28
	v_dual_mov_b32 v82, 0 :: v_dual_mov_b32 v83, 0
	s_and_saveexec_b32 s28, s16
	s_cbranch_execz .LBB12_87
; %bb.86:                               ;   in Loop: Header=BB12_61 Depth=2
	global_load_u16 v83, v[0:1], off offset:256
.LBB12_87:                              ;   in Loop: Header=BB12_61 Depth=2
	;; [unrolled: 13-line block ×3, first 2 shown]
	s_or_b32 exec_lo, exec_lo, s28
	s_and_saveexec_b32 s28, s19
	s_cbranch_execz .LBB12_93
; %bb.92:                               ;   in Loop: Header=BB12_61 Depth=2
	global_load_u16 v84, v[0:1], off offset:448
.LBB12_93:                              ;   in Loop: Header=BB12_61 Depth=2
	s_or_b32 exec_lo, exec_lo, s28
	s_waitcnt vmcnt(0)
	ds_store_b16 v20, v3 offset:1056
	ds_store_b16 v28, v2 offset:64
	ds_store_b16 v29, v9 offset:128
	ds_store_b16 v30, v8 offset:192
	ds_store_b16 v31, v83 offset:256
	ds_store_b16 v32, v82 offset:320
	ds_store_b16 v33, v85 offset:384
	ds_store_b16 v34, v84 offset:448
	; wave barrier
	ds_load_b128 v[0:3], v27 offset:1056
	s_and_not1_b32 vcc_lo, exec_lo, s31
	s_cbranch_vccnz .LBB12_95
; %bb.94:                               ;   in Loop: Header=BB12_61 Depth=2
	v_mov_b32_e32 v8, s72
	ds_load_b64 v[8:9], v8
	s_cbranch_execz .LBB12_96
	s_branch .LBB12_99
.LBB12_95:                              ;   in Loop: Header=BB12_61 Depth=2
                                        ; implicit-def: $vgpr8
.LBB12_96:                              ;   in Loop: Header=BB12_61 Depth=2
	s_waitcnt lgkmcnt(0)
	v_mov_b32_e32 v9, 0
	s_and_not1_b32 vcc_lo, exec_lo, s33
	s_cbranch_vccnz .LBB12_98
; %bb.97:                               ;   in Loop: Header=BB12_61 Depth=2
	s_mov_b32 s43, s35
	s_delay_alu instid0(SALU_CYCLE_1) | instskip(NEXT) | instid1(SALU_CYCLE_1)
	s_lshl_b64 s[28:29], s[42:43], 1
	s_add_u32 s28, s53, s28
	s_addc_u32 s29, s66, s29
	global_load_u16 v8, v13, s[28:29]
	s_waitcnt vmcnt(0)
	v_lshlrev_b32_e32 v9, 16, v8
.LBB12_98:                              ;   in Loop: Header=BB12_61 Depth=2
	v_mov_b32_e32 v8, 1.0
.LBB12_99:                              ;   in Loop: Header=BB12_61 Depth=2
	v_mul_f32_e32 v91, 0x3fb8aa3b, v81
	s_waitcnt lgkmcnt(9)
	v_lshlrev_b32_e32 v81, 16, v4
	v_and_b32_e32 v4, 0xffff0000, v4
	s_delay_alu instid0(VALU_DEP_1) | instskip(SKIP_1) | instid1(VALU_DEP_4)
	v_mul_f32_e32 v4, v79, v4
	v_mul_f32_e32 v82, v91, v53
	;; [unrolled: 1-line block ×3, first 2 shown]
	v_dual_mul_f32 v84, v91, v54 :: v_dual_lshlrev_b32 v83, 16, v5
	v_mul_f32_e32 v86, v91, v55
	s_delay_alu instid0(VALU_DEP_4) | instskip(SKIP_1) | instid1(VALU_DEP_4)
	v_cmp_gt_f32_e32 vcc_lo, 0xc2fc0000, v82
	v_dual_mul_f32 v88, v91, v58 :: v_dual_lshlrev_b32 v93, 16, v7
	v_cmp_gt_f32_e64 s28, 0xc2fc0000, v84
	s_delay_alu instid0(VALU_DEP_4)
	v_cmp_gt_f32_e64 s29, 0xc2fc0000, v86
	v_cndmask_b32_e64 v82, 0, 0x42800000, vcc_lo
	v_lshlrev_b32_e32 v85, 16, v6
	v_cndmask_b32_e64 v89, 1.0, 0x1f800000, vcc_lo
	v_cndmask_b32_e64 v84, 0, 0x42800000, s28
	v_and_b32_e32 v5, 0xffff0000, v5
	v_fmac_f32_e32 v82, v91, v53
	v_cndmask_b32_e64 v86, 0, 0x42800000, s29
	v_cndmask_b32_e64 v90, 1.0, 0x1f800000, s28
	v_fmac_f32_e32 v84, v91, v54
	v_cmp_gt_f32_e32 vcc_lo, 0xc2fc0000, v88
	v_exp_f32_e32 v82, v82
	v_and_b32_e32 v7, 0xffff0000, v7
	v_dual_fmac_f32 v86, v91, v55 :: v_dual_mul_f32 v5, v77, v5
	v_exp_f32_e32 v87, v84
	v_cndmask_b32_e64 v84, 0, v81, s20
	v_cndmask_b32_e64 v81, 0, v4, s21
	v_cndmask_b32_e64 v88, 0, 0x42800000, vcc_lo
	v_dual_mul_f32 v83, v78, v83 :: v_dual_and_b32 v6, 0xffff0000, v6
	s_delay_alu instid0(TRANS32_DEP_2) | instskip(SKIP_1) | instid1(VALU_DEP_3)
	v_mul_f32_e32 v4, v82, v89
	v_exp_f32_e32 v89, v86
	v_dual_fmac_f32 v88, v91, v58 :: v_dual_mul_f32 v93, v74, v93
	s_delay_alu instid0(TRANS32_DEP_2) | instskip(NEXT) | instid1(VALU_DEP_3)
	v_dual_mul_f32 v82, v87, v90 :: v_dual_mul_f32 v85, v76, v85
	v_cndmask_b32_e64 v86, 1.0, v4, s20
	v_dual_mul_f32 v4, v91, v65 :: v_dual_mul_f32 v7, v69, v7
	s_delay_alu instid0(VALU_DEP_3) | instskip(SKIP_2) | instid1(VALU_DEP_4)
	v_cndmask_b32_e64 v87, 1.0, v82, s21
	v_cndmask_b32_e64 v82, 1.0, 0x1f800000, s29
	v_mul_f32_e32 v90, v91, v66
	v_cmp_gt_f32_e64 s28, 0xc2fc0000, v4
	v_exp_f32_e32 v88, v88
	v_mul_f32_e32 v95, v91, v68
	v_mul_f32_e32 v89, v89, v82
	v_cndmask_b32_e64 v82, 0, v83, s22
	v_cndmask_b32_e64 v4, 0, 0x42800000, s28
	v_cndmask_b32_e64 v83, 1.0, 0x1f800000, vcc_lo
	v_cmp_gt_f32_e32 vcc_lo, 0xc2fc0000, v90
	v_mul_f32_e32 v6, v75, v6
	v_cndmask_b32_e64 v89, 1.0, v89, s22
	v_fmac_f32_e32 v4, v91, v65
	v_mul_f32_e32 v88, v88, v83
	v_cndmask_b32_e64 v92, 0, 0x42800000, vcc_lo
	v_cndmask_b32_e64 v83, 0, v5, s23
	v_cndmask_b32_e64 v5, 1.0, 0x1f800000, s28
	v_exp_f32_e32 v4, v4
	v_cndmask_b32_e64 v90, 1.0, v88, s23
	v_fmac_f32_e32 v92, v91, v66
	v_cmp_gt_f32_e64 s28, 0xc2fc0000, v95
	v_fma_f32 v95, v87, v84, v81
	v_cndmask_b32_e64 v85, 0, v85, s24
	s_delay_alu instid0(VALU_DEP_4) | instskip(SKIP_1) | instid1(TRANS32_DEP_2)
	v_exp_f32_e32 v88, v92
	v_mul_f32_e32 v92, v91, v67
	v_mul_f32_e32 v4, v4, v5
	v_cndmask_b32_e64 v5, 1.0, 0x1f800000, vcc_lo
	s_delay_alu instid0(VALU_DEP_3) | instskip(NEXT) | instid1(VALU_DEP_3)
	v_cmp_gt_f32_e32 vcc_lo, 0xc2fc0000, v92
	v_cndmask_b32_e64 v92, 1.0, v4, s24
	s_waitcnt_depctr 0xfff
	v_mul_f32_e32 v4, v88, v5
	v_cndmask_b32_e64 v94, 0, 0x42800000, vcc_lo
	v_cndmask_b32_e64 v88, 0, v6, s25
	v_cndmask_b32_e64 v5, 0, 0x42800000, s28
	v_mul_f32_e32 v6, v87, v86
	v_cndmask_b32_e64 v96, 1.0, v4, s25
	v_fmac_f32_e32 v94, v91, v67
	s_delay_alu instid0(VALU_DEP_3) | instskip(SKIP_1) | instid1(VALU_DEP_3)
	v_dual_fmac_f32 v5, v91, v68 :: v_dual_mul_f32 v4, v6, v89
	v_fma_f32 v6, v95, v89, v82
	v_exp_f32_e32 v94, v94
	v_cndmask_b32_e64 v91, 1.0, 0x1f800000, vcc_lo
	s_delay_alu instid0(VALU_DEP_3) | instskip(SKIP_2) | instid1(VALU_DEP_2)
	v_exp_f32_e32 v5, v5
	v_mul_f32_e32 v4, v4, v90
	v_fma_f32 v6, v6, v90, v83
	v_mul_f32_e32 v4, v4, v92
	s_delay_alu instid0(VALU_DEP_2) | instskip(NEXT) | instid1(TRANS32_DEP_2)
	v_fma_f32 v6, v6, v92, v85
	v_mul_f32_e32 v94, v94, v91
	v_cndmask_b32_e64 v91, 0, v93, s26
	v_cndmask_b32_e64 v93, 1.0, 0x1f800000, s28
	v_mul_f32_e32 v4, v4, v96
	v_fma_f32 v6, v6, v96, v88
	v_cndmask_b32_e64 v94, 1.0, v94, s26
	s_delay_alu instid0(VALU_DEP_4) | instskip(SKIP_1) | instid1(VALU_DEP_3)
	v_mul_f32_e32 v5, v5, v93
	v_cndmask_b32_e64 v93, 0, v7, s27
	v_mul_f32_e32 v4, v4, v94
	s_delay_alu instid0(VALU_DEP_3) | instskip(SKIP_1) | instid1(VALU_DEP_2)
	v_cndmask_b32_e64 v95, 1.0, v5, s27
	v_fma_f32 v5, v6, v94, v91
	v_mul_f32_e32 v4, v4, v95
	s_delay_alu instid0(VALU_DEP_2) | instskip(NEXT) | instid1(VALU_DEP_2)
	v_fma_f32 v5, v5, v95, v93
	v_mov_b32_dpp v7, v4 row_shr:1 row_mask:0xf bank_mask:0xf
	s_delay_alu instid0(VALU_DEP_2)
	v_mov_b32_dpp v6, v5 row_shr:1 row_mask:0xf bank_mask:0xf
	s_and_saveexec_b32 s28, s0
; %bb.100:                              ;   in Loop: Header=BB12_61 Depth=2
	s_delay_alu instid0(VALU_DEP_2) | instskip(NEXT) | instid1(VALU_DEP_1)
	v_mul_f32_e32 v7, v4, v7
	v_dual_fmac_f32 v5, v4, v6 :: v_dual_mov_b32 v4, v7
; %bb.101:                              ;   in Loop: Header=BB12_61 Depth=2
	s_or_b32 exec_lo, exec_lo, s28
	s_delay_alu instid0(VALU_DEP_1) | instskip(NEXT) | instid1(VALU_DEP_2)
	v_mov_b32_dpp v6, v4 row_shr:2 row_mask:0xf bank_mask:0xf
	v_mov_b32_dpp v7, v5 row_shr:2 row_mask:0xf bank_mask:0xf
	s_and_saveexec_b32 s28, s1
; %bb.102:                              ;   in Loop: Header=BB12_61 Depth=2
	s_delay_alu instid0(VALU_DEP_1) | instskip(NEXT) | instid1(VALU_DEP_3)
	v_fmac_f32_e32 v5, v4, v7
	v_mul_f32_e32 v4, v4, v6
; %bb.103:                              ;   in Loop: Header=BB12_61 Depth=2
	s_or_b32 exec_lo, exec_lo, s28
	s_delay_alu instid0(VALU_DEP_1) | instskip(NEXT) | instid1(VALU_DEP_3)
	v_mov_b32_dpp v6, v4 row_shr:4 row_mask:0xf bank_mask:0xf
	v_mov_b32_dpp v7, v5 row_shr:4 row_mask:0xf bank_mask:0xf
	s_and_saveexec_b32 s28, s2
; %bb.104:                              ;   in Loop: Header=BB12_61 Depth=2
	s_delay_alu instid0(VALU_DEP_1) | instskip(NEXT) | instid1(VALU_DEP_3)
	v_fmac_f32_e32 v5, v4, v7
	v_mul_f32_e32 v4, v4, v6
; %bb.105:                              ;   in Loop: Header=BB12_61 Depth=2
	s_or_b32 exec_lo, exec_lo, s28
	s_delay_alu instid0(VALU_DEP_1) | instskip(NEXT) | instid1(VALU_DEP_3)
	v_mov_b32_dpp v6, v4 row_shr:8 row_mask:0xf bank_mask:0xf
	v_mov_b32_dpp v7, v5 row_shr:8 row_mask:0xf bank_mask:0xf
	s_and_saveexec_b32 s28, s3
; %bb.106:                              ;   in Loop: Header=BB12_61 Depth=2
	s_delay_alu instid0(VALU_DEP_1) | instskip(NEXT) | instid1(VALU_DEP_3)
	v_fmac_f32_e32 v5, v4, v7
	v_mul_f32_e32 v4, v4, v6
; %bb.107:                              ;   in Loop: Header=BB12_61 Depth=2
	s_or_b32 exec_lo, exec_lo, s28
	ds_swizzle_b32 v7, v4 offset:swizzle(BROADCAST,32,15)
	ds_swizzle_b32 v6, v5 offset:swizzle(BROADCAST,32,15)
	s_and_saveexec_b32 s28, s4
	s_cbranch_execz .LBB12_109
; %bb.108:                              ;   in Loop: Header=BB12_61 Depth=2
	s_waitcnt lgkmcnt(1)
	v_mul_f32_e32 v7, v4, v7
	s_waitcnt lgkmcnt(0)
	s_delay_alu instid0(VALU_DEP_1)
	v_dual_fmac_f32 v5, v4, v6 :: v_dual_mov_b32 v4, v7
.LBB12_109:                             ;   in Loop: Header=BB12_61 Depth=2
	s_or_b32 exec_lo, exec_lo, s28
	s_and_saveexec_b32 s28, s5
	s_cbranch_execz .LBB12_111
; %bb.110:                              ;   in Loop: Header=BB12_61 Depth=2
	ds_store_b64 v35, v[4:5] offset:2112
.LBB12_111:                             ;   in Loop: Header=BB12_61 Depth=2
	s_or_b32 exec_lo, exec_lo, s28
	s_waitcnt lgkmcnt(0)
	s_waitcnt_vscnt null, 0x0
	s_barrier
	buffer_gl0_inv
	s_and_saveexec_b32 s28, s6
	s_cbranch_execz .LBB12_113
; %bb.112:                              ;   in Loop: Header=BB12_61 Depth=2
	ds_load_b64 v[6:7], v36 offset:2112
	s_waitcnt lgkmcnt(0)
	v_mov_b32_dpp v97, v6 row_shr:1 row_mask:0xf bank_mask:0xf
	v_mov_b32_dpp v98, v7 row_shr:1 row_mask:0xf bank_mask:0xf
	s_delay_alu instid0(VALU_DEP_2) | instskip(NEXT) | instid1(VALU_DEP_2)
	v_mul_f32_e32 v97, v6, v97
	v_fma_f32 v98, v6, v98, v7
	s_delay_alu instid0(VALU_DEP_2) | instskip(NEXT) | instid1(VALU_DEP_2)
	v_cndmask_b32_e64 v6, v97, v6, s7
	v_cndmask_b32_e64 v7, v98, v7, s7
	ds_store_b64 v36, v[6:7] offset:2112
.LBB12_113:                             ;   in Loop: Header=BB12_61 Depth=2
	s_or_b32 exec_lo, exec_lo, s28
	s_waitcnt lgkmcnt(0)
	s_barrier
	buffer_gl0_inv
                                        ; implicit-def: $vgpr7
	s_and_saveexec_b32 s28, s9
	s_cbranch_execz .LBB12_115
; %bb.114:                              ;   in Loop: Header=BB12_61 Depth=2
	ds_load_b64 v[6:7], v35 offset:2104
	s_waitcnt lgkmcnt(0)
	v_mul_f32_e32 v97, v4, v6
	s_delay_alu instid0(VALU_DEP_1)
	v_dual_fmac_f32 v5, v4, v7 :: v_dual_mov_b32 v4, v97
.LBB12_115:                             ;   in Loop: Header=BB12_61 Depth=2
	s_or_b32 exec_lo, exec_lo, s28
	ds_bpermute_b32 v97, v37, v4
	ds_bpermute_b32 v98, v37, v5
	s_and_saveexec_b32 s28, s8
	s_cbranch_execz .LBB12_119
; %bb.116:                              ;   in Loop: Header=BB12_61 Depth=2
	ds_load_b64 v[4:5], v13 offset:2120
	s_and_saveexec_b32 s29, s10
	s_cbranch_execz .LBB12_118
; %bb.117:                              ;   in Loop: Header=BB12_61 Depth=2
	ds_store_b64 v13, v[8:9] offset:2120
.LBB12_118:                             ;   in Loop: Header=BB12_61 Depth=2
	s_or_b32 exec_lo, exec_lo, s29
	s_waitcnt lgkmcnt(0)
	v_fmac_f32_e32 v5, v4, v9
	s_delay_alu instid0(VALU_DEP_1)
	v_dual_mul_f32 v8, v8, v4 :: v_dual_mov_b32 v9, v5
.LBB12_119:                             ;   in Loop: Header=BB12_61 Depth=2
	s_or_b32 exec_lo, exec_lo, s28
	s_waitcnt lgkmcnt(0)
	s_barrier
	buffer_gl0_inv
	ds_load_b32 v4, v13 offset:2124
	s_and_saveexec_b32 s28, s10
	s_cbranch_execz .LBB12_60
; %bb.120:                              ;   in Loop: Header=BB12_61 Depth=2
	v_mov_b32_e32 v5, s72
	s_and_not1_b32 vcc_lo, exec_lo, s57
	ds_store_b64 v5, v[8:9]
	s_cbranch_vccnz .LBB12_60
; %bb.121:                              ;   in Loop: Header=BB12_61 Depth=2
	v_bfe_u32 v5, v9, 16, 1
	v_cmp_o_f32_e32 vcc_lo, v9, v9
	s_mov_b32 s43, s35
	s_delay_alu instid0(SALU_CYCLE_1) | instskip(NEXT) | instid1(VALU_DEP_2)
	s_lshl_b64 s[74:75], s[42:43], 1
	v_add3_u32 v5, v9, v5, 0x7fff
	s_add_u32 s74, s53, s74
	s_addc_u32 s75, s66, s75
	s_delay_alu instid0(VALU_DEP_1) | instskip(NEXT) | instid1(VALU_DEP_1)
	v_lshrrev_b32_e32 v5, 16, v5
	v_cndmask_b32_e32 v5, 0x7fc0, v5, vcc_lo
	global_store_b16 v13, v5, s[74:75]
	s_branch .LBB12_60
.LBB12_122:                             ;   in Loop: Header=BB12_12 Depth=1
	v_bfe_u32 v0, v63, 16, 1
	v_bfe_u32 v2, v61, 16, 1
	;; [unrolled: 1-line block ×3, first 2 shown]
	v_cmp_o_f32_e32 vcc_lo, v63, v63
	v_bfe_u32 v4, v59, 16, 1
	v_add3_u32 v0, v63, v0, 0x7fff
	v_add3_u32 v2, v61, v2, 0x7fff
	;; [unrolled: 1-line block ×3, first 2 shown]
	v_bfe_u32 v5, v57, 16, 1
	v_bfe_u32 v6, v56, 16, 1
	v_lshrrev_b32_e32 v0, 16, v0
	v_lshrrev_b32_e32 v2, 16, v2
	;; [unrolled: 1-line block ×3, first 2 shown]
	v_bfe_u32 v7, v60, 16, 1
	v_add3_u32 v4, v59, v4, 0x7fff
	v_cndmask_b32_e32 v0, 0x7fc0, v0, vcc_lo
	v_cmp_o_f32_e32 vcc_lo, v61, v61
	v_add3_u32 v6, v56, v6, 0x7fff
	v_bfe_u32 v1, v64, 16, 1
	s_waitcnt_vscnt null, 0x0
	s_barrier
	v_cndmask_b32_e32 v8, 0x7fc0, v2, vcc_lo
	v_cmp_o_f32_e32 vcc_lo, v62, v62
	v_add3_u32 v2, v57, v5, 0x7fff
	v_add3_u32 v5, v60, v7, 0x7fff
	;; [unrolled: 1-line block ×3, first 2 shown]
	buffer_gl0_inv
	v_cndmask_b32_e32 v7, 0x7fc0, v3, vcc_lo
	v_lshrrev_b32_e32 v3, 16, v4
	v_cmp_o_f32_e32 vcc_lo, v59, v59
	v_lshrrev_b32_e32 v4, 16, v6
	v_lshrrev_b32_e32 v5, 16, v5
	;; [unrolled: 1-line block ×4, first 2 shown]
	v_cndmask_b32_e32 v6, 0x7fc0, v3, vcc_lo
	v_cmp_o_f32_e32 vcc_lo, v56, v56
	s_mov_b32 s31, s35
	s_delay_alu instid0(SALU_CYCLE_1) | instskip(SKIP_4) | instid1(VALU_DEP_2)
	s_lshl_b64 s[24:25], s[30:31], 1
	v_cndmask_b32_e32 v3, 0x7fc0, v4, vcc_lo
	v_cmp_o_f32_e32 vcc_lo, v60, v60
	v_cndmask_b32_e32 v4, 0x7fc0, v5, vcc_lo
	v_cmp_o_f32_e32 vcc_lo, v57, v57
	v_perm_b32 v3, v4, v3, 0x5040100
	v_cndmask_b32_e32 v2, 0x7fc0, v2, vcc_lo
	v_cmp_o_f32_e32 vcc_lo, v64, v64
	s_delay_alu instid0(VALU_DEP_2) | instskip(SKIP_2) | instid1(VALU_DEP_2)
	v_perm_b32 v2, v2, v6, 0x5040100
	v_cndmask_b32_e32 v5, 0x7fc0, v1, vcc_lo
	v_perm_b32 v1, v7, v8, 0x5040100
	v_perm_b32 v0, v5, v0, 0x5040100
	ds_store_b128 v27, v[0:3]
	; wave barrier
	ds_load_u16 v8, v20 offset:64
	ds_load_u16 v7, v21 offset:128
	;; [unrolled: 1-line block ×7, first 2 shown]
	v_add_co_u32 v0, vcc_lo, v38, s24
	v_add_co_ci_u32_e32 v1, vcc_lo, s25, v39, vcc_lo
	s_and_saveexec_b32 s20, s12
	s_cbranch_execnz .LBB12_157
; %bb.123:                              ;   in Loop: Header=BB12_12 Depth=1
	s_or_b32 exec_lo, exec_lo, s20
	s_and_saveexec_b32 s20, s13
	s_cbranch_execnz .LBB12_158
.LBB12_124:                             ;   in Loop: Header=BB12_12 Depth=1
	s_or_b32 exec_lo, exec_lo, s20
	s_and_saveexec_b32 s20, s14
	s_cbranch_execnz .LBB12_159
.LBB12_125:                             ;   in Loop: Header=BB12_12 Depth=1
	s_or_b32 exec_lo, exec_lo, s20
	s_and_saveexec_b32 s20, s15
	s_cbranch_execnz .LBB12_160
.LBB12_126:                             ;   in Loop: Header=BB12_12 Depth=1
	s_or_b32 exec_lo, exec_lo, s20
	s_and_saveexec_b32 s20, s16
	s_cbranch_execnz .LBB12_161
.LBB12_127:                             ;   in Loop: Header=BB12_12 Depth=1
	s_or_b32 exec_lo, exec_lo, s20
	s_and_saveexec_b32 s20, s17
	s_cbranch_execnz .LBB12_162
.LBB12_128:                             ;   in Loop: Header=BB12_12 Depth=1
	s_or_b32 exec_lo, exec_lo, s20
	s_and_saveexec_b32 s20, s18
	s_cbranch_execnz .LBB12_163
.LBB12_129:                             ;   in Loop: Header=BB12_12 Depth=1
	s_or_b32 exec_lo, exec_lo, s20
	s_and_saveexec_b32 s20, s19
	s_cbranch_execz .LBB12_131
.LBB12_130:                             ;   in Loop: Header=BB12_12 Depth=1
	s_waitcnt lgkmcnt(0)
	global_store_b16 v[0:1], v2, off offset:448
.LBB12_131:                             ;   in Loop: Header=BB12_12 Depth=1
	s_or_b32 exec_lo, exec_lo, s20
	v_add_co_u32 v0, vcc_lo, v40, s24
	v_add_co_ci_u32_e32 v1, vcc_lo, s25, v41, vcc_lo
	s_waitcnt lgkmcnt(0)
	v_dual_mov_b32 v2, 0 :: v_dual_mov_b32 v3, 0
	s_waitcnt_vscnt null, 0x0
	s_barrier
	buffer_gl0_inv
	s_and_saveexec_b32 s20, s12
	s_cbranch_execz .LBB12_133
; %bb.132:                              ;   in Loop: Header=BB12_12 Depth=1
	global_load_u16 v3, v[0:1], off
.LBB12_133:                             ;   in Loop: Header=BB12_12 Depth=1
	s_or_b32 exec_lo, exec_lo, s20
	s_and_saveexec_b32 s20, s13
	s_cbranch_execz .LBB12_135
; %bb.134:                              ;   in Loop: Header=BB12_12 Depth=1
	global_load_u16 v2, v[0:1], off offset:64
.LBB12_135:                             ;   in Loop: Header=BB12_12 Depth=1
	s_or_b32 exec_lo, exec_lo, s20
	v_dual_mov_b32 v4, 0 :: v_dual_mov_b32 v5, 0
	s_and_saveexec_b32 s20, s14
	s_cbranch_execz .LBB12_137
; %bb.136:                              ;   in Loop: Header=BB12_12 Depth=1
	global_load_u16 v5, v[0:1], off offset:128
.LBB12_137:                             ;   in Loop: Header=BB12_12 Depth=1
	s_or_b32 exec_lo, exec_lo, s20
	s_and_saveexec_b32 s20, s15
	s_cbranch_execz .LBB12_139
; %bb.138:                              ;   in Loop: Header=BB12_12 Depth=1
	global_load_u16 v4, v[0:1], off offset:192
.LBB12_139:                             ;   in Loop: Header=BB12_12 Depth=1
	s_or_b32 exec_lo, exec_lo, s20
	v_dual_mov_b32 v6, 0 :: v_dual_mov_b32 v7, 0
	s_and_saveexec_b32 s20, s16
	s_cbranch_execz .LBB12_141
; %bb.140:                              ;   in Loop: Header=BB12_12 Depth=1
	global_load_u16 v7, v[0:1], off offset:256
.LBB12_141:                             ;   in Loop: Header=BB12_12 Depth=1
	;; [unrolled: 13-line block ×3, first 2 shown]
	s_or_b32 exec_lo, exec_lo, s20
	s_and_saveexec_b32 s20, s19
	s_cbranch_execz .LBB12_147
; %bb.146:                              ;   in Loop: Header=BB12_12 Depth=1
	global_load_u16 v8, v[0:1], off offset:448
.LBB12_147:                             ;   in Loop: Header=BB12_12 Depth=1
	s_or_b32 exec_lo, exec_lo, s20
	s_waitcnt vmcnt(0)
	ds_store_b16 v20, v3
	ds_store_b16 v20, v2 offset:64
	ds_store_b16 v21, v5 offset:128
	;; [unrolled: 1-line block ×7, first 2 shown]
	; wave barrier
	ds_load_b128 v[0:3], v27
	s_waitcnt lgkmcnt(0)
	s_barrier
	buffer_gl0_inv
	v_and_b32_e32 v4, 0xffff0000, v0
	v_and_b32_e32 v5, 0xffff0000, v1
	v_lshlrev_b32_e32 v1, 16, v1
	s_delay_alu instid0(VALU_DEP_1) | instskip(NEXT) | instid1(VALU_DEP_1)
	v_dual_mul_f32 v9, 0xbfb8aa3b, v1 :: v_dual_lshlrev_b32 v0, 16, v0
	v_mul_f32_e32 v7, 0xbfb8aa3b, v0
	s_delay_alu instid0(VALU_DEP_2) | instskip(NEXT) | instid1(VALU_DEP_2)
	v_rndne_f32_e32 v67, v9
	v_rndne_f32_e32 v55, v7
	v_fma_f32 v58, 0xbfb8aa3b, v0, -v7
	s_delay_alu instid0(VALU_DEP_2) | instskip(SKIP_3) | instid1(VALU_DEP_4)
	v_dual_sub_f32 v7, v7, v55 :: v_dual_mul_f32 v6, 0xbfb8aa3b, v4
	v_fma_f32 v68, 0xbfb8aa3b, v1, -v9
	v_cvt_i32_f32_e32 v55, v55
	v_cmp_nlt_f32_e32 vcc_lo, 0x42ce8ed0, v4
	v_rndne_f32_e32 v54, v6
	v_fma_f32 v53, 0xbfb8aa3b, v4, -v6
	s_delay_alu instid0(VALU_DEP_2) | instskip(SKIP_2) | instid1(VALU_DEP_2)
	v_sub_f32_e32 v6, v6, v54
	v_mul_f32_e32 v8, 0xbfb8aa3b, v5
	v_cvt_i32_f32_e32 v54, v54
	v_rndne_f32_e32 v66, v8
	v_fmac_f32_e32 v53, 0xb2a5705f, v4
	v_fma_f32 v65, 0xbfb8aa3b, v5, -v8
	v_fmac_f32_e32 v58, 0xb2a5705f, v0
	s_delay_alu instid0(VALU_DEP_4) | instskip(NEXT) | instid1(VALU_DEP_4)
	v_dual_sub_f32 v8, v8, v66 :: v_dual_sub_f32 v9, v9, v67
	v_add_f32_e32 v6, v6, v53
	s_delay_alu instid0(VALU_DEP_4) | instskip(NEXT) | instid1(VALU_DEP_4)
	v_fmac_f32_e32 v65, 0xb2a5705f, v5
	v_dual_fmac_f32 v68, 0xb2a5705f, v1 :: v_dual_add_f32 v7, v7, v58
	v_cvt_i32_f32_e32 v58, v66
	s_delay_alu instid0(VALU_DEP_4) | instskip(NEXT) | instid1(VALU_DEP_2)
	v_exp_f32_e32 v6, v6
	v_dual_add_f32 v8, v8, v65 :: v_dual_add_f32 v9, v9, v68
	s_delay_alu instid0(VALU_DEP_3) | instskip(NEXT) | instid1(VALU_DEP_1)
	v_exp_f32_e32 v7, v7
	v_exp_f32_e32 v8, v8
	s_delay_alu instid0(VALU_DEP_1) | instskip(SKIP_2) | instid1(TRANS32_DEP_3)
	v_exp_f32_e32 v9, v9
	v_ldexp_f32 v6, v6, v54
	v_cvt_i32_f32_e32 v54, v67
	v_ldexp_f32 v7, v7, v55
	s_delay_alu instid0(VALU_DEP_3) | instskip(SKIP_1) | instid1(TRANS32_DEP_2)
	v_cndmask_b32_e32 v6, 0, v6, vcc_lo
	v_cmp_nlt_f32_e32 vcc_lo, 0x42ce8ed0, v0
	v_ldexp_f32 v8, v8, v58
	s_delay_alu instid0(TRANS32_DEP_1) | instskip(SKIP_4) | instid1(VALU_DEP_4)
	v_ldexp_f32 v9, v9, v54
	v_cndmask_b32_e32 v7, 0, v7, vcc_lo
	v_cmp_ngt_f32_e32 vcc_lo, 0xc2b17218, v4
	v_cndmask_b32_e32 v6, 0x7f800000, v6, vcc_lo
	v_cmp_ngt_f32_e32 vcc_lo, 0xc2b17218, v0
	v_cndmask_b32_e32 v7, 0x7f800000, v7, vcc_lo
	v_cmp_nlt_f32_e32 vcc_lo, 0x42ce8ed0, v5
	v_and_b32_e32 v53, 0xffff0000, v2
	s_delay_alu instid0(VALU_DEP_3) | instskip(SKIP_3) | instid1(VALU_DEP_4)
	v_dual_add_f32 v7, 1.0, v7 :: v_dual_cndmask_b32 v8, 0, v8
	v_add_f32_e32 v6, 1.0, v6
	v_cmp_nlt_f32_e32 vcc_lo, 0x42ce8ed0, v1
	v_lshlrev_b32_e32 v2, 16, v2
	v_div_scale_f32 v55, null, v7, v7, v0
	s_delay_alu instid0(VALU_DEP_4) | instskip(SKIP_2) | instid1(VALU_DEP_4)
	v_div_scale_f32 v54, null, v6, v6, v4
	v_cndmask_b32_e32 v9, 0, v9, vcc_lo
	v_cmp_ngt_f32_e32 vcc_lo, 0xc2b17218, v5
	v_rcp_f32_e32 v66, v55
	s_delay_alu instid0(VALU_DEP_3)
	v_rcp_f32_e32 v65, v54
	v_div_scale_f32 v72, s20, v0, v7, v0
	v_cndmask_b32_e32 v8, 0x7f800000, v8, vcc_lo
	v_cmp_ngt_f32_e32 vcc_lo, 0xc2b17218, v1
	v_cndmask_b32_e32 v9, 0x7f800000, v9, vcc_lo
	s_waitcnt_depctr 0xfff
	v_fma_f32 v70, -v54, v65, 1.0
	v_fma_f32 v71, -v55, v66, 1.0
	v_div_scale_f32 v67, vcc_lo, v4, v6, v4
	v_dual_add_f32 v9, 1.0, v9 :: v_dual_add_f32 v8, 1.0, v8
	s_delay_alu instid0(VALU_DEP_3) | instskip(SKIP_1) | instid1(VALU_DEP_3)
	v_dual_fmac_f32 v65, v70, v65 :: v_dual_fmac_f32 v66, v71, v66
	v_mul_f32_e32 v58, 0xbfb8aa3b, v53
	v_div_scale_f32 v69, null, v9, v9, v1
	s_delay_alu instid0(VALU_DEP_4) | instskip(NEXT) | instid1(VALU_DEP_4)
	v_div_scale_f32 v68, null, v8, v8, v5
	v_mul_f32_e32 v77, v72, v66
	s_delay_alu instid0(VALU_DEP_3) | instskip(SKIP_1) | instid1(VALU_DEP_3)
	v_rcp_f32_e32 v74, v69
	v_fma_f32 v71, 0xbfb8aa3b, v53, -v58
	v_rcp_f32_e32 v73, v68
	v_div_scale_f32 v78, s21, v5, v8, v5
	v_fma_f32 v82, -v55, v77, v72
	v_mul_f32_e32 v76, v67, v65
	v_div_scale_f32 v83, s22, v1, v9, v1
	v_fmac_f32_e32 v71, 0xb2a5705f, v53
	s_delay_alu instid0(VALU_DEP_4) | instskip(NEXT) | instid1(VALU_DEP_4)
	v_fmac_f32_e32 v77, v82, v66
	v_fma_f32 v81, -v54, v76, v67
	s_delay_alu instid0(TRANS32_DEP_1)
	v_fma_f32 v79, -v68, v73, 1.0
	v_mul_f32_e32 v70, 0xbfb8aa3b, v2
	v_fma_f32 v80, -v69, v74, 1.0
	v_fma_f32 v55, -v55, v77, v72
	v_fmac_f32_e32 v76, v81, v65
	v_fmac_f32_e32 v73, v79, v73
	v_rndne_f32_e32 v75, v58
	v_fmac_f32_e32 v74, v80, v74
	s_delay_alu instid0(VALU_DEP_4) | instskip(NEXT) | instid1(VALU_DEP_4)
	v_fma_f32 v54, -v54, v76, v67
	v_mul_f32_e32 v79, v78, v73
	v_rndne_f32_e32 v67, v70
	s_delay_alu instid0(VALU_DEP_4) | instskip(NEXT) | instid1(VALU_DEP_4)
	v_mul_f32_e32 v80, v83, v74
	v_div_fmas_f32 v54, v54, v65, v76
	s_mov_b32 vcc_lo, s20
	v_fma_f32 v65, 0xbfb8aa3b, v2, -v70
	v_div_fmas_f32 v55, v55, v66, v77
	s_mov_b32 vcc_lo, s21
	v_div_fixup_f32 v4, v54, v6, v4
	v_fma_f32 v54, -v68, v79, v78
	v_and_b32_e32 v72, 0xffff0000, v3
	v_div_fixup_f32 v0, v55, v7, v0
	v_fma_f32 v66, -v69, v80, v83
	v_lshlrev_b32_e32 v3, 16, v3
	s_delay_alu instid0(VALU_DEP_4) | instskip(NEXT) | instid1(VALU_DEP_4)
	v_dual_fmac_f32 v79, v54, v73 :: v_dual_mul_f32 v76, 0xbfb8aa3b, v72
	v_mul_f32_e32 v0, v63, v0
	v_mul_f32_e32 v4, v64, v4
	v_sub_f32_e32 v58, v58, v75
	s_delay_alu instid0(VALU_DEP_4) | instskip(SKIP_2) | instid1(VALU_DEP_4)
	v_fma_f32 v55, -v68, v79, v78
	v_fmac_f32_e32 v65, 0xb2a5705f, v2
	v_bfe_u32 v63, v0, 16, 1
	v_add_f32_e32 v54, v58, v71
	s_delay_alu instid0(VALU_DEP_4) | instskip(SKIP_1) | instid1(VALU_DEP_3)
	v_div_fmas_f32 v55, v55, v73, v79
	s_mov_b32 vcc_lo, s22
	v_add3_u32 v63, v0, v63, 0x7fff
	s_delay_alu instid0(VALU_DEP_2) | instskip(SKIP_1) | instid1(VALU_DEP_3)
	v_div_fixup_f32 v5, v55, v8, v5
	v_rndne_f32_e32 v55, v76
	v_lshrrev_b32_e32 v8, 16, v63
	v_mul_f32_e32 v63, 0xbfb8aa3b, v3
	v_bfe_u32 v7, v4, 16, 1
	s_delay_alu instid0(VALU_DEP_4) | instskip(SKIP_1) | instid1(VALU_DEP_4)
	v_dual_mul_f32 v5, v62, v5 :: v_dual_sub_f32 v64, v76, v55
	v_fmac_f32_e32 v80, v66, v74
	v_fma_f32 v68, 0xbfb8aa3b, v3, -v63
	s_delay_alu instid0(VALU_DEP_4)
	v_add3_u32 v7, v4, v7, 0x7fff
	v_cvt_i32_f32_e32 v66, v67
	v_cvt_i32_f32_e32 v55, v55
	v_fma_f32 v58, -v69, v80, v83
	v_fmac_f32_e32 v68, 0xb2a5705f, v3
	v_lshrrev_b32_e32 v7, 16, v7
	v_sub_f32_e32 v6, v70, v67
	v_rndne_f32_e32 v67, v63
	v_div_fmas_f32 v58, v58, v74, v80
	v_cmp_o_f32_e32 vcc_lo, v4, v4
	v_bfe_u32 v73, v5, 16, 1
	s_delay_alu instid0(VALU_DEP_3)
	v_div_fixup_f32 v1, v58, v9, v1
	v_cndmask_b32_e32 v4, 0x7fc0, v7, vcc_lo
	v_fma_f32 v7, 0xbfb8aa3b, v72, -v76
	v_cmp_nlt_f32_e32 vcc_lo, 0x42ce8ed0, v53
	v_sub_f32_e32 v63, v63, v67
	v_mul_f32_e32 v1, v61, v1
	v_exp_f32_e32 v54, v54
	v_fmac_f32_e32 v7, 0xb2a5705f, v72
	v_add3_u32 v73, v5, v73, 0x7fff
	v_dual_add_f32 v63, v63, v68 :: v_dual_add_f32 v6, v6, v65
	v_cvt_i32_f32_e32 v65, v75
	s_delay_alu instid0(VALU_DEP_4) | instskip(SKIP_1) | instid1(VALU_DEP_4)
	v_add_f32_e32 v7, v64, v7
	v_bfe_u32 v77, v1, 16, 1
	v_exp_f32_e32 v63, v63
	v_exp_f32_e32 v6, v6
	s_delay_alu instid0(TRANS32_DEP_3) | instskip(SKIP_1) | instid1(VALU_DEP_1)
	v_ldexp_f32 v54, v54, v65
	v_exp_f32_e32 v7, v7
	v_cndmask_b32_e32 v54, 0, v54, vcc_lo
	v_cmp_nlt_f32_e32 vcc_lo, 0x42ce8ed0, v2
	s_waitcnt_depctr 0xfff
	v_ldexp_f32 v6, v6, v66
	v_ldexp_f32 v7, v7, v55
	v_cvt_i32_f32_e32 v55, v67
	s_delay_alu instid0(VALU_DEP_1) | instskip(NEXT) | instid1(VALU_DEP_4)
	v_ldexp_f32 v55, v63, v55
	v_cndmask_b32_e32 v6, 0, v6, vcc_lo
	v_cmp_ngt_f32_e32 vcc_lo, 0xc2b17218, v53
	v_cndmask_b32_e32 v54, 0x7f800000, v54, vcc_lo
	v_cmp_ngt_f32_e32 vcc_lo, 0xc2b17218, v2
	s_delay_alu instid0(VALU_DEP_4) | instskip(SKIP_3) | instid1(VALU_DEP_2)
	v_cndmask_b32_e32 v6, 0x7f800000, v6, vcc_lo
	v_cmp_nlt_f32_e32 vcc_lo, 0x42ce8ed0, v72
	v_cndmask_b32_e32 v7, 0, v7, vcc_lo
	v_cmp_ngt_f32_e32 vcc_lo, 0xc2b17218, v72
	v_cndmask_b32_e32 v7, 0x7f800000, v7, vcc_lo
	v_cmp_nlt_f32_e32 vcc_lo, 0x42ce8ed0, v3
	s_delay_alu instid0(VALU_DEP_2) | instskip(SKIP_3) | instid1(VALU_DEP_4)
	v_add_f32_e32 v7, 1.0, v7
	v_cndmask_b32_e32 v55, 0, v55, vcc_lo
	v_cmp_ngt_f32_e32 vcc_lo, 0xc2b17218, v3
	v_add_f32_e32 v54, 1.0, v54
	v_div_scale_f32 v66, null, v7, v7, v72
	s_delay_alu instid0(VALU_DEP_4) | instskip(NEXT) | instid1(VALU_DEP_3)
	v_cndmask_b32_e32 v55, 0x7f800000, v55, vcc_lo
	v_div_scale_f32 v64, null, v54, v54, v53
	s_delay_alu instid0(VALU_DEP_3) | instskip(NEXT) | instid1(VALU_DEP_2)
	v_rcp_f32_e32 v67, v66
	v_add_f32_e32 v55, 1.0, v55
	s_delay_alu instid0(VALU_DEP_2) | instskip(NEXT) | instid1(VALU_DEP_1)
	v_rcp_f32_e32 v63, v64
	v_div_scale_f32 v62, null, v55, v55, v3
	s_waitcnt_depctr 0xfff
	v_fma_f32 v61, -v66, v67, 1.0
	v_rcp_f32_e32 v69, v62
	v_fma_f32 v58, -v64, v63, 1.0
	s_delay_alu instid0(VALU_DEP_1) | instskip(NEXT) | instid1(VALU_DEP_1)
	v_dual_add_f32 v6, 1.0, v6 :: v_dual_fmac_f32 v63, v58, v63
	v_div_scale_f32 v65, null, v6, v6, v2
	v_div_scale_f32 v58, vcc_lo, v53, v54, v53
	s_waitcnt_depctr 0xfff
	v_fma_f32 v71, -v62, v69, 1.0
	v_rcp_f32_e32 v9, v65
	s_delay_alu instid0(VALU_DEP_1) | instskip(SKIP_4) | instid1(VALU_DEP_2)
	v_fmac_f32_e32 v69, v71, v69
	v_div_scale_f32 v71, s22, v3, v55, v3
	s_waitcnt_depctr 0xfff
	v_fma_f32 v68, -v65, v9, 1.0
	v_dual_mul_f32 v70, v58, v63 :: v_dual_mul_f32 v79, v71, v69
	v_fmac_f32_e32 v9, v68, v9
	v_div_scale_f32 v68, s20, v2, v6, v2
	s_delay_alu instid0(VALU_DEP_3) | instskip(NEXT) | instid1(VALU_DEP_1)
	v_fma_f32 v74, -v64, v70, v58
	v_dual_mul_f32 v75, v68, v9 :: v_dual_fmac_f32 v70, v74, v63
	s_delay_alu instid0(VALU_DEP_1) | instskip(NEXT) | instid1(VALU_DEP_2)
	v_fma_f32 v74, -v65, v75, v68
	v_fma_f32 v58, -v64, v70, v58
	;; [unrolled: 1-line block ×3, first 2 shown]
	s_delay_alu instid0(VALU_DEP_3) | instskip(NEXT) | instid1(VALU_DEP_2)
	v_fmac_f32_e32 v75, v74, v9
	v_fmac_f32_e32 v79, v64, v69
	s_delay_alu instid0(VALU_DEP_4) | instskip(NEXT) | instid1(VALU_DEP_3)
	v_div_fmas_f32 v58, v58, v63, v70
	v_fma_f32 v63, -v65, v75, v68
	s_mov_b32 vcc_lo, s20
	s_delay_alu instid0(VALU_DEP_3) | instskip(NEXT) | instid1(VALU_DEP_3)
	v_fma_f32 v62, -v62, v79, v71
	v_div_fixup_f32 v53, v58, v54, v53
	s_delay_alu instid0(VALU_DEP_3) | instskip(SKIP_1) | instid1(VALU_DEP_2)
	v_div_fmas_f32 v9, v63, v9, v75
	v_add3_u32 v63, v1, v77, 0x7fff
	v_div_fixup_f32 v2, v9, v6, v2
	v_fmac_f32_e32 v67, v61, v67
	v_div_scale_f32 v61, s21, v72, v7, v72
	s_delay_alu instid0(VALU_DEP_3) | instskip(SKIP_1) | instid1(VALU_DEP_2)
	v_dual_mul_f32 v9, v57, v53 :: v_dual_mul_f32 v2, v59, v2
	s_mov_b32 vcc_lo, s21
	v_mul_f32_e32 v76, v61, v67
	v_lshrrev_b32_e32 v53, 16, v63
	s_delay_alu instid0(VALU_DEP_3) | instskip(NEXT) | instid1(VALU_DEP_3)
	v_bfe_u32 v54, v9, 16, 1
	v_fma_f32 v78, -v66, v76, v61
	s_delay_alu instid0(VALU_DEP_1) | instskip(NEXT) | instid1(VALU_DEP_1)
	v_fmac_f32_e32 v76, v78, v67
	v_fma_f32 v61, -v66, v76, v61
	s_delay_alu instid0(VALU_DEP_1) | instskip(SKIP_3) | instid1(VALU_DEP_3)
	v_div_fmas_f32 v61, v61, v67, v76
	s_mov_b32 vcc_lo, s22
	v_div_fmas_f32 v62, v62, v69, v79
	v_cmp_o_f32_e32 vcc_lo, v5, v5
	v_div_fixup_f32 v6, v61, v7, v72
	v_lshrrev_b32_e32 v7, 16, v73
	s_delay_alu instid0(VALU_DEP_4) | instskip(SKIP_1) | instid1(VALU_DEP_3)
	v_div_fixup_f32 v3, v62, v55, v3
	v_bfe_u32 v55, v2, 16, 1
	v_dual_mul_f32 v6, v60, v6 :: v_dual_cndmask_b32 v5, 0x7fc0, v7
	v_add3_u32 v7, v9, v54, 0x7fff
	v_cmp_o_f32_e32 vcc_lo, v1, v1
	s_delay_alu instid0(VALU_DEP_4) | instskip(NEXT) | instid1(VALU_DEP_3)
	v_add3_u32 v54, v2, v55, 0x7fff
	v_lshrrev_b32_e32 v7, 16, v7
	v_cndmask_b32_e32 v1, 0x7fc0, v53, vcc_lo
	v_cmp_o_f32_e32 vcc_lo, v9, v9
	s_delay_alu instid0(VALU_DEP_4) | instskip(NEXT) | instid1(VALU_DEP_3)
	v_lshrrev_b32_e32 v53, 16, v54
	v_perm_b32 v1, v5, v1, 0x5040100
	v_cndmask_b32_e32 v7, 0x7fc0, v7, vcc_lo
	v_cmp_o_f32_e32 vcc_lo, v6, v6
	v_mul_f32_e32 v3, v56, v3
	v_bfe_u32 v56, v6, 16, 1
	s_delay_alu instid0(VALU_DEP_1) | instskip(NEXT) | instid1(VALU_DEP_1)
	v_add3_u32 v55, v6, v56, 0x7fff
	v_lshrrev_b32_e32 v54, 16, v55
	s_delay_alu instid0(VALU_DEP_1) | instskip(SKIP_2) | instid1(VALU_DEP_2)
	v_cndmask_b32_e32 v6, 0x7fc0, v54, vcc_lo
	v_bfe_u32 v57, v3, 16, 1
	v_cmp_o_f32_e32 vcc_lo, v3, v3
	v_add3_u32 v56, v3, v57, 0x7fff
	s_delay_alu instid0(VALU_DEP_1) | instskip(NEXT) | instid1(VALU_DEP_1)
	v_lshrrev_b32_e32 v55, 16, v56
	v_cndmask_b32_e32 v3, 0x7fc0, v55, vcc_lo
	v_cmp_o_f32_e32 vcc_lo, v2, v2
	s_delay_alu instid0(VALU_DEP_2) | instskip(SKIP_2) | instid1(VALU_DEP_2)
	v_perm_b32 v3, v6, v3, 0x5040100
	v_cndmask_b32_e32 v2, 0x7fc0, v53, vcc_lo
	v_cmp_o_f32_e32 vcc_lo, v0, v0
	v_perm_b32 v2, v7, v2, 0x5040100
	v_cndmask_b32_e32 v0, 0x7fc0, v8, vcc_lo
	s_delay_alu instid0(VALU_DEP_1)
	v_perm_b32 v0, v4, v0, 0x5040100
	ds_store_b128 v27, v[0:3]
	; wave barrier
	ds_load_u16 v8, v20 offset:64
	ds_load_u16 v7, v21 offset:128
	;; [unrolled: 1-line block ×7, first 2 shown]
	v_add_co_u32 v0, vcc_lo, v42, s24
	v_add_co_ci_u32_e32 v1, vcc_lo, s25, v43, vcc_lo
	s_and_saveexec_b32 s20, s12
	s_cbranch_execnz .LBB12_164
; %bb.148:                              ;   in Loop: Header=BB12_12 Depth=1
	s_or_b32 exec_lo, exec_lo, s20
	s_and_saveexec_b32 s12, s13
	s_cbranch_execnz .LBB12_165
.LBB12_149:                             ;   in Loop: Header=BB12_12 Depth=1
	s_or_b32 exec_lo, exec_lo, s12
	s_and_saveexec_b32 s12, s14
	s_cbranch_execnz .LBB12_166
.LBB12_150:                             ;   in Loop: Header=BB12_12 Depth=1
	s_or_b32 exec_lo, exec_lo, s12
	s_and_saveexec_b32 s12, s15
	s_cbranch_execnz .LBB12_167
.LBB12_151:                             ;   in Loop: Header=BB12_12 Depth=1
	s_or_b32 exec_lo, exec_lo, s12
	s_and_saveexec_b32 s12, s16
	s_cbranch_execnz .LBB12_168
.LBB12_152:                             ;   in Loop: Header=BB12_12 Depth=1
	s_or_b32 exec_lo, exec_lo, s12
	s_and_saveexec_b32 s12, s17
	s_cbranch_execnz .LBB12_169
.LBB12_153:                             ;   in Loop: Header=BB12_12 Depth=1
	s_or_b32 exec_lo, exec_lo, s12
	s_and_saveexec_b32 s12, s18
	s_cbranch_execnz .LBB12_170
.LBB12_154:                             ;   in Loop: Header=BB12_12 Depth=1
	s_or_b32 exec_lo, exec_lo, s12
	s_and_saveexec_b32 s12, s19
	s_cbranch_execz .LBB12_11
	s_branch .LBB12_171
.LBB12_155:                             ;   in Loop: Header=BB12_12 Depth=1
	global_load_u16 v55, v[4:5], off offset:320
	s_or_b32 exec_lo, exec_lo, s20
	s_and_saveexec_b32 s20, s18
	s_cbranch_execz .LBB12_40
.LBB12_156:                             ;   in Loop: Header=BB12_12 Depth=1
	global_load_u16 v54, v[4:5], off offset:384
	s_or_b32 exec_lo, exec_lo, s20
	v_mov_b32_e32 v56, 0
	s_and_saveexec_b32 s20, s19
	s_cbranch_execnz .LBB12_41
	s_branch .LBB12_42
.LBB12_157:                             ;   in Loop: Header=BB12_12 Depth=1
	ds_load_u16 v9, v20
	s_waitcnt lgkmcnt(0)
	global_store_b16 v[0:1], v9, off
	s_or_b32 exec_lo, exec_lo, s20
	s_and_saveexec_b32 s20, s13
	s_cbranch_execz .LBB12_124
.LBB12_158:                             ;   in Loop: Header=BB12_12 Depth=1
	s_waitcnt lgkmcnt(6)
	global_store_b16 v[0:1], v8, off offset:64
	s_or_b32 exec_lo, exec_lo, s20
	s_and_saveexec_b32 s20, s14
	s_cbranch_execz .LBB12_125
.LBB12_159:                             ;   in Loop: Header=BB12_12 Depth=1
	s_waitcnt lgkmcnt(5)
	global_store_b16 v[0:1], v7, off offset:128
	s_or_b32 exec_lo, exec_lo, s20
	s_and_saveexec_b32 s20, s15
	s_cbranch_execz .LBB12_126
.LBB12_160:                             ;   in Loop: Header=BB12_12 Depth=1
	s_waitcnt lgkmcnt(4)
	global_store_b16 v[0:1], v6, off offset:192
	s_or_b32 exec_lo, exec_lo, s20
	s_and_saveexec_b32 s20, s16
	s_cbranch_execz .LBB12_127
.LBB12_161:                             ;   in Loop: Header=BB12_12 Depth=1
	s_waitcnt lgkmcnt(3)
	global_store_b16 v[0:1], v5, off offset:256
	s_or_b32 exec_lo, exec_lo, s20
	s_and_saveexec_b32 s20, s17
	s_cbranch_execz .LBB12_128
.LBB12_162:                             ;   in Loop: Header=BB12_12 Depth=1
	s_waitcnt lgkmcnt(2)
	global_store_b16 v[0:1], v4, off offset:320
	s_or_b32 exec_lo, exec_lo, s20
	s_and_saveexec_b32 s20, s18
	s_cbranch_execz .LBB12_129
.LBB12_163:                             ;   in Loop: Header=BB12_12 Depth=1
	s_waitcnt lgkmcnt(1)
	global_store_b16 v[0:1], v3, off offset:384
	s_or_b32 exec_lo, exec_lo, s20
	s_and_saveexec_b32 s20, s19
	s_cbranch_execnz .LBB12_130
	s_branch .LBB12_131
.LBB12_164:                             ;   in Loop: Header=BB12_12 Depth=1
	ds_load_u16 v9, v20
	s_waitcnt lgkmcnt(0)
	global_store_b16 v[0:1], v9, off
	s_or_b32 exec_lo, exec_lo, s20
	s_and_saveexec_b32 s12, s13
	s_cbranch_execz .LBB12_149
.LBB12_165:                             ;   in Loop: Header=BB12_12 Depth=1
	s_waitcnt lgkmcnt(6)
	global_store_b16 v[0:1], v8, off offset:64
	s_or_b32 exec_lo, exec_lo, s12
	s_and_saveexec_b32 s12, s14
	s_cbranch_execz .LBB12_150
.LBB12_166:                             ;   in Loop: Header=BB12_12 Depth=1
	s_waitcnt lgkmcnt(5)
	global_store_b16 v[0:1], v7, off offset:128
	s_or_b32 exec_lo, exec_lo, s12
	s_and_saveexec_b32 s12, s15
	s_cbranch_execz .LBB12_151
.LBB12_167:                             ;   in Loop: Header=BB12_12 Depth=1
	s_waitcnt lgkmcnt(4)
	global_store_b16 v[0:1], v6, off offset:192
	s_or_b32 exec_lo, exec_lo, s12
	s_and_saveexec_b32 s12, s16
	s_cbranch_execz .LBB12_152
.LBB12_168:                             ;   in Loop: Header=BB12_12 Depth=1
	s_waitcnt lgkmcnt(3)
	global_store_b16 v[0:1], v5, off offset:256
	s_or_b32 exec_lo, exec_lo, s12
	s_and_saveexec_b32 s12, s17
	s_cbranch_execz .LBB12_153
.LBB12_169:                             ;   in Loop: Header=BB12_12 Depth=1
	s_waitcnt lgkmcnt(2)
	global_store_b16 v[0:1], v4, off offset:320
	s_or_b32 exec_lo, exec_lo, s12
	s_and_saveexec_b32 s12, s18
	s_cbranch_execz .LBB12_154
.LBB12_170:                             ;   in Loop: Header=BB12_12 Depth=1
	s_waitcnt lgkmcnt(1)
	global_store_b16 v[0:1], v3, off offset:384
	s_or_b32 exec_lo, exec_lo, s12
	s_and_saveexec_b32 s12, s19
	s_cbranch_execz .LBB12_11
.LBB12_171:                             ;   in Loop: Header=BB12_12 Depth=1
	s_waitcnt lgkmcnt(0)
	global_store_b16 v[0:1], v2, off offset:448
	s_branch .LBB12_11
.LBB12_172:
	s_nop 0
	s_sendmsg sendmsg(MSG_DEALLOC_VGPRS)
	s_endpgm
	.section	.rodata,"a",@progbits
	.p2align	6, 0x0
	.amdhsa_kernel _Z25selective_scan_fwd_kernelI32Selective_Scan_fwd_kernel_traitsILi64ELi8ELi1ELb0ELb1ELb1ELb1ELb1EN3c108BFloat16EfS2_EEv13SSMParamsBase
		.amdhsa_group_segment_fixed_size 0
		.amdhsa_private_segment_fixed_size 0
		.amdhsa_kernarg_size 248
		.amdhsa_user_sgpr_count 14
		.amdhsa_user_sgpr_dispatch_ptr 0
		.amdhsa_user_sgpr_queue_ptr 0
		.amdhsa_user_sgpr_kernarg_segment_ptr 1
		.amdhsa_user_sgpr_dispatch_id 0
		.amdhsa_user_sgpr_private_segment_size 0
		.amdhsa_wavefront_size32 1
		.amdhsa_uses_dynamic_stack 0
		.amdhsa_enable_private_segment 0
		.amdhsa_system_sgpr_workgroup_id_x 1
		.amdhsa_system_sgpr_workgroup_id_y 1
		.amdhsa_system_sgpr_workgroup_id_z 0
		.amdhsa_system_sgpr_workgroup_info 0
		.amdhsa_system_vgpr_workitem_id 0
		.amdhsa_next_free_vgpr 99
		.amdhsa_next_free_sgpr 76
		.amdhsa_reserve_vcc 1
		.amdhsa_float_round_mode_32 0
		.amdhsa_float_round_mode_16_64 0
		.amdhsa_float_denorm_mode_32 3
		.amdhsa_float_denorm_mode_16_64 3
		.amdhsa_dx10_clamp 1
		.amdhsa_ieee_mode 1
		.amdhsa_fp16_overflow 0
		.amdhsa_workgroup_processor_mode 1
		.amdhsa_memory_ordered 1
		.amdhsa_forward_progress 0
		.amdhsa_shared_vgpr_count 0
		.amdhsa_exception_fp_ieee_invalid_op 0
		.amdhsa_exception_fp_denorm_src 0
		.amdhsa_exception_fp_ieee_div_zero 0
		.amdhsa_exception_fp_ieee_overflow 0
		.amdhsa_exception_fp_ieee_underflow 0
		.amdhsa_exception_fp_ieee_inexact 0
		.amdhsa_exception_int_div_zero 0
	.end_amdhsa_kernel
	.section	.text._Z25selective_scan_fwd_kernelI32Selective_Scan_fwd_kernel_traitsILi64ELi8ELi1ELb0ELb1ELb1ELb1ELb1EN3c108BFloat16EfS2_EEv13SSMParamsBase,"axG",@progbits,_Z25selective_scan_fwd_kernelI32Selective_Scan_fwd_kernel_traitsILi64ELi8ELi1ELb0ELb1ELb1ELb1ELb1EN3c108BFloat16EfS2_EEv13SSMParamsBase,comdat
.Lfunc_end12:
	.size	_Z25selective_scan_fwd_kernelI32Selective_Scan_fwd_kernel_traitsILi64ELi8ELi1ELb0ELb1ELb1ELb1ELb1EN3c108BFloat16EfS2_EEv13SSMParamsBase, .Lfunc_end12-_Z25selective_scan_fwd_kernelI32Selective_Scan_fwd_kernel_traitsILi64ELi8ELi1ELb0ELb1ELb1ELb1ELb1EN3c108BFloat16EfS2_EEv13SSMParamsBase
                                        ; -- End function
	.section	.AMDGPU.csdata,"",@progbits
; Kernel info:
; codeLenInByte = 14580
; NumSgprs: 78
; NumVgprs: 99
; ScratchSize: 0
; MemoryBound: 0
; FloatMode: 240
; IeeeMode: 1
; LDSByteSize: 0 bytes/workgroup (compile time only)
; SGPRBlocks: 9
; VGPRBlocks: 12
; NumSGPRsForWavesPerEU: 78
; NumVGPRsForWavesPerEU: 99
; Occupancy: 12
; WaveLimiterHint : 1
; COMPUTE_PGM_RSRC2:SCRATCH_EN: 0
; COMPUTE_PGM_RSRC2:USER_SGPR: 14
; COMPUTE_PGM_RSRC2:TRAP_HANDLER: 0
; COMPUTE_PGM_RSRC2:TGID_X_EN: 1
; COMPUTE_PGM_RSRC2:TGID_Y_EN: 1
; COMPUTE_PGM_RSRC2:TGID_Z_EN: 0
; COMPUTE_PGM_RSRC2:TIDIG_COMP_CNT: 0
	.section	.text._Z25selective_scan_fwd_kernelI32Selective_Scan_fwd_kernel_traitsILi64ELi8ELi1ELb0ELb1ELb1ELb1ELb0EN3c108BFloat16EfS2_EEv13SSMParamsBase,"axG",@progbits,_Z25selective_scan_fwd_kernelI32Selective_Scan_fwd_kernel_traitsILi64ELi8ELi1ELb0ELb1ELb1ELb1ELb0EN3c108BFloat16EfS2_EEv13SSMParamsBase,comdat
	.protected	_Z25selective_scan_fwd_kernelI32Selective_Scan_fwd_kernel_traitsILi64ELi8ELi1ELb0ELb1ELb1ELb1ELb0EN3c108BFloat16EfS2_EEv13SSMParamsBase ; -- Begin function _Z25selective_scan_fwd_kernelI32Selective_Scan_fwd_kernel_traitsILi64ELi8ELi1ELb0ELb1ELb1ELb1ELb0EN3c108BFloat16EfS2_EEv13SSMParamsBase
	.globl	_Z25selective_scan_fwd_kernelI32Selective_Scan_fwd_kernel_traitsILi64ELi8ELi1ELb0ELb1ELb1ELb1ELb0EN3c108BFloat16EfS2_EEv13SSMParamsBase
	.p2align	8
	.type	_Z25selective_scan_fwd_kernelI32Selective_Scan_fwd_kernel_traitsILi64ELi8ELi1ELb0ELb1ELb1ELb1ELb0EN3c108BFloat16EfS2_EEv13SSMParamsBase,@function
_Z25selective_scan_fwd_kernelI32Selective_Scan_fwd_kernel_traitsILi64ELi8ELi1ELb0ELb1ELb1ELb1ELb0EN3c108BFloat16EfS2_EEv13SSMParamsBase: ; @_Z25selective_scan_fwd_kernelI32Selective_Scan_fwd_kernel_traitsILi64ELi8ELi1ELb0ELb1ELb1ELb1ELb0EN3c108BFloat16EfS2_EEv13SSMParamsBase
; %bb.0:
	s_clause 0x1
	s_load_b32 s9, s[0:1], 0x18
	s_load_b128 s[4:7], s[0:1], 0xe8
	s_mov_b32 s12, s15
	s_mov_b32 s33, 0
	s_waitcnt lgkmcnt(0)
	s_abs_i32 s8, s9
	s_cmp_eq_u64 s[6:7], 0
	v_cvt_f32_u32_e32 v1, s8
	s_delay_alu instid0(VALU_DEP_1) | instskip(SKIP_2) | instid1(VALU_DEP_1)
	v_rcp_iflag_f32_e32 v1, v1
	s_waitcnt_depctr 0xfff
	v_mul_f32_e32 v1, 0x4f7ffffe, v1
	v_cvt_u32_f32_e32 v1, v1
	s_delay_alu instid0(VALU_DEP_1)
	v_readfirstlane_b32 s10, v1
	s_cbranch_scc1 .LBB13_2
; %bb.1:
	v_mov_b32_e32 v1, 0
	s_ashr_i32 s3, s14, 31
	s_add_u32 s2, s6, s14
	s_addc_u32 s3, s7, s3
	global_load_u8 v1, v1, s[2:3]
	s_waitcnt vmcnt(0)
	v_and_b32_e32 v1, 1, v1
	s_delay_alu instid0(VALU_DEP_1)
	v_cmp_eq_u32_e64 s33, 1, v1
.LBB13_2:
	s_load_b64 s[6:7], s[0:1], 0x20
	s_cmp_eq_u64 s[4:5], 0
	s_cbranch_scc1 .LBB13_4
; %bb.3:
	s_ashr_i32 s15, s14, 31
	s_delay_alu instid0(SALU_CYCLE_1) | instskip(NEXT) | instid1(SALU_CYCLE_1)
	s_lshl_b64 s[2:3], s[14:15], 2
	s_add_u32 s2, s4, s2
	s_addc_u32 s3, s5, s3
	s_load_b32 s2, s[2:3], 0x0
	s_waitcnt lgkmcnt(0)
	s_ashr_i32 s3, s2, 31
	s_delay_alu instid0(SALU_CYCLE_1)
	s_cmp_eq_u64 s[6:7], s[2:3]
	s_cbranch_scc0 .LBB13_5
	s_branch .LBB13_172
.LBB13_4:
	s_mov_b32 s2, s14
	s_delay_alu instid0(SALU_CYCLE_1)
	s_ashr_i32 s3, s2, 31
	s_waitcnt lgkmcnt(0)
	s_cmp_eq_u64 s[6:7], s[2:3]
	s_cbranch_scc1 .LBB13_172
.LBB13_5:
	s_clause 0x1
	s_load_b512 s[16:31], s[0:1], 0x88
	s_load_b64 s[34:35], s[0:1], 0x8
	s_mov_b32 s54, 0
	s_mov_b32 s55, 0
	s_waitcnt lgkmcnt(0)
	s_cmp_eq_u64 s[22:23], 0
	s_cbranch_scc1 .LBB13_7
; %bb.6:
	s_ashr_i32 s13, s12, 31
	s_delay_alu instid0(SALU_CYCLE_1) | instskip(NEXT) | instid1(SALU_CYCLE_1)
	s_lshl_b64 s[4:5], s[12:13], 2
	s_add_u32 s4, s22, s4
	s_addc_u32 s5, s23, s5
	s_load_b32 s55, s[4:5], 0x0
.LBB13_7:
	s_cmp_eq_u64 s[28:29], 0
	s_cbranch_scc1 .LBB13_9
; %bb.8:
	s_ashr_i32 s13, s12, 31
	s_delay_alu instid0(SALU_CYCLE_1) | instskip(NEXT) | instid1(SALU_CYCLE_1)
	s_lshl_b64 s[4:5], s[12:13], 2
	s_add_u32 s4, s28, s4
	s_addc_u32 s5, s29, s5
	s_load_b32 s54, s[4:5], 0x0
.LBB13_9:
	s_cmp_lt_i32 s34, 1
	s_cbranch_scc1 .LBB13_172
; %bb.10:
	s_sub_i32 s3, 0, s8
	s_load_b256 s[36:43], s[0:1], 0x4c
	s_mul_i32 s3, s3, s10
	s_abs_i32 s4, s12
	s_mul_hi_u32 s3, s10, s3
	s_ashr_i32 s6, s9, 31
	s_add_i32 s10, s10, s3
	s_ashr_i32 s3, s12, 31
	s_mul_hi_u32 s5, s4, s10
	s_xor_b32 s3, s3, s6
	s_mul_i32 s7, s5, s8
	s_add_i32 s6, s5, 1
	s_sub_i32 s4, s4, s7
	s_load_b256 s[44:51], s[0:1], 0x2c
	s_sub_i32 s7, s4, s8
	s_cmp_ge_u32 s4, s8
	s_mov_b32 s53, 0
	s_cselect_b32 s5, s6, s5
	s_cselect_b32 s4, s7, s4
	s_add_i32 s6, s5, 1
	s_cmp_ge_u32 s4, s8
	s_waitcnt lgkmcnt(0)
	s_mul_i32 s52, s38, s14
	s_cselect_b32 s6, s6, s5
	s_lshl_b64 s[4:5], s[52:53], 1
	s_xor_b32 s6, s6, s3
	s_mul_i32 s52, s39, s12
	s_sub_i32 s3, s6, s3
	s_add_u32 s6, s24, s4
	s_addc_u32 s7, s25, s5
	s_lshl_b64 s[4:5], s[52:53], 1
	s_mul_i32 s52, s40, s14
	s_add_u32 s47, s6, s4
	s_addc_u32 s51, s7, s5
	s_lshl_b64 s[4:5], s[52:53], 1
	s_mul_i32 s52, s41, s12
	;; [unrolled: 4-line block ×3, first 2 shown]
	s_add_u32 s56, s6, s4
	s_addc_u32 s44, s7, s5
	s_lshl_b64 s[4:5], s[52:53], 2
	v_dual_mov_b32 v13, 0 :: v_dual_lshlrev_b32 v10, 3, v0
	s_add_u32 s57, s16, s4
	s_addc_u32 s58, s17, s5
	s_load_b64 s[4:5], s[0:1], 0x7c
	s_mul_i32 s52, s46, s14
	s_load_b128 s[24:27], s[0:1], 0xc8
	s_lshl_b64 s[6:7], s[52:53], 1
	s_mul_i32 s52, s3, s49
	s_add_u32 s8, s18, s6
	v_mbcnt_lo_u32_b32 v1, -1, 0
	v_and_b32_e32 v2, 0x100, v10
	s_addc_u32 s9, s19, s7
	s_lshl_b64 s[6:7], s[52:53], 1
	s_mul_i32 s52, s50, s14
	s_add_u32 s46, s8, s6
	s_load_b128 s[16:19], s[0:1], 0x6c
	s_addc_u32 s49, s9, s7
	s_lshl_b64 s[6:7], s[52:53], 1
	s_load_b64 s[22:23], s[0:1], 0xd8
	s_mul_i32 s52, s3, s37
	s_clause 0x1
	s_load_b32 s37, s[0:1], 0x84
	s_load_b32 s0, s[0:1], 0x28
	v_or_b32_e32 v11, v1, v2
	s_add_u32 s8, s20, s6
	s_addc_u32 s3, s21, s7
	s_lshl_b64 s[6:7], s[52:53], 1
	s_waitcnt lgkmcnt(0)
	s_mul_i32 s52, s2, s4
	v_or_b32_e32 v12, 0x60, v11
	s_add_u32 s50, s8, s6
	s_addc_u32 s59, s3, s7
	s_lshl_b64 s[2:3], s[52:53], 1
	v_or_b32_e32 v17, 0xa0, v11
	v_lshrrev_b32_e32 v3, 5, v12
	v_or_b32_e32 v19, 0xe0, v11
	s_mul_i32 s52, s5, s12
	s_add_u32 s4, s24, s2
	s_addc_u32 s5, s25, s3
	s_lshl_b64 s[2:3], s[52:53], 1
	v_or_b32_e32 v15, 64, v11
	s_add_u32 s60, s4, s2
	v_or_b32_e32 v16, 0x80, v11
	v_and_b32_e32 v3, 10, v3
	v_or_b32_e32 v18, 0xc0, v11
	v_and_b32_e32 v6, 32, v0
	v_lshrrev_b32_e32 v7, 5, v17
	v_lshrrev_b32_e32 v24, 5, v19
	s_addc_u32 s61, s5, s3
	s_add_i32 s1, s34, 0x7ff
	v_lshrrev_b32_e32 v4, 5, v2
	s_lshr_b32 s62, s1, 11
	s_bitcmp1_b32 s0, 0
	v_lshrrev_b32_e32 v5, 5, v15
	v_add_lshl_u32 v3, v3, v11, 1
	v_lshrrev_b32_e32 v8, 5, v16
	v_or_b32_e32 v9, v1, v6
	v_and_b32_e32 v7, 12, v7
	v_lshrrev_b32_e32 v23, 5, v18
	v_and_b32_e32 v26, 14, v24
	s_cselect_b32 s63, -1, 0
	s_cmp_gt_i32 s35, 0
	v_add_lshl_u32 v4, v4, v11, 1
	s_cselect_b32 s64, -1, 0
	s_add_i32 s0, 0, 0x420
	v_add_lshl_u32 v5, v5, v11, 1
	v_add_nc_u32_e32 v22, 0, v3
	v_add_lshl_u32 v8, v8, v11, 1
	v_lshrrev_b32_e32 v25, 2, v9
	v_add_lshl_u32 v7, v7, v11, 1
	v_add_lshl_u32 v33, v23, v11, 1
	;; [unrolled: 1-line block ×3, first 2 shown]
	v_add_nc_u32_e32 v30, s0, v3
	v_and_b32_e32 v3, 15, v1
	s_and_b32 s1, s34, 0x1ff
	v_and_b32_e32 v27, 14, v25
	v_add_nc_u32_e32 v25, 0, v33
	v_add_nc_u32_e32 v26, 0, v34
	;; [unrolled: 1-line block ×7, first 2 shown]
	s_cmp_eq_u32 s1, 0
	v_add_nc_u32_e32 v34, s0, v34
	v_cmp_ne_u32_e64 s0, 0, v3
	v_cmp_lt_u32_e64 s1, 1, v3
	v_cmp_lt_u32_e64 s2, 3, v3
	;; [unrolled: 1-line block ×3, first 2 shown]
	v_add_nc_u32_e32 v3, -1, v1
	v_add_nc_u32_e32 v20, 0, v4
	v_lshrrev_b32_e32 v4, 2, v0
	s_mul_i32 s52, s16, s14
	s_cselect_b32 s65, -1, 0
	v_or_b32_e32 v6, 31, v6
	v_cmp_gt_i32_e32 vcc_lo, 0, v3
	s_lshl_b64 s[20:21], s[52:53], 1
	s_add_i32 s66, s62, -1
	s_mul_i32 s52, s17, s12
	v_dual_cndmask_b32 v3, v3, v1 :: v_dual_and_b32 v4, 8, v4
	s_add_u32 s13, s30, s20
	s_addc_u32 s15, s31, s21
	s_lshl_b64 s[16:17], s[52:53], 1
	s_mul_i32 s52, s42, s14
	v_cmp_eq_u32_e64 s5, v6, v0
	v_cmp_gt_u32_e64 s6, 2, v0
	v_cmp_gt_u32_e64 s8, 32, v0
	v_cmp_lt_u32_e64 s9, 31, v0
	v_cmp_eq_u32_e64 s10, 0, v0
	s_add_u32 s13, s13, s16
	v_lshlrev_b32_e32 v0, 1, v1
	s_addc_u32 s15, s15, s17
	s_lshl_b64 s[16:17], s[52:53], 1
	v_add_nc_u32_e32 v21, 0, v5
	v_and_b32_e32 v5, 16, v1
	v_add_nc_u32_e32 v35, 0, v4
	v_and_b32_e32 v4, 1, v1
	s_mul_i32 s52, s43, s12
	s_add_u32 s20, s26, s16
	s_addc_u32 s21, s27, s17
	s_lshl_b64 s[16:17], s[52:53], 1
	v_lshlrev_b32_e32 v37, 2, v3
	v_add_co_u32 v3, s13, s13, v0
	s_mul_i32 s52, s18, s14
	s_add_u32 s16, s20, s16
	v_cmp_ne_u32_e64 s4, 0, v5
	v_cmp_eq_u32_e64 s7, 0, v4
	v_add_co_ci_u32_e64 v4, null, s15, 0, s13
	s_addc_u32 s17, s21, s17
	s_lshl_b64 s[14:15], s[52:53], 1
	v_lshlrev_b32_e32 v5, 1, v2
	s_mul_i32 s52, s19, s12
	s_add_u32 s14, s22, s14
	s_addc_u32 s15, s23, s15
	s_lshl_b64 s[12:13], s[52:53], 1
	v_add_co_u32 v38, vcc_lo, v3, v5
	s_add_u32 s12, s14, s12
	v_add_co_u32 v3, s14, s16, v0
	v_add_co_ci_u32_e32 v39, vcc_lo, 0, v4, vcc_lo
	v_add_co_ci_u32_e64 v4, null, s17, 0, s14
	s_addc_u32 s13, s15, s13
	v_add_co_u32 v0, s12, s12, v0
	v_lshl_add_u32 v9, v9, 3, v27
	v_add_co_ci_u32_e64 v6, null, s13, 0, s12
	v_add_co_u32 v40, vcc_lo, v3, v5
	v_add_co_ci_u32_e32 v41, vcc_lo, 0, v4, vcc_lo
	v_add_co_u32 v42, vcc_lo, v0, v5
	v_or_b32_e32 v14, 32, v11
	v_add_nc_u32_e32 v23, 0, v8
	v_add_nc_u32_e32 v24, 0, v7
	v_lshl_add_u32 v27, v9, 1, 0
	v_add_nc_u32_e32 v36, 0, v10
	v_cmp_eq_u32_e64 s11, 0, v1
	v_add_co_ci_u32_e32 v43, vcc_lo, 0, v6, vcc_lo
	v_or_b32_e32 v44, 1, v10
	v_or_b32_e32 v45, 2, v10
	;; [unrolled: 1-line block ×7, first 2 shown]
	v_lshlrev_b32_e32 v51, 1, v1
	v_lshlrev_b32_e32 v52, 1, v2
	s_mov_b32 s67, 0x3e9b6dac
	s_add_i32 s68, 0, 0x850
	s_mov_b32 s69, 0
	s_branch .LBB13_12
.LBB13_11:                              ;   in Loop: Header=BB13_12 Depth=1
	s_or_b32 exec_lo, exec_lo, s12
	s_add_u32 s56, s56, 0x400
	s_addc_u32 s44, s44, 0
	s_add_u32 s47, s47, 0x400
	s_addc_u32 s51, s51, 0
	;; [unrolled: 2-line block ×4, first 2 shown]
	s_add_i32 s69, s69, 1
	s_delay_alu instid0(SALU_CYCLE_1)
	s_cmp_lg_u32 s69, s62
	s_cbranch_scc0 .LBB13_172
.LBB13_12:                              ; =>This Loop Header: Depth=1
                                        ;     Child Loop BB13_61 Depth 2
	v_add_co_u32 v0, s12, s47, v51
	s_delay_alu instid0(VALU_DEP_1) | instskip(SKIP_1) | instid1(VALU_DEP_2)
	v_add_co_ci_u32_e64 v1, null, s51, 0, s12
	s_lshl_b32 s30, s69, 9
	v_add_co_u32 v0, vcc_lo, v0, v52
	s_sub_i32 s23, s34, s30
	s_delay_alu instid0(VALU_DEP_2)
	v_add_co_ci_u32_e32 v1, vcc_lo, 0, v1, vcc_lo
	v_cmp_gt_u32_e64 s12, s23, v11
	s_waitcnt lgkmcnt(0)
	v_mov_b32_e32 v2, 0
	s_waitcnt_vscnt null, 0x0
	s_barrier
	buffer_gl0_inv
	s_and_saveexec_b32 s13, s12
	s_cbranch_execz .LBB13_14
; %bb.13:                               ;   in Loop: Header=BB13_12 Depth=1
	global_load_u16 v2, v[0:1], off
.LBB13_14:                              ;   in Loop: Header=BB13_12 Depth=1
	s_or_b32 exec_lo, exec_lo, s13
	v_cmp_gt_u32_e64 s13, s23, v14
	v_dual_mov_b32 v3, 0 :: v_dual_mov_b32 v4, 0
	s_delay_alu instid0(VALU_DEP_2)
	s_and_saveexec_b32 s14, s13
	s_cbranch_execz .LBB13_16
; %bb.15:                               ;   in Loop: Header=BB13_12 Depth=1
	global_load_u16 v4, v[0:1], off offset:64
.LBB13_16:                              ;   in Loop: Header=BB13_12 Depth=1
	s_or_b32 exec_lo, exec_lo, s14
	v_cmp_gt_u32_e64 s14, s23, v15
	s_delay_alu instid0(VALU_DEP_1)
	s_and_saveexec_b32 s15, s14
	s_cbranch_execz .LBB13_18
; %bb.17:                               ;   in Loop: Header=BB13_12 Depth=1
	global_load_u16 v3, v[0:1], off offset:128
.LBB13_18:                              ;   in Loop: Header=BB13_12 Depth=1
	s_or_b32 exec_lo, exec_lo, s15
	v_cmp_gt_u32_e64 s15, s23, v12
	v_mov_b32_e32 v5, 0
	v_mov_b32_e32 v7, 0
	s_delay_alu instid0(VALU_DEP_3)
	s_and_saveexec_b32 s16, s15
	s_cbranch_execz .LBB13_20
; %bb.19:                               ;   in Loop: Header=BB13_12 Depth=1
	global_load_u16 v7, v[0:1], off offset:192
.LBB13_20:                              ;   in Loop: Header=BB13_12 Depth=1
	s_or_b32 exec_lo, exec_lo, s16
	v_cmp_gt_u32_e64 s16, s23, v16
	s_delay_alu instid0(VALU_DEP_1)
	s_and_saveexec_b32 s17, s16
	s_cbranch_execz .LBB13_22
; %bb.21:                               ;   in Loop: Header=BB13_12 Depth=1
	global_load_u16 v5, v[0:1], off offset:256
.LBB13_22:                              ;   in Loop: Header=BB13_12 Depth=1
	s_or_b32 exec_lo, exec_lo, s17
	v_cmp_gt_u32_e64 s17, s23, v17
	v_dual_mov_b32 v8, 0 :: v_dual_mov_b32 v9, 0
	s_delay_alu instid0(VALU_DEP_2)
	s_and_saveexec_b32 s18, s17
	s_cbranch_execz .LBB13_24
; %bb.23:                               ;   in Loop: Header=BB13_12 Depth=1
	global_load_u16 v9, v[0:1], off offset:320
.LBB13_24:                              ;   in Loop: Header=BB13_12 Depth=1
	s_or_b32 exec_lo, exec_lo, s18
	v_cmp_gt_u32_e64 s18, s23, v18
	s_delay_alu instid0(VALU_DEP_1)
	s_and_saveexec_b32 s19, s18
	s_cbranch_execz .LBB13_26
; %bb.25:                               ;   in Loop: Header=BB13_12 Depth=1
	global_load_u16 v8, v[0:1], off offset:384
.LBB13_26:                              ;   in Loop: Header=BB13_12 Depth=1
	s_or_b32 exec_lo, exec_lo, s19
	v_cmp_gt_u32_e64 s19, s23, v19
	v_dual_mov_b32 v6, 0 :: v_dual_mov_b32 v53, 0
	s_delay_alu instid0(VALU_DEP_2)
	s_and_saveexec_b32 s20, s19
	s_cbranch_execz .LBB13_28
; %bb.27:                               ;   in Loop: Header=BB13_12 Depth=1
	global_load_u16 v53, v[0:1], off offset:448
.LBB13_28:                              ;   in Loop: Header=BB13_12 Depth=1
	s_or_b32 exec_lo, exec_lo, s20
	s_waitcnt vmcnt(0)
	ds_store_b16 v20, v2
	ds_store_b16 v20, v4 offset:64
	ds_store_b16 v21, v3 offset:128
	;; [unrolled: 1-line block ×7, first 2 shown]
	; wave barrier
	ds_load_b128 v[0:3], v27
	v_add_co_u32 v4, s20, s56, v51
	s_delay_alu instid0(VALU_DEP_1) | instskip(SKIP_1) | instid1(VALU_DEP_2)
	v_add_co_ci_u32_e64 v5, null, s44, 0, s20
	s_waitcnt lgkmcnt(0)
	v_add_co_u32 v4, vcc_lo, v4, v52
	s_delay_alu instid0(VALU_DEP_2)
	v_add_co_ci_u32_e32 v5, vcc_lo, 0, v5, vcc_lo
	s_barrier
	buffer_gl0_inv
	s_and_saveexec_b32 s20, s12
	s_cbranch_execz .LBB13_30
; %bb.29:                               ;   in Loop: Header=BB13_12 Depth=1
	global_load_u16 v6, v[4:5], off
.LBB13_30:                              ;   in Loop: Header=BB13_12 Depth=1
	s_or_b32 exec_lo, exec_lo, s20
	v_dual_mov_b32 v7, 0 :: v_dual_mov_b32 v8, 0
	s_and_saveexec_b32 s20, s13
	s_cbranch_execz .LBB13_32
; %bb.31:                               ;   in Loop: Header=BB13_12 Depth=1
	global_load_u16 v8, v[4:5], off offset:64
.LBB13_32:                              ;   in Loop: Header=BB13_12 Depth=1
	s_or_b32 exec_lo, exec_lo, s20
	s_and_saveexec_b32 s20, s14
	s_cbranch_execz .LBB13_34
; %bb.33:                               ;   in Loop: Header=BB13_12 Depth=1
	global_load_u16 v7, v[4:5], off offset:128
.LBB13_34:                              ;   in Loop: Header=BB13_12 Depth=1
	s_or_b32 exec_lo, exec_lo, s20
	v_mov_b32_e32 v9, 0
	v_mov_b32_e32 v53, 0
	s_and_saveexec_b32 s20, s15
	s_cbranch_execz .LBB13_36
; %bb.35:                               ;   in Loop: Header=BB13_12 Depth=1
	global_load_u16 v53, v[4:5], off offset:192
.LBB13_36:                              ;   in Loop: Header=BB13_12 Depth=1
	s_or_b32 exec_lo, exec_lo, s20
	s_and_saveexec_b32 s20, s16
	s_cbranch_execz .LBB13_38
; %bb.37:                               ;   in Loop: Header=BB13_12 Depth=1
	global_load_u16 v9, v[4:5], off offset:256
.LBB13_38:                              ;   in Loop: Header=BB13_12 Depth=1
	s_or_b32 exec_lo, exec_lo, s20
	v_dual_mov_b32 v54, 0 :: v_dual_mov_b32 v55, 0
	s_and_saveexec_b32 s20, s17
	s_cbranch_execnz .LBB13_155
; %bb.39:                               ;   in Loop: Header=BB13_12 Depth=1
	s_or_b32 exec_lo, exec_lo, s20
	s_and_saveexec_b32 s20, s18
	s_cbranch_execnz .LBB13_156
.LBB13_40:                              ;   in Loop: Header=BB13_12 Depth=1
	s_or_b32 exec_lo, exec_lo, s20
	v_mov_b32_e32 v56, 0
	s_and_saveexec_b32 s20, s19
	s_cbranch_execz .LBB13_42
.LBB13_41:                              ;   in Loop: Header=BB13_12 Depth=1
	global_load_u16 v56, v[4:5], off offset:448
.LBB13_42:                              ;   in Loop: Header=BB13_12 Depth=1
	s_or_b32 exec_lo, exec_lo, s20
	s_waitcnt vmcnt(0)
	ds_store_b16 v20, v6
	ds_store_b16 v20, v8 offset:64
	ds_store_b16 v21, v7 offset:128
	;; [unrolled: 1-line block ×7, first 2 shown]
	; wave barrier
	ds_load_b128 v[4:7], v27
	s_waitcnt lgkmcnt(0)
	v_lshlrev_b32_e32 v8, 16, v4
	s_delay_alu instid0(VALU_DEP_1) | instskip(NEXT) | instid1(VALU_DEP_1)
	v_add_f32_e32 v53, s54, v8
	v_cmp_ge_f32_e32 vcc_lo, 0x41a00000, v53
	s_and_b32 s20, s63, vcc_lo
	s_delay_alu instid0(SALU_CYCLE_1)
	s_and_saveexec_b32 s21, s20
	s_cbranch_execz .LBB13_44
; %bb.43:                               ;   in Loop: Header=BB13_12 Depth=1
	v_mul_f32_e32 v8, 0x3fb8aa3b, v53
	v_cmp_ngt_f32_e32 vcc_lo, 0xc2ce8ed0, v53
	s_delay_alu instid0(VALU_DEP_2) | instskip(SKIP_1) | instid1(VALU_DEP_2)
	v_rndne_f32_e32 v9, v8
	v_fma_f32 v54, 0x3fb8aa3b, v53, -v8
	v_sub_f32_e32 v8, v8, v9
	s_delay_alu instid0(VALU_DEP_2) | instskip(SKIP_1) | instid1(VALU_DEP_2)
	v_fmac_f32_e32 v54, 0x32a5705f, v53
	v_cvt_i32_f32_e32 v9, v9
	v_add_f32_e32 v8, v8, v54
	s_delay_alu instid0(VALU_DEP_1) | instskip(SKIP_2) | instid1(VALU_DEP_1)
	v_exp_f32_e32 v8, v8
	s_waitcnt_depctr 0xfff
	v_ldexp_f32 v8, v8, v9
	v_cndmask_b32_e32 v8, 0, v8, vcc_lo
	v_cmp_nlt_f32_e32 vcc_lo, 0x42b17218, v53
	s_delay_alu instid0(VALU_DEP_2) | instskip(NEXT) | instid1(VALU_DEP_1)
	v_cndmask_b32_e32 v53, 0x7f800000, v8, vcc_lo
	v_add_f32_e32 v54, 1.0, v53
	s_delay_alu instid0(VALU_DEP_1) | instskip(NEXT) | instid1(VALU_DEP_1)
	v_cvt_f64_f32_e32 v[8:9], v54
	v_frexp_exp_i32_f64_e32 v8, v[8:9]
	v_frexp_mant_f32_e32 v9, v54
	s_delay_alu instid0(VALU_DEP_1) | instskip(SKIP_1) | instid1(VALU_DEP_1)
	v_cmp_gt_f32_e32 vcc_lo, 0x3f2aaaab, v9
	v_add_f32_e32 v9, -1.0, v54
	v_sub_f32_e32 v56, v9, v54
	v_sub_f32_e32 v9, v53, v9
	v_cmp_gt_f32_e64 s20, 0x33800000, v53
	s_delay_alu instid0(VALU_DEP_3) | instskip(NEXT) | instid1(VALU_DEP_1)
	v_add_f32_e32 v56, 1.0, v56
	v_add_f32_e32 v9, v9, v56
	v_subrev_co_ci_u32_e32 v8, vcc_lo, 0, v8, vcc_lo
	v_cmp_eq_f32_e32 vcc_lo, 0x7f800000, v53
	s_delay_alu instid0(VALU_DEP_2) | instskip(SKIP_2) | instid1(VALU_DEP_2)
	v_sub_nc_u32_e32 v55, 0, v8
	v_cvt_f32_i32_e32 v8, v8
	s_or_b32 vcc_lo, s20, vcc_lo
	v_ldexp_f32 v54, v54, v55
	v_ldexp_f32 v9, v9, v55
	s_delay_alu instid0(VALU_DEP_2) | instskip(NEXT) | instid1(VALU_DEP_1)
	v_add_f32_e32 v57, 1.0, v54
	v_dual_add_f32 v55, -1.0, v54 :: v_dual_add_f32 v56, -1.0, v57
	s_delay_alu instid0(VALU_DEP_1) | instskip(NEXT) | instid1(VALU_DEP_2)
	v_add_f32_e32 v58, 1.0, v55
	v_sub_f32_e32 v56, v54, v56
	s_delay_alu instid0(VALU_DEP_2) | instskip(NEXT) | instid1(VALU_DEP_2)
	v_sub_f32_e32 v54, v54, v58
	v_add_f32_e32 v56, v9, v56
	s_delay_alu instid0(VALU_DEP_2) | instskip(NEXT) | instid1(VALU_DEP_1)
	v_add_f32_e32 v9, v9, v54
	v_dual_add_f32 v59, v55, v9 :: v_dual_add_f32 v58, v57, v56
	s_delay_alu instid0(VALU_DEP_1) | instskip(NEXT) | instid1(VALU_DEP_2)
	v_sub_f32_e32 v55, v55, v59
	v_rcp_f32_e32 v54, v58
	v_sub_f32_e32 v57, v57, v58
	s_delay_alu instid0(VALU_DEP_1) | instskip(SKIP_2) | instid1(VALU_DEP_1)
	v_dual_add_f32 v9, v9, v55 :: v_dual_add_f32 v56, v56, v57
	s_waitcnt_depctr 0xfff
	v_mul_f32_e32 v60, v59, v54
	v_mul_f32_e32 v61, v58, v60
	s_delay_alu instid0(VALU_DEP_1) | instskip(NEXT) | instid1(VALU_DEP_1)
	v_fma_f32 v57, v60, v58, -v61
	v_fmac_f32_e32 v57, v60, v56
	s_delay_alu instid0(VALU_DEP_1) | instskip(NEXT) | instid1(VALU_DEP_1)
	v_add_f32_e32 v62, v61, v57
	v_sub_f32_e32 v63, v59, v62
	s_delay_alu instid0(VALU_DEP_1) | instskip(NEXT) | instid1(VALU_DEP_1)
	v_sub_f32_e32 v59, v59, v63
	v_sub_f32_e32 v59, v59, v62
	;; [unrolled: 1-line block ×3, first 2 shown]
	s_delay_alu instid0(VALU_DEP_2) | instskip(NEXT) | instid1(VALU_DEP_2)
	v_add_f32_e32 v9, v9, v59
	v_sub_f32_e32 v55, v55, v57
	s_delay_alu instid0(VALU_DEP_1) | instskip(NEXT) | instid1(VALU_DEP_1)
	v_add_f32_e32 v9, v55, v9
	v_add_f32_e32 v55, v63, v9
	s_delay_alu instid0(VALU_DEP_1) | instskip(NEXT) | instid1(VALU_DEP_1)
	v_mul_f32_e32 v57, v54, v55
	v_dual_sub_f32 v62, v63, v55 :: v_dual_mul_f32 v59, v58, v57
	s_delay_alu instid0(VALU_DEP_1) | instskip(NEXT) | instid1(VALU_DEP_2)
	v_add_f32_e32 v9, v9, v62
	v_fma_f32 v58, v57, v58, -v59
	s_delay_alu instid0(VALU_DEP_1) | instskip(NEXT) | instid1(VALU_DEP_1)
	v_fmac_f32_e32 v58, v57, v56
	v_add_f32_e32 v56, v59, v58
	s_delay_alu instid0(VALU_DEP_1) | instskip(NEXT) | instid1(VALU_DEP_1)
	v_sub_f32_e32 v61, v55, v56
	v_sub_f32_e32 v55, v55, v61
	s_delay_alu instid0(VALU_DEP_1) | instskip(NEXT) | instid1(VALU_DEP_1)
	v_sub_f32_e32 v55, v55, v56
	v_add_f32_e32 v9, v9, v55
	v_add_f32_e32 v55, v60, v57
	v_sub_f32_e32 v59, v56, v59
	s_delay_alu instid0(VALU_DEP_1) | instskip(NEXT) | instid1(VALU_DEP_1)
	v_sub_f32_e32 v56, v59, v58
	v_dual_add_f32 v9, v56, v9 :: v_dual_sub_f32 v56, v55, v60
	s_delay_alu instid0(VALU_DEP_1) | instskip(NEXT) | instid1(VALU_DEP_1)
	v_add_f32_e32 v9, v61, v9
	v_dual_sub_f32 v56, v57, v56 :: v_dual_mul_f32 v9, v54, v9
	s_delay_alu instid0(VALU_DEP_1) | instskip(NEXT) | instid1(VALU_DEP_1)
	v_add_f32_e32 v9, v56, v9
	v_add_f32_e32 v54, v55, v9
	s_delay_alu instid0(VALU_DEP_1) | instskip(NEXT) | instid1(VALU_DEP_1)
	v_mul_f32_e32 v56, v54, v54
	v_fmaak_f32 v57, s67, v56, 0x3ecc95a3
	v_mul_f32_e32 v58, v54, v56
	s_delay_alu instid0(VALU_DEP_2) | instskip(SKIP_2) | instid1(VALU_DEP_3)
	v_fmaak_f32 v56, v56, v57, 0x3f2aaada
	v_ldexp_f32 v57, v54, 1
	v_sub_f32_e32 v54, v54, v55
	v_mul_f32_e32 v56, v58, v56
	v_mul_f32_e32 v58, 0x3f317218, v8
	s_delay_alu instid0(VALU_DEP_2) | instskip(NEXT) | instid1(VALU_DEP_1)
	v_add_f32_e32 v55, v57, v56
	v_dual_sub_f32 v9, v9, v54 :: v_dual_sub_f32 v54, v55, v57
	s_delay_alu instid0(VALU_DEP_3) | instskip(NEXT) | instid1(VALU_DEP_2)
	v_fma_f32 v57, 0x3f317218, v8, -v58
	v_ldexp_f32 v9, v9, 1
	s_delay_alu instid0(VALU_DEP_2) | instskip(NEXT) | instid1(VALU_DEP_1)
	v_dual_sub_f32 v54, v56, v54 :: v_dual_fmac_f32 v57, 0xb102e308, v8
	v_dual_add_f32 v8, v9, v54 :: v_dual_add_f32 v9, v58, v57
	s_delay_alu instid0(VALU_DEP_1) | instskip(NEXT) | instid1(VALU_DEP_1)
	v_add_f32_e32 v54, v55, v8
	v_add_f32_e32 v56, v9, v54
	s_delay_alu instid0(VALU_DEP_1) | instskip(NEXT) | instid1(VALU_DEP_1)
	v_sub_f32_e32 v59, v56, v9
	v_sub_f32_e32 v60, v56, v59
	;; [unrolled: 1-line block ×4, first 2 shown]
	s_delay_alu instid0(VALU_DEP_2) | instskip(SKIP_1) | instid1(VALU_DEP_1)
	v_sub_f32_e32 v8, v8, v55
	v_sub_f32_e32 v58, v9, v58
	;; [unrolled: 1-line block ×3, first 2 shown]
	s_delay_alu instid0(VALU_DEP_1) | instskip(SKIP_1) | instid1(VALU_DEP_1)
	v_add_f32_e32 v55, v57, v8
	v_sub_f32_e32 v9, v9, v60
	v_add_f32_e32 v9, v54, v9
	s_delay_alu instid0(VALU_DEP_3) | instskip(NEXT) | instid1(VALU_DEP_1)
	v_sub_f32_e32 v54, v55, v57
	v_dual_sub_f32 v8, v8, v54 :: v_dual_add_f32 v9, v55, v9
	s_delay_alu instid0(VALU_DEP_1) | instskip(NEXT) | instid1(VALU_DEP_1)
	v_dual_sub_f32 v55, v55, v54 :: v_dual_add_f32 v58, v56, v9
	v_dual_sub_f32 v55, v57, v55 :: v_dual_sub_f32 v54, v58, v56
	s_delay_alu instid0(VALU_DEP_1) | instskip(NEXT) | instid1(VALU_DEP_1)
	v_dual_add_f32 v8, v8, v55 :: v_dual_sub_f32 v9, v9, v54
	v_add_f32_e32 v8, v8, v9
	s_delay_alu instid0(VALU_DEP_1) | instskip(NEXT) | instid1(VALU_DEP_1)
	v_add_f32_e32 v8, v58, v8
	v_cndmask_b32_e32 v53, v8, v53, vcc_lo
.LBB13_44:                              ;   in Loop: Header=BB13_12 Depth=1
	s_or_b32 exec_lo, exec_lo, s21
	v_and_b32_e32 v4, 0xffff0000, v4
	s_delay_alu instid0(VALU_DEP_1) | instskip(NEXT) | instid1(VALU_DEP_1)
	v_add_f32_e32 v54, s54, v4
	v_cmp_ge_f32_e32 vcc_lo, 0x41a00000, v54
	s_and_b32 s20, s63, vcc_lo
	s_delay_alu instid0(SALU_CYCLE_1)
	s_and_saveexec_b32 s21, s20
	s_cbranch_execz .LBB13_46
; %bb.45:                               ;   in Loop: Header=BB13_12 Depth=1
	v_mul_f32_e32 v4, 0x3fb8aa3b, v54
	v_cmp_ngt_f32_e32 vcc_lo, 0xc2ce8ed0, v54
	s_delay_alu instid0(VALU_DEP_2) | instskip(SKIP_1) | instid1(VALU_DEP_1)
	v_rndne_f32_e32 v8, v4
	v_fma_f32 v9, 0x3fb8aa3b, v54, -v4
	v_dual_sub_f32 v4, v4, v8 :: v_dual_fmac_f32 v9, 0x32a5705f, v54
	v_cvt_i32_f32_e32 v8, v8
	s_delay_alu instid0(VALU_DEP_2) | instskip(NEXT) | instid1(VALU_DEP_1)
	v_add_f32_e32 v4, v4, v9
	v_exp_f32_e32 v4, v4
	s_waitcnt_depctr 0xfff
	v_ldexp_f32 v4, v4, v8
	s_delay_alu instid0(VALU_DEP_1) | instskip(SKIP_1) | instid1(VALU_DEP_2)
	v_cndmask_b32_e32 v4, 0, v4, vcc_lo
	v_cmp_nlt_f32_e32 vcc_lo, 0x42b17218, v54
	v_cndmask_b32_e32 v4, 0x7f800000, v4, vcc_lo
	s_delay_alu instid0(VALU_DEP_1) | instskip(NEXT) | instid1(VALU_DEP_1)
	v_add_f32_e32 v54, 1.0, v4
	v_cvt_f64_f32_e32 v[8:9], v54
	s_delay_alu instid0(VALU_DEP_1) | instskip(SKIP_1) | instid1(VALU_DEP_1)
	v_frexp_exp_i32_f64_e32 v8, v[8:9]
	v_frexp_mant_f32_e32 v9, v54
	v_cmp_gt_f32_e32 vcc_lo, 0x3f2aaaab, v9
	v_add_f32_e32 v9, -1.0, v54
	s_delay_alu instid0(VALU_DEP_1) | instskip(NEXT) | instid1(VALU_DEP_1)
	v_dual_sub_f32 v56, v9, v54 :: v_dual_sub_f32 v9, v4, v9
	v_add_f32_e32 v56, 1.0, v56
	s_delay_alu instid0(VALU_DEP_1) | instskip(SKIP_1) | instid1(VALU_DEP_1)
	v_add_f32_e32 v9, v9, v56
	v_subrev_co_ci_u32_e32 v8, vcc_lo, 0, v8, vcc_lo
	v_sub_nc_u32_e32 v55, 0, v8
	v_cvt_f32_i32_e32 v8, v8
	s_delay_alu instid0(VALU_DEP_2) | instskip(SKIP_1) | instid1(VALU_DEP_2)
	v_ldexp_f32 v54, v54, v55
	v_ldexp_f32 v9, v9, v55
	v_add_f32_e32 v57, 1.0, v54
	v_add_f32_e32 v55, -1.0, v54
	v_cmp_eq_f32_e32 vcc_lo, 0x7f800000, v4
	v_cmp_gt_f32_e64 s20, 0x33800000, v4
	s_delay_alu instid0(VALU_DEP_4) | instskip(NEXT) | instid1(VALU_DEP_4)
	v_add_f32_e32 v56, -1.0, v57
	v_add_f32_e32 v58, 1.0, v55
	s_delay_alu instid0(VALU_DEP_3) | instskip(NEXT) | instid1(VALU_DEP_2)
	s_or_b32 vcc_lo, s20, vcc_lo
	v_sub_f32_e32 v56, v54, v56
	s_delay_alu instid0(VALU_DEP_2) | instskip(NEXT) | instid1(VALU_DEP_2)
	v_sub_f32_e32 v54, v54, v58
	v_add_f32_e32 v56, v9, v56
	s_delay_alu instid0(VALU_DEP_2) | instskip(NEXT) | instid1(VALU_DEP_1)
	v_add_f32_e32 v9, v9, v54
	v_add_f32_e32 v59, v55, v9
	s_delay_alu instid0(VALU_DEP_1) | instskip(NEXT) | instid1(VALU_DEP_1)
	v_dual_sub_f32 v55, v55, v59 :: v_dual_add_f32 v58, v57, v56
	v_add_f32_e32 v9, v9, v55
	s_delay_alu instid0(VALU_DEP_2) | instskip(SKIP_1) | instid1(VALU_DEP_1)
	v_rcp_f32_e32 v54, v58
	v_sub_f32_e32 v57, v57, v58
	v_add_f32_e32 v56, v56, v57
	s_waitcnt_depctr 0xfff
	v_mul_f32_e32 v60, v59, v54
	s_delay_alu instid0(VALU_DEP_1) | instskip(NEXT) | instid1(VALU_DEP_1)
	v_mul_f32_e32 v61, v58, v60
	v_fma_f32 v57, v60, v58, -v61
	s_delay_alu instid0(VALU_DEP_1) | instskip(NEXT) | instid1(VALU_DEP_1)
	v_fmac_f32_e32 v57, v60, v56
	v_add_f32_e32 v62, v61, v57
	s_delay_alu instid0(VALU_DEP_1) | instskip(SKIP_1) | instid1(VALU_DEP_2)
	v_sub_f32_e32 v63, v59, v62
	v_sub_f32_e32 v55, v62, v61
	;; [unrolled: 1-line block ×3, first 2 shown]
	s_delay_alu instid0(VALU_DEP_2) | instskip(NEXT) | instid1(VALU_DEP_2)
	v_sub_f32_e32 v55, v55, v57
	v_sub_f32_e32 v59, v59, v62
	s_delay_alu instid0(VALU_DEP_1) | instskip(NEXT) | instid1(VALU_DEP_1)
	v_add_f32_e32 v9, v9, v59
	v_add_f32_e32 v9, v55, v9
	s_delay_alu instid0(VALU_DEP_1) | instskip(NEXT) | instid1(VALU_DEP_1)
	v_add_f32_e32 v55, v63, v9
	v_mul_f32_e32 v57, v54, v55
	s_delay_alu instid0(VALU_DEP_1) | instskip(NEXT) | instid1(VALU_DEP_1)
	v_dual_sub_f32 v62, v63, v55 :: v_dual_mul_f32 v59, v58, v57
	v_add_f32_e32 v9, v9, v62
	s_delay_alu instid0(VALU_DEP_2) | instskip(NEXT) | instid1(VALU_DEP_1)
	v_fma_f32 v58, v57, v58, -v59
	v_fmac_f32_e32 v58, v57, v56
	s_delay_alu instid0(VALU_DEP_1) | instskip(NEXT) | instid1(VALU_DEP_1)
	v_add_f32_e32 v56, v59, v58
	v_sub_f32_e32 v61, v55, v56
	s_delay_alu instid0(VALU_DEP_1) | instskip(NEXT) | instid1(VALU_DEP_1)
	v_sub_f32_e32 v55, v55, v61
	v_sub_f32_e32 v55, v55, v56
	s_delay_alu instid0(VALU_DEP_1) | instskip(SKIP_2) | instid1(VALU_DEP_1)
	v_add_f32_e32 v9, v9, v55
	v_add_f32_e32 v55, v60, v57
	v_sub_f32_e32 v59, v56, v59
	v_sub_f32_e32 v56, v59, v58
	s_delay_alu instid0(VALU_DEP_1) | instskip(NEXT) | instid1(VALU_DEP_1)
	v_dual_add_f32 v9, v56, v9 :: v_dual_sub_f32 v56, v55, v60
	v_add_f32_e32 v9, v61, v9
	s_delay_alu instid0(VALU_DEP_1) | instskip(NEXT) | instid1(VALU_DEP_1)
	v_dual_sub_f32 v56, v57, v56 :: v_dual_mul_f32 v9, v54, v9
	v_add_f32_e32 v9, v56, v9
	s_delay_alu instid0(VALU_DEP_1) | instskip(NEXT) | instid1(VALU_DEP_1)
	v_add_f32_e32 v54, v55, v9
	v_mul_f32_e32 v56, v54, v54
	s_delay_alu instid0(VALU_DEP_1) | instskip(SKIP_1) | instid1(VALU_DEP_2)
	v_fmaak_f32 v57, s67, v56, 0x3ecc95a3
	v_mul_f32_e32 v58, v54, v56
	v_fmaak_f32 v56, v56, v57, 0x3f2aaada
	v_ldexp_f32 v57, v54, 1
	v_sub_f32_e32 v54, v54, v55
	s_delay_alu instid0(VALU_DEP_3) | instskip(SKIP_1) | instid1(VALU_DEP_2)
	v_mul_f32_e32 v56, v58, v56
	v_mul_f32_e32 v58, 0x3f317218, v8
	v_add_f32_e32 v55, v57, v56
	s_delay_alu instid0(VALU_DEP_1) | instskip(NEXT) | instid1(VALU_DEP_3)
	v_dual_sub_f32 v9, v9, v54 :: v_dual_sub_f32 v54, v55, v57
	v_fma_f32 v57, 0x3f317218, v8, -v58
	s_delay_alu instid0(VALU_DEP_2) | instskip(NEXT) | instid1(VALU_DEP_2)
	v_ldexp_f32 v9, v9, 1
	v_dual_sub_f32 v54, v56, v54 :: v_dual_fmac_f32 v57, 0xb102e308, v8
	s_delay_alu instid0(VALU_DEP_1) | instskip(NEXT) | instid1(VALU_DEP_1)
	v_dual_add_f32 v8, v9, v54 :: v_dual_add_f32 v9, v58, v57
	v_add_f32_e32 v54, v55, v8
	s_delay_alu instid0(VALU_DEP_1) | instskip(NEXT) | instid1(VALU_DEP_1)
	v_add_f32_e32 v56, v9, v54
	v_sub_f32_e32 v59, v56, v9
	s_delay_alu instid0(VALU_DEP_1) | instskip(SKIP_2) | instid1(VALU_DEP_2)
	v_sub_f32_e32 v60, v56, v59
	v_sub_f32_e32 v55, v54, v55
	v_sub_f32_e32 v54, v54, v59
	v_sub_f32_e32 v8, v8, v55
	v_sub_f32_e32 v58, v9, v58
	s_delay_alu instid0(VALU_DEP_1) | instskip(NEXT) | instid1(VALU_DEP_1)
	v_sub_f32_e32 v57, v57, v58
	v_add_f32_e32 v55, v57, v8
	v_sub_f32_e32 v9, v9, v60
	s_delay_alu instid0(VALU_DEP_1) | instskip(NEXT) | instid1(VALU_DEP_3)
	v_add_f32_e32 v9, v54, v9
	v_sub_f32_e32 v54, v55, v57
	s_delay_alu instid0(VALU_DEP_1) | instskip(NEXT) | instid1(VALU_DEP_1)
	v_dual_sub_f32 v8, v8, v54 :: v_dual_add_f32 v9, v55, v9
	v_dual_sub_f32 v55, v55, v54 :: v_dual_add_f32 v58, v56, v9
	s_delay_alu instid0(VALU_DEP_1) | instskip(NEXT) | instid1(VALU_DEP_1)
	v_dual_sub_f32 v55, v57, v55 :: v_dual_sub_f32 v54, v58, v56
	v_dual_add_f32 v8, v8, v55 :: v_dual_sub_f32 v9, v9, v54
	s_delay_alu instid0(VALU_DEP_1) | instskip(NEXT) | instid1(VALU_DEP_1)
	v_add_f32_e32 v8, v8, v9
	v_add_f32_e32 v8, v58, v8
	s_delay_alu instid0(VALU_DEP_1)
	v_cndmask_b32_e32 v54, v8, v4, vcc_lo
.LBB13_46:                              ;   in Loop: Header=BB13_12 Depth=1
	s_or_b32 exec_lo, exec_lo, s21
	v_lshlrev_b32_e32 v4, 16, v5
	s_delay_alu instid0(VALU_DEP_1) | instskip(NEXT) | instid1(VALU_DEP_1)
	v_add_f32_e32 v55, s54, v4
	v_cmp_ge_f32_e32 vcc_lo, 0x41a00000, v55
	s_and_b32 s20, s63, vcc_lo
	s_delay_alu instid0(SALU_CYCLE_1)
	s_and_saveexec_b32 s21, s20
	s_cbranch_execz .LBB13_48
; %bb.47:                               ;   in Loop: Header=BB13_12 Depth=1
	v_mul_f32_e32 v4, 0x3fb8aa3b, v55
	v_cmp_ngt_f32_e32 vcc_lo, 0xc2ce8ed0, v55
	s_delay_alu instid0(VALU_DEP_2) | instskip(SKIP_1) | instid1(VALU_DEP_1)
	v_rndne_f32_e32 v8, v4
	v_fma_f32 v9, 0x3fb8aa3b, v55, -v4
	v_dual_sub_f32 v4, v4, v8 :: v_dual_fmac_f32 v9, 0x32a5705f, v55
	v_cvt_i32_f32_e32 v8, v8
	s_delay_alu instid0(VALU_DEP_2) | instskip(NEXT) | instid1(VALU_DEP_1)
	v_add_f32_e32 v4, v4, v9
	v_exp_f32_e32 v4, v4
	s_waitcnt_depctr 0xfff
	v_ldexp_f32 v4, v4, v8
	s_delay_alu instid0(VALU_DEP_1) | instskip(SKIP_1) | instid1(VALU_DEP_2)
	v_cndmask_b32_e32 v4, 0, v4, vcc_lo
	v_cmp_nlt_f32_e32 vcc_lo, 0x42b17218, v55
	v_cndmask_b32_e32 v4, 0x7f800000, v4, vcc_lo
	s_delay_alu instid0(VALU_DEP_1) | instskip(NEXT) | instid1(VALU_DEP_1)
	v_add_f32_e32 v55, 1.0, v4
	v_cvt_f64_f32_e32 v[8:9], v55
	s_delay_alu instid0(VALU_DEP_1) | instskip(SKIP_1) | instid1(VALU_DEP_1)
	v_frexp_exp_i32_f64_e32 v8, v[8:9]
	v_frexp_mant_f32_e32 v9, v55
	v_cmp_gt_f32_e32 vcc_lo, 0x3f2aaaab, v9
	v_add_f32_e32 v9, -1.0, v55
	s_delay_alu instid0(VALU_DEP_1) | instskip(NEXT) | instid1(VALU_DEP_1)
	v_sub_f32_e32 v57, v9, v55
	v_add_f32_e32 v57, 1.0, v57
	v_subrev_co_ci_u32_e32 v8, vcc_lo, 0, v8, vcc_lo
	s_delay_alu instid0(VALU_DEP_1) | instskip(SKIP_1) | instid1(VALU_DEP_2)
	v_sub_nc_u32_e32 v56, 0, v8
	v_cvt_f32_i32_e32 v8, v8
	v_ldexp_f32 v55, v55, v56
	s_delay_alu instid0(VALU_DEP_1) | instskip(NEXT) | instid1(VALU_DEP_1)
	v_dual_sub_f32 v9, v4, v9 :: v_dual_add_f32 v58, 1.0, v55
	v_add_f32_e32 v9, v9, v57
	v_cmp_eq_f32_e32 vcc_lo, 0x7f800000, v4
	v_cmp_gt_f32_e64 s20, 0x33800000, v4
	s_delay_alu instid0(VALU_DEP_4) | instskip(NEXT) | instid1(VALU_DEP_4)
	v_add_f32_e32 v57, -1.0, v58
	v_ldexp_f32 v9, v9, v56
	v_add_f32_e32 v56, -1.0, v55
	s_delay_alu instid0(VALU_DEP_4) | instskip(NEXT) | instid1(VALU_DEP_3)
	s_or_b32 vcc_lo, s20, vcc_lo
	v_sub_f32_e32 v57, v55, v57
	s_delay_alu instid0(VALU_DEP_2) | instskip(NEXT) | instid1(VALU_DEP_2)
	v_add_f32_e32 v59, 1.0, v56
	v_add_f32_e32 v57, v9, v57
	s_delay_alu instid0(VALU_DEP_2) | instskip(NEXT) | instid1(VALU_DEP_1)
	v_sub_f32_e32 v55, v55, v59
	v_add_f32_e32 v9, v9, v55
	s_delay_alu instid0(VALU_DEP_1) | instskip(NEXT) | instid1(VALU_DEP_1)
	v_add_f32_e32 v60, v56, v9
	v_dual_add_f32 v59, v58, v57 :: v_dual_sub_f32 v56, v56, v60
	s_delay_alu instid0(VALU_DEP_1) | instskip(SKIP_1) | instid1(VALU_DEP_1)
	v_rcp_f32_e32 v55, v59
	v_sub_f32_e32 v58, v58, v59
	v_add_f32_e32 v57, v57, v58
	s_waitcnt_depctr 0xfff
	v_mul_f32_e32 v61, v60, v55
	s_delay_alu instid0(VALU_DEP_1) | instskip(NEXT) | instid1(VALU_DEP_1)
	v_mul_f32_e32 v62, v59, v61
	v_fma_f32 v58, v61, v59, -v62
	s_delay_alu instid0(VALU_DEP_1) | instskip(SKIP_1) | instid1(VALU_DEP_2)
	v_fmac_f32_e32 v58, v61, v57
	v_add_f32_e32 v9, v9, v56
	v_add_f32_e32 v63, v62, v58
	s_delay_alu instid0(VALU_DEP_1) | instskip(SKIP_1) | instid1(VALU_DEP_2)
	v_sub_f32_e32 v64, v60, v63
	v_sub_f32_e32 v56, v63, v62
	;; [unrolled: 1-line block ×3, first 2 shown]
	s_delay_alu instid0(VALU_DEP_2) | instskip(NEXT) | instid1(VALU_DEP_2)
	v_sub_f32_e32 v56, v56, v58
	v_sub_f32_e32 v60, v60, v63
	s_delay_alu instid0(VALU_DEP_1) | instskip(NEXT) | instid1(VALU_DEP_1)
	v_add_f32_e32 v9, v9, v60
	v_add_f32_e32 v9, v56, v9
	s_delay_alu instid0(VALU_DEP_1) | instskip(NEXT) | instid1(VALU_DEP_1)
	v_add_f32_e32 v56, v64, v9
	v_mul_f32_e32 v58, v55, v56
	s_delay_alu instid0(VALU_DEP_1) | instskip(NEXT) | instid1(VALU_DEP_1)
	v_dual_sub_f32 v63, v64, v56 :: v_dual_mul_f32 v60, v59, v58
	v_add_f32_e32 v9, v9, v63
	s_delay_alu instid0(VALU_DEP_2) | instskip(NEXT) | instid1(VALU_DEP_1)
	v_fma_f32 v59, v58, v59, -v60
	v_fmac_f32_e32 v59, v58, v57
	s_delay_alu instid0(VALU_DEP_1) | instskip(NEXT) | instid1(VALU_DEP_1)
	v_add_f32_e32 v57, v60, v59
	v_sub_f32_e32 v62, v56, v57
	s_delay_alu instid0(VALU_DEP_1) | instskip(NEXT) | instid1(VALU_DEP_1)
	v_sub_f32_e32 v56, v56, v62
	v_sub_f32_e32 v56, v56, v57
	s_delay_alu instid0(VALU_DEP_1) | instskip(SKIP_2) | instid1(VALU_DEP_1)
	v_add_f32_e32 v9, v9, v56
	v_add_f32_e32 v56, v61, v58
	v_sub_f32_e32 v60, v57, v60
	v_sub_f32_e32 v57, v60, v59
	s_delay_alu instid0(VALU_DEP_1) | instskip(NEXT) | instid1(VALU_DEP_4)
	v_add_f32_e32 v9, v57, v9
	v_sub_f32_e32 v57, v56, v61
	s_delay_alu instid0(VALU_DEP_2) | instskip(NEXT) | instid1(VALU_DEP_2)
	v_add_f32_e32 v9, v62, v9
	v_sub_f32_e32 v57, v58, v57
	s_delay_alu instid0(VALU_DEP_2) | instskip(NEXT) | instid1(VALU_DEP_1)
	v_mul_f32_e32 v9, v55, v9
	v_add_f32_e32 v9, v57, v9
	s_delay_alu instid0(VALU_DEP_1) | instskip(NEXT) | instid1(VALU_DEP_1)
	v_add_f32_e32 v55, v56, v9
	v_mul_f32_e32 v57, v55, v55
	s_delay_alu instid0(VALU_DEP_1) | instskip(SKIP_1) | instid1(VALU_DEP_2)
	v_fmaak_f32 v58, s67, v57, 0x3ecc95a3
	v_mul_f32_e32 v59, v55, v57
	v_fmaak_f32 v57, v57, v58, 0x3f2aaada
	v_ldexp_f32 v58, v55, 1
	v_sub_f32_e32 v55, v55, v56
	s_delay_alu instid0(VALU_DEP_3) | instskip(SKIP_1) | instid1(VALU_DEP_2)
	v_mul_f32_e32 v57, v59, v57
	v_mul_f32_e32 v59, 0x3f317218, v8
	v_dual_sub_f32 v9, v9, v55 :: v_dual_add_f32 v56, v58, v57
	s_delay_alu instid0(VALU_DEP_1) | instskip(NEXT) | instid1(VALU_DEP_2)
	v_ldexp_f32 v9, v9, 1
	v_sub_f32_e32 v55, v56, v58
	s_delay_alu instid0(VALU_DEP_4) | instskip(NEXT) | instid1(VALU_DEP_1)
	v_fma_f32 v58, 0x3f317218, v8, -v59
	v_dual_sub_f32 v55, v57, v55 :: v_dual_fmac_f32 v58, 0xb102e308, v8
	s_delay_alu instid0(VALU_DEP_1) | instskip(NEXT) | instid1(VALU_DEP_1)
	v_dual_add_f32 v8, v9, v55 :: v_dual_add_f32 v9, v59, v58
	v_add_f32_e32 v55, v56, v8
	s_delay_alu instid0(VALU_DEP_2) | instskip(NEXT) | instid1(VALU_DEP_2)
	v_sub_f32_e32 v59, v9, v59
	v_dual_add_f32 v57, v9, v55 :: v_dual_sub_f32 v56, v55, v56
	s_delay_alu instid0(VALU_DEP_2) | instskip(NEXT) | instid1(VALU_DEP_2)
	v_sub_f32_e32 v58, v58, v59
	v_sub_f32_e32 v60, v57, v9
	s_delay_alu instid0(VALU_DEP_3) | instskip(NEXT) | instid1(VALU_DEP_2)
	v_sub_f32_e32 v8, v8, v56
	v_sub_f32_e32 v61, v57, v60
	;; [unrolled: 1-line block ×3, first 2 shown]
	s_delay_alu instid0(VALU_DEP_2) | instskip(NEXT) | instid1(VALU_DEP_1)
	v_dual_add_f32 v56, v58, v8 :: v_dual_sub_f32 v9, v9, v61
	v_add_f32_e32 v9, v55, v9
	s_delay_alu instid0(VALU_DEP_2) | instskip(NEXT) | instid1(VALU_DEP_2)
	v_sub_f32_e32 v55, v56, v58
	v_add_f32_e32 v9, v56, v9
	s_delay_alu instid0(VALU_DEP_2) | instskip(NEXT) | instid1(VALU_DEP_2)
	v_sub_f32_e32 v56, v56, v55
	v_dual_sub_f32 v8, v8, v55 :: v_dual_add_f32 v59, v57, v9
	s_delay_alu instid0(VALU_DEP_1) | instskip(NEXT) | instid1(VALU_DEP_1)
	v_dual_sub_f32 v56, v58, v56 :: v_dual_sub_f32 v55, v59, v57
	v_dual_add_f32 v8, v8, v56 :: v_dual_sub_f32 v9, v9, v55
	s_delay_alu instid0(VALU_DEP_1) | instskip(NEXT) | instid1(VALU_DEP_1)
	v_add_f32_e32 v8, v8, v9
	v_add_f32_e32 v8, v59, v8
	s_delay_alu instid0(VALU_DEP_1)
	v_cndmask_b32_e32 v55, v8, v4, vcc_lo
.LBB13_48:                              ;   in Loop: Header=BB13_12 Depth=1
	s_or_b32 exec_lo, exec_lo, s21
	v_and_b32_e32 v4, 0xffff0000, v5
	s_delay_alu instid0(VALU_DEP_1) | instskip(NEXT) | instid1(VALU_DEP_1)
	v_add_f32_e32 v58, s54, v4
	v_cmp_ge_f32_e32 vcc_lo, 0x41a00000, v58
	s_and_b32 s20, s63, vcc_lo
	s_delay_alu instid0(SALU_CYCLE_1)
	s_and_saveexec_b32 s21, s20
	s_cbranch_execz .LBB13_50
; %bb.49:                               ;   in Loop: Header=BB13_12 Depth=1
	v_mul_f32_e32 v4, 0x3fb8aa3b, v58
	v_cmp_ngt_f32_e32 vcc_lo, 0xc2ce8ed0, v58
	s_delay_alu instid0(VALU_DEP_2) | instskip(SKIP_1) | instid1(VALU_DEP_2)
	v_rndne_f32_e32 v5, v4
	v_fma_f32 v8, 0x3fb8aa3b, v58, -v4
	v_sub_f32_e32 v4, v4, v5
	s_delay_alu instid0(VALU_DEP_2) | instskip(SKIP_1) | instid1(VALU_DEP_2)
	v_fmac_f32_e32 v8, 0x32a5705f, v58
	v_cvt_i32_f32_e32 v5, v5
	v_add_f32_e32 v4, v4, v8
	s_delay_alu instid0(VALU_DEP_1) | instskip(SKIP_2) | instid1(VALU_DEP_1)
	v_exp_f32_e32 v4, v4
	s_waitcnt_depctr 0xfff
	v_ldexp_f32 v4, v4, v5
	v_cndmask_b32_e32 v4, 0, v4, vcc_lo
	v_cmp_nlt_f32_e32 vcc_lo, 0x42b17218, v58
	s_delay_alu instid0(VALU_DEP_2) | instskip(NEXT) | instid1(VALU_DEP_1)
	v_cndmask_b32_e32 v8, 0x7f800000, v4, vcc_lo
	v_add_f32_e32 v9, 1.0, v8
	s_delay_alu instid0(VALU_DEP_1) | instskip(NEXT) | instid1(VALU_DEP_1)
	v_cvt_f64_f32_e32 v[4:5], v9
	v_frexp_exp_i32_f64_e32 v4, v[4:5]
	v_frexp_mant_f32_e32 v5, v9
	s_delay_alu instid0(VALU_DEP_1) | instskip(SKIP_1) | instid1(VALU_DEP_1)
	v_cmp_gt_f32_e32 vcc_lo, 0x3f2aaaab, v5
	v_add_f32_e32 v5, -1.0, v9
	v_sub_f32_e32 v57, v5, v9
	s_delay_alu instid0(VALU_DEP_1) | instskip(SKIP_2) | instid1(VALU_DEP_2)
	v_add_f32_e32 v57, 1.0, v57
	v_sub_f32_e32 v5, v8, v5
	v_cmp_gt_f32_e64 s20, 0x33800000, v8
	v_add_f32_e32 v5, v5, v57
	v_subrev_co_ci_u32_e32 v4, vcc_lo, 0, v4, vcc_lo
	v_cmp_eq_f32_e32 vcc_lo, 0x7f800000, v8
	s_delay_alu instid0(VALU_DEP_2) | instskip(SKIP_2) | instid1(VALU_DEP_2)
	v_sub_nc_u32_e32 v56, 0, v4
	v_cvt_f32_i32_e32 v4, v4
	s_or_b32 vcc_lo, s20, vcc_lo
	v_ldexp_f32 v9, v9, v56
	v_ldexp_f32 v5, v5, v56
	s_delay_alu instid0(VALU_DEP_2) | instskip(NEXT) | instid1(VALU_DEP_1)
	v_add_f32_e32 v56, -1.0, v9
	v_dual_add_f32 v58, 1.0, v9 :: v_dual_add_f32 v59, 1.0, v56
	s_delay_alu instid0(VALU_DEP_1) | instskip(NEXT) | instid1(VALU_DEP_1)
	v_add_f32_e32 v57, -1.0, v58
	v_sub_f32_e32 v57, v9, v57
	s_delay_alu instid0(VALU_DEP_3) | instskip(NEXT) | instid1(VALU_DEP_2)
	v_sub_f32_e32 v9, v9, v59
	v_add_f32_e32 v57, v5, v57
	s_delay_alu instid0(VALU_DEP_2) | instskip(NEXT) | instid1(VALU_DEP_1)
	v_add_f32_e32 v5, v5, v9
	v_add_f32_e32 v60, v56, v5
	s_delay_alu instid0(VALU_DEP_1) | instskip(NEXT) | instid1(VALU_DEP_1)
	v_dual_sub_f32 v56, v56, v60 :: v_dual_add_f32 v59, v58, v57
	v_add_f32_e32 v5, v5, v56
	s_delay_alu instid0(VALU_DEP_2) | instskip(SKIP_1) | instid1(VALU_DEP_1)
	v_rcp_f32_e32 v9, v59
	v_sub_f32_e32 v58, v58, v59
	v_add_f32_e32 v57, v57, v58
	s_waitcnt_depctr 0xfff
	v_mul_f32_e32 v61, v60, v9
	s_delay_alu instid0(VALU_DEP_1) | instskip(NEXT) | instid1(VALU_DEP_1)
	v_mul_f32_e32 v62, v59, v61
	v_fma_f32 v58, v61, v59, -v62
	s_delay_alu instid0(VALU_DEP_1) | instskip(NEXT) | instid1(VALU_DEP_1)
	v_fmac_f32_e32 v58, v61, v57
	v_add_f32_e32 v63, v62, v58
	s_delay_alu instid0(VALU_DEP_1) | instskip(SKIP_1) | instid1(VALU_DEP_2)
	v_sub_f32_e32 v64, v60, v63
	v_sub_f32_e32 v56, v63, v62
	v_sub_f32_e32 v60, v60, v64
	s_delay_alu instid0(VALU_DEP_1) | instskip(NEXT) | instid1(VALU_DEP_1)
	v_sub_f32_e32 v60, v60, v63
	v_dual_sub_f32 v56, v56, v58 :: v_dual_add_f32 v5, v5, v60
	s_delay_alu instid0(VALU_DEP_1) | instskip(NEXT) | instid1(VALU_DEP_1)
	v_add_f32_e32 v5, v56, v5
	v_add_f32_e32 v56, v64, v5
	s_delay_alu instid0(VALU_DEP_1) | instskip(NEXT) | instid1(VALU_DEP_1)
	v_mul_f32_e32 v58, v9, v56
	v_dual_sub_f32 v63, v64, v56 :: v_dual_mul_f32 v60, v59, v58
	s_delay_alu instid0(VALU_DEP_1) | instskip(NEXT) | instid1(VALU_DEP_2)
	v_add_f32_e32 v5, v5, v63
	v_fma_f32 v59, v58, v59, -v60
	s_delay_alu instid0(VALU_DEP_1) | instskip(NEXT) | instid1(VALU_DEP_1)
	v_fmac_f32_e32 v59, v58, v57
	v_add_f32_e32 v57, v60, v59
	s_delay_alu instid0(VALU_DEP_1) | instskip(NEXT) | instid1(VALU_DEP_1)
	v_sub_f32_e32 v62, v56, v57
	v_sub_f32_e32 v56, v56, v62
	s_delay_alu instid0(VALU_DEP_1) | instskip(NEXT) | instid1(VALU_DEP_1)
	v_sub_f32_e32 v56, v56, v57
	v_add_f32_e32 v5, v5, v56
	v_add_f32_e32 v56, v61, v58
	v_sub_f32_e32 v60, v57, v60
	s_delay_alu instid0(VALU_DEP_1) | instskip(NEXT) | instid1(VALU_DEP_1)
	v_sub_f32_e32 v57, v60, v59
	v_add_f32_e32 v5, v57, v5
	s_delay_alu instid0(VALU_DEP_4) | instskip(NEXT) | instid1(VALU_DEP_2)
	v_sub_f32_e32 v57, v56, v61
	v_add_f32_e32 v5, v62, v5
	s_delay_alu instid0(VALU_DEP_2) | instskip(NEXT) | instid1(VALU_DEP_2)
	v_sub_f32_e32 v57, v58, v57
	v_mul_f32_e32 v5, v9, v5
	s_delay_alu instid0(VALU_DEP_1) | instskip(NEXT) | instid1(VALU_DEP_1)
	v_add_f32_e32 v5, v57, v5
	v_add_f32_e32 v9, v56, v5
	s_delay_alu instid0(VALU_DEP_1) | instskip(NEXT) | instid1(VALU_DEP_1)
	v_mul_f32_e32 v57, v9, v9
	v_fmaak_f32 v58, s67, v57, 0x3ecc95a3
	v_mul_f32_e32 v59, v9, v57
	s_delay_alu instid0(VALU_DEP_2) | instskip(SKIP_1) | instid1(VALU_DEP_2)
	v_fmaak_f32 v57, v57, v58, 0x3f2aaada
	v_ldexp_f32 v58, v9, 1
	v_mul_f32_e32 v57, v59, v57
	s_delay_alu instid0(VALU_DEP_1) | instskip(NEXT) | instid1(VALU_DEP_1)
	v_dual_sub_f32 v9, v9, v56 :: v_dual_add_f32 v56, v58, v57
	v_sub_f32_e32 v5, v5, v9
	s_delay_alu instid0(VALU_DEP_2) | instskip(NEXT) | instid1(VALU_DEP_2)
	v_sub_f32_e32 v9, v56, v58
	v_ldexp_f32 v5, v5, 1
	s_delay_alu instid0(VALU_DEP_2) | instskip(SKIP_1) | instid1(VALU_DEP_1)
	v_sub_f32_e32 v9, v57, v9
	v_mul_f32_e32 v59, 0x3f317218, v4
	v_fma_f32 v58, 0x3f317218, v4, -v59
	s_delay_alu instid0(VALU_DEP_1) | instskip(NEXT) | instid1(VALU_DEP_1)
	v_fmac_f32_e32 v58, 0xb102e308, v4
	v_dual_add_f32 v4, v5, v9 :: v_dual_add_f32 v5, v59, v58
	s_delay_alu instid0(VALU_DEP_1) | instskip(NEXT) | instid1(VALU_DEP_1)
	v_add_f32_e32 v9, v56, v4
	v_add_f32_e32 v57, v5, v9
	v_sub_f32_e32 v56, v9, v56
	s_delay_alu instid0(VALU_DEP_2) | instskip(NEXT) | instid1(VALU_DEP_2)
	v_sub_f32_e32 v60, v57, v5
	v_dual_sub_f32 v4, v4, v56 :: v_dual_sub_f32 v59, v5, v59
	s_delay_alu instid0(VALU_DEP_2) | instskip(NEXT) | instid1(VALU_DEP_2)
	v_sub_f32_e32 v61, v57, v60
	v_dual_sub_f32 v9, v9, v60 :: v_dual_sub_f32 v58, v58, v59
	s_delay_alu instid0(VALU_DEP_1) | instskip(NEXT) | instid1(VALU_DEP_1)
	v_dual_sub_f32 v5, v5, v61 :: v_dual_add_f32 v56, v58, v4
	v_add_f32_e32 v5, v9, v5
	s_delay_alu instid0(VALU_DEP_2) | instskip(NEXT) | instid1(VALU_DEP_2)
	v_sub_f32_e32 v9, v56, v58
	v_add_f32_e32 v5, v56, v5
	s_delay_alu instid0(VALU_DEP_2) | instskip(SKIP_1) | instid1(VALU_DEP_2)
	v_sub_f32_e32 v56, v56, v9
	v_sub_f32_e32 v4, v4, v9
	v_dual_add_f32 v59, v57, v5 :: v_dual_sub_f32 v56, v58, v56
	s_delay_alu instid0(VALU_DEP_1) | instskip(NEXT) | instid1(VALU_DEP_1)
	v_dual_sub_f32 v9, v59, v57 :: v_dual_add_f32 v4, v4, v56
	v_sub_f32_e32 v5, v5, v9
	s_delay_alu instid0(VALU_DEP_1) | instskip(NEXT) | instid1(VALU_DEP_1)
	v_add_f32_e32 v4, v4, v5
	v_add_f32_e32 v4, v59, v4
	s_delay_alu instid0(VALU_DEP_1)
	v_cndmask_b32_e32 v58, v4, v8, vcc_lo
.LBB13_50:                              ;   in Loop: Header=BB13_12 Depth=1
	s_or_b32 exec_lo, exec_lo, s21
	v_lshlrev_b32_e32 v4, 16, v6
	s_delay_alu instid0(VALU_DEP_1) | instskip(NEXT) | instid1(VALU_DEP_1)
	v_add_f32_e32 v65, s54, v4
	v_cmp_ge_f32_e32 vcc_lo, 0x41a00000, v65
	s_and_b32 s20, s63, vcc_lo
	s_delay_alu instid0(SALU_CYCLE_1)
	s_and_saveexec_b32 s21, s20
	s_cbranch_execz .LBB13_52
; %bb.51:                               ;   in Loop: Header=BB13_12 Depth=1
	v_mul_f32_e32 v4, 0x3fb8aa3b, v65
	v_cmp_ngt_f32_e32 vcc_lo, 0xc2ce8ed0, v65
	s_delay_alu instid0(VALU_DEP_2) | instskip(SKIP_1) | instid1(VALU_DEP_2)
	v_rndne_f32_e32 v5, v4
	v_fma_f32 v8, 0x3fb8aa3b, v65, -v4
	v_sub_f32_e32 v4, v4, v5
	s_delay_alu instid0(VALU_DEP_2) | instskip(SKIP_1) | instid1(VALU_DEP_2)
	v_fmac_f32_e32 v8, 0x32a5705f, v65
	v_cvt_i32_f32_e32 v5, v5
	v_add_f32_e32 v4, v4, v8
	s_delay_alu instid0(VALU_DEP_1) | instskip(SKIP_2) | instid1(VALU_DEP_1)
	v_exp_f32_e32 v4, v4
	s_waitcnt_depctr 0xfff
	v_ldexp_f32 v4, v4, v5
	v_cndmask_b32_e32 v4, 0, v4, vcc_lo
	v_cmp_nlt_f32_e32 vcc_lo, 0x42b17218, v65
	s_delay_alu instid0(VALU_DEP_2) | instskip(NEXT) | instid1(VALU_DEP_1)
	v_cndmask_b32_e32 v8, 0x7f800000, v4, vcc_lo
	v_add_f32_e32 v9, 1.0, v8
	s_delay_alu instid0(VALU_DEP_1) | instskip(NEXT) | instid1(VALU_DEP_1)
	v_cvt_f64_f32_e32 v[4:5], v9
	v_frexp_exp_i32_f64_e32 v4, v[4:5]
	v_frexp_mant_f32_e32 v5, v9
	s_delay_alu instid0(VALU_DEP_1) | instskip(SKIP_1) | instid1(VALU_DEP_1)
	v_cmp_gt_f32_e32 vcc_lo, 0x3f2aaaab, v5
	v_add_f32_e32 v5, -1.0, v9
	v_sub_f32_e32 v57, v5, v9
	s_delay_alu instid0(VALU_DEP_1) | instskip(SKIP_2) | instid1(VALU_DEP_2)
	v_add_f32_e32 v57, 1.0, v57
	v_sub_f32_e32 v5, v8, v5
	v_cmp_gt_f32_e64 s20, 0x33800000, v8
	v_add_f32_e32 v5, v5, v57
	v_subrev_co_ci_u32_e32 v4, vcc_lo, 0, v4, vcc_lo
	v_cmp_eq_f32_e32 vcc_lo, 0x7f800000, v8
	s_delay_alu instid0(VALU_DEP_2) | instskip(SKIP_2) | instid1(VALU_DEP_2)
	v_sub_nc_u32_e32 v56, 0, v4
	v_cvt_f32_i32_e32 v4, v4
	s_or_b32 vcc_lo, s20, vcc_lo
	v_ldexp_f32 v9, v9, v56
	v_ldexp_f32 v5, v5, v56
	s_delay_alu instid0(VALU_DEP_2) | instskip(NEXT) | instid1(VALU_DEP_1)
	v_add_f32_e32 v59, 1.0, v9
	v_dual_add_f32 v56, -1.0, v9 :: v_dual_add_f32 v57, -1.0, v59
	s_delay_alu instid0(VALU_DEP_1) | instskip(NEXT) | instid1(VALU_DEP_1)
	v_dual_add_f32 v60, 1.0, v56 :: v_dual_sub_f32 v57, v9, v57
	v_sub_f32_e32 v9, v9, v60
	s_delay_alu instid0(VALU_DEP_2) | instskip(NEXT) | instid1(VALU_DEP_2)
	v_add_f32_e32 v57, v5, v57
	v_add_f32_e32 v5, v5, v9
	s_delay_alu instid0(VALU_DEP_2) | instskip(NEXT) | instid1(VALU_DEP_1)
	v_add_f32_e32 v60, v59, v57
	v_sub_f32_e32 v59, v59, v60
	s_delay_alu instid0(VALU_DEP_3) | instskip(NEXT) | instid1(VALU_DEP_2)
	v_add_f32_e32 v61, v56, v5
	v_add_f32_e32 v57, v57, v59
	v_rcp_f32_e32 v9, v60
	s_delay_alu instid0(VALU_DEP_2) | instskip(NEXT) | instid1(VALU_DEP_1)
	v_sub_f32_e32 v56, v56, v61
	v_add_f32_e32 v5, v5, v56
	s_waitcnt_depctr 0xfff
	v_mul_f32_e32 v62, v61, v9
	s_delay_alu instid0(VALU_DEP_1) | instskip(NEXT) | instid1(VALU_DEP_1)
	v_mul_f32_e32 v63, v60, v62
	v_fma_f32 v59, v62, v60, -v63
	s_delay_alu instid0(VALU_DEP_1) | instskip(NEXT) | instid1(VALU_DEP_1)
	v_fmac_f32_e32 v59, v62, v57
	v_add_f32_e32 v64, v63, v59
	s_delay_alu instid0(VALU_DEP_1) | instskip(NEXT) | instid1(VALU_DEP_1)
	v_dual_sub_f32 v65, v61, v64 :: v_dual_sub_f32 v56, v64, v63
	v_dual_sub_f32 v61, v61, v65 :: v_dual_sub_f32 v56, v56, v59
	s_delay_alu instid0(VALU_DEP_1) | instskip(NEXT) | instid1(VALU_DEP_1)
	v_sub_f32_e32 v61, v61, v64
	v_add_f32_e32 v5, v5, v61
	s_delay_alu instid0(VALU_DEP_1) | instskip(NEXT) | instid1(VALU_DEP_1)
	v_add_f32_e32 v5, v56, v5
	v_add_f32_e32 v56, v65, v5
	s_delay_alu instid0(VALU_DEP_1) | instskip(NEXT) | instid1(VALU_DEP_1)
	v_mul_f32_e32 v59, v9, v56
	v_dual_sub_f32 v64, v65, v56 :: v_dual_mul_f32 v61, v60, v59
	s_delay_alu instid0(VALU_DEP_1) | instskip(NEXT) | instid1(VALU_DEP_2)
	v_add_f32_e32 v5, v5, v64
	v_fma_f32 v60, v59, v60, -v61
	s_delay_alu instid0(VALU_DEP_1) | instskip(NEXT) | instid1(VALU_DEP_1)
	v_fmac_f32_e32 v60, v59, v57
	v_add_f32_e32 v57, v61, v60
	s_delay_alu instid0(VALU_DEP_1) | instskip(NEXT) | instid1(VALU_DEP_1)
	v_sub_f32_e32 v63, v56, v57
	v_dual_sub_f32 v61, v57, v61 :: v_dual_sub_f32 v56, v56, v63
	s_delay_alu instid0(VALU_DEP_1) | instskip(NEXT) | instid1(VALU_DEP_1)
	v_dual_sub_f32 v56, v56, v57 :: v_dual_sub_f32 v57, v61, v60
	v_dual_add_f32 v5, v5, v56 :: v_dual_add_f32 v56, v62, v59
	s_delay_alu instid0(VALU_DEP_1) | instskip(NEXT) | instid1(VALU_DEP_2)
	v_add_f32_e32 v5, v57, v5
	v_sub_f32_e32 v57, v56, v62
	s_delay_alu instid0(VALU_DEP_2) | instskip(NEXT) | instid1(VALU_DEP_2)
	v_add_f32_e32 v5, v63, v5
	v_sub_f32_e32 v57, v59, v57
	s_delay_alu instid0(VALU_DEP_2) | instskip(NEXT) | instid1(VALU_DEP_1)
	v_mul_f32_e32 v5, v9, v5
	v_add_f32_e32 v5, v57, v5
	s_delay_alu instid0(VALU_DEP_1) | instskip(NEXT) | instid1(VALU_DEP_1)
	v_add_f32_e32 v9, v56, v5
	v_mul_f32_e32 v57, v9, v9
	s_delay_alu instid0(VALU_DEP_1) | instskip(SKIP_1) | instid1(VALU_DEP_2)
	v_fmaak_f32 v59, s67, v57, 0x3ecc95a3
	v_mul_f32_e32 v60, v9, v57
	v_fmaak_f32 v57, v57, v59, 0x3f2aaada
	v_ldexp_f32 v59, v9, 1
	v_sub_f32_e32 v9, v9, v56
	s_delay_alu instid0(VALU_DEP_3) | instskip(NEXT) | instid1(VALU_DEP_2)
	v_dual_mul_f32 v57, v60, v57 :: v_dual_mul_f32 v60, 0x3f317218, v4
	v_sub_f32_e32 v5, v5, v9
	s_delay_alu instid0(VALU_DEP_2) | instskip(NEXT) | instid1(VALU_DEP_2)
	v_add_f32_e32 v56, v59, v57
	v_ldexp_f32 v5, v5, 1
	s_delay_alu instid0(VALU_DEP_2) | instskip(SKIP_1) | instid1(VALU_DEP_2)
	v_sub_f32_e32 v9, v56, v59
	v_fma_f32 v59, 0x3f317218, v4, -v60
	v_sub_f32_e32 v9, v57, v9
	s_delay_alu instid0(VALU_DEP_1) | instskip(NEXT) | instid1(VALU_DEP_1)
	v_dual_fmac_f32 v59, 0xb102e308, v4 :: v_dual_add_f32 v4, v5, v9
	v_add_f32_e32 v5, v60, v59
	s_delay_alu instid0(VALU_DEP_2) | instskip(NEXT) | instid1(VALU_DEP_2)
	v_add_f32_e32 v9, v56, v4
	v_sub_f32_e32 v60, v5, v60
	s_delay_alu instid0(VALU_DEP_2) | instskip(SKIP_1) | instid1(VALU_DEP_1)
	v_add_f32_e32 v57, v5, v9
	v_sub_f32_e32 v56, v9, v56
	v_dual_sub_f32 v61, v57, v5 :: v_dual_sub_f32 v4, v4, v56
	s_delay_alu instid0(VALU_DEP_1) | instskip(SKIP_1) | instid1(VALU_DEP_2)
	v_dual_sub_f32 v62, v57, v61 :: v_dual_sub_f32 v59, v59, v60
	v_sub_f32_e32 v9, v9, v61
	v_dual_sub_f32 v5, v5, v62 :: v_dual_add_f32 v56, v59, v4
	s_delay_alu instid0(VALU_DEP_1) | instskip(NEXT) | instid1(VALU_DEP_2)
	v_add_f32_e32 v5, v9, v5
	v_sub_f32_e32 v9, v56, v59
	s_delay_alu instid0(VALU_DEP_2) | instskip(NEXT) | instid1(VALU_DEP_2)
	v_add_f32_e32 v5, v56, v5
	v_sub_f32_e32 v56, v56, v9
	v_sub_f32_e32 v4, v4, v9
	s_delay_alu instid0(VALU_DEP_3) | instskip(NEXT) | instid1(VALU_DEP_1)
	v_add_f32_e32 v60, v57, v5
	v_dual_sub_f32 v56, v59, v56 :: v_dual_sub_f32 v9, v60, v57
	s_delay_alu instid0(VALU_DEP_1) | instskip(NEXT) | instid1(VALU_DEP_1)
	v_dual_add_f32 v4, v4, v56 :: v_dual_sub_f32 v5, v5, v9
	v_add_f32_e32 v4, v4, v5
	s_delay_alu instid0(VALU_DEP_1) | instskip(NEXT) | instid1(VALU_DEP_1)
	v_add_f32_e32 v4, v60, v4
	v_cndmask_b32_e32 v65, v4, v8, vcc_lo
.LBB13_52:                              ;   in Loop: Header=BB13_12 Depth=1
	s_or_b32 exec_lo, exec_lo, s21
	v_and_b32_e32 v4, 0xffff0000, v6
	s_delay_alu instid0(VALU_DEP_1) | instskip(NEXT) | instid1(VALU_DEP_1)
	v_add_f32_e32 v66, s54, v4
	v_cmp_ge_f32_e32 vcc_lo, 0x41a00000, v66
	s_and_b32 s20, s63, vcc_lo
	s_delay_alu instid0(SALU_CYCLE_1)
	s_and_saveexec_b32 s21, s20
	s_cbranch_execz .LBB13_54
; %bb.53:                               ;   in Loop: Header=BB13_12 Depth=1
	v_mul_f32_e32 v4, 0x3fb8aa3b, v66
	v_cmp_ngt_f32_e32 vcc_lo, 0xc2ce8ed0, v66
	s_delay_alu instid0(VALU_DEP_2) | instskip(SKIP_1) | instid1(VALU_DEP_2)
	v_rndne_f32_e32 v5, v4
	v_fma_f32 v6, 0x3fb8aa3b, v66, -v4
	v_sub_f32_e32 v4, v4, v5
	s_delay_alu instid0(VALU_DEP_2) | instskip(SKIP_1) | instid1(VALU_DEP_2)
	v_fmac_f32_e32 v6, 0x32a5705f, v66
	v_cvt_i32_f32_e32 v5, v5
	v_add_f32_e32 v4, v4, v6
	s_delay_alu instid0(VALU_DEP_1) | instskip(SKIP_2) | instid1(VALU_DEP_1)
	v_exp_f32_e32 v4, v4
	s_waitcnt_depctr 0xfff
	v_ldexp_f32 v4, v4, v5
	v_cndmask_b32_e32 v4, 0, v4, vcc_lo
	v_cmp_nlt_f32_e32 vcc_lo, 0x42b17218, v66
	s_delay_alu instid0(VALU_DEP_2) | instskip(NEXT) | instid1(VALU_DEP_1)
	v_cndmask_b32_e32 v6, 0x7f800000, v4, vcc_lo
	v_add_f32_e32 v8, 1.0, v6
	s_delay_alu instid0(VALU_DEP_1) | instskip(NEXT) | instid1(VALU_DEP_1)
	v_cvt_f64_f32_e32 v[4:5], v8
	v_frexp_exp_i32_f64_e32 v4, v[4:5]
	v_frexp_mant_f32_e32 v5, v8
	s_delay_alu instid0(VALU_DEP_1) | instskip(SKIP_1) | instid1(VALU_DEP_1)
	v_cmp_gt_f32_e32 vcc_lo, 0x3f2aaaab, v5
	v_add_f32_e32 v5, -1.0, v8
	v_dual_sub_f32 v56, v5, v8 :: v_dual_sub_f32 v5, v6, v5
	s_delay_alu instid0(VALU_DEP_1) | instskip(NEXT) | instid1(VALU_DEP_1)
	v_add_f32_e32 v56, 1.0, v56
	v_add_f32_e32 v5, v5, v56
	v_subrev_co_ci_u32_e32 v4, vcc_lo, 0, v4, vcc_lo
	s_delay_alu instid0(VALU_DEP_1) | instskip(SKIP_1) | instid1(VALU_DEP_2)
	v_sub_nc_u32_e32 v9, 0, v4
	v_cvt_f32_i32_e32 v4, v4
	v_ldexp_f32 v8, v8, v9
	v_ldexp_f32 v5, v5, v9
	s_delay_alu instid0(VALU_DEP_2) | instskip(NEXT) | instid1(VALU_DEP_1)
	v_add_f32_e32 v57, 1.0, v8
	v_dual_add_f32 v9, -1.0, v8 :: v_dual_add_f32 v56, -1.0, v57
	s_delay_alu instid0(VALU_DEP_1) | instskip(NEXT) | instid1(VALU_DEP_1)
	v_dual_add_f32 v59, 1.0, v9 :: v_dual_sub_f32 v56, v8, v56
	v_sub_f32_e32 v8, v8, v59
	s_delay_alu instid0(VALU_DEP_2) | instskip(NEXT) | instid1(VALU_DEP_1)
	v_add_f32_e32 v56, v5, v56
	v_add_f32_e32 v59, v57, v56
	s_delay_alu instid0(VALU_DEP_3) | instskip(NEXT) | instid1(VALU_DEP_2)
	v_add_f32_e32 v5, v5, v8
	v_rcp_f32_e32 v8, v59
	s_delay_alu instid0(VALU_DEP_1) | instskip(SKIP_3) | instid1(VALU_DEP_3)
	v_add_f32_e32 v60, v9, v5
	v_sub_f32_e32 v57, v57, v59
	v_cmp_eq_f32_e32 vcc_lo, 0x7f800000, v6
	v_cmp_gt_f32_e64 s20, 0x33800000, v6
	v_dual_sub_f32 v9, v9, v60 :: v_dual_add_f32 v56, v56, v57
	s_delay_alu instid0(VALU_DEP_2) | instskip(SKIP_2) | instid1(VALU_DEP_1)
	s_or_b32 vcc_lo, s20, vcc_lo
	s_waitcnt_depctr 0xfff
	v_mul_f32_e32 v61, v60, v8
	v_mul_f32_e32 v62, v59, v61
	v_add_f32_e32 v5, v5, v9
	s_delay_alu instid0(VALU_DEP_2) | instskip(NEXT) | instid1(VALU_DEP_1)
	v_fma_f32 v57, v61, v59, -v62
	v_fmac_f32_e32 v57, v61, v56
	s_delay_alu instid0(VALU_DEP_1) | instskip(NEXT) | instid1(VALU_DEP_1)
	v_add_f32_e32 v63, v62, v57
	v_dual_sub_f32 v9, v63, v62 :: v_dual_sub_f32 v64, v60, v63
	s_delay_alu instid0(VALU_DEP_1) | instskip(NEXT) | instid1(VALU_DEP_1)
	v_dual_sub_f32 v9, v9, v57 :: v_dual_sub_f32 v60, v60, v64
	v_sub_f32_e32 v60, v60, v63
	s_delay_alu instid0(VALU_DEP_1) | instskip(NEXT) | instid1(VALU_DEP_1)
	v_add_f32_e32 v5, v5, v60
	v_add_f32_e32 v5, v9, v5
	s_delay_alu instid0(VALU_DEP_1) | instskip(NEXT) | instid1(VALU_DEP_1)
	v_add_f32_e32 v9, v64, v5
	v_mul_f32_e32 v57, v8, v9
	s_delay_alu instid0(VALU_DEP_1) | instskip(NEXT) | instid1(VALU_DEP_1)
	v_mul_f32_e32 v60, v59, v57
	v_fma_f32 v59, v57, v59, -v60
	s_delay_alu instid0(VALU_DEP_1) | instskip(NEXT) | instid1(VALU_DEP_1)
	v_fmac_f32_e32 v59, v57, v56
	v_add_f32_e32 v56, v60, v59
	s_delay_alu instid0(VALU_DEP_1) | instskip(NEXT) | instid1(VALU_DEP_1)
	v_dual_sub_f32 v62, v9, v56 :: v_dual_sub_f32 v63, v64, v9
	v_dual_sub_f32 v60, v56, v60 :: v_dual_sub_f32 v9, v9, v62
	s_delay_alu instid0(VALU_DEP_2) | instskip(NEXT) | instid1(VALU_DEP_2)
	v_add_f32_e32 v5, v5, v63
	v_dual_sub_f32 v9, v9, v56 :: v_dual_sub_f32 v56, v60, v59
	s_delay_alu instid0(VALU_DEP_1) | instskip(SKIP_1) | instid1(VALU_DEP_2)
	v_add_f32_e32 v5, v5, v9
	v_add_f32_e32 v9, v61, v57
	;; [unrolled: 1-line block ×3, first 2 shown]
	s_delay_alu instid0(VALU_DEP_2) | instskip(NEXT) | instid1(VALU_DEP_1)
	v_sub_f32_e32 v56, v9, v61
	v_dual_add_f32 v5, v62, v5 :: v_dual_sub_f32 v56, v57, v56
	s_delay_alu instid0(VALU_DEP_1) | instskip(NEXT) | instid1(VALU_DEP_1)
	v_mul_f32_e32 v5, v8, v5
	v_add_f32_e32 v5, v56, v5
	s_delay_alu instid0(VALU_DEP_1) | instskip(NEXT) | instid1(VALU_DEP_1)
	v_add_f32_e32 v8, v9, v5
	v_mul_f32_e32 v56, v8, v8
	s_delay_alu instid0(VALU_DEP_1) | instskip(SKIP_1) | instid1(VALU_DEP_2)
	v_fmaak_f32 v57, s67, v56, 0x3ecc95a3
	v_mul_f32_e32 v59, v8, v56
	v_fmaak_f32 v56, v56, v57, 0x3f2aaada
	v_ldexp_f32 v57, v8, 1
	v_sub_f32_e32 v8, v8, v9
	s_delay_alu instid0(VALU_DEP_1) | instskip(NEXT) | instid1(VALU_DEP_4)
	v_sub_f32_e32 v5, v5, v8
	v_mul_f32_e32 v56, v59, v56
	v_mul_f32_e32 v59, 0x3f317218, v4
	s_delay_alu instid0(VALU_DEP_3) | instskip(NEXT) | instid1(VALU_DEP_3)
	v_ldexp_f32 v5, v5, 1
	v_add_f32_e32 v9, v57, v56
	s_delay_alu instid0(VALU_DEP_1) | instskip(NEXT) | instid1(VALU_DEP_4)
	v_sub_f32_e32 v8, v9, v57
	v_fma_f32 v57, 0x3f317218, v4, -v59
	s_delay_alu instid0(VALU_DEP_2) | instskip(NEXT) | instid1(VALU_DEP_2)
	v_sub_f32_e32 v8, v56, v8
	v_fmac_f32_e32 v57, 0xb102e308, v4
	s_delay_alu instid0(VALU_DEP_1) | instskip(NEXT) | instid1(VALU_DEP_1)
	v_dual_add_f32 v4, v5, v8 :: v_dual_add_f32 v5, v59, v57
	v_add_f32_e32 v8, v9, v4
	s_delay_alu instid0(VALU_DEP_2) | instskip(NEXT) | instid1(VALU_DEP_2)
	v_sub_f32_e32 v59, v5, v59
	v_dual_add_f32 v56, v5, v8 :: v_dual_sub_f32 v9, v8, v9
	s_delay_alu instid0(VALU_DEP_1) | instskip(NEXT) | instid1(VALU_DEP_2)
	v_dual_sub_f32 v57, v57, v59 :: v_dual_sub_f32 v60, v56, v5
	v_sub_f32_e32 v4, v4, v9
	s_delay_alu instid0(VALU_DEP_2) | instskip(NEXT) | instid1(VALU_DEP_2)
	v_sub_f32_e32 v8, v8, v60
	v_add_f32_e32 v9, v57, v4
	v_sub_f32_e32 v61, v56, v60
	s_delay_alu instid0(VALU_DEP_1) | instskip(NEXT) | instid1(VALU_DEP_1)
	v_sub_f32_e32 v5, v5, v61
	v_add_f32_e32 v5, v8, v5
	s_delay_alu instid0(VALU_DEP_4) | instskip(NEXT) | instid1(VALU_DEP_2)
	v_sub_f32_e32 v8, v9, v57
	v_add_f32_e32 v5, v9, v5
	s_delay_alu instid0(VALU_DEP_2) | instskip(SKIP_1) | instid1(VALU_DEP_3)
	v_sub_f32_e32 v9, v9, v8
	v_sub_f32_e32 v4, v4, v8
	v_add_f32_e32 v59, v56, v5
	s_delay_alu instid0(VALU_DEP_1) | instskip(NEXT) | instid1(VALU_DEP_1)
	v_dual_sub_f32 v9, v57, v9 :: v_dual_sub_f32 v8, v59, v56
	v_dual_add_f32 v4, v4, v9 :: v_dual_sub_f32 v5, v5, v8
	s_delay_alu instid0(VALU_DEP_1) | instskip(NEXT) | instid1(VALU_DEP_1)
	v_add_f32_e32 v4, v4, v5
	v_add_f32_e32 v4, v59, v4
	s_delay_alu instid0(VALU_DEP_1)
	v_cndmask_b32_e32 v66, v4, v6, vcc_lo
.LBB13_54:                              ;   in Loop: Header=BB13_12 Depth=1
	s_or_b32 exec_lo, exec_lo, s21
	v_lshlrev_b32_e32 v4, 16, v7
	s_delay_alu instid0(VALU_DEP_1) | instskip(NEXT) | instid1(VALU_DEP_1)
	v_add_f32_e32 v67, s54, v4
	v_cmp_ge_f32_e32 vcc_lo, 0x41a00000, v67
	s_and_b32 s20, s63, vcc_lo
	s_delay_alu instid0(SALU_CYCLE_1)
	s_and_saveexec_b32 s21, s20
	s_cbranch_execz .LBB13_56
; %bb.55:                               ;   in Loop: Header=BB13_12 Depth=1
	v_mul_f32_e32 v4, 0x3fb8aa3b, v67
	v_cmp_ngt_f32_e32 vcc_lo, 0xc2ce8ed0, v67
	s_delay_alu instid0(VALU_DEP_2) | instskip(SKIP_1) | instid1(VALU_DEP_2)
	v_rndne_f32_e32 v5, v4
	v_fma_f32 v6, 0x3fb8aa3b, v67, -v4
	v_sub_f32_e32 v4, v4, v5
	s_delay_alu instid0(VALU_DEP_2) | instskip(SKIP_1) | instid1(VALU_DEP_2)
	v_fmac_f32_e32 v6, 0x32a5705f, v67
	v_cvt_i32_f32_e32 v5, v5
	v_add_f32_e32 v4, v4, v6
	s_delay_alu instid0(VALU_DEP_1) | instskip(SKIP_2) | instid1(VALU_DEP_1)
	v_exp_f32_e32 v4, v4
	s_waitcnt_depctr 0xfff
	v_ldexp_f32 v4, v4, v5
	v_cndmask_b32_e32 v4, 0, v4, vcc_lo
	v_cmp_nlt_f32_e32 vcc_lo, 0x42b17218, v67
	s_delay_alu instid0(VALU_DEP_2) | instskip(NEXT) | instid1(VALU_DEP_1)
	v_cndmask_b32_e32 v6, 0x7f800000, v4, vcc_lo
	v_add_f32_e32 v8, 1.0, v6
	s_delay_alu instid0(VALU_DEP_1) | instskip(NEXT) | instid1(VALU_DEP_1)
	v_cvt_f64_f32_e32 v[4:5], v8
	v_frexp_exp_i32_f64_e32 v4, v[4:5]
	v_frexp_mant_f32_e32 v5, v8
	s_delay_alu instid0(VALU_DEP_1) | instskip(SKIP_1) | instid1(VALU_DEP_1)
	v_cmp_gt_f32_e32 vcc_lo, 0x3f2aaaab, v5
	v_add_f32_e32 v5, -1.0, v8
	v_dual_sub_f32 v56, v5, v8 :: v_dual_sub_f32 v5, v6, v5
	s_delay_alu instid0(VALU_DEP_1) | instskip(NEXT) | instid1(VALU_DEP_1)
	v_add_f32_e32 v56, 1.0, v56
	v_add_f32_e32 v5, v5, v56
	v_subrev_co_ci_u32_e32 v4, vcc_lo, 0, v4, vcc_lo
	s_delay_alu instid0(VALU_DEP_1) | instskip(SKIP_1) | instid1(VALU_DEP_2)
	v_sub_nc_u32_e32 v9, 0, v4
	v_cvt_f32_i32_e32 v4, v4
	v_ldexp_f32 v8, v8, v9
	v_ldexp_f32 v5, v5, v9
	s_delay_alu instid0(VALU_DEP_2) | instskip(NEXT) | instid1(VALU_DEP_1)
	v_add_f32_e32 v57, 1.0, v8
	v_dual_add_f32 v9, -1.0, v8 :: v_dual_add_f32 v56, -1.0, v57
	s_delay_alu instid0(VALU_DEP_1) | instskip(NEXT) | instid1(VALU_DEP_1)
	v_dual_add_f32 v59, 1.0, v9 :: v_dual_sub_f32 v56, v8, v56
	v_sub_f32_e32 v8, v8, v59
	s_delay_alu instid0(VALU_DEP_2) | instskip(NEXT) | instid1(VALU_DEP_1)
	v_add_f32_e32 v56, v5, v56
	v_add_f32_e32 v59, v57, v56
	s_delay_alu instid0(VALU_DEP_3) | instskip(NEXT) | instid1(VALU_DEP_2)
	v_add_f32_e32 v5, v5, v8
	v_rcp_f32_e32 v8, v59
	s_delay_alu instid0(VALU_DEP_1) | instskip(SKIP_3) | instid1(VALU_DEP_3)
	v_add_f32_e32 v60, v9, v5
	v_sub_f32_e32 v57, v57, v59
	v_cmp_eq_f32_e32 vcc_lo, 0x7f800000, v6
	v_cmp_gt_f32_e64 s20, 0x33800000, v6
	v_dual_sub_f32 v9, v9, v60 :: v_dual_add_f32 v56, v56, v57
	s_delay_alu instid0(VALU_DEP_2) | instskip(SKIP_2) | instid1(VALU_DEP_1)
	s_or_b32 vcc_lo, s20, vcc_lo
	s_waitcnt_depctr 0xfff
	v_mul_f32_e32 v61, v60, v8
	v_mul_f32_e32 v62, v59, v61
	v_add_f32_e32 v5, v5, v9
	s_delay_alu instid0(VALU_DEP_2) | instskip(NEXT) | instid1(VALU_DEP_1)
	v_fma_f32 v57, v61, v59, -v62
	v_fmac_f32_e32 v57, v61, v56
	s_delay_alu instid0(VALU_DEP_1) | instskip(NEXT) | instid1(VALU_DEP_1)
	v_add_f32_e32 v63, v62, v57
	v_dual_sub_f32 v9, v63, v62 :: v_dual_sub_f32 v64, v60, v63
	s_delay_alu instid0(VALU_DEP_1) | instskip(NEXT) | instid1(VALU_DEP_1)
	v_dual_sub_f32 v9, v9, v57 :: v_dual_sub_f32 v60, v60, v64
	v_sub_f32_e32 v60, v60, v63
	s_delay_alu instid0(VALU_DEP_1) | instskip(NEXT) | instid1(VALU_DEP_1)
	v_add_f32_e32 v5, v5, v60
	v_add_f32_e32 v5, v9, v5
	s_delay_alu instid0(VALU_DEP_1) | instskip(NEXT) | instid1(VALU_DEP_1)
	v_add_f32_e32 v9, v64, v5
	v_mul_f32_e32 v57, v8, v9
	s_delay_alu instid0(VALU_DEP_1) | instskip(NEXT) | instid1(VALU_DEP_1)
	v_mul_f32_e32 v60, v59, v57
	v_fma_f32 v59, v57, v59, -v60
	s_delay_alu instid0(VALU_DEP_1) | instskip(NEXT) | instid1(VALU_DEP_1)
	v_fmac_f32_e32 v59, v57, v56
	v_add_f32_e32 v56, v60, v59
	s_delay_alu instid0(VALU_DEP_1) | instskip(NEXT) | instid1(VALU_DEP_1)
	v_dual_sub_f32 v62, v9, v56 :: v_dual_sub_f32 v63, v64, v9
	v_dual_sub_f32 v60, v56, v60 :: v_dual_sub_f32 v9, v9, v62
	s_delay_alu instid0(VALU_DEP_2) | instskip(NEXT) | instid1(VALU_DEP_2)
	v_add_f32_e32 v5, v5, v63
	v_dual_sub_f32 v9, v9, v56 :: v_dual_sub_f32 v56, v60, v59
	s_delay_alu instid0(VALU_DEP_1) | instskip(SKIP_1) | instid1(VALU_DEP_2)
	v_add_f32_e32 v5, v5, v9
	v_add_f32_e32 v9, v61, v57
	;; [unrolled: 1-line block ×3, first 2 shown]
	s_delay_alu instid0(VALU_DEP_2) | instskip(NEXT) | instid1(VALU_DEP_1)
	v_sub_f32_e32 v56, v9, v61
	v_dual_add_f32 v5, v62, v5 :: v_dual_sub_f32 v56, v57, v56
	s_delay_alu instid0(VALU_DEP_1) | instskip(NEXT) | instid1(VALU_DEP_1)
	v_mul_f32_e32 v5, v8, v5
	v_add_f32_e32 v5, v56, v5
	s_delay_alu instid0(VALU_DEP_1) | instskip(NEXT) | instid1(VALU_DEP_1)
	v_add_f32_e32 v8, v9, v5
	v_mul_f32_e32 v56, v8, v8
	s_delay_alu instid0(VALU_DEP_1) | instskip(SKIP_1) | instid1(VALU_DEP_2)
	v_fmaak_f32 v57, s67, v56, 0x3ecc95a3
	v_mul_f32_e32 v59, v8, v56
	v_fmaak_f32 v56, v56, v57, 0x3f2aaada
	v_ldexp_f32 v57, v8, 1
	v_sub_f32_e32 v8, v8, v9
	s_delay_alu instid0(VALU_DEP_1) | instskip(NEXT) | instid1(VALU_DEP_4)
	v_sub_f32_e32 v5, v5, v8
	v_mul_f32_e32 v56, v59, v56
	v_mul_f32_e32 v59, 0x3f317218, v4
	s_delay_alu instid0(VALU_DEP_3) | instskip(NEXT) | instid1(VALU_DEP_3)
	v_ldexp_f32 v5, v5, 1
	v_add_f32_e32 v9, v57, v56
	s_delay_alu instid0(VALU_DEP_1) | instskip(NEXT) | instid1(VALU_DEP_4)
	v_sub_f32_e32 v8, v9, v57
	v_fma_f32 v57, 0x3f317218, v4, -v59
	s_delay_alu instid0(VALU_DEP_2) | instskip(NEXT) | instid1(VALU_DEP_2)
	v_sub_f32_e32 v8, v56, v8
	v_fmac_f32_e32 v57, 0xb102e308, v4
	s_delay_alu instid0(VALU_DEP_1) | instskip(NEXT) | instid1(VALU_DEP_1)
	v_dual_add_f32 v4, v5, v8 :: v_dual_add_f32 v5, v59, v57
	v_add_f32_e32 v8, v9, v4
	s_delay_alu instid0(VALU_DEP_2) | instskip(NEXT) | instid1(VALU_DEP_2)
	v_sub_f32_e32 v59, v5, v59
	v_dual_add_f32 v56, v5, v8 :: v_dual_sub_f32 v9, v8, v9
	s_delay_alu instid0(VALU_DEP_1) | instskip(NEXT) | instid1(VALU_DEP_2)
	v_dual_sub_f32 v57, v57, v59 :: v_dual_sub_f32 v60, v56, v5
	v_sub_f32_e32 v4, v4, v9
	s_delay_alu instid0(VALU_DEP_2) | instskip(NEXT) | instid1(VALU_DEP_2)
	v_sub_f32_e32 v8, v8, v60
	v_add_f32_e32 v9, v57, v4
	v_sub_f32_e32 v61, v56, v60
	s_delay_alu instid0(VALU_DEP_1) | instskip(NEXT) | instid1(VALU_DEP_1)
	v_sub_f32_e32 v5, v5, v61
	v_add_f32_e32 v5, v8, v5
	s_delay_alu instid0(VALU_DEP_4) | instskip(NEXT) | instid1(VALU_DEP_1)
	v_sub_f32_e32 v8, v9, v57
	v_dual_add_f32 v5, v9, v5 :: v_dual_sub_f32 v4, v4, v8
	v_sub_f32_e32 v9, v9, v8
	s_delay_alu instid0(VALU_DEP_2) | instskip(NEXT) | instid1(VALU_DEP_1)
	v_add_f32_e32 v59, v56, v5
	v_dual_sub_f32 v9, v57, v9 :: v_dual_sub_f32 v8, v59, v56
	s_delay_alu instid0(VALU_DEP_1) | instskip(NEXT) | instid1(VALU_DEP_1)
	v_dual_add_f32 v4, v4, v9 :: v_dual_sub_f32 v5, v5, v8
	v_add_f32_e32 v4, v4, v5
	s_delay_alu instid0(VALU_DEP_1) | instskip(NEXT) | instid1(VALU_DEP_1)
	v_add_f32_e32 v4, v59, v4
	v_cndmask_b32_e32 v67, v4, v6, vcc_lo
.LBB13_56:                              ;   in Loop: Header=BB13_12 Depth=1
	s_or_b32 exec_lo, exec_lo, s21
	v_and_b32_e32 v4, 0xffff0000, v7
	s_delay_alu instid0(VALU_DEP_1) | instskip(NEXT) | instid1(VALU_DEP_1)
	v_add_f32_e32 v68, s54, v4
	v_cmp_ge_f32_e32 vcc_lo, 0x41a00000, v68
	s_and_b32 s20, s63, vcc_lo
	s_delay_alu instid0(SALU_CYCLE_1)
	s_and_saveexec_b32 s21, s20
	s_cbranch_execz .LBB13_58
; %bb.57:                               ;   in Loop: Header=BB13_12 Depth=1
	v_mul_f32_e32 v4, 0x3fb8aa3b, v68
	v_cmp_ngt_f32_e32 vcc_lo, 0xc2ce8ed0, v68
	s_delay_alu instid0(VALU_DEP_2) | instskip(SKIP_1) | instid1(VALU_DEP_2)
	v_rndne_f32_e32 v5, v4
	v_fma_f32 v6, 0x3fb8aa3b, v68, -v4
	v_sub_f32_e32 v4, v4, v5
	s_delay_alu instid0(VALU_DEP_2) | instskip(SKIP_1) | instid1(VALU_DEP_2)
	v_fmac_f32_e32 v6, 0x32a5705f, v68
	v_cvt_i32_f32_e32 v5, v5
	v_add_f32_e32 v4, v4, v6
	s_delay_alu instid0(VALU_DEP_1) | instskip(SKIP_2) | instid1(VALU_DEP_1)
	v_exp_f32_e32 v4, v4
	s_waitcnt_depctr 0xfff
	v_ldexp_f32 v4, v4, v5
	v_cndmask_b32_e32 v4, 0, v4, vcc_lo
	v_cmp_nlt_f32_e32 vcc_lo, 0x42b17218, v68
	s_delay_alu instid0(VALU_DEP_2) | instskip(NEXT) | instid1(VALU_DEP_1)
	v_cndmask_b32_e32 v6, 0x7f800000, v4, vcc_lo
	v_add_f32_e32 v7, 1.0, v6
	s_delay_alu instid0(VALU_DEP_1) | instskip(NEXT) | instid1(VALU_DEP_1)
	v_cvt_f64_f32_e32 v[4:5], v7
	v_frexp_exp_i32_f64_e32 v4, v[4:5]
	v_frexp_mant_f32_e32 v5, v7
	s_delay_alu instid0(VALU_DEP_1) | instskip(SKIP_1) | instid1(VALU_DEP_1)
	v_cmp_gt_f32_e32 vcc_lo, 0x3f2aaaab, v5
	v_add_f32_e32 v5, -1.0, v7
	v_sub_f32_e32 v9, v5, v7
	v_sub_f32_e32 v5, v6, v5
	s_delay_alu instid0(VALU_DEP_2) | instskip(NEXT) | instid1(VALU_DEP_1)
	v_add_f32_e32 v9, 1.0, v9
	v_add_f32_e32 v5, v5, v9
	v_cmp_gt_f32_e64 s20, 0x33800000, v6
	v_subrev_co_ci_u32_e32 v4, vcc_lo, 0, v4, vcc_lo
	v_cmp_eq_f32_e32 vcc_lo, 0x7f800000, v6
	s_delay_alu instid0(VALU_DEP_2) | instskip(SKIP_2) | instid1(VALU_DEP_2)
	v_sub_nc_u32_e32 v8, 0, v4
	v_cvt_f32_i32_e32 v4, v4
	s_or_b32 vcc_lo, s20, vcc_lo
	v_ldexp_f32 v7, v7, v8
	v_ldexp_f32 v5, v5, v8
	s_delay_alu instid0(VALU_DEP_2) | instskip(NEXT) | instid1(VALU_DEP_1)
	v_add_f32_e32 v56, 1.0, v7
	v_dual_add_f32 v8, -1.0, v7 :: v_dual_add_f32 v9, -1.0, v56
	s_delay_alu instid0(VALU_DEP_1) | instskip(NEXT) | instid1(VALU_DEP_2)
	v_add_f32_e32 v57, 1.0, v8
	v_sub_f32_e32 v9, v7, v9
	s_delay_alu instid0(VALU_DEP_2) | instskip(NEXT) | instid1(VALU_DEP_2)
	v_sub_f32_e32 v7, v7, v57
	v_add_f32_e32 v9, v5, v9
	s_delay_alu instid0(VALU_DEP_2) | instskip(NEXT) | instid1(VALU_DEP_1)
	v_add_f32_e32 v5, v5, v7
	v_add_f32_e32 v59, v8, v5
	s_delay_alu instid0(VALU_DEP_1) | instskip(NEXT) | instid1(VALU_DEP_4)
	v_sub_f32_e32 v8, v8, v59
	v_add_f32_e32 v57, v56, v9
	s_delay_alu instid0(VALU_DEP_1) | instskip(NEXT) | instid1(VALU_DEP_2)
	v_rcp_f32_e32 v7, v57
	v_dual_sub_f32 v56, v56, v57 :: v_dual_add_f32 v5, v5, v8
	s_waitcnt_depctr 0xfff
	v_dual_add_f32 v9, v9, v56 :: v_dual_mul_f32 v60, v59, v7
	s_delay_alu instid0(VALU_DEP_1) | instskip(NEXT) | instid1(VALU_DEP_1)
	v_mul_f32_e32 v61, v57, v60
	v_fma_f32 v56, v60, v57, -v61
	s_delay_alu instid0(VALU_DEP_1) | instskip(NEXT) | instid1(VALU_DEP_1)
	v_fmac_f32_e32 v56, v60, v9
	v_add_f32_e32 v62, v61, v56
	s_delay_alu instid0(VALU_DEP_1) | instskip(NEXT) | instid1(VALU_DEP_1)
	v_dual_sub_f32 v8, v62, v61 :: v_dual_sub_f32 v63, v59, v62
	v_dual_sub_f32 v8, v8, v56 :: v_dual_sub_f32 v59, v59, v63
	s_delay_alu instid0(VALU_DEP_1) | instskip(NEXT) | instid1(VALU_DEP_1)
	v_sub_f32_e32 v59, v59, v62
	v_add_f32_e32 v5, v5, v59
	s_delay_alu instid0(VALU_DEP_1) | instskip(NEXT) | instid1(VALU_DEP_1)
	v_add_f32_e32 v5, v8, v5
	v_add_f32_e32 v8, v63, v5
	s_delay_alu instid0(VALU_DEP_1) | instskip(NEXT) | instid1(VALU_DEP_1)
	v_mul_f32_e32 v56, v7, v8
	v_mul_f32_e32 v59, v57, v56
	v_sub_f32_e32 v62, v63, v8
	s_delay_alu instid0(VALU_DEP_2) | instskip(NEXT) | instid1(VALU_DEP_2)
	v_fma_f32 v57, v56, v57, -v59
	v_add_f32_e32 v5, v5, v62
	s_delay_alu instid0(VALU_DEP_2) | instskip(NEXT) | instid1(VALU_DEP_1)
	v_fmac_f32_e32 v57, v56, v9
	v_add_f32_e32 v9, v59, v57
	s_delay_alu instid0(VALU_DEP_1) | instskip(NEXT) | instid1(VALU_DEP_1)
	v_sub_f32_e32 v61, v8, v9
	v_dual_sub_f32 v59, v9, v59 :: v_dual_sub_f32 v8, v8, v61
	s_delay_alu instid0(VALU_DEP_1) | instskip(NEXT) | instid1(VALU_DEP_2)
	v_sub_f32_e32 v8, v8, v9
	v_sub_f32_e32 v9, v59, v57
	s_delay_alu instid0(VALU_DEP_2) | instskip(NEXT) | instid1(VALU_DEP_1)
	v_add_f32_e32 v5, v5, v8
	v_dual_add_f32 v8, v60, v56 :: v_dual_add_f32 v5, v9, v5
	s_delay_alu instid0(VALU_DEP_1) | instskip(NEXT) | instid1(VALU_DEP_2)
	v_sub_f32_e32 v9, v8, v60
	v_add_f32_e32 v5, v61, v5
	s_delay_alu instid0(VALU_DEP_2) | instskip(NEXT) | instid1(VALU_DEP_2)
	v_sub_f32_e32 v9, v56, v9
	v_mul_f32_e32 v5, v7, v5
	s_delay_alu instid0(VALU_DEP_1) | instskip(NEXT) | instid1(VALU_DEP_1)
	v_add_f32_e32 v5, v9, v5
	v_add_f32_e32 v7, v8, v5
	s_delay_alu instid0(VALU_DEP_1) | instskip(NEXT) | instid1(VALU_DEP_1)
	v_mul_f32_e32 v9, v7, v7
	v_fmaak_f32 v56, s67, v9, 0x3ecc95a3
	v_mul_f32_e32 v57, v7, v9
	s_delay_alu instid0(VALU_DEP_2) | instskip(SKIP_2) | instid1(VALU_DEP_3)
	v_fmaak_f32 v9, v9, v56, 0x3f2aaada
	v_ldexp_f32 v56, v7, 1
	v_sub_f32_e32 v7, v7, v8
	v_mul_f32_e32 v9, v57, v9
	v_mul_f32_e32 v57, 0x3f317218, v4
	s_delay_alu instid0(VALU_DEP_2) | instskip(NEXT) | instid1(VALU_DEP_1)
	v_dual_sub_f32 v5, v5, v7 :: v_dual_add_f32 v8, v56, v9
	v_ldexp_f32 v5, v5, 1
	s_delay_alu instid0(VALU_DEP_2) | instskip(NEXT) | instid1(VALU_DEP_4)
	v_sub_f32_e32 v7, v8, v56
	v_fma_f32 v56, 0x3f317218, v4, -v57
	s_delay_alu instid0(VALU_DEP_1) | instskip(NEXT) | instid1(VALU_DEP_1)
	v_dual_sub_f32 v7, v9, v7 :: v_dual_fmac_f32 v56, 0xb102e308, v4
	v_add_f32_e32 v4, v5, v7
	s_delay_alu instid0(VALU_DEP_2) | instskip(NEXT) | instid1(VALU_DEP_2)
	v_add_f32_e32 v5, v57, v56
	v_add_f32_e32 v7, v8, v4
	s_delay_alu instid0(VALU_DEP_2) | instskip(NEXT) | instid1(VALU_DEP_2)
	v_sub_f32_e32 v57, v5, v57
	v_dual_add_f32 v9, v5, v7 :: v_dual_sub_f32 v8, v7, v8
	s_delay_alu instid0(VALU_DEP_2) | instskip(NEXT) | instid1(VALU_DEP_2)
	v_sub_f32_e32 v56, v56, v57
	v_dual_sub_f32 v59, v9, v5 :: v_dual_sub_f32 v4, v4, v8
	s_delay_alu instid0(VALU_DEP_1) | instskip(NEXT) | instid1(VALU_DEP_2)
	v_sub_f32_e32 v60, v9, v59
	v_dual_sub_f32 v7, v7, v59 :: v_dual_add_f32 v8, v56, v4
	s_delay_alu instid0(VALU_DEP_2) | instskip(NEXT) | instid1(VALU_DEP_1)
	v_sub_f32_e32 v5, v5, v60
	v_add_f32_e32 v5, v7, v5
	s_delay_alu instid0(VALU_DEP_3) | instskip(NEXT) | instid1(VALU_DEP_2)
	v_sub_f32_e32 v7, v8, v56
	v_add_f32_e32 v5, v8, v5
	s_delay_alu instid0(VALU_DEP_2) | instskip(NEXT) | instid1(VALU_DEP_2)
	v_sub_f32_e32 v8, v8, v7
	v_dual_sub_f32 v4, v4, v7 :: v_dual_add_f32 v57, v9, v5
	s_delay_alu instid0(VALU_DEP_1) | instskip(NEXT) | instid1(VALU_DEP_1)
	v_dual_sub_f32 v8, v56, v8 :: v_dual_sub_f32 v7, v57, v9
	v_dual_add_f32 v4, v4, v8 :: v_dual_sub_f32 v5, v5, v7
	s_delay_alu instid0(VALU_DEP_1) | instskip(NEXT) | instid1(VALU_DEP_1)
	v_add_f32_e32 v4, v4, v5
	v_add_f32_e32 v4, v57, v4
	s_delay_alu instid0(VALU_DEP_1)
	v_cndmask_b32_e32 v68, v4, v6, vcc_lo
.LBB13_58:                              ;   in Loop: Header=BB13_12 Depth=1
	s_or_b32 exec_lo, exec_lo, s21
	v_and_b32_e32 v6, 0xffff0000, v0
	v_and_b32_e32 v5, 0xffff0000, v2
	v_lshlrev_b32_e32 v4, 16, v3
	v_and_b32_e32 v7, 0xffff0000, v3
	v_lshlrev_b32_e32 v0, 16, v0
	v_dual_mul_f32 v64, s55, v6 :: v_dual_and_b32 v3, 0xffff0000, v1
	s_delay_alu instid0(VALU_DEP_3) | instskip(SKIP_1) | instid1(VALU_DEP_3)
	v_dual_mul_f32 v57, s55, v5 :: v_dual_mul_f32 v60, s55, v7
	v_dual_mul_f32 v56, s55, v4 :: v_dual_lshlrev_b32 v1, 16, v1
	v_mul_f32_e32 v62, s55, v3
	v_dual_mul_f32 v63, s55, v0 :: v_dual_lshlrev_b32 v2, 16, v2
	s_delay_alu instid0(VALU_DEP_3) | instskip(SKIP_1) | instid1(VALU_DEP_2)
	v_mul_f32_e32 v61, s55, v1
	s_and_b32 vcc_lo, exec_lo, s64
	v_mul_f32_e32 v59, s55, v2
	s_barrier
	buffer_gl0_inv
	s_cbranch_vccz .LBB13_122
; %bb.59:                               ;   in Loop: Header=BB13_12 Depth=1
	v_dual_mul_f32 v69, v68, v7 :: v_dual_mul_f32 v74, v67, v4
	v_add_co_u32 v7, s20, s46, v51
	s_delay_alu instid0(VALU_DEP_1) | instskip(SKIP_1) | instid1(VALU_DEP_1)
	v_add_co_ci_u32_e64 v8, null, s49, 0, s20
	v_add_co_u32 v9, s20, s50, v51
	v_add_co_ci_u32_e64 v73, null, s59, 0, s20
	s_delay_alu instid0(VALU_DEP_4) | instskip(NEXT) | instid1(VALU_DEP_4)
	v_add_co_u32 v70, vcc_lo, v7, v52
	v_add_co_ci_u32_e32 v71, vcc_lo, 0, v8, vcc_lo
	s_delay_alu instid0(VALU_DEP_4) | instskip(NEXT) | instid1(VALU_DEP_4)
	v_add_co_u32 v72, vcc_lo, v9, v52
	v_add_co_ci_u32_e32 v73, vcc_lo, 0, v73, vcc_lo
	v_cmp_gt_u32_e32 vcc_lo, s23, v10
	s_cmp_lg_u32 s69, 0
	v_cmp_gt_u32_e64 s21, s23, v44
	s_cselect_b32 s31, -1, 0
	s_cmp_eq_u32 s69, s66
	v_cmp_gt_u32_e64 s22, s23, v45
	s_cselect_b32 s70, -1, 0
	s_or_b32 s20, s65, vcc_lo
	v_cmp_gt_u32_e32 vcc_lo, s23, v46
	v_cmp_gt_u32_e64 s24, s23, v47
	v_cmp_gt_u32_e64 s25, s23, v48
	;; [unrolled: 1-line block ×4, first 2 shown]
	v_dual_mul_f32 v75, v66, v5 :: v_dual_mul_f32 v76, v65, v2
	v_dual_mul_f32 v77, v58, v3 :: v_dual_mul_f32 v78, v55, v1
	;; [unrolled: 1-line block ×3, first 2 shown]
	s_mov_b32 s52, 0
	s_or_b32 s21, s65, s21
	s_or_b32 s22, s65, s22
	s_or_b32 s23, s65, vcc_lo
	s_or_b32 s24, s65, s24
	s_or_b32 s25, s65, s25
	;; [unrolled: 1-line block ×4, first 2 shown]
	s_mov_b32 s38, s52
	s_mov_b32 s40, s52
	;; [unrolled: 1-line block ×5, first 2 shown]
	s_branch .LBB13_61
.LBB13_60:                              ;   in Loop: Header=BB13_61 Depth=2
	s_or_b32 exec_lo, exec_lo, s28
	v_cndmask_b32_e64 v5, v98, v7, s11
	v_cndmask_b32_e64 v6, v97, v6, s11
	s_add_i32 s71, s71, -1
	s_add_i32 s72, s72, 8
	s_add_i32 s42, s42, s37
	v_fma_f32 v5, v5, v86, v84
	v_mul_f32_e32 v6, v6, v86
	s_add_i32 s40, s40, s36
	s_add_i32 s38, s38, s48
	;; [unrolled: 1-line block ×3, first 2 shown]
	v_cndmask_b32_e64 v5, v5, v84, s10
	v_cndmask_b32_e64 v6, v6, v86, s10
	s_cmp_eq_u32 s71, 0
	s_waitcnt lgkmcnt(0)
	s_delay_alu instid0(VALU_DEP_1) | instskip(NEXT) | instid1(VALU_DEP_1)
	v_dual_fmac_f32 v5, v4, v6 :: v_dual_and_b32 v4, 0xffff0000, v0
	v_fmac_f32_e32 v81, v5, v87
	s_delay_alu instid0(VALU_DEP_1) | instskip(SKIP_1) | instid1(VALU_DEP_1)
	v_dual_fmac_f32 v64, v81, v4 :: v_dual_and_b32 v7, 0xffff0000, v2
	v_fmac_f32_e32 v82, v81, v89
	v_dual_fmac_f32 v83, v82, v90 :: v_dual_and_b32 v6, 0xffff0000, v1
	s_delay_alu instid0(VALU_DEP_1) | instskip(NEXT) | instid1(VALU_DEP_2)
	v_fmac_f32_e32 v85, v83, v92
	v_dual_fmac_f32 v62, v83, v6 :: v_dual_lshlrev_b32 v1, 16, v1
	s_delay_alu instid0(VALU_DEP_2) | instskip(SKIP_1) | instid1(VALU_DEP_3)
	v_fmac_f32_e32 v88, v85, v96
	v_lshlrev_b32_e32 v0, 16, v0
	v_dual_fmac_f32 v61, v82, v1 :: v_dual_and_b32 v8, 0xffff0000, v3
	v_lshlrev_b32_e32 v3, 16, v3
	s_delay_alu instid0(VALU_DEP_4) | instskip(NEXT) | instid1(VALU_DEP_4)
	v_fmac_f32_e32 v91, v88, v94
	v_dual_fmac_f32 v63, v5, v0 :: v_dual_lshlrev_b32 v2, 16, v2
	s_delay_alu instid0(VALU_DEP_2) | instskip(NEXT) | instid1(VALU_DEP_2)
	v_fmac_f32_e32 v93, v91, v95
	v_dual_fmac_f32 v59, v85, v2 :: v_dual_fmac_f32 v56, v91, v3
	s_delay_alu instid0(VALU_DEP_2)
	v_dual_fmac_f32 v57, v88, v7 :: v_dual_fmac_f32 v60, v93, v8
	s_cbranch_scc1 .LBB13_122
.LBB13_61:                              ;   Parent Loop BB13_12 Depth=1
                                        ; =>  This Inner Loop Header: Depth=2
	s_lshl_b64 s[28:29], s[52:53], 2
	s_mov_b32 s39, s53
	s_add_u32 s28, s57, s28
	s_addc_u32 s29, s58, s29
	v_dual_mov_b32 v2, 0 :: v_dual_mov_b32 v3, 0
	global_load_b32 v81, v13, s[28:29]
	s_lshl_b64 s[28:29], s[38:39], 1
	s_delay_alu instid0(SALU_CYCLE_1)
	v_add_co_u32 v0, vcc_lo, v70, s28
	v_add_co_ci_u32_e32 v1, vcc_lo, s29, v71, vcc_lo
	s_and_saveexec_b32 s28, s12
	s_cbranch_execz .LBB13_63
; %bb.62:                               ;   in Loop: Header=BB13_61 Depth=2
	global_load_u16 v3, v[0:1], off
.LBB13_63:                              ;   in Loop: Header=BB13_61 Depth=2
	s_or_b32 exec_lo, exec_lo, s28
	s_and_saveexec_b32 s28, s13
	s_cbranch_execz .LBB13_65
; %bb.64:                               ;   in Loop: Header=BB13_61 Depth=2
	global_load_u16 v2, v[0:1], off offset:64
.LBB13_65:                              ;   in Loop: Header=BB13_61 Depth=2
	s_or_b32 exec_lo, exec_lo, s28
	v_dual_mov_b32 v4, 0 :: v_dual_mov_b32 v5, 0
	s_and_saveexec_b32 s28, s14
	s_cbranch_execz .LBB13_67
; %bb.66:                               ;   in Loop: Header=BB13_61 Depth=2
	global_load_u16 v5, v[0:1], off offset:128
.LBB13_67:                              ;   in Loop: Header=BB13_61 Depth=2
	s_or_b32 exec_lo, exec_lo, s28
	s_and_saveexec_b32 s28, s15
	s_cbranch_execz .LBB13_69
; %bb.68:                               ;   in Loop: Header=BB13_61 Depth=2
	global_load_u16 v4, v[0:1], off offset:192
.LBB13_69:                              ;   in Loop: Header=BB13_61 Depth=2
	s_or_b32 exec_lo, exec_lo, s28
	v_dual_mov_b32 v6, 0 :: v_dual_mov_b32 v7, 0
	s_and_saveexec_b32 s28, s16
	s_cbranch_execz .LBB13_71
; %bb.70:                               ;   in Loop: Header=BB13_61 Depth=2
	global_load_u16 v7, v[0:1], off offset:256
.LBB13_71:                              ;   in Loop: Header=BB13_61 Depth=2
	;; [unrolled: 13-line block ×3, first 2 shown]
	s_or_b32 exec_lo, exec_lo, s28
	s_and_saveexec_b32 s28, s19
	s_cbranch_execz .LBB13_77
; %bb.76:                               ;   in Loop: Header=BB13_61 Depth=2
	global_load_u16 v8, v[0:1], off offset:448
.LBB13_77:                              ;   in Loop: Header=BB13_61 Depth=2
	s_or_b32 exec_lo, exec_lo, s28
	s_waitcnt vmcnt(0)
	ds_store_b16 v20, v3
	ds_store_b16 v20, v2 offset:64
	ds_store_b16 v21, v5 offset:128
	;; [unrolled: 1-line block ×7, first 2 shown]
	; wave barrier
	ds_load_b128 v[4:7], v27
	s_mov_b32 s41, s53
	v_dual_mov_b32 v2, 0 :: v_dual_mov_b32 v3, 0
	s_lshl_b64 s[28:29], s[40:41], 1
	s_delay_alu instid0(SALU_CYCLE_1)
	v_add_co_u32 v0, vcc_lo, v72, s28
	v_add_co_ci_u32_e32 v1, vcc_lo, s29, v73, vcc_lo
	s_and_saveexec_b32 s28, s12
	s_cbranch_execz .LBB13_79
; %bb.78:                               ;   in Loop: Header=BB13_61 Depth=2
	global_load_u16 v3, v[0:1], off
.LBB13_79:                              ;   in Loop: Header=BB13_61 Depth=2
	s_or_b32 exec_lo, exec_lo, s28
	s_and_saveexec_b32 s28, s13
	s_cbranch_execz .LBB13_81
; %bb.80:                               ;   in Loop: Header=BB13_61 Depth=2
	global_load_u16 v2, v[0:1], off offset:64
.LBB13_81:                              ;   in Loop: Header=BB13_61 Depth=2
	s_or_b32 exec_lo, exec_lo, s28
	v_dual_mov_b32 v8, 0 :: v_dual_mov_b32 v9, 0
	s_and_saveexec_b32 s28, s14
	s_cbranch_execz .LBB13_83
; %bb.82:                               ;   in Loop: Header=BB13_61 Depth=2
	global_load_u16 v9, v[0:1], off offset:128
.LBB13_83:                              ;   in Loop: Header=BB13_61 Depth=2
	s_or_b32 exec_lo, exec_lo, s28
	s_and_saveexec_b32 s28, s15
	s_cbranch_execz .LBB13_85
; %bb.84:                               ;   in Loop: Header=BB13_61 Depth=2
	global_load_u16 v8, v[0:1], off offset:192
.LBB13_85:                              ;   in Loop: Header=BB13_61 Depth=2
	s_or_b32 exec_lo, exec_lo, s28
	v_dual_mov_b32 v82, 0 :: v_dual_mov_b32 v83, 0
	s_and_saveexec_b32 s28, s16
	s_cbranch_execz .LBB13_87
; %bb.86:                               ;   in Loop: Header=BB13_61 Depth=2
	global_load_u16 v83, v[0:1], off offset:256
.LBB13_87:                              ;   in Loop: Header=BB13_61 Depth=2
	s_or_b32 exec_lo, exec_lo, s28
	s_and_saveexec_b32 s28, s17
	s_cbranch_execz .LBB13_89
; %bb.88:                               ;   in Loop: Header=BB13_61 Depth=2
	global_load_u16 v82, v[0:1], off offset:320
.LBB13_89:                              ;   in Loop: Header=BB13_61 Depth=2
	s_or_b32 exec_lo, exec_lo, s28
	v_dual_mov_b32 v84, 0 :: v_dual_mov_b32 v85, 0
	s_and_saveexec_b32 s28, s18
	s_cbranch_execz .LBB13_91
; %bb.90:                               ;   in Loop: Header=BB13_61 Depth=2
	global_load_u16 v85, v[0:1], off offset:384
.LBB13_91:                              ;   in Loop: Header=BB13_61 Depth=2
	s_or_b32 exec_lo, exec_lo, s28
	s_and_saveexec_b32 s28, s19
	s_cbranch_execz .LBB13_93
; %bb.92:                               ;   in Loop: Header=BB13_61 Depth=2
	global_load_u16 v84, v[0:1], off offset:448
.LBB13_93:                              ;   in Loop: Header=BB13_61 Depth=2
	s_or_b32 exec_lo, exec_lo, s28
	s_waitcnt vmcnt(0)
	ds_store_b16 v20, v3 offset:1056
	ds_store_b16 v28, v2 offset:64
	;; [unrolled: 1-line block ×8, first 2 shown]
	; wave barrier
	ds_load_b128 v[0:3], v27 offset:1056
	s_and_not1_b32 vcc_lo, exec_lo, s31
	s_cbranch_vccnz .LBB13_95
; %bb.94:                               ;   in Loop: Header=BB13_61 Depth=2
	v_mov_b32_e32 v8, s72
	ds_load_b64 v[8:9], v8
	s_cbranch_execz .LBB13_96
	s_branch .LBB13_99
.LBB13_95:                              ;   in Loop: Header=BB13_61 Depth=2
                                        ; implicit-def: $vgpr8
.LBB13_96:                              ;   in Loop: Header=BB13_61 Depth=2
	s_waitcnt lgkmcnt(0)
	v_mov_b32_e32 v9, 0
	s_and_not1_b32 vcc_lo, exec_lo, s33
	s_cbranch_vccnz .LBB13_98
; %bb.97:                               ;   in Loop: Header=BB13_61 Depth=2
	s_mov_b32 s43, s53
	s_delay_alu instid0(SALU_CYCLE_1) | instskip(NEXT) | instid1(SALU_CYCLE_1)
	s_lshl_b64 s[28:29], s[42:43], 1
	s_add_u32 s28, s60, s28
	s_addc_u32 s29, s61, s29
	global_load_u16 v8, v13, s[28:29]
	s_waitcnt vmcnt(0)
	v_lshlrev_b32_e32 v9, 16, v8
.LBB13_98:                              ;   in Loop: Header=BB13_61 Depth=2
	v_mov_b32_e32 v8, 1.0
.LBB13_99:                              ;   in Loop: Header=BB13_61 Depth=2
	v_mul_f32_e32 v91, 0x3fb8aa3b, v81
	s_waitcnt lgkmcnt(9)
	v_lshlrev_b32_e32 v81, 16, v4
	v_and_b32_e32 v4, 0xffff0000, v4
	s_delay_alu instid0(VALU_DEP_1) | instskip(SKIP_1) | instid1(VALU_DEP_4)
	v_mul_f32_e32 v4, v79, v4
	v_mul_f32_e32 v82, v91, v53
	;; [unrolled: 1-line block ×3, first 2 shown]
	v_dual_mul_f32 v84, v91, v54 :: v_dual_lshlrev_b32 v83, 16, v5
	v_mul_f32_e32 v86, v91, v55
	s_delay_alu instid0(VALU_DEP_4) | instskip(SKIP_1) | instid1(VALU_DEP_4)
	v_cmp_gt_f32_e32 vcc_lo, 0xc2fc0000, v82
	v_dual_mul_f32 v88, v91, v58 :: v_dual_lshlrev_b32 v93, 16, v7
	v_cmp_gt_f32_e64 s28, 0xc2fc0000, v84
	s_delay_alu instid0(VALU_DEP_4)
	v_cmp_gt_f32_e64 s29, 0xc2fc0000, v86
	v_cndmask_b32_e64 v82, 0, 0x42800000, vcc_lo
	v_lshlrev_b32_e32 v85, 16, v6
	v_cndmask_b32_e64 v89, 1.0, 0x1f800000, vcc_lo
	v_cndmask_b32_e64 v84, 0, 0x42800000, s28
	v_and_b32_e32 v5, 0xffff0000, v5
	v_fmac_f32_e32 v82, v91, v53
	v_cndmask_b32_e64 v86, 0, 0x42800000, s29
	v_cndmask_b32_e64 v90, 1.0, 0x1f800000, s28
	v_fmac_f32_e32 v84, v91, v54
	v_cmp_gt_f32_e32 vcc_lo, 0xc2fc0000, v88
	v_exp_f32_e32 v82, v82
	v_and_b32_e32 v7, 0xffff0000, v7
	v_dual_fmac_f32 v86, v91, v55 :: v_dual_mul_f32 v5, v77, v5
	v_exp_f32_e32 v87, v84
	v_cndmask_b32_e64 v84, 0, v81, s20
	v_cndmask_b32_e64 v81, 0, v4, s21
	v_cndmask_b32_e64 v88, 0, 0x42800000, vcc_lo
	v_dual_mul_f32 v83, v78, v83 :: v_dual_and_b32 v6, 0xffff0000, v6
	s_delay_alu instid0(TRANS32_DEP_2) | instskip(SKIP_1) | instid1(VALU_DEP_3)
	v_mul_f32_e32 v4, v82, v89
	v_exp_f32_e32 v89, v86
	v_dual_fmac_f32 v88, v91, v58 :: v_dual_mul_f32 v93, v74, v93
	s_delay_alu instid0(TRANS32_DEP_2) | instskip(NEXT) | instid1(VALU_DEP_3)
	v_dual_mul_f32 v82, v87, v90 :: v_dual_mul_f32 v85, v76, v85
	v_cndmask_b32_e64 v86, 1.0, v4, s20
	v_dual_mul_f32 v4, v91, v65 :: v_dual_mul_f32 v7, v69, v7
	s_delay_alu instid0(VALU_DEP_3) | instskip(SKIP_2) | instid1(VALU_DEP_4)
	v_cndmask_b32_e64 v87, 1.0, v82, s21
	v_cndmask_b32_e64 v82, 1.0, 0x1f800000, s29
	v_mul_f32_e32 v90, v91, v66
	v_cmp_gt_f32_e64 s28, 0xc2fc0000, v4
	v_exp_f32_e32 v88, v88
	v_mul_f32_e32 v95, v91, v68
	v_mul_f32_e32 v89, v89, v82
	v_cndmask_b32_e64 v82, 0, v83, s22
	v_cndmask_b32_e64 v4, 0, 0x42800000, s28
	v_cndmask_b32_e64 v83, 1.0, 0x1f800000, vcc_lo
	v_cmp_gt_f32_e32 vcc_lo, 0xc2fc0000, v90
	v_mul_f32_e32 v6, v75, v6
	v_cndmask_b32_e64 v89, 1.0, v89, s22
	v_fmac_f32_e32 v4, v91, v65
	v_mul_f32_e32 v88, v88, v83
	v_cndmask_b32_e64 v92, 0, 0x42800000, vcc_lo
	v_cndmask_b32_e64 v83, 0, v5, s23
	v_cndmask_b32_e64 v5, 1.0, 0x1f800000, s28
	v_exp_f32_e32 v4, v4
	v_cndmask_b32_e64 v90, 1.0, v88, s23
	v_fmac_f32_e32 v92, v91, v66
	v_cmp_gt_f32_e64 s28, 0xc2fc0000, v95
	v_fma_f32 v95, v87, v84, v81
	v_cndmask_b32_e64 v85, 0, v85, s24
	s_delay_alu instid0(VALU_DEP_4) | instskip(SKIP_1) | instid1(TRANS32_DEP_2)
	v_exp_f32_e32 v88, v92
	v_mul_f32_e32 v92, v91, v67
	v_mul_f32_e32 v4, v4, v5
	v_cndmask_b32_e64 v5, 1.0, 0x1f800000, vcc_lo
	s_delay_alu instid0(VALU_DEP_3) | instskip(NEXT) | instid1(VALU_DEP_3)
	v_cmp_gt_f32_e32 vcc_lo, 0xc2fc0000, v92
	v_cndmask_b32_e64 v92, 1.0, v4, s24
	s_waitcnt_depctr 0xfff
	v_mul_f32_e32 v4, v88, v5
	v_cndmask_b32_e64 v94, 0, 0x42800000, vcc_lo
	v_cndmask_b32_e64 v88, 0, v6, s25
	v_cndmask_b32_e64 v5, 0, 0x42800000, s28
	v_mul_f32_e32 v6, v87, v86
	v_cndmask_b32_e64 v96, 1.0, v4, s25
	v_fmac_f32_e32 v94, v91, v67
	s_delay_alu instid0(VALU_DEP_3) | instskip(SKIP_1) | instid1(VALU_DEP_3)
	v_dual_fmac_f32 v5, v91, v68 :: v_dual_mul_f32 v4, v6, v89
	v_fma_f32 v6, v95, v89, v82
	v_exp_f32_e32 v94, v94
	v_cndmask_b32_e64 v91, 1.0, 0x1f800000, vcc_lo
	s_delay_alu instid0(VALU_DEP_3) | instskip(SKIP_2) | instid1(VALU_DEP_2)
	v_exp_f32_e32 v5, v5
	v_mul_f32_e32 v4, v4, v90
	v_fma_f32 v6, v6, v90, v83
	v_mul_f32_e32 v4, v4, v92
	s_delay_alu instid0(VALU_DEP_2) | instskip(NEXT) | instid1(TRANS32_DEP_2)
	v_fma_f32 v6, v6, v92, v85
	v_mul_f32_e32 v94, v94, v91
	v_cndmask_b32_e64 v91, 0, v93, s26
	v_cndmask_b32_e64 v93, 1.0, 0x1f800000, s28
	v_mul_f32_e32 v4, v4, v96
	v_fma_f32 v6, v6, v96, v88
	v_cndmask_b32_e64 v94, 1.0, v94, s26
	s_delay_alu instid0(VALU_DEP_4) | instskip(SKIP_1) | instid1(VALU_DEP_3)
	v_mul_f32_e32 v5, v5, v93
	v_cndmask_b32_e64 v93, 0, v7, s27
	v_mul_f32_e32 v4, v4, v94
	s_delay_alu instid0(VALU_DEP_3) | instskip(SKIP_1) | instid1(VALU_DEP_2)
	v_cndmask_b32_e64 v95, 1.0, v5, s27
	v_fma_f32 v5, v6, v94, v91
	v_mul_f32_e32 v4, v4, v95
	s_delay_alu instid0(VALU_DEP_2) | instskip(NEXT) | instid1(VALU_DEP_2)
	v_fma_f32 v5, v5, v95, v93
	v_mov_b32_dpp v7, v4 row_shr:1 row_mask:0xf bank_mask:0xf
	s_delay_alu instid0(VALU_DEP_2)
	v_mov_b32_dpp v6, v5 row_shr:1 row_mask:0xf bank_mask:0xf
	s_and_saveexec_b32 s28, s0
; %bb.100:                              ;   in Loop: Header=BB13_61 Depth=2
	s_delay_alu instid0(VALU_DEP_2) | instskip(NEXT) | instid1(VALU_DEP_1)
	v_mul_f32_e32 v7, v4, v7
	v_dual_fmac_f32 v5, v4, v6 :: v_dual_mov_b32 v4, v7
; %bb.101:                              ;   in Loop: Header=BB13_61 Depth=2
	s_or_b32 exec_lo, exec_lo, s28
	s_delay_alu instid0(VALU_DEP_1) | instskip(NEXT) | instid1(VALU_DEP_2)
	v_mov_b32_dpp v6, v4 row_shr:2 row_mask:0xf bank_mask:0xf
	v_mov_b32_dpp v7, v5 row_shr:2 row_mask:0xf bank_mask:0xf
	s_and_saveexec_b32 s28, s1
; %bb.102:                              ;   in Loop: Header=BB13_61 Depth=2
	s_delay_alu instid0(VALU_DEP_1) | instskip(NEXT) | instid1(VALU_DEP_3)
	v_fmac_f32_e32 v5, v4, v7
	v_mul_f32_e32 v4, v4, v6
; %bb.103:                              ;   in Loop: Header=BB13_61 Depth=2
	s_or_b32 exec_lo, exec_lo, s28
	s_delay_alu instid0(VALU_DEP_1) | instskip(NEXT) | instid1(VALU_DEP_3)
	v_mov_b32_dpp v6, v4 row_shr:4 row_mask:0xf bank_mask:0xf
	v_mov_b32_dpp v7, v5 row_shr:4 row_mask:0xf bank_mask:0xf
	s_and_saveexec_b32 s28, s2
; %bb.104:                              ;   in Loop: Header=BB13_61 Depth=2
	s_delay_alu instid0(VALU_DEP_1) | instskip(NEXT) | instid1(VALU_DEP_3)
	v_fmac_f32_e32 v5, v4, v7
	v_mul_f32_e32 v4, v4, v6
; %bb.105:                              ;   in Loop: Header=BB13_61 Depth=2
	s_or_b32 exec_lo, exec_lo, s28
	s_delay_alu instid0(VALU_DEP_1) | instskip(NEXT) | instid1(VALU_DEP_3)
	v_mov_b32_dpp v6, v4 row_shr:8 row_mask:0xf bank_mask:0xf
	v_mov_b32_dpp v7, v5 row_shr:8 row_mask:0xf bank_mask:0xf
	s_and_saveexec_b32 s28, s3
; %bb.106:                              ;   in Loop: Header=BB13_61 Depth=2
	s_delay_alu instid0(VALU_DEP_1) | instskip(NEXT) | instid1(VALU_DEP_3)
	v_fmac_f32_e32 v5, v4, v7
	v_mul_f32_e32 v4, v4, v6
; %bb.107:                              ;   in Loop: Header=BB13_61 Depth=2
	s_or_b32 exec_lo, exec_lo, s28
	ds_swizzle_b32 v7, v4 offset:swizzle(BROADCAST,32,15)
	ds_swizzle_b32 v6, v5 offset:swizzle(BROADCAST,32,15)
	s_and_saveexec_b32 s28, s4
	s_cbranch_execz .LBB13_109
; %bb.108:                              ;   in Loop: Header=BB13_61 Depth=2
	s_waitcnt lgkmcnt(1)
	v_mul_f32_e32 v7, v4, v7
	s_waitcnt lgkmcnt(0)
	s_delay_alu instid0(VALU_DEP_1)
	v_dual_fmac_f32 v5, v4, v6 :: v_dual_mov_b32 v4, v7
.LBB13_109:                             ;   in Loop: Header=BB13_61 Depth=2
	s_or_b32 exec_lo, exec_lo, s28
	s_and_saveexec_b32 s28, s5
	s_cbranch_execz .LBB13_111
; %bb.110:                              ;   in Loop: Header=BB13_61 Depth=2
	ds_store_b64 v35, v[4:5] offset:2112
.LBB13_111:                             ;   in Loop: Header=BB13_61 Depth=2
	s_or_b32 exec_lo, exec_lo, s28
	s_waitcnt lgkmcnt(0)
	s_waitcnt_vscnt null, 0x0
	s_barrier
	buffer_gl0_inv
	s_and_saveexec_b32 s28, s6
	s_cbranch_execz .LBB13_113
; %bb.112:                              ;   in Loop: Header=BB13_61 Depth=2
	ds_load_b64 v[6:7], v36 offset:2112
	s_waitcnt lgkmcnt(0)
	v_mov_b32_dpp v97, v6 row_shr:1 row_mask:0xf bank_mask:0xf
	v_mov_b32_dpp v98, v7 row_shr:1 row_mask:0xf bank_mask:0xf
	s_delay_alu instid0(VALU_DEP_2) | instskip(NEXT) | instid1(VALU_DEP_2)
	v_mul_f32_e32 v97, v6, v97
	v_fma_f32 v98, v6, v98, v7
	s_delay_alu instid0(VALU_DEP_2) | instskip(NEXT) | instid1(VALU_DEP_2)
	v_cndmask_b32_e64 v6, v97, v6, s7
	v_cndmask_b32_e64 v7, v98, v7, s7
	ds_store_b64 v36, v[6:7] offset:2112
.LBB13_113:                             ;   in Loop: Header=BB13_61 Depth=2
	s_or_b32 exec_lo, exec_lo, s28
	s_waitcnt lgkmcnt(0)
	s_barrier
	buffer_gl0_inv
                                        ; implicit-def: $vgpr7
	s_and_saveexec_b32 s28, s9
	s_cbranch_execz .LBB13_115
; %bb.114:                              ;   in Loop: Header=BB13_61 Depth=2
	ds_load_b64 v[6:7], v35 offset:2104
	s_waitcnt lgkmcnt(0)
	v_mul_f32_e32 v97, v4, v6
	s_delay_alu instid0(VALU_DEP_1)
	v_dual_fmac_f32 v5, v4, v7 :: v_dual_mov_b32 v4, v97
.LBB13_115:                             ;   in Loop: Header=BB13_61 Depth=2
	s_or_b32 exec_lo, exec_lo, s28
	ds_bpermute_b32 v97, v37, v4
	ds_bpermute_b32 v98, v37, v5
	s_and_saveexec_b32 s28, s8
	s_cbranch_execz .LBB13_119
; %bb.116:                              ;   in Loop: Header=BB13_61 Depth=2
	ds_load_b64 v[4:5], v13 offset:2120
	s_and_saveexec_b32 s29, s10
	s_cbranch_execz .LBB13_118
; %bb.117:                              ;   in Loop: Header=BB13_61 Depth=2
	ds_store_b64 v13, v[8:9] offset:2120
.LBB13_118:                             ;   in Loop: Header=BB13_61 Depth=2
	s_or_b32 exec_lo, exec_lo, s29
	s_waitcnt lgkmcnt(0)
	v_fmac_f32_e32 v5, v4, v9
	s_delay_alu instid0(VALU_DEP_1)
	v_dual_mul_f32 v8, v8, v4 :: v_dual_mov_b32 v9, v5
.LBB13_119:                             ;   in Loop: Header=BB13_61 Depth=2
	s_or_b32 exec_lo, exec_lo, s28
	s_waitcnt lgkmcnt(0)
	s_barrier
	buffer_gl0_inv
	ds_load_b32 v4, v13 offset:2124
	s_and_saveexec_b32 s28, s10
	s_cbranch_execz .LBB13_60
; %bb.120:                              ;   in Loop: Header=BB13_61 Depth=2
	v_mov_b32_e32 v5, s72
	s_and_not1_b32 vcc_lo, exec_lo, s70
	ds_store_b64 v5, v[8:9]
	s_cbranch_vccnz .LBB13_60
; %bb.121:                              ;   in Loop: Header=BB13_61 Depth=2
	v_bfe_u32 v5, v9, 16, 1
	v_cmp_o_f32_e32 vcc_lo, v9, v9
	s_mov_b32 s43, s53
	s_delay_alu instid0(SALU_CYCLE_1) | instskip(NEXT) | instid1(VALU_DEP_2)
	s_lshl_b64 s[74:75], s[42:43], 1
	v_add3_u32 v5, v9, v5, 0x7fff
	s_add_u32 s74, s60, s74
	s_addc_u32 s75, s61, s75
	s_delay_alu instid0(VALU_DEP_1) | instskip(NEXT) | instid1(VALU_DEP_1)
	v_lshrrev_b32_e32 v5, 16, v5
	v_cndmask_b32_e32 v5, 0x7fc0, v5, vcc_lo
	global_store_b16 v13, v5, s[74:75]
	s_branch .LBB13_60
.LBB13_122:                             ;   in Loop: Header=BB13_12 Depth=1
	v_bfe_u32 v0, v63, 16, 1
	v_bfe_u32 v2, v61, 16, 1
	;; [unrolled: 1-line block ×3, first 2 shown]
	v_cmp_o_f32_e32 vcc_lo, v63, v63
	v_bfe_u32 v4, v59, 16, 1
	v_add3_u32 v0, v63, v0, 0x7fff
	v_add3_u32 v2, v61, v2, 0x7fff
	;; [unrolled: 1-line block ×3, first 2 shown]
	v_bfe_u32 v5, v57, 16, 1
	v_bfe_u32 v6, v56, 16, 1
	v_lshrrev_b32_e32 v0, 16, v0
	v_lshrrev_b32_e32 v2, 16, v2
	;; [unrolled: 1-line block ×3, first 2 shown]
	v_bfe_u32 v7, v60, 16, 1
	v_add3_u32 v4, v59, v4, 0x7fff
	v_cndmask_b32_e32 v0, 0x7fc0, v0, vcc_lo
	v_cmp_o_f32_e32 vcc_lo, v61, v61
	v_add3_u32 v6, v56, v6, 0x7fff
	v_bfe_u32 v1, v64, 16, 1
	s_waitcnt_vscnt null, 0x0
	s_barrier
	v_cndmask_b32_e32 v8, 0x7fc0, v2, vcc_lo
	v_cmp_o_f32_e32 vcc_lo, v62, v62
	v_add3_u32 v2, v57, v5, 0x7fff
	v_add3_u32 v5, v60, v7, 0x7fff
	;; [unrolled: 1-line block ×3, first 2 shown]
	buffer_gl0_inv
	v_cndmask_b32_e32 v7, 0x7fc0, v3, vcc_lo
	v_lshrrev_b32_e32 v3, 16, v4
	v_cmp_o_f32_e32 vcc_lo, v59, v59
	v_lshrrev_b32_e32 v4, 16, v6
	v_lshrrev_b32_e32 v5, 16, v5
	;; [unrolled: 1-line block ×4, first 2 shown]
	v_cndmask_b32_e32 v6, 0x7fc0, v3, vcc_lo
	v_cmp_o_f32_e32 vcc_lo, v56, v56
	s_mov_b32 s31, s53
	s_delay_alu instid0(SALU_CYCLE_1) | instskip(SKIP_4) | instid1(VALU_DEP_2)
	s_lshl_b64 s[24:25], s[30:31], 1
	v_cndmask_b32_e32 v3, 0x7fc0, v4, vcc_lo
	v_cmp_o_f32_e32 vcc_lo, v60, v60
	v_cndmask_b32_e32 v4, 0x7fc0, v5, vcc_lo
	v_cmp_o_f32_e32 vcc_lo, v57, v57
	v_perm_b32 v3, v4, v3, 0x5040100
	v_cndmask_b32_e32 v2, 0x7fc0, v2, vcc_lo
	v_cmp_o_f32_e32 vcc_lo, v64, v64
	s_delay_alu instid0(VALU_DEP_2) | instskip(SKIP_2) | instid1(VALU_DEP_2)
	v_perm_b32 v2, v2, v6, 0x5040100
	v_cndmask_b32_e32 v5, 0x7fc0, v1, vcc_lo
	v_perm_b32 v1, v7, v8, 0x5040100
	v_perm_b32 v0, v5, v0, 0x5040100
	ds_store_b128 v27, v[0:3]
	; wave barrier
	ds_load_u16 v8, v20 offset:64
	ds_load_u16 v7, v21 offset:128
	;; [unrolled: 1-line block ×7, first 2 shown]
	v_add_co_u32 v0, vcc_lo, v38, s24
	v_add_co_ci_u32_e32 v1, vcc_lo, s25, v39, vcc_lo
	s_and_saveexec_b32 s20, s12
	s_cbranch_execnz .LBB13_157
; %bb.123:                              ;   in Loop: Header=BB13_12 Depth=1
	s_or_b32 exec_lo, exec_lo, s20
	s_and_saveexec_b32 s20, s13
	s_cbranch_execnz .LBB13_158
.LBB13_124:                             ;   in Loop: Header=BB13_12 Depth=1
	s_or_b32 exec_lo, exec_lo, s20
	s_and_saveexec_b32 s20, s14
	s_cbranch_execnz .LBB13_159
.LBB13_125:                             ;   in Loop: Header=BB13_12 Depth=1
	s_or_b32 exec_lo, exec_lo, s20
	s_and_saveexec_b32 s20, s15
	s_cbranch_execnz .LBB13_160
.LBB13_126:                             ;   in Loop: Header=BB13_12 Depth=1
	s_or_b32 exec_lo, exec_lo, s20
	s_and_saveexec_b32 s20, s16
	s_cbranch_execnz .LBB13_161
.LBB13_127:                             ;   in Loop: Header=BB13_12 Depth=1
	s_or_b32 exec_lo, exec_lo, s20
	s_and_saveexec_b32 s20, s17
	s_cbranch_execnz .LBB13_162
.LBB13_128:                             ;   in Loop: Header=BB13_12 Depth=1
	s_or_b32 exec_lo, exec_lo, s20
	s_and_saveexec_b32 s20, s18
	s_cbranch_execnz .LBB13_163
.LBB13_129:                             ;   in Loop: Header=BB13_12 Depth=1
	s_or_b32 exec_lo, exec_lo, s20
	s_and_saveexec_b32 s20, s19
	s_cbranch_execz .LBB13_131
.LBB13_130:                             ;   in Loop: Header=BB13_12 Depth=1
	s_waitcnt lgkmcnt(0)
	global_store_b16 v[0:1], v2, off offset:448
.LBB13_131:                             ;   in Loop: Header=BB13_12 Depth=1
	s_or_b32 exec_lo, exec_lo, s20
	v_add_co_u32 v0, vcc_lo, v40, s24
	v_add_co_ci_u32_e32 v1, vcc_lo, s25, v41, vcc_lo
	s_waitcnt lgkmcnt(0)
	v_dual_mov_b32 v2, 0 :: v_dual_mov_b32 v3, 0
	s_waitcnt_vscnt null, 0x0
	s_barrier
	buffer_gl0_inv
	s_and_saveexec_b32 s20, s12
	s_cbranch_execz .LBB13_133
; %bb.132:                              ;   in Loop: Header=BB13_12 Depth=1
	global_load_u16 v3, v[0:1], off
.LBB13_133:                             ;   in Loop: Header=BB13_12 Depth=1
	s_or_b32 exec_lo, exec_lo, s20
	s_and_saveexec_b32 s20, s13
	s_cbranch_execz .LBB13_135
; %bb.134:                              ;   in Loop: Header=BB13_12 Depth=1
	global_load_u16 v2, v[0:1], off offset:64
.LBB13_135:                             ;   in Loop: Header=BB13_12 Depth=1
	s_or_b32 exec_lo, exec_lo, s20
	v_dual_mov_b32 v4, 0 :: v_dual_mov_b32 v5, 0
	s_and_saveexec_b32 s20, s14
	s_cbranch_execz .LBB13_137
; %bb.136:                              ;   in Loop: Header=BB13_12 Depth=1
	global_load_u16 v5, v[0:1], off offset:128
.LBB13_137:                             ;   in Loop: Header=BB13_12 Depth=1
	s_or_b32 exec_lo, exec_lo, s20
	s_and_saveexec_b32 s20, s15
	s_cbranch_execz .LBB13_139
; %bb.138:                              ;   in Loop: Header=BB13_12 Depth=1
	global_load_u16 v4, v[0:1], off offset:192
.LBB13_139:                             ;   in Loop: Header=BB13_12 Depth=1
	s_or_b32 exec_lo, exec_lo, s20
	v_dual_mov_b32 v6, 0 :: v_dual_mov_b32 v7, 0
	s_and_saveexec_b32 s20, s16
	s_cbranch_execz .LBB13_141
; %bb.140:                              ;   in Loop: Header=BB13_12 Depth=1
	global_load_u16 v7, v[0:1], off offset:256
.LBB13_141:                             ;   in Loop: Header=BB13_12 Depth=1
	s_or_b32 exec_lo, exec_lo, s20
	s_and_saveexec_b32 s20, s17
	s_cbranch_execz .LBB13_143
; %bb.142:                              ;   in Loop: Header=BB13_12 Depth=1
	global_load_u16 v6, v[0:1], off offset:320
.LBB13_143:                             ;   in Loop: Header=BB13_12 Depth=1
	s_or_b32 exec_lo, exec_lo, s20
	v_dual_mov_b32 v8, 0 :: v_dual_mov_b32 v9, 0
	s_and_saveexec_b32 s20, s18
	s_cbranch_execz .LBB13_145
; %bb.144:                              ;   in Loop: Header=BB13_12 Depth=1
	global_load_u16 v9, v[0:1], off offset:384
.LBB13_145:                             ;   in Loop: Header=BB13_12 Depth=1
	s_or_b32 exec_lo, exec_lo, s20
	s_and_saveexec_b32 s20, s19
	s_cbranch_execz .LBB13_147
; %bb.146:                              ;   in Loop: Header=BB13_12 Depth=1
	global_load_u16 v8, v[0:1], off offset:448
.LBB13_147:                             ;   in Loop: Header=BB13_12 Depth=1
	s_or_b32 exec_lo, exec_lo, s20
	s_waitcnt vmcnt(0)
	ds_store_b16 v20, v3
	ds_store_b16 v20, v2 offset:64
	ds_store_b16 v21, v5 offset:128
	;; [unrolled: 1-line block ×7, first 2 shown]
	; wave barrier
	ds_load_b128 v[0:3], v27
	s_waitcnt lgkmcnt(0)
	s_barrier
	buffer_gl0_inv
	v_and_b32_e32 v4, 0xffff0000, v0
	v_and_b32_e32 v5, 0xffff0000, v1
	v_lshlrev_b32_e32 v1, 16, v1
	s_delay_alu instid0(VALU_DEP_1) | instskip(NEXT) | instid1(VALU_DEP_1)
	v_dual_mul_f32 v9, 0xbfb8aa3b, v1 :: v_dual_lshlrev_b32 v0, 16, v0
	v_mul_f32_e32 v7, 0xbfb8aa3b, v0
	s_delay_alu instid0(VALU_DEP_2) | instskip(NEXT) | instid1(VALU_DEP_2)
	v_rndne_f32_e32 v67, v9
	v_rndne_f32_e32 v55, v7
	v_fma_f32 v58, 0xbfb8aa3b, v0, -v7
	s_delay_alu instid0(VALU_DEP_2) | instskip(SKIP_3) | instid1(VALU_DEP_4)
	v_dual_sub_f32 v7, v7, v55 :: v_dual_mul_f32 v6, 0xbfb8aa3b, v4
	v_fma_f32 v68, 0xbfb8aa3b, v1, -v9
	v_cvt_i32_f32_e32 v55, v55
	v_cmp_nlt_f32_e32 vcc_lo, 0x42ce8ed0, v4
	v_rndne_f32_e32 v54, v6
	v_fma_f32 v53, 0xbfb8aa3b, v4, -v6
	s_delay_alu instid0(VALU_DEP_2) | instskip(SKIP_2) | instid1(VALU_DEP_2)
	v_sub_f32_e32 v6, v6, v54
	v_mul_f32_e32 v8, 0xbfb8aa3b, v5
	v_cvt_i32_f32_e32 v54, v54
	v_rndne_f32_e32 v66, v8
	v_fmac_f32_e32 v53, 0xb2a5705f, v4
	v_fma_f32 v65, 0xbfb8aa3b, v5, -v8
	v_fmac_f32_e32 v58, 0xb2a5705f, v0
	s_delay_alu instid0(VALU_DEP_4) | instskip(NEXT) | instid1(VALU_DEP_4)
	v_dual_sub_f32 v8, v8, v66 :: v_dual_sub_f32 v9, v9, v67
	v_add_f32_e32 v6, v6, v53
	s_delay_alu instid0(VALU_DEP_4) | instskip(NEXT) | instid1(VALU_DEP_4)
	v_fmac_f32_e32 v65, 0xb2a5705f, v5
	v_dual_fmac_f32 v68, 0xb2a5705f, v1 :: v_dual_add_f32 v7, v7, v58
	v_cvt_i32_f32_e32 v58, v66
	s_delay_alu instid0(VALU_DEP_4) | instskip(NEXT) | instid1(VALU_DEP_2)
	v_exp_f32_e32 v6, v6
	v_dual_add_f32 v8, v8, v65 :: v_dual_add_f32 v9, v9, v68
	s_delay_alu instid0(VALU_DEP_3) | instskip(NEXT) | instid1(VALU_DEP_1)
	v_exp_f32_e32 v7, v7
	v_exp_f32_e32 v8, v8
	s_delay_alu instid0(VALU_DEP_1) | instskip(SKIP_2) | instid1(TRANS32_DEP_3)
	v_exp_f32_e32 v9, v9
	v_ldexp_f32 v6, v6, v54
	v_cvt_i32_f32_e32 v54, v67
	v_ldexp_f32 v7, v7, v55
	s_delay_alu instid0(VALU_DEP_3) | instskip(SKIP_1) | instid1(TRANS32_DEP_2)
	v_cndmask_b32_e32 v6, 0, v6, vcc_lo
	v_cmp_nlt_f32_e32 vcc_lo, 0x42ce8ed0, v0
	v_ldexp_f32 v8, v8, v58
	s_delay_alu instid0(TRANS32_DEP_1) | instskip(SKIP_4) | instid1(VALU_DEP_4)
	v_ldexp_f32 v9, v9, v54
	v_cndmask_b32_e32 v7, 0, v7, vcc_lo
	v_cmp_ngt_f32_e32 vcc_lo, 0xc2b17218, v4
	v_cndmask_b32_e32 v6, 0x7f800000, v6, vcc_lo
	v_cmp_ngt_f32_e32 vcc_lo, 0xc2b17218, v0
	v_cndmask_b32_e32 v7, 0x7f800000, v7, vcc_lo
	v_cmp_nlt_f32_e32 vcc_lo, 0x42ce8ed0, v5
	v_and_b32_e32 v53, 0xffff0000, v2
	s_delay_alu instid0(VALU_DEP_3) | instskip(SKIP_3) | instid1(VALU_DEP_4)
	v_dual_add_f32 v7, 1.0, v7 :: v_dual_cndmask_b32 v8, 0, v8
	v_add_f32_e32 v6, 1.0, v6
	v_cmp_nlt_f32_e32 vcc_lo, 0x42ce8ed0, v1
	v_lshlrev_b32_e32 v2, 16, v2
	v_div_scale_f32 v55, null, v7, v7, v0
	s_delay_alu instid0(VALU_DEP_4) | instskip(SKIP_2) | instid1(VALU_DEP_4)
	v_div_scale_f32 v54, null, v6, v6, v4
	v_cndmask_b32_e32 v9, 0, v9, vcc_lo
	v_cmp_ngt_f32_e32 vcc_lo, 0xc2b17218, v5
	v_rcp_f32_e32 v66, v55
	s_delay_alu instid0(VALU_DEP_3)
	v_rcp_f32_e32 v65, v54
	v_div_scale_f32 v72, s20, v0, v7, v0
	v_cndmask_b32_e32 v8, 0x7f800000, v8, vcc_lo
	v_cmp_ngt_f32_e32 vcc_lo, 0xc2b17218, v1
	v_cndmask_b32_e32 v9, 0x7f800000, v9, vcc_lo
	s_waitcnt_depctr 0xfff
	v_fma_f32 v70, -v54, v65, 1.0
	v_fma_f32 v71, -v55, v66, 1.0
	v_div_scale_f32 v67, vcc_lo, v4, v6, v4
	v_dual_add_f32 v9, 1.0, v9 :: v_dual_add_f32 v8, 1.0, v8
	s_delay_alu instid0(VALU_DEP_3) | instskip(SKIP_1) | instid1(VALU_DEP_3)
	v_dual_fmac_f32 v65, v70, v65 :: v_dual_fmac_f32 v66, v71, v66
	v_mul_f32_e32 v58, 0xbfb8aa3b, v53
	v_div_scale_f32 v69, null, v9, v9, v1
	s_delay_alu instid0(VALU_DEP_4) | instskip(NEXT) | instid1(VALU_DEP_4)
	v_div_scale_f32 v68, null, v8, v8, v5
	v_mul_f32_e32 v77, v72, v66
	s_delay_alu instid0(VALU_DEP_3) | instskip(SKIP_1) | instid1(VALU_DEP_3)
	v_rcp_f32_e32 v74, v69
	v_fma_f32 v71, 0xbfb8aa3b, v53, -v58
	v_rcp_f32_e32 v73, v68
	v_div_scale_f32 v78, s21, v5, v8, v5
	v_fma_f32 v82, -v55, v77, v72
	v_mul_f32_e32 v76, v67, v65
	v_div_scale_f32 v83, s22, v1, v9, v1
	v_fmac_f32_e32 v71, 0xb2a5705f, v53
	s_delay_alu instid0(VALU_DEP_4) | instskip(NEXT) | instid1(VALU_DEP_4)
	v_fmac_f32_e32 v77, v82, v66
	v_fma_f32 v81, -v54, v76, v67
	s_delay_alu instid0(TRANS32_DEP_1)
	v_fma_f32 v79, -v68, v73, 1.0
	v_mul_f32_e32 v70, 0xbfb8aa3b, v2
	v_fma_f32 v80, -v69, v74, 1.0
	v_fma_f32 v55, -v55, v77, v72
	v_fmac_f32_e32 v76, v81, v65
	v_fmac_f32_e32 v73, v79, v73
	v_rndne_f32_e32 v75, v58
	v_fmac_f32_e32 v74, v80, v74
	s_delay_alu instid0(VALU_DEP_4) | instskip(NEXT) | instid1(VALU_DEP_4)
	v_fma_f32 v54, -v54, v76, v67
	v_mul_f32_e32 v79, v78, v73
	v_rndne_f32_e32 v67, v70
	s_delay_alu instid0(VALU_DEP_4) | instskip(NEXT) | instid1(VALU_DEP_4)
	v_mul_f32_e32 v80, v83, v74
	v_div_fmas_f32 v54, v54, v65, v76
	s_mov_b32 vcc_lo, s20
	v_fma_f32 v65, 0xbfb8aa3b, v2, -v70
	v_div_fmas_f32 v55, v55, v66, v77
	s_mov_b32 vcc_lo, s21
	v_div_fixup_f32 v4, v54, v6, v4
	v_fma_f32 v54, -v68, v79, v78
	v_and_b32_e32 v72, 0xffff0000, v3
	v_div_fixup_f32 v0, v55, v7, v0
	v_fma_f32 v66, -v69, v80, v83
	v_lshlrev_b32_e32 v3, 16, v3
	s_delay_alu instid0(VALU_DEP_4) | instskip(NEXT) | instid1(VALU_DEP_4)
	v_dual_fmac_f32 v79, v54, v73 :: v_dual_mul_f32 v76, 0xbfb8aa3b, v72
	v_mul_f32_e32 v0, v63, v0
	v_mul_f32_e32 v4, v64, v4
	v_sub_f32_e32 v58, v58, v75
	s_delay_alu instid0(VALU_DEP_4) | instskip(SKIP_2) | instid1(VALU_DEP_4)
	v_fma_f32 v55, -v68, v79, v78
	v_fmac_f32_e32 v65, 0xb2a5705f, v2
	v_bfe_u32 v63, v0, 16, 1
	v_add_f32_e32 v54, v58, v71
	s_delay_alu instid0(VALU_DEP_4) | instskip(SKIP_1) | instid1(VALU_DEP_3)
	v_div_fmas_f32 v55, v55, v73, v79
	s_mov_b32 vcc_lo, s22
	v_add3_u32 v63, v0, v63, 0x7fff
	s_delay_alu instid0(VALU_DEP_2) | instskip(SKIP_1) | instid1(VALU_DEP_3)
	v_div_fixup_f32 v5, v55, v8, v5
	v_rndne_f32_e32 v55, v76
	v_lshrrev_b32_e32 v8, 16, v63
	v_mul_f32_e32 v63, 0xbfb8aa3b, v3
	v_bfe_u32 v7, v4, 16, 1
	s_delay_alu instid0(VALU_DEP_4) | instskip(SKIP_1) | instid1(VALU_DEP_4)
	v_dual_mul_f32 v5, v62, v5 :: v_dual_sub_f32 v64, v76, v55
	v_fmac_f32_e32 v80, v66, v74
	v_fma_f32 v68, 0xbfb8aa3b, v3, -v63
	s_delay_alu instid0(VALU_DEP_4)
	v_add3_u32 v7, v4, v7, 0x7fff
	v_cvt_i32_f32_e32 v66, v67
	v_cvt_i32_f32_e32 v55, v55
	v_fma_f32 v58, -v69, v80, v83
	v_fmac_f32_e32 v68, 0xb2a5705f, v3
	v_lshrrev_b32_e32 v7, 16, v7
	v_sub_f32_e32 v6, v70, v67
	v_rndne_f32_e32 v67, v63
	v_div_fmas_f32 v58, v58, v74, v80
	v_cmp_o_f32_e32 vcc_lo, v4, v4
	v_bfe_u32 v73, v5, 16, 1
	s_delay_alu instid0(VALU_DEP_3)
	v_div_fixup_f32 v1, v58, v9, v1
	v_cndmask_b32_e32 v4, 0x7fc0, v7, vcc_lo
	v_fma_f32 v7, 0xbfb8aa3b, v72, -v76
	v_cmp_nlt_f32_e32 vcc_lo, 0x42ce8ed0, v53
	v_sub_f32_e32 v63, v63, v67
	v_mul_f32_e32 v1, v61, v1
	v_exp_f32_e32 v54, v54
	v_fmac_f32_e32 v7, 0xb2a5705f, v72
	v_add3_u32 v73, v5, v73, 0x7fff
	v_dual_add_f32 v63, v63, v68 :: v_dual_add_f32 v6, v6, v65
	v_cvt_i32_f32_e32 v65, v75
	s_delay_alu instid0(VALU_DEP_4) | instskip(SKIP_1) | instid1(VALU_DEP_4)
	v_add_f32_e32 v7, v64, v7
	v_bfe_u32 v77, v1, 16, 1
	v_exp_f32_e32 v63, v63
	v_exp_f32_e32 v6, v6
	s_delay_alu instid0(TRANS32_DEP_3) | instskip(SKIP_1) | instid1(VALU_DEP_1)
	v_ldexp_f32 v54, v54, v65
	v_exp_f32_e32 v7, v7
	v_cndmask_b32_e32 v54, 0, v54, vcc_lo
	v_cmp_nlt_f32_e32 vcc_lo, 0x42ce8ed0, v2
	s_waitcnt_depctr 0xfff
	v_ldexp_f32 v6, v6, v66
	v_ldexp_f32 v7, v7, v55
	v_cvt_i32_f32_e32 v55, v67
	s_delay_alu instid0(VALU_DEP_1) | instskip(NEXT) | instid1(VALU_DEP_4)
	v_ldexp_f32 v55, v63, v55
	v_cndmask_b32_e32 v6, 0, v6, vcc_lo
	v_cmp_ngt_f32_e32 vcc_lo, 0xc2b17218, v53
	v_cndmask_b32_e32 v54, 0x7f800000, v54, vcc_lo
	v_cmp_ngt_f32_e32 vcc_lo, 0xc2b17218, v2
	s_delay_alu instid0(VALU_DEP_4) | instskip(SKIP_3) | instid1(VALU_DEP_2)
	v_cndmask_b32_e32 v6, 0x7f800000, v6, vcc_lo
	v_cmp_nlt_f32_e32 vcc_lo, 0x42ce8ed0, v72
	v_cndmask_b32_e32 v7, 0, v7, vcc_lo
	v_cmp_ngt_f32_e32 vcc_lo, 0xc2b17218, v72
	v_cndmask_b32_e32 v7, 0x7f800000, v7, vcc_lo
	v_cmp_nlt_f32_e32 vcc_lo, 0x42ce8ed0, v3
	s_delay_alu instid0(VALU_DEP_2) | instskip(SKIP_3) | instid1(VALU_DEP_4)
	v_add_f32_e32 v7, 1.0, v7
	v_cndmask_b32_e32 v55, 0, v55, vcc_lo
	v_cmp_ngt_f32_e32 vcc_lo, 0xc2b17218, v3
	v_add_f32_e32 v54, 1.0, v54
	v_div_scale_f32 v66, null, v7, v7, v72
	s_delay_alu instid0(VALU_DEP_4) | instskip(NEXT) | instid1(VALU_DEP_3)
	v_cndmask_b32_e32 v55, 0x7f800000, v55, vcc_lo
	v_div_scale_f32 v64, null, v54, v54, v53
	s_delay_alu instid0(VALU_DEP_3) | instskip(NEXT) | instid1(VALU_DEP_2)
	v_rcp_f32_e32 v67, v66
	v_add_f32_e32 v55, 1.0, v55
	s_delay_alu instid0(VALU_DEP_2) | instskip(NEXT) | instid1(VALU_DEP_1)
	v_rcp_f32_e32 v63, v64
	v_div_scale_f32 v62, null, v55, v55, v3
	s_waitcnt_depctr 0xfff
	v_fma_f32 v61, -v66, v67, 1.0
	v_rcp_f32_e32 v69, v62
	v_fma_f32 v58, -v64, v63, 1.0
	s_delay_alu instid0(VALU_DEP_1) | instskip(NEXT) | instid1(VALU_DEP_1)
	v_dual_add_f32 v6, 1.0, v6 :: v_dual_fmac_f32 v63, v58, v63
	v_div_scale_f32 v65, null, v6, v6, v2
	v_div_scale_f32 v58, vcc_lo, v53, v54, v53
	s_waitcnt_depctr 0xfff
	v_fma_f32 v71, -v62, v69, 1.0
	v_rcp_f32_e32 v9, v65
	s_delay_alu instid0(VALU_DEP_1) | instskip(SKIP_4) | instid1(VALU_DEP_2)
	v_fmac_f32_e32 v69, v71, v69
	v_div_scale_f32 v71, s22, v3, v55, v3
	s_waitcnt_depctr 0xfff
	v_fma_f32 v68, -v65, v9, 1.0
	v_dual_mul_f32 v70, v58, v63 :: v_dual_mul_f32 v79, v71, v69
	v_fmac_f32_e32 v9, v68, v9
	v_div_scale_f32 v68, s20, v2, v6, v2
	s_delay_alu instid0(VALU_DEP_3) | instskip(NEXT) | instid1(VALU_DEP_1)
	v_fma_f32 v74, -v64, v70, v58
	v_dual_mul_f32 v75, v68, v9 :: v_dual_fmac_f32 v70, v74, v63
	s_delay_alu instid0(VALU_DEP_1) | instskip(NEXT) | instid1(VALU_DEP_2)
	v_fma_f32 v74, -v65, v75, v68
	v_fma_f32 v58, -v64, v70, v58
	;; [unrolled: 1-line block ×3, first 2 shown]
	s_delay_alu instid0(VALU_DEP_3) | instskip(NEXT) | instid1(VALU_DEP_2)
	v_fmac_f32_e32 v75, v74, v9
	v_fmac_f32_e32 v79, v64, v69
	s_delay_alu instid0(VALU_DEP_4) | instskip(NEXT) | instid1(VALU_DEP_3)
	v_div_fmas_f32 v58, v58, v63, v70
	v_fma_f32 v63, -v65, v75, v68
	s_mov_b32 vcc_lo, s20
	s_delay_alu instid0(VALU_DEP_3) | instskip(NEXT) | instid1(VALU_DEP_3)
	v_fma_f32 v62, -v62, v79, v71
	v_div_fixup_f32 v53, v58, v54, v53
	s_delay_alu instid0(VALU_DEP_3) | instskip(SKIP_1) | instid1(VALU_DEP_2)
	v_div_fmas_f32 v9, v63, v9, v75
	v_add3_u32 v63, v1, v77, 0x7fff
	v_div_fixup_f32 v2, v9, v6, v2
	v_fmac_f32_e32 v67, v61, v67
	v_div_scale_f32 v61, s21, v72, v7, v72
	s_delay_alu instid0(VALU_DEP_3) | instskip(SKIP_1) | instid1(VALU_DEP_2)
	v_dual_mul_f32 v9, v57, v53 :: v_dual_mul_f32 v2, v59, v2
	s_mov_b32 vcc_lo, s21
	v_mul_f32_e32 v76, v61, v67
	v_lshrrev_b32_e32 v53, 16, v63
	s_delay_alu instid0(VALU_DEP_3) | instskip(NEXT) | instid1(VALU_DEP_3)
	v_bfe_u32 v54, v9, 16, 1
	v_fma_f32 v78, -v66, v76, v61
	s_delay_alu instid0(VALU_DEP_1) | instskip(NEXT) | instid1(VALU_DEP_1)
	v_fmac_f32_e32 v76, v78, v67
	v_fma_f32 v61, -v66, v76, v61
	s_delay_alu instid0(VALU_DEP_1) | instskip(SKIP_3) | instid1(VALU_DEP_3)
	v_div_fmas_f32 v61, v61, v67, v76
	s_mov_b32 vcc_lo, s22
	v_div_fmas_f32 v62, v62, v69, v79
	v_cmp_o_f32_e32 vcc_lo, v5, v5
	v_div_fixup_f32 v6, v61, v7, v72
	v_lshrrev_b32_e32 v7, 16, v73
	s_delay_alu instid0(VALU_DEP_4) | instskip(SKIP_1) | instid1(VALU_DEP_3)
	v_div_fixup_f32 v3, v62, v55, v3
	v_bfe_u32 v55, v2, 16, 1
	v_dual_mul_f32 v6, v60, v6 :: v_dual_cndmask_b32 v5, 0x7fc0, v7
	v_add3_u32 v7, v9, v54, 0x7fff
	v_cmp_o_f32_e32 vcc_lo, v1, v1
	s_delay_alu instid0(VALU_DEP_4) | instskip(NEXT) | instid1(VALU_DEP_3)
	v_add3_u32 v54, v2, v55, 0x7fff
	v_lshrrev_b32_e32 v7, 16, v7
	v_cndmask_b32_e32 v1, 0x7fc0, v53, vcc_lo
	v_cmp_o_f32_e32 vcc_lo, v9, v9
	s_delay_alu instid0(VALU_DEP_4) | instskip(NEXT) | instid1(VALU_DEP_3)
	v_lshrrev_b32_e32 v53, 16, v54
	v_perm_b32 v1, v5, v1, 0x5040100
	v_cndmask_b32_e32 v7, 0x7fc0, v7, vcc_lo
	v_cmp_o_f32_e32 vcc_lo, v6, v6
	v_mul_f32_e32 v3, v56, v3
	v_bfe_u32 v56, v6, 16, 1
	s_delay_alu instid0(VALU_DEP_1) | instskip(NEXT) | instid1(VALU_DEP_1)
	v_add3_u32 v55, v6, v56, 0x7fff
	v_lshrrev_b32_e32 v54, 16, v55
	s_delay_alu instid0(VALU_DEP_1) | instskip(SKIP_2) | instid1(VALU_DEP_2)
	v_cndmask_b32_e32 v6, 0x7fc0, v54, vcc_lo
	v_bfe_u32 v57, v3, 16, 1
	v_cmp_o_f32_e32 vcc_lo, v3, v3
	v_add3_u32 v56, v3, v57, 0x7fff
	s_delay_alu instid0(VALU_DEP_1) | instskip(NEXT) | instid1(VALU_DEP_1)
	v_lshrrev_b32_e32 v55, 16, v56
	v_cndmask_b32_e32 v3, 0x7fc0, v55, vcc_lo
	v_cmp_o_f32_e32 vcc_lo, v2, v2
	s_delay_alu instid0(VALU_DEP_2) | instskip(SKIP_2) | instid1(VALU_DEP_2)
	v_perm_b32 v3, v6, v3, 0x5040100
	v_cndmask_b32_e32 v2, 0x7fc0, v53, vcc_lo
	v_cmp_o_f32_e32 vcc_lo, v0, v0
	v_perm_b32 v2, v7, v2, 0x5040100
	v_cndmask_b32_e32 v0, 0x7fc0, v8, vcc_lo
	s_delay_alu instid0(VALU_DEP_1)
	v_perm_b32 v0, v4, v0, 0x5040100
	ds_store_b128 v27, v[0:3]
	; wave barrier
	ds_load_u16 v8, v20 offset:64
	ds_load_u16 v7, v21 offset:128
	;; [unrolled: 1-line block ×7, first 2 shown]
	v_add_co_u32 v0, vcc_lo, v42, s24
	v_add_co_ci_u32_e32 v1, vcc_lo, s25, v43, vcc_lo
	s_and_saveexec_b32 s20, s12
	s_cbranch_execnz .LBB13_164
; %bb.148:                              ;   in Loop: Header=BB13_12 Depth=1
	s_or_b32 exec_lo, exec_lo, s20
	s_and_saveexec_b32 s12, s13
	s_cbranch_execnz .LBB13_165
.LBB13_149:                             ;   in Loop: Header=BB13_12 Depth=1
	s_or_b32 exec_lo, exec_lo, s12
	s_and_saveexec_b32 s12, s14
	s_cbranch_execnz .LBB13_166
.LBB13_150:                             ;   in Loop: Header=BB13_12 Depth=1
	s_or_b32 exec_lo, exec_lo, s12
	s_and_saveexec_b32 s12, s15
	s_cbranch_execnz .LBB13_167
.LBB13_151:                             ;   in Loop: Header=BB13_12 Depth=1
	s_or_b32 exec_lo, exec_lo, s12
	s_and_saveexec_b32 s12, s16
	s_cbranch_execnz .LBB13_168
.LBB13_152:                             ;   in Loop: Header=BB13_12 Depth=1
	s_or_b32 exec_lo, exec_lo, s12
	s_and_saveexec_b32 s12, s17
	s_cbranch_execnz .LBB13_169
.LBB13_153:                             ;   in Loop: Header=BB13_12 Depth=1
	s_or_b32 exec_lo, exec_lo, s12
	s_and_saveexec_b32 s12, s18
	s_cbranch_execnz .LBB13_170
.LBB13_154:                             ;   in Loop: Header=BB13_12 Depth=1
	s_or_b32 exec_lo, exec_lo, s12
	s_and_saveexec_b32 s12, s19
	s_cbranch_execz .LBB13_11
	s_branch .LBB13_171
.LBB13_155:                             ;   in Loop: Header=BB13_12 Depth=1
	global_load_u16 v55, v[4:5], off offset:320
	s_or_b32 exec_lo, exec_lo, s20
	s_and_saveexec_b32 s20, s18
	s_cbranch_execz .LBB13_40
.LBB13_156:                             ;   in Loop: Header=BB13_12 Depth=1
	global_load_u16 v54, v[4:5], off offset:384
	s_or_b32 exec_lo, exec_lo, s20
	v_mov_b32_e32 v56, 0
	s_and_saveexec_b32 s20, s19
	s_cbranch_execnz .LBB13_41
	s_branch .LBB13_42
.LBB13_157:                             ;   in Loop: Header=BB13_12 Depth=1
	ds_load_u16 v9, v20
	s_waitcnt lgkmcnt(0)
	global_store_b16 v[0:1], v9, off
	s_or_b32 exec_lo, exec_lo, s20
	s_and_saveexec_b32 s20, s13
	s_cbranch_execz .LBB13_124
.LBB13_158:                             ;   in Loop: Header=BB13_12 Depth=1
	s_waitcnt lgkmcnt(6)
	global_store_b16 v[0:1], v8, off offset:64
	s_or_b32 exec_lo, exec_lo, s20
	s_and_saveexec_b32 s20, s14
	s_cbranch_execz .LBB13_125
.LBB13_159:                             ;   in Loop: Header=BB13_12 Depth=1
	s_waitcnt lgkmcnt(5)
	global_store_b16 v[0:1], v7, off offset:128
	s_or_b32 exec_lo, exec_lo, s20
	s_and_saveexec_b32 s20, s15
	s_cbranch_execz .LBB13_126
.LBB13_160:                             ;   in Loop: Header=BB13_12 Depth=1
	s_waitcnt lgkmcnt(4)
	global_store_b16 v[0:1], v6, off offset:192
	s_or_b32 exec_lo, exec_lo, s20
	s_and_saveexec_b32 s20, s16
	s_cbranch_execz .LBB13_127
.LBB13_161:                             ;   in Loop: Header=BB13_12 Depth=1
	s_waitcnt lgkmcnt(3)
	global_store_b16 v[0:1], v5, off offset:256
	s_or_b32 exec_lo, exec_lo, s20
	s_and_saveexec_b32 s20, s17
	s_cbranch_execz .LBB13_128
.LBB13_162:                             ;   in Loop: Header=BB13_12 Depth=1
	s_waitcnt lgkmcnt(2)
	global_store_b16 v[0:1], v4, off offset:320
	s_or_b32 exec_lo, exec_lo, s20
	s_and_saveexec_b32 s20, s18
	s_cbranch_execz .LBB13_129
.LBB13_163:                             ;   in Loop: Header=BB13_12 Depth=1
	s_waitcnt lgkmcnt(1)
	global_store_b16 v[0:1], v3, off offset:384
	s_or_b32 exec_lo, exec_lo, s20
	s_and_saveexec_b32 s20, s19
	s_cbranch_execnz .LBB13_130
	s_branch .LBB13_131
.LBB13_164:                             ;   in Loop: Header=BB13_12 Depth=1
	ds_load_u16 v9, v20
	s_waitcnt lgkmcnt(0)
	global_store_b16 v[0:1], v9, off
	s_or_b32 exec_lo, exec_lo, s20
	s_and_saveexec_b32 s12, s13
	s_cbranch_execz .LBB13_149
.LBB13_165:                             ;   in Loop: Header=BB13_12 Depth=1
	s_waitcnt lgkmcnt(6)
	global_store_b16 v[0:1], v8, off offset:64
	s_or_b32 exec_lo, exec_lo, s12
	s_and_saveexec_b32 s12, s14
	s_cbranch_execz .LBB13_150
.LBB13_166:                             ;   in Loop: Header=BB13_12 Depth=1
	s_waitcnt lgkmcnt(5)
	global_store_b16 v[0:1], v7, off offset:128
	s_or_b32 exec_lo, exec_lo, s12
	s_and_saveexec_b32 s12, s15
	s_cbranch_execz .LBB13_151
.LBB13_167:                             ;   in Loop: Header=BB13_12 Depth=1
	s_waitcnt lgkmcnt(4)
	global_store_b16 v[0:1], v6, off offset:192
	s_or_b32 exec_lo, exec_lo, s12
	s_and_saveexec_b32 s12, s16
	s_cbranch_execz .LBB13_152
.LBB13_168:                             ;   in Loop: Header=BB13_12 Depth=1
	s_waitcnt lgkmcnt(3)
	global_store_b16 v[0:1], v5, off offset:256
	s_or_b32 exec_lo, exec_lo, s12
	s_and_saveexec_b32 s12, s17
	s_cbranch_execz .LBB13_153
.LBB13_169:                             ;   in Loop: Header=BB13_12 Depth=1
	s_waitcnt lgkmcnt(2)
	global_store_b16 v[0:1], v4, off offset:320
	s_or_b32 exec_lo, exec_lo, s12
	s_and_saveexec_b32 s12, s18
	s_cbranch_execz .LBB13_154
.LBB13_170:                             ;   in Loop: Header=BB13_12 Depth=1
	s_waitcnt lgkmcnt(1)
	global_store_b16 v[0:1], v3, off offset:384
	s_or_b32 exec_lo, exec_lo, s12
	s_and_saveexec_b32 s12, s19
	s_cbranch_execz .LBB13_11
.LBB13_171:                             ;   in Loop: Header=BB13_12 Depth=1
	s_waitcnt lgkmcnt(0)
	global_store_b16 v[0:1], v2, off offset:448
	s_branch .LBB13_11
.LBB13_172:
	s_nop 0
	s_sendmsg sendmsg(MSG_DEALLOC_VGPRS)
	s_endpgm
	.section	.rodata,"a",@progbits
	.p2align	6, 0x0
	.amdhsa_kernel _Z25selective_scan_fwd_kernelI32Selective_Scan_fwd_kernel_traitsILi64ELi8ELi1ELb0ELb1ELb1ELb1ELb0EN3c108BFloat16EfS2_EEv13SSMParamsBase
		.amdhsa_group_segment_fixed_size 0
		.amdhsa_private_segment_fixed_size 0
		.amdhsa_kernarg_size 248
		.amdhsa_user_sgpr_count 14
		.amdhsa_user_sgpr_dispatch_ptr 0
		.amdhsa_user_sgpr_queue_ptr 0
		.amdhsa_user_sgpr_kernarg_segment_ptr 1
		.amdhsa_user_sgpr_dispatch_id 0
		.amdhsa_user_sgpr_private_segment_size 0
		.amdhsa_wavefront_size32 1
		.amdhsa_uses_dynamic_stack 0
		.amdhsa_enable_private_segment 0
		.amdhsa_system_sgpr_workgroup_id_x 1
		.amdhsa_system_sgpr_workgroup_id_y 1
		.amdhsa_system_sgpr_workgroup_id_z 0
		.amdhsa_system_sgpr_workgroup_info 0
		.amdhsa_system_vgpr_workitem_id 0
		.amdhsa_next_free_vgpr 99
		.amdhsa_next_free_sgpr 76
		.amdhsa_reserve_vcc 1
		.amdhsa_float_round_mode_32 0
		.amdhsa_float_round_mode_16_64 0
		.amdhsa_float_denorm_mode_32 3
		.amdhsa_float_denorm_mode_16_64 3
		.amdhsa_dx10_clamp 1
		.amdhsa_ieee_mode 1
		.amdhsa_fp16_overflow 0
		.amdhsa_workgroup_processor_mode 1
		.amdhsa_memory_ordered 1
		.amdhsa_forward_progress 0
		.amdhsa_shared_vgpr_count 0
		.amdhsa_exception_fp_ieee_invalid_op 0
		.amdhsa_exception_fp_denorm_src 0
		.amdhsa_exception_fp_ieee_div_zero 0
		.amdhsa_exception_fp_ieee_overflow 0
		.amdhsa_exception_fp_ieee_underflow 0
		.amdhsa_exception_fp_ieee_inexact 0
		.amdhsa_exception_int_div_zero 0
	.end_amdhsa_kernel
	.section	.text._Z25selective_scan_fwd_kernelI32Selective_Scan_fwd_kernel_traitsILi64ELi8ELi1ELb0ELb1ELb1ELb1ELb0EN3c108BFloat16EfS2_EEv13SSMParamsBase,"axG",@progbits,_Z25selective_scan_fwd_kernelI32Selective_Scan_fwd_kernel_traitsILi64ELi8ELi1ELb0ELb1ELb1ELb1ELb0EN3c108BFloat16EfS2_EEv13SSMParamsBase,comdat
.Lfunc_end13:
	.size	_Z25selective_scan_fwd_kernelI32Selective_Scan_fwd_kernel_traitsILi64ELi8ELi1ELb0ELb1ELb1ELb1ELb0EN3c108BFloat16EfS2_EEv13SSMParamsBase, .Lfunc_end13-_Z25selective_scan_fwd_kernelI32Selective_Scan_fwd_kernel_traitsILi64ELi8ELi1ELb0ELb1ELb1ELb1ELb0EN3c108BFloat16EfS2_EEv13SSMParamsBase
                                        ; -- End function
	.section	.AMDGPU.csdata,"",@progbits
; Kernel info:
; codeLenInByte = 14600
; NumSgprs: 78
; NumVgprs: 99
; ScratchSize: 0
; MemoryBound: 0
; FloatMode: 240
; IeeeMode: 1
; LDSByteSize: 0 bytes/workgroup (compile time only)
; SGPRBlocks: 9
; VGPRBlocks: 12
; NumSGPRsForWavesPerEU: 78
; NumVGPRsForWavesPerEU: 99
; Occupancy: 12
; WaveLimiterHint : 0
; COMPUTE_PGM_RSRC2:SCRATCH_EN: 0
; COMPUTE_PGM_RSRC2:USER_SGPR: 14
; COMPUTE_PGM_RSRC2:TRAP_HANDLER: 0
; COMPUTE_PGM_RSRC2:TGID_X_EN: 1
; COMPUTE_PGM_RSRC2:TGID_Y_EN: 1
; COMPUTE_PGM_RSRC2:TGID_Z_EN: 0
; COMPUTE_PGM_RSRC2:TIDIG_COMP_CNT: 0
	.section	.text._Z25selective_scan_fwd_kernelI32Selective_Scan_fwd_kernel_traitsILi64ELi8ELi1ELb0ELb1ELb1ELb0ELb1EN3c108BFloat16EfS2_EEv13SSMParamsBase,"axG",@progbits,_Z25selective_scan_fwd_kernelI32Selective_Scan_fwd_kernel_traitsILi64ELi8ELi1ELb0ELb1ELb1ELb0ELb1EN3c108BFloat16EfS2_EEv13SSMParamsBase,comdat
	.protected	_Z25selective_scan_fwd_kernelI32Selective_Scan_fwd_kernel_traitsILi64ELi8ELi1ELb0ELb1ELb1ELb0ELb1EN3c108BFloat16EfS2_EEv13SSMParamsBase ; -- Begin function _Z25selective_scan_fwd_kernelI32Selective_Scan_fwd_kernel_traitsILi64ELi8ELi1ELb0ELb1ELb1ELb0ELb1EN3c108BFloat16EfS2_EEv13SSMParamsBase
	.globl	_Z25selective_scan_fwd_kernelI32Selective_Scan_fwd_kernel_traitsILi64ELi8ELi1ELb0ELb1ELb1ELb0ELb1EN3c108BFloat16EfS2_EEv13SSMParamsBase
	.p2align	8
	.type	_Z25selective_scan_fwd_kernelI32Selective_Scan_fwd_kernel_traitsILi64ELi8ELi1ELb0ELb1ELb1ELb0ELb1EN3c108BFloat16EfS2_EEv13SSMParamsBase,@function
_Z25selective_scan_fwd_kernelI32Selective_Scan_fwd_kernel_traitsILi64ELi8ELi1ELb0ELb1ELb1ELb0ELb1EN3c108BFloat16EfS2_EEv13SSMParamsBase: ; @_Z25selective_scan_fwd_kernelI32Selective_Scan_fwd_kernel_traitsILi64ELi8ELi1ELb0ELb1ELb1ELb0ELb1EN3c108BFloat16EfS2_EEv13SSMParamsBase
; %bb.0:
	s_clause 0x2
	s_load_b32 s35, s[0:1], 0x18
	s_load_b128 s[4:7], s[0:1], 0xe0
	s_load_b64 s[10:11], s[0:1], 0xf0
	s_mov_b32 s12, s15
	s_ashr_i32 s15, s14, 31
	s_mov_b32 s33, 0
	s_lshl_b64 s[8:9], s[14:15], 2
	s_waitcnt lgkmcnt(0)
	s_abs_i32 s34, s35
	s_add_u32 s2, s4, s8
	v_cvt_f32_u32_e32 v1, s34
	s_addc_u32 s3, s5, s9
	s_cmp_eq_u64 s[10:11], 0
	s_delay_alu instid0(VALU_DEP_1) | instskip(SKIP_2) | instid1(VALU_DEP_1)
	v_rcp_iflag_f32_e32 v1, v1
	s_waitcnt_depctr 0xfff
	v_mul_f32_e32 v1, 0x4f7ffffe, v1
	v_cvt_u32_f32_e32 v1, v1
	s_delay_alu instid0(VALU_DEP_1)
	v_readfirstlane_b32 s36, v1
	s_cbranch_scc1 .LBB14_2
; %bb.1:
	v_mov_b32_e32 v1, 0
	s_add_u32 s4, s10, s14
	s_addc_u32 s5, s11, s15
	global_load_u8 v1, v1, s[4:5]
	s_waitcnt vmcnt(0)
	v_and_b32_e32 v1, 1, v1
	s_delay_alu instid0(VALU_DEP_1)
	v_cmp_eq_u32_e64 s33, 1, v1
.LBB14_2:
	s_load_b64 s[4:5], s[0:1], 0x20
	s_cmp_eq_u64 s[6:7], 0
	s_cbranch_scc1 .LBB14_4
; %bb.3:
	s_add_u32 s6, s6, s8
	s_addc_u32 s7, s7, s9
	s_load_b32 s14, s[6:7], 0x0
	s_waitcnt lgkmcnt(0)
	s_ashr_i32 s15, s14, 31
.LBB14_4:
	s_waitcnt lgkmcnt(0)
	s_cmp_eq_u64 s[4:5], s[14:15]
	s_cbranch_scc1 .LBB14_140
; %bb.5:
	s_load_b512 s[16:31], s[0:1], 0x88
	s_load_b64 s[10:11], s[2:3], 0x0
	s_mov_b32 s52, 0
	s_mov_b32 s53, 0
	s_waitcnt lgkmcnt(0)
	s_cmp_eq_u64 s[22:23], 0
	s_cbranch_scc1 .LBB14_7
; %bb.6:
	s_ashr_i32 s13, s12, 31
	s_delay_alu instid0(SALU_CYCLE_1) | instskip(NEXT) | instid1(SALU_CYCLE_1)
	s_lshl_b64 s[2:3], s[12:13], 2
	s_add_u32 s2, s22, s2
	s_addc_u32 s3, s23, s3
	s_load_b32 s53, s[2:3], 0x0
.LBB14_7:
	s_cmp_eq_u64 s[28:29], 0
	s_cbranch_scc1 .LBB14_9
; %bb.8:
	s_ashr_i32 s13, s12, 31
	s_delay_alu instid0(SALU_CYCLE_1) | instskip(NEXT) | instid1(SALU_CYCLE_1)
	s_lshl_b64 s[2:3], s[12:13], 2
	s_add_u32 s2, s28, s2
	s_addc_u32 s3, s29, s3
	s_load_b32 s52, s[2:3], 0x0
.LBB14_9:
	s_sub_i32 s54, s11, s10
	s_delay_alu instid0(SALU_CYCLE_1)
	s_cmp_lt_i32 s54, 1
	s_cbranch_scc1 .LBB14_140
; %bb.10:
	s_sub_i32 s2, 0, s34
	s_abs_i32 s5, s12
	s_mul_i32 s4, s2, s36
	s_clause 0x1
	s_load_b64 s[2:3], s[0:1], 0x5c
	s_load_b128 s[44:47], s[0:1], 0x4c
	s_mul_hi_u32 s4, s36, s4
	s_ashr_i32 s7, s35, 31
	s_add_i32 s36, s36, s4
	s_ashr_i32 s4, s12, 31
	s_mul_hi_u32 s6, s5, s36
	s_xor_b32 s7, s4, s7
	s_mul_i32 s8, s6, s34
	s_load_b256 s[36:43], s[0:1], 0x2c
	s_sub_i32 s4, s5, s8
	s_add_i32 s5, s6, 1
	s_sub_i32 s8, s4, s34
	s_cmp_ge_u32 s4, s34
	s_mov_b32 s35, 0
	s_cselect_b32 s5, s5, s6
	s_cselect_b32 s4, s8, s4
	s_add_i32 s6, s5, 1
	s_cmp_ge_u32 s4, s34
	s_load_b128 s[48:51], s[0:1], 0x7c
	s_cselect_b32 s4, s6, s5
	s_waitcnt lgkmcnt(0)
	s_mul_i32 s34, s10, s46
	s_xor_b32 s6, s4, s7
	s_lshl_b64 s[4:5], s[34:35], 1
	s_sub_i32 s6, s6, s7
	s_mul_i32 s34, s47, s12
	s_add_u32 s7, s24, s4
	s_addc_u32 s8, s25, s5
	s_lshl_b64 s[4:5], s[34:35], 1
	s_mul_i32 s34, s10, s2
	s_add_u32 s55, s7, s4
	s_addc_u32 s56, s8, s5
	s_lshl_b64 s[4:5], s[34:35], 1
	;; [unrolled: 4-line block ×4, first 2 shown]
	s_mul_i32 s34, s10, s38
	s_add_u32 s58, s16, s2
	s_addc_u32 s59, s17, s3
	s_load_b64 s[16:17], s[0:1], 0x6c
	s_lshl_b64 s[2:3], s[34:35], 1
	s_mul_i32 s34, s6, s41
	s_add_u32 s7, s18, s2
	s_addc_u32 s8, s19, s3
	s_lshl_b64 s[2:3], s[34:35], 1
	v_dual_mov_b32 v13, 0 :: v_dual_lshlrev_b32 v10, 3, v0
	s_mul_i32 s34, s10, s42
	s_load_b64 s[4:5], s[0:1], 0xc8
	s_add_u32 s41, s7, s2
	s_addc_u32 s51, s8, s3
	s_lshl_b64 s[2:3], s[34:35], 1
	s_mul_i32 s34, s6, s45
	s_add_u32 s7, s20, s2
	v_mbcnt_lo_u32_b32 v1, -1, 0
	v_and_b32_e32 v2, 0x100, v10
	s_addc_u32 s6, s21, s3
	s_lshl_b64 s[2:3], s[34:35], 1
	s_mul_i32 s34, s14, s48
	s_add_u32 s45, s7, s2
	s_addc_u32 s48, s6, s3
	s_lshl_b64 s[2:3], s[34:35], 1
	s_mul_i32 s34, s49, s12
	s_clause 0x1
	s_load_b32 s49, s[0:1], 0xc
	s_load_b32 s0, s[0:1], 0x28
	v_or_b32_e32 v11, v1, v2
	v_and_b32_e32 v6, 32, v0
	v_lshrrev_b32_e32 v4, 5, v2
	v_cmp_gt_u32_e64 s6, 2, v0
	s_waitcnt lgkmcnt(0)
	s_add_u32 s4, s4, s2
	v_or_b32_e32 v12, 0x60, v11
	v_or_b32_e32 v17, 0xa0, v11
	;; [unrolled: 1-line block ×3, first 2 shown]
	s_addc_u32 s5, s5, s3
	s_lshl_b64 s[2:3], s[34:35], 1
	v_lshrrev_b32_e32 v3, 5, v12
	s_add_u32 s60, s4, s2
	v_or_b32_e32 v15, 64, v11
	v_or_b32_e32 v16, 0x80, v11
	;; [unrolled: 1-line block ×3, first 2 shown]
	v_and_b32_e32 v3, 10, v3
	v_lshrrev_b32_e32 v7, 5, v17
	v_lshrrev_b32_e32 v24, 5, v19
	s_addc_u32 s61, s5, s3
	s_add_i32 s1, s54, 0x7ff
	v_lshrrev_b32_e32 v5, 5, v15
	s_lshr_b32 s62, s1, 11
	s_bitcmp1_b32 s0, 0
	v_add_lshl_u32 v3, v3, v11, 1
	v_lshrrev_b32_e32 v8, 5, v16
	v_or_b32_e32 v9, v1, v6
	v_and_b32_e32 v7, 12, v7
	v_lshrrev_b32_e32 v23, 5, v18
	v_and_b32_e32 v26, 14, v24
	s_cselect_b32 s63, -1, 0
	s_cmp_gt_i32 s49, 0
	v_add_lshl_u32 v4, v4, v11, 1
	s_cselect_b32 s64, -1, 0
	s_add_i32 s0, 0, 0x420
	v_add_lshl_u32 v5, v5, v11, 1
	v_add_nc_u32_e32 v22, 0, v3
	v_add_lshl_u32 v8, v8, v11, 1
	v_lshrrev_b32_e32 v25, 2, v9
	v_add_lshl_u32 v7, v7, v11, 1
	v_add_lshl_u32 v33, v23, v11, 1
	;; [unrolled: 1-line block ×3, first 2 shown]
	v_add_nc_u32_e32 v30, s0, v3
	v_and_b32_e32 v3, 15, v1
	s_and_b32 s1, s54, 0x1ff
	v_and_b32_e32 v27, 14, v25
	v_add_nc_u32_e32 v25, 0, v33
	v_add_nc_u32_e32 v26, 0, v34
	;; [unrolled: 1-line block ×7, first 2 shown]
	s_cmp_eq_u32 s1, 0
	v_add_nc_u32_e32 v34, s0, v34
	v_cmp_ne_u32_e64 s0, 0, v3
	v_cmp_lt_u32_e64 s1, 1, v3
	v_cmp_lt_u32_e64 s2, 3, v3
	;; [unrolled: 1-line block ×3, first 2 shown]
	v_add_nc_u32_e32 v3, -1, v1
	v_add_nc_u32_e32 v20, 0, v4
	v_lshrrev_b32_e32 v4, 2, v0
	v_or_b32_e32 v6, 31, v6
	s_mul_i32 s34, s10, s16
	v_cmp_gt_i32_e32 vcc_lo, 0, v3
	s_cselect_b32 s65, -1, 0
	v_and_b32_e32 v4, 8, v4
	s_lshl_b64 s[14:15], s[34:35], 1
	s_add_i32 s66, s62, -1
	v_cndmask_b32_e32 v3, v3, v1, vcc_lo
	s_mul_i32 s34, s17, s12
	v_cmp_eq_u32_e64 s5, v6, v0
	v_cmp_gt_u32_e64 s8, 32, v0
	v_cmp_lt_u32_e64 s9, 31, v0
	v_cmp_eq_u32_e64 s10, 0, v0
	s_add_u32 s11, s30, s14
	v_lshlrev_b32_e32 v0, 1, v1
	s_addc_u32 s14, s31, s15
	s_lshl_b64 s[12:13], s[34:35], 1
	v_add_nc_u32_e32 v35, 0, v4
	v_and_b32_e32 v4, 1, v1
	s_add_u32 s11, s11, s12
	v_lshlrev_b32_e32 v37, 2, v3
	s_addc_u32 s12, s14, s13
	v_lshlrev_b32_e32 v3, 1, v2
	v_add_co_u32 v0, s11, s11, v0
	v_add_nc_u32_e32 v21, 0, v5
	v_lshl_add_u32 v9, v9, 3, v27
	v_and_b32_e32 v5, 16, v1
	v_cmp_eq_u32_e64 s7, 0, v4
	v_add_co_ci_u32_e64 v4, null, s12, 0, s11
	v_add_co_u32 v38, vcc_lo, v0, v3
	v_or_b32_e32 v14, 32, v11
	v_add_nc_u32_e32 v23, 0, v8
	v_add_nc_u32_e32 v24, 0, v7
	v_lshl_add_u32 v27, v9, 1, 0
	v_cmp_ne_u32_e64 s4, 0, v5
	v_add_nc_u32_e32 v36, 0, v10
	v_cmp_eq_u32_e64 s11, 0, v1
	v_add_co_ci_u32_e32 v39, vcc_lo, 0, v4, vcc_lo
	v_or_b32_e32 v40, 1, v10
	v_or_b32_e32 v41, 2, v10
	;; [unrolled: 1-line block ×7, first 2 shown]
	v_lshlrev_b32_e32 v47, 1, v1
	v_lshlrev_b32_e32 v48, 1, v2
	s_mov_b32 s67, 0x3e9b6dac
	s_add_i32 s68, 0, 0x850
	s_mov_b32 s69, 0
	s_branch .LBB14_12
.LBB14_11:                              ;   in Loop: Header=BB14_12 Depth=1
	s_or_b32 exec_lo, exec_lo, s12
	s_add_u32 s57, s57, 0x400
	s_addc_u32 s36, s36, 0
	s_add_u32 s55, s55, 0x400
	s_addc_u32 s56, s56, 0
	;; [unrolled: 2-line block ×4, first 2 shown]
	s_add_i32 s69, s69, 1
	s_delay_alu instid0(SALU_CYCLE_1)
	s_cmp_eq_u32 s69, s62
	s_cbranch_scc1 .LBB14_140
.LBB14_12:                              ; =>This Loop Header: Depth=1
                                        ;     Child Loop BB14_61 Depth 2
	v_add_co_u32 v0, s12, s55, v47
	s_delay_alu instid0(VALU_DEP_1) | instskip(SKIP_1) | instid1(VALU_DEP_2)
	v_add_co_ci_u32_e64 v1, null, s56, 0, s12
	s_lshl_b32 s30, s69, 9
	v_add_co_u32 v0, vcc_lo, v0, v48
	s_sub_i32 s23, s54, s30
	s_delay_alu instid0(VALU_DEP_2)
	v_add_co_ci_u32_e32 v1, vcc_lo, 0, v1, vcc_lo
	v_cmp_gt_u32_e64 s12, s23, v11
	s_waitcnt lgkmcnt(0)
	v_mov_b32_e32 v2, 0
	s_waitcnt_vscnt null, 0x0
	s_barrier
	buffer_gl0_inv
	s_and_saveexec_b32 s13, s12
	s_cbranch_execz .LBB14_14
; %bb.13:                               ;   in Loop: Header=BB14_12 Depth=1
	global_load_u16 v2, v[0:1], off
.LBB14_14:                              ;   in Loop: Header=BB14_12 Depth=1
	s_or_b32 exec_lo, exec_lo, s13
	v_cmp_gt_u32_e64 s13, s23, v14
	v_dual_mov_b32 v3, 0 :: v_dual_mov_b32 v4, 0
	s_delay_alu instid0(VALU_DEP_2)
	s_and_saveexec_b32 s14, s13
	s_cbranch_execz .LBB14_16
; %bb.15:                               ;   in Loop: Header=BB14_12 Depth=1
	global_load_u16 v4, v[0:1], off offset:64
.LBB14_16:                              ;   in Loop: Header=BB14_12 Depth=1
	s_or_b32 exec_lo, exec_lo, s14
	v_cmp_gt_u32_e64 s14, s23, v15
	s_delay_alu instid0(VALU_DEP_1)
	s_and_saveexec_b32 s15, s14
	s_cbranch_execz .LBB14_18
; %bb.17:                               ;   in Loop: Header=BB14_12 Depth=1
	global_load_u16 v3, v[0:1], off offset:128
.LBB14_18:                              ;   in Loop: Header=BB14_12 Depth=1
	s_or_b32 exec_lo, exec_lo, s15
	v_cmp_gt_u32_e64 s15, s23, v12
	v_mov_b32_e32 v5, 0
	v_mov_b32_e32 v7, 0
	s_delay_alu instid0(VALU_DEP_3)
	s_and_saveexec_b32 s16, s15
	s_cbranch_execz .LBB14_20
; %bb.19:                               ;   in Loop: Header=BB14_12 Depth=1
	global_load_u16 v7, v[0:1], off offset:192
.LBB14_20:                              ;   in Loop: Header=BB14_12 Depth=1
	s_or_b32 exec_lo, exec_lo, s16
	v_cmp_gt_u32_e64 s16, s23, v16
	s_delay_alu instid0(VALU_DEP_1)
	s_and_saveexec_b32 s17, s16
	s_cbranch_execz .LBB14_22
; %bb.21:                               ;   in Loop: Header=BB14_12 Depth=1
	global_load_u16 v5, v[0:1], off offset:256
.LBB14_22:                              ;   in Loop: Header=BB14_12 Depth=1
	s_or_b32 exec_lo, exec_lo, s17
	v_cmp_gt_u32_e64 s17, s23, v17
	v_dual_mov_b32 v8, 0 :: v_dual_mov_b32 v9, 0
	s_delay_alu instid0(VALU_DEP_2)
	s_and_saveexec_b32 s18, s17
	s_cbranch_execz .LBB14_24
; %bb.23:                               ;   in Loop: Header=BB14_12 Depth=1
	global_load_u16 v9, v[0:1], off offset:320
.LBB14_24:                              ;   in Loop: Header=BB14_12 Depth=1
	s_or_b32 exec_lo, exec_lo, s18
	v_cmp_gt_u32_e64 s18, s23, v18
	s_delay_alu instid0(VALU_DEP_1)
	s_and_saveexec_b32 s19, s18
	s_cbranch_execz .LBB14_26
; %bb.25:                               ;   in Loop: Header=BB14_12 Depth=1
	global_load_u16 v8, v[0:1], off offset:384
.LBB14_26:                              ;   in Loop: Header=BB14_12 Depth=1
	s_or_b32 exec_lo, exec_lo, s19
	v_cmp_gt_u32_e64 s19, s23, v19
	v_dual_mov_b32 v6, 0 :: v_dual_mov_b32 v49, 0
	s_delay_alu instid0(VALU_DEP_2)
	s_and_saveexec_b32 s20, s19
	s_cbranch_execz .LBB14_28
; %bb.27:                               ;   in Loop: Header=BB14_12 Depth=1
	global_load_u16 v49, v[0:1], off offset:448
.LBB14_28:                              ;   in Loop: Header=BB14_12 Depth=1
	s_or_b32 exec_lo, exec_lo, s20
	s_waitcnt vmcnt(0)
	ds_store_b16 v20, v2
	ds_store_b16 v20, v4 offset:64
	ds_store_b16 v21, v3 offset:128
	;; [unrolled: 1-line block ×7, first 2 shown]
	; wave barrier
	ds_load_b128 v[0:3], v27
	v_add_co_u32 v4, s20, s57, v47
	s_delay_alu instid0(VALU_DEP_1) | instskip(SKIP_1) | instid1(VALU_DEP_2)
	v_add_co_ci_u32_e64 v5, null, s36, 0, s20
	s_waitcnt lgkmcnt(0)
	v_add_co_u32 v4, vcc_lo, v4, v48
	s_delay_alu instid0(VALU_DEP_2)
	v_add_co_ci_u32_e32 v5, vcc_lo, 0, v5, vcc_lo
	s_barrier
	buffer_gl0_inv
	s_and_saveexec_b32 s20, s12
	s_cbranch_execz .LBB14_30
; %bb.29:                               ;   in Loop: Header=BB14_12 Depth=1
	global_load_u16 v6, v[4:5], off
.LBB14_30:                              ;   in Loop: Header=BB14_12 Depth=1
	s_or_b32 exec_lo, exec_lo, s20
	v_dual_mov_b32 v7, 0 :: v_dual_mov_b32 v8, 0
	s_and_saveexec_b32 s20, s13
	s_cbranch_execz .LBB14_32
; %bb.31:                               ;   in Loop: Header=BB14_12 Depth=1
	global_load_u16 v8, v[4:5], off offset:64
.LBB14_32:                              ;   in Loop: Header=BB14_12 Depth=1
	s_or_b32 exec_lo, exec_lo, s20
	s_and_saveexec_b32 s20, s14
	s_cbranch_execz .LBB14_34
; %bb.33:                               ;   in Loop: Header=BB14_12 Depth=1
	global_load_u16 v7, v[4:5], off offset:128
.LBB14_34:                              ;   in Loop: Header=BB14_12 Depth=1
	s_or_b32 exec_lo, exec_lo, s20
	v_mov_b32_e32 v9, 0
	v_mov_b32_e32 v49, 0
	s_and_saveexec_b32 s20, s15
	s_cbranch_execz .LBB14_36
; %bb.35:                               ;   in Loop: Header=BB14_12 Depth=1
	global_load_u16 v49, v[4:5], off offset:192
.LBB14_36:                              ;   in Loop: Header=BB14_12 Depth=1
	s_or_b32 exec_lo, exec_lo, s20
	s_and_saveexec_b32 s20, s16
	s_cbranch_execz .LBB14_38
; %bb.37:                               ;   in Loop: Header=BB14_12 Depth=1
	global_load_u16 v9, v[4:5], off offset:256
.LBB14_38:                              ;   in Loop: Header=BB14_12 Depth=1
	s_or_b32 exec_lo, exec_lo, s20
	v_dual_mov_b32 v50, 0 :: v_dual_mov_b32 v51, 0
	s_and_saveexec_b32 s20, s17
	s_cbranch_execnz .LBB14_130
; %bb.39:                               ;   in Loop: Header=BB14_12 Depth=1
	s_or_b32 exec_lo, exec_lo, s20
	s_and_saveexec_b32 s20, s18
	s_cbranch_execnz .LBB14_131
.LBB14_40:                              ;   in Loop: Header=BB14_12 Depth=1
	s_or_b32 exec_lo, exec_lo, s20
	v_mov_b32_e32 v52, 0
	s_and_saveexec_b32 s20, s19
	s_cbranch_execz .LBB14_42
.LBB14_41:                              ;   in Loop: Header=BB14_12 Depth=1
	global_load_u16 v52, v[4:5], off offset:448
.LBB14_42:                              ;   in Loop: Header=BB14_12 Depth=1
	s_or_b32 exec_lo, exec_lo, s20
	s_waitcnt vmcnt(0)
	ds_store_b16 v20, v6
	ds_store_b16 v20, v8 offset:64
	ds_store_b16 v21, v7 offset:128
	;; [unrolled: 1-line block ×7, first 2 shown]
	; wave barrier
	ds_load_b128 v[4:7], v27
	s_waitcnt lgkmcnt(0)
	v_lshlrev_b32_e32 v8, 16, v4
	s_delay_alu instid0(VALU_DEP_1) | instskip(NEXT) | instid1(VALU_DEP_1)
	v_add_f32_e32 v49, s52, v8
	v_cmp_ge_f32_e32 vcc_lo, 0x41a00000, v49
	s_and_b32 s20, s63, vcc_lo
	s_delay_alu instid0(SALU_CYCLE_1)
	s_and_saveexec_b32 s21, s20
	s_cbranch_execz .LBB14_44
; %bb.43:                               ;   in Loop: Header=BB14_12 Depth=1
	v_mul_f32_e32 v8, 0x3fb8aa3b, v49
	v_cmp_ngt_f32_e32 vcc_lo, 0xc2ce8ed0, v49
	s_delay_alu instid0(VALU_DEP_2) | instskip(SKIP_1) | instid1(VALU_DEP_2)
	v_rndne_f32_e32 v9, v8
	v_fma_f32 v50, 0x3fb8aa3b, v49, -v8
	v_sub_f32_e32 v8, v8, v9
	s_delay_alu instid0(VALU_DEP_2) | instskip(SKIP_1) | instid1(VALU_DEP_2)
	v_fmac_f32_e32 v50, 0x32a5705f, v49
	v_cvt_i32_f32_e32 v9, v9
	v_add_f32_e32 v8, v8, v50
	s_delay_alu instid0(VALU_DEP_1) | instskip(SKIP_2) | instid1(VALU_DEP_1)
	v_exp_f32_e32 v8, v8
	s_waitcnt_depctr 0xfff
	v_ldexp_f32 v8, v8, v9
	v_cndmask_b32_e32 v8, 0, v8, vcc_lo
	v_cmp_nlt_f32_e32 vcc_lo, 0x42b17218, v49
	s_delay_alu instid0(VALU_DEP_2) | instskip(NEXT) | instid1(VALU_DEP_1)
	v_cndmask_b32_e32 v49, 0x7f800000, v8, vcc_lo
	v_add_f32_e32 v50, 1.0, v49
	s_delay_alu instid0(VALU_DEP_1) | instskip(NEXT) | instid1(VALU_DEP_1)
	v_cvt_f64_f32_e32 v[8:9], v50
	v_frexp_exp_i32_f64_e32 v8, v[8:9]
	v_frexp_mant_f32_e32 v9, v50
	s_delay_alu instid0(VALU_DEP_1) | instskip(SKIP_1) | instid1(VALU_DEP_1)
	v_cmp_gt_f32_e32 vcc_lo, 0x3f2aaaab, v9
	v_add_f32_e32 v9, -1.0, v50
	v_sub_f32_e32 v52, v9, v50
	v_sub_f32_e32 v9, v49, v9
	v_cmp_gt_f32_e64 s20, 0x33800000, v49
	s_delay_alu instid0(VALU_DEP_3) | instskip(NEXT) | instid1(VALU_DEP_1)
	v_add_f32_e32 v52, 1.0, v52
	v_add_f32_e32 v9, v9, v52
	v_subrev_co_ci_u32_e32 v8, vcc_lo, 0, v8, vcc_lo
	v_cmp_eq_f32_e32 vcc_lo, 0x7f800000, v49
	s_delay_alu instid0(VALU_DEP_2) | instskip(SKIP_2) | instid1(VALU_DEP_2)
	v_sub_nc_u32_e32 v51, 0, v8
	v_cvt_f32_i32_e32 v8, v8
	s_or_b32 vcc_lo, s20, vcc_lo
	v_ldexp_f32 v50, v50, v51
	v_ldexp_f32 v9, v9, v51
	s_delay_alu instid0(VALU_DEP_2) | instskip(NEXT) | instid1(VALU_DEP_1)
	v_add_f32_e32 v53, 1.0, v50
	v_dual_add_f32 v51, -1.0, v50 :: v_dual_add_f32 v52, -1.0, v53
	s_delay_alu instid0(VALU_DEP_1) | instskip(NEXT) | instid1(VALU_DEP_2)
	v_add_f32_e32 v54, 1.0, v51
	v_sub_f32_e32 v52, v50, v52
	s_delay_alu instid0(VALU_DEP_2) | instskip(NEXT) | instid1(VALU_DEP_2)
	v_sub_f32_e32 v50, v50, v54
	v_add_f32_e32 v52, v9, v52
	s_delay_alu instid0(VALU_DEP_2) | instskip(NEXT) | instid1(VALU_DEP_1)
	v_add_f32_e32 v9, v9, v50
	v_dual_add_f32 v55, v51, v9 :: v_dual_add_f32 v54, v53, v52
	s_delay_alu instid0(VALU_DEP_1) | instskip(NEXT) | instid1(VALU_DEP_2)
	v_sub_f32_e32 v51, v51, v55
	v_rcp_f32_e32 v50, v54
	v_sub_f32_e32 v53, v53, v54
	s_delay_alu instid0(VALU_DEP_1) | instskip(SKIP_2) | instid1(VALU_DEP_1)
	v_dual_add_f32 v9, v9, v51 :: v_dual_add_f32 v52, v52, v53
	s_waitcnt_depctr 0xfff
	v_mul_f32_e32 v56, v55, v50
	v_mul_f32_e32 v57, v54, v56
	s_delay_alu instid0(VALU_DEP_1) | instskip(NEXT) | instid1(VALU_DEP_1)
	v_fma_f32 v53, v56, v54, -v57
	v_fmac_f32_e32 v53, v56, v52
	s_delay_alu instid0(VALU_DEP_1) | instskip(NEXT) | instid1(VALU_DEP_1)
	v_add_f32_e32 v58, v57, v53
	v_sub_f32_e32 v59, v55, v58
	s_delay_alu instid0(VALU_DEP_1) | instskip(NEXT) | instid1(VALU_DEP_1)
	v_sub_f32_e32 v55, v55, v59
	v_sub_f32_e32 v55, v55, v58
	;; [unrolled: 1-line block ×3, first 2 shown]
	s_delay_alu instid0(VALU_DEP_2) | instskip(NEXT) | instid1(VALU_DEP_2)
	v_add_f32_e32 v9, v9, v55
	v_sub_f32_e32 v51, v51, v53
	s_delay_alu instid0(VALU_DEP_1) | instskip(NEXT) | instid1(VALU_DEP_1)
	v_add_f32_e32 v9, v51, v9
	v_add_f32_e32 v51, v59, v9
	s_delay_alu instid0(VALU_DEP_1) | instskip(NEXT) | instid1(VALU_DEP_1)
	v_mul_f32_e32 v53, v50, v51
	v_dual_sub_f32 v58, v59, v51 :: v_dual_mul_f32 v55, v54, v53
	s_delay_alu instid0(VALU_DEP_1) | instskip(NEXT) | instid1(VALU_DEP_2)
	v_add_f32_e32 v9, v9, v58
	v_fma_f32 v54, v53, v54, -v55
	s_delay_alu instid0(VALU_DEP_1) | instskip(NEXT) | instid1(VALU_DEP_1)
	v_fmac_f32_e32 v54, v53, v52
	v_add_f32_e32 v52, v55, v54
	s_delay_alu instid0(VALU_DEP_1) | instskip(NEXT) | instid1(VALU_DEP_1)
	v_sub_f32_e32 v57, v51, v52
	v_sub_f32_e32 v51, v51, v57
	s_delay_alu instid0(VALU_DEP_1) | instskip(NEXT) | instid1(VALU_DEP_1)
	v_sub_f32_e32 v51, v51, v52
	v_add_f32_e32 v9, v9, v51
	v_add_f32_e32 v51, v56, v53
	v_sub_f32_e32 v55, v52, v55
	s_delay_alu instid0(VALU_DEP_1) | instskip(NEXT) | instid1(VALU_DEP_1)
	v_sub_f32_e32 v52, v55, v54
	v_dual_add_f32 v9, v52, v9 :: v_dual_sub_f32 v52, v51, v56
	s_delay_alu instid0(VALU_DEP_1) | instskip(NEXT) | instid1(VALU_DEP_1)
	v_add_f32_e32 v9, v57, v9
	v_dual_sub_f32 v52, v53, v52 :: v_dual_mul_f32 v9, v50, v9
	s_delay_alu instid0(VALU_DEP_1) | instskip(NEXT) | instid1(VALU_DEP_1)
	v_add_f32_e32 v9, v52, v9
	v_add_f32_e32 v50, v51, v9
	s_delay_alu instid0(VALU_DEP_1) | instskip(NEXT) | instid1(VALU_DEP_1)
	v_mul_f32_e32 v52, v50, v50
	v_fmaak_f32 v53, s67, v52, 0x3ecc95a3
	v_mul_f32_e32 v54, v50, v52
	s_delay_alu instid0(VALU_DEP_2) | instskip(SKIP_2) | instid1(VALU_DEP_3)
	v_fmaak_f32 v52, v52, v53, 0x3f2aaada
	v_ldexp_f32 v53, v50, 1
	v_sub_f32_e32 v50, v50, v51
	v_mul_f32_e32 v52, v54, v52
	v_mul_f32_e32 v54, 0x3f317218, v8
	s_delay_alu instid0(VALU_DEP_2) | instskip(NEXT) | instid1(VALU_DEP_1)
	v_add_f32_e32 v51, v53, v52
	v_dual_sub_f32 v9, v9, v50 :: v_dual_sub_f32 v50, v51, v53
	s_delay_alu instid0(VALU_DEP_3) | instskip(NEXT) | instid1(VALU_DEP_2)
	v_fma_f32 v53, 0x3f317218, v8, -v54
	v_ldexp_f32 v9, v9, 1
	s_delay_alu instid0(VALU_DEP_2) | instskip(NEXT) | instid1(VALU_DEP_1)
	v_dual_sub_f32 v50, v52, v50 :: v_dual_fmac_f32 v53, 0xb102e308, v8
	v_dual_add_f32 v8, v9, v50 :: v_dual_add_f32 v9, v54, v53
	s_delay_alu instid0(VALU_DEP_1) | instskip(NEXT) | instid1(VALU_DEP_1)
	v_add_f32_e32 v50, v51, v8
	v_add_f32_e32 v52, v9, v50
	s_delay_alu instid0(VALU_DEP_1) | instskip(NEXT) | instid1(VALU_DEP_1)
	v_sub_f32_e32 v55, v52, v9
	v_sub_f32_e32 v56, v52, v55
	;; [unrolled: 1-line block ×4, first 2 shown]
	s_delay_alu instid0(VALU_DEP_2) | instskip(SKIP_1) | instid1(VALU_DEP_1)
	v_sub_f32_e32 v8, v8, v51
	v_sub_f32_e32 v54, v9, v54
	;; [unrolled: 1-line block ×3, first 2 shown]
	s_delay_alu instid0(VALU_DEP_1) | instskip(SKIP_1) | instid1(VALU_DEP_1)
	v_add_f32_e32 v51, v53, v8
	v_sub_f32_e32 v9, v9, v56
	v_add_f32_e32 v9, v50, v9
	s_delay_alu instid0(VALU_DEP_3) | instskip(NEXT) | instid1(VALU_DEP_1)
	v_sub_f32_e32 v50, v51, v53
	v_dual_sub_f32 v8, v8, v50 :: v_dual_add_f32 v9, v51, v9
	s_delay_alu instid0(VALU_DEP_1) | instskip(NEXT) | instid1(VALU_DEP_1)
	v_dual_sub_f32 v51, v51, v50 :: v_dual_add_f32 v54, v52, v9
	v_dual_sub_f32 v51, v53, v51 :: v_dual_sub_f32 v50, v54, v52
	s_delay_alu instid0(VALU_DEP_1) | instskip(NEXT) | instid1(VALU_DEP_1)
	v_dual_add_f32 v8, v8, v51 :: v_dual_sub_f32 v9, v9, v50
	v_add_f32_e32 v8, v8, v9
	s_delay_alu instid0(VALU_DEP_1) | instskip(NEXT) | instid1(VALU_DEP_1)
	v_add_f32_e32 v8, v54, v8
	v_cndmask_b32_e32 v49, v8, v49, vcc_lo
.LBB14_44:                              ;   in Loop: Header=BB14_12 Depth=1
	s_or_b32 exec_lo, exec_lo, s21
	v_and_b32_e32 v4, 0xffff0000, v4
	s_delay_alu instid0(VALU_DEP_1) | instskip(NEXT) | instid1(VALU_DEP_1)
	v_add_f32_e32 v50, s52, v4
	v_cmp_ge_f32_e32 vcc_lo, 0x41a00000, v50
	s_and_b32 s20, s63, vcc_lo
	s_delay_alu instid0(SALU_CYCLE_1)
	s_and_saveexec_b32 s21, s20
	s_cbranch_execz .LBB14_46
; %bb.45:                               ;   in Loop: Header=BB14_12 Depth=1
	v_mul_f32_e32 v4, 0x3fb8aa3b, v50
	v_cmp_ngt_f32_e32 vcc_lo, 0xc2ce8ed0, v50
	s_delay_alu instid0(VALU_DEP_2) | instskip(SKIP_1) | instid1(VALU_DEP_1)
	v_rndne_f32_e32 v8, v4
	v_fma_f32 v9, 0x3fb8aa3b, v50, -v4
	v_dual_sub_f32 v4, v4, v8 :: v_dual_fmac_f32 v9, 0x32a5705f, v50
	v_cvt_i32_f32_e32 v8, v8
	s_delay_alu instid0(VALU_DEP_2) | instskip(NEXT) | instid1(VALU_DEP_1)
	v_add_f32_e32 v4, v4, v9
	v_exp_f32_e32 v4, v4
	s_waitcnt_depctr 0xfff
	v_ldexp_f32 v4, v4, v8
	s_delay_alu instid0(VALU_DEP_1) | instskip(SKIP_1) | instid1(VALU_DEP_2)
	v_cndmask_b32_e32 v4, 0, v4, vcc_lo
	v_cmp_nlt_f32_e32 vcc_lo, 0x42b17218, v50
	v_cndmask_b32_e32 v4, 0x7f800000, v4, vcc_lo
	s_delay_alu instid0(VALU_DEP_1) | instskip(NEXT) | instid1(VALU_DEP_1)
	v_add_f32_e32 v50, 1.0, v4
	v_cvt_f64_f32_e32 v[8:9], v50
	s_delay_alu instid0(VALU_DEP_1) | instskip(SKIP_1) | instid1(VALU_DEP_1)
	v_frexp_exp_i32_f64_e32 v8, v[8:9]
	v_frexp_mant_f32_e32 v9, v50
	v_cmp_gt_f32_e32 vcc_lo, 0x3f2aaaab, v9
	v_add_f32_e32 v9, -1.0, v50
	s_delay_alu instid0(VALU_DEP_1) | instskip(NEXT) | instid1(VALU_DEP_1)
	v_dual_sub_f32 v52, v9, v50 :: v_dual_sub_f32 v9, v4, v9
	v_add_f32_e32 v52, 1.0, v52
	s_delay_alu instid0(VALU_DEP_1) | instskip(SKIP_1) | instid1(VALU_DEP_1)
	v_add_f32_e32 v9, v9, v52
	v_subrev_co_ci_u32_e32 v8, vcc_lo, 0, v8, vcc_lo
	v_sub_nc_u32_e32 v51, 0, v8
	v_cvt_f32_i32_e32 v8, v8
	s_delay_alu instid0(VALU_DEP_2) | instskip(SKIP_1) | instid1(VALU_DEP_2)
	v_ldexp_f32 v50, v50, v51
	v_ldexp_f32 v9, v9, v51
	v_add_f32_e32 v53, 1.0, v50
	v_add_f32_e32 v51, -1.0, v50
	v_cmp_eq_f32_e32 vcc_lo, 0x7f800000, v4
	v_cmp_gt_f32_e64 s20, 0x33800000, v4
	s_delay_alu instid0(VALU_DEP_4) | instskip(NEXT) | instid1(VALU_DEP_4)
	v_add_f32_e32 v52, -1.0, v53
	v_add_f32_e32 v54, 1.0, v51
	s_delay_alu instid0(VALU_DEP_3) | instskip(NEXT) | instid1(VALU_DEP_2)
	s_or_b32 vcc_lo, s20, vcc_lo
	v_sub_f32_e32 v52, v50, v52
	s_delay_alu instid0(VALU_DEP_2) | instskip(NEXT) | instid1(VALU_DEP_2)
	v_sub_f32_e32 v50, v50, v54
	v_add_f32_e32 v52, v9, v52
	s_delay_alu instid0(VALU_DEP_2) | instskip(NEXT) | instid1(VALU_DEP_1)
	v_add_f32_e32 v9, v9, v50
	v_add_f32_e32 v55, v51, v9
	s_delay_alu instid0(VALU_DEP_1) | instskip(NEXT) | instid1(VALU_DEP_1)
	v_dual_sub_f32 v51, v51, v55 :: v_dual_add_f32 v54, v53, v52
	v_add_f32_e32 v9, v9, v51
	s_delay_alu instid0(VALU_DEP_2) | instskip(SKIP_1) | instid1(VALU_DEP_1)
	v_rcp_f32_e32 v50, v54
	v_sub_f32_e32 v53, v53, v54
	v_add_f32_e32 v52, v52, v53
	s_waitcnt_depctr 0xfff
	v_mul_f32_e32 v56, v55, v50
	s_delay_alu instid0(VALU_DEP_1) | instskip(NEXT) | instid1(VALU_DEP_1)
	v_mul_f32_e32 v57, v54, v56
	v_fma_f32 v53, v56, v54, -v57
	s_delay_alu instid0(VALU_DEP_1) | instskip(NEXT) | instid1(VALU_DEP_1)
	v_fmac_f32_e32 v53, v56, v52
	v_add_f32_e32 v58, v57, v53
	s_delay_alu instid0(VALU_DEP_1) | instskip(SKIP_1) | instid1(VALU_DEP_2)
	v_sub_f32_e32 v59, v55, v58
	v_sub_f32_e32 v51, v58, v57
	;; [unrolled: 1-line block ×3, first 2 shown]
	s_delay_alu instid0(VALU_DEP_2) | instskip(NEXT) | instid1(VALU_DEP_2)
	v_sub_f32_e32 v51, v51, v53
	v_sub_f32_e32 v55, v55, v58
	s_delay_alu instid0(VALU_DEP_1) | instskip(NEXT) | instid1(VALU_DEP_1)
	v_add_f32_e32 v9, v9, v55
	v_add_f32_e32 v9, v51, v9
	s_delay_alu instid0(VALU_DEP_1) | instskip(NEXT) | instid1(VALU_DEP_1)
	v_add_f32_e32 v51, v59, v9
	v_mul_f32_e32 v53, v50, v51
	s_delay_alu instid0(VALU_DEP_1) | instskip(NEXT) | instid1(VALU_DEP_1)
	v_dual_sub_f32 v58, v59, v51 :: v_dual_mul_f32 v55, v54, v53
	v_add_f32_e32 v9, v9, v58
	s_delay_alu instid0(VALU_DEP_2) | instskip(NEXT) | instid1(VALU_DEP_1)
	v_fma_f32 v54, v53, v54, -v55
	v_fmac_f32_e32 v54, v53, v52
	s_delay_alu instid0(VALU_DEP_1) | instskip(NEXT) | instid1(VALU_DEP_1)
	v_add_f32_e32 v52, v55, v54
	v_sub_f32_e32 v57, v51, v52
	s_delay_alu instid0(VALU_DEP_1) | instskip(NEXT) | instid1(VALU_DEP_1)
	v_sub_f32_e32 v51, v51, v57
	v_sub_f32_e32 v51, v51, v52
	s_delay_alu instid0(VALU_DEP_1) | instskip(SKIP_2) | instid1(VALU_DEP_1)
	v_add_f32_e32 v9, v9, v51
	v_add_f32_e32 v51, v56, v53
	v_sub_f32_e32 v55, v52, v55
	v_sub_f32_e32 v52, v55, v54
	s_delay_alu instid0(VALU_DEP_1) | instskip(NEXT) | instid1(VALU_DEP_1)
	v_dual_add_f32 v9, v52, v9 :: v_dual_sub_f32 v52, v51, v56
	v_add_f32_e32 v9, v57, v9
	s_delay_alu instid0(VALU_DEP_1) | instskip(NEXT) | instid1(VALU_DEP_1)
	v_dual_sub_f32 v52, v53, v52 :: v_dual_mul_f32 v9, v50, v9
	v_add_f32_e32 v9, v52, v9
	s_delay_alu instid0(VALU_DEP_1) | instskip(NEXT) | instid1(VALU_DEP_1)
	v_add_f32_e32 v50, v51, v9
	v_mul_f32_e32 v52, v50, v50
	s_delay_alu instid0(VALU_DEP_1) | instskip(SKIP_1) | instid1(VALU_DEP_2)
	v_fmaak_f32 v53, s67, v52, 0x3ecc95a3
	v_mul_f32_e32 v54, v50, v52
	v_fmaak_f32 v52, v52, v53, 0x3f2aaada
	v_ldexp_f32 v53, v50, 1
	v_sub_f32_e32 v50, v50, v51
	s_delay_alu instid0(VALU_DEP_3) | instskip(SKIP_1) | instid1(VALU_DEP_2)
	v_mul_f32_e32 v52, v54, v52
	v_mul_f32_e32 v54, 0x3f317218, v8
	v_add_f32_e32 v51, v53, v52
	s_delay_alu instid0(VALU_DEP_1) | instskip(NEXT) | instid1(VALU_DEP_3)
	v_dual_sub_f32 v9, v9, v50 :: v_dual_sub_f32 v50, v51, v53
	v_fma_f32 v53, 0x3f317218, v8, -v54
	s_delay_alu instid0(VALU_DEP_2) | instskip(NEXT) | instid1(VALU_DEP_2)
	v_ldexp_f32 v9, v9, 1
	v_dual_sub_f32 v50, v52, v50 :: v_dual_fmac_f32 v53, 0xb102e308, v8
	s_delay_alu instid0(VALU_DEP_1) | instskip(NEXT) | instid1(VALU_DEP_1)
	v_dual_add_f32 v8, v9, v50 :: v_dual_add_f32 v9, v54, v53
	v_add_f32_e32 v50, v51, v8
	s_delay_alu instid0(VALU_DEP_1) | instskip(NEXT) | instid1(VALU_DEP_1)
	v_add_f32_e32 v52, v9, v50
	v_sub_f32_e32 v55, v52, v9
	s_delay_alu instid0(VALU_DEP_1) | instskip(SKIP_2) | instid1(VALU_DEP_2)
	v_sub_f32_e32 v56, v52, v55
	v_sub_f32_e32 v51, v50, v51
	;; [unrolled: 1-line block ×5, first 2 shown]
	s_delay_alu instid0(VALU_DEP_1) | instskip(NEXT) | instid1(VALU_DEP_1)
	v_sub_f32_e32 v53, v53, v54
	v_add_f32_e32 v51, v53, v8
	v_sub_f32_e32 v9, v9, v56
	s_delay_alu instid0(VALU_DEP_1) | instskip(NEXT) | instid1(VALU_DEP_3)
	v_add_f32_e32 v9, v50, v9
	v_sub_f32_e32 v50, v51, v53
	s_delay_alu instid0(VALU_DEP_1) | instskip(NEXT) | instid1(VALU_DEP_1)
	v_dual_sub_f32 v8, v8, v50 :: v_dual_add_f32 v9, v51, v9
	v_dual_sub_f32 v51, v51, v50 :: v_dual_add_f32 v54, v52, v9
	s_delay_alu instid0(VALU_DEP_1) | instskip(NEXT) | instid1(VALU_DEP_1)
	v_dual_sub_f32 v51, v53, v51 :: v_dual_sub_f32 v50, v54, v52
	v_dual_add_f32 v8, v8, v51 :: v_dual_sub_f32 v9, v9, v50
	s_delay_alu instid0(VALU_DEP_1) | instskip(NEXT) | instid1(VALU_DEP_1)
	v_add_f32_e32 v8, v8, v9
	v_add_f32_e32 v8, v54, v8
	s_delay_alu instid0(VALU_DEP_1)
	v_cndmask_b32_e32 v50, v8, v4, vcc_lo
.LBB14_46:                              ;   in Loop: Header=BB14_12 Depth=1
	s_or_b32 exec_lo, exec_lo, s21
	v_lshlrev_b32_e32 v4, 16, v5
	s_delay_alu instid0(VALU_DEP_1) | instskip(NEXT) | instid1(VALU_DEP_1)
	v_add_f32_e32 v51, s52, v4
	v_cmp_ge_f32_e32 vcc_lo, 0x41a00000, v51
	s_and_b32 s20, s63, vcc_lo
	s_delay_alu instid0(SALU_CYCLE_1)
	s_and_saveexec_b32 s21, s20
	s_cbranch_execz .LBB14_48
; %bb.47:                               ;   in Loop: Header=BB14_12 Depth=1
	v_mul_f32_e32 v4, 0x3fb8aa3b, v51
	v_cmp_ngt_f32_e32 vcc_lo, 0xc2ce8ed0, v51
	s_delay_alu instid0(VALU_DEP_2) | instskip(SKIP_1) | instid1(VALU_DEP_1)
	v_rndne_f32_e32 v8, v4
	v_fma_f32 v9, 0x3fb8aa3b, v51, -v4
	v_dual_sub_f32 v4, v4, v8 :: v_dual_fmac_f32 v9, 0x32a5705f, v51
	v_cvt_i32_f32_e32 v8, v8
	s_delay_alu instid0(VALU_DEP_2) | instskip(NEXT) | instid1(VALU_DEP_1)
	v_add_f32_e32 v4, v4, v9
	v_exp_f32_e32 v4, v4
	s_waitcnt_depctr 0xfff
	v_ldexp_f32 v4, v4, v8
	s_delay_alu instid0(VALU_DEP_1) | instskip(SKIP_1) | instid1(VALU_DEP_2)
	v_cndmask_b32_e32 v4, 0, v4, vcc_lo
	v_cmp_nlt_f32_e32 vcc_lo, 0x42b17218, v51
	v_cndmask_b32_e32 v4, 0x7f800000, v4, vcc_lo
	s_delay_alu instid0(VALU_DEP_1) | instskip(NEXT) | instid1(VALU_DEP_1)
	v_add_f32_e32 v51, 1.0, v4
	v_cvt_f64_f32_e32 v[8:9], v51
	s_delay_alu instid0(VALU_DEP_1) | instskip(SKIP_1) | instid1(VALU_DEP_1)
	v_frexp_exp_i32_f64_e32 v8, v[8:9]
	v_frexp_mant_f32_e32 v9, v51
	v_cmp_gt_f32_e32 vcc_lo, 0x3f2aaaab, v9
	v_add_f32_e32 v9, -1.0, v51
	s_delay_alu instid0(VALU_DEP_1) | instskip(NEXT) | instid1(VALU_DEP_1)
	v_sub_f32_e32 v53, v9, v51
	v_add_f32_e32 v53, 1.0, v53
	v_subrev_co_ci_u32_e32 v8, vcc_lo, 0, v8, vcc_lo
	s_delay_alu instid0(VALU_DEP_1) | instskip(SKIP_1) | instid1(VALU_DEP_2)
	v_sub_nc_u32_e32 v52, 0, v8
	v_cvt_f32_i32_e32 v8, v8
	v_ldexp_f32 v51, v51, v52
	s_delay_alu instid0(VALU_DEP_1) | instskip(NEXT) | instid1(VALU_DEP_1)
	v_dual_sub_f32 v9, v4, v9 :: v_dual_add_f32 v54, 1.0, v51
	v_add_f32_e32 v9, v9, v53
	v_cmp_eq_f32_e32 vcc_lo, 0x7f800000, v4
	v_cmp_gt_f32_e64 s20, 0x33800000, v4
	s_delay_alu instid0(VALU_DEP_4) | instskip(NEXT) | instid1(VALU_DEP_4)
	v_add_f32_e32 v53, -1.0, v54
	v_ldexp_f32 v9, v9, v52
	v_add_f32_e32 v52, -1.0, v51
	s_delay_alu instid0(VALU_DEP_4) | instskip(NEXT) | instid1(VALU_DEP_3)
	s_or_b32 vcc_lo, s20, vcc_lo
	v_sub_f32_e32 v53, v51, v53
	s_delay_alu instid0(VALU_DEP_2) | instskip(NEXT) | instid1(VALU_DEP_2)
	v_add_f32_e32 v55, 1.0, v52
	v_add_f32_e32 v53, v9, v53
	s_delay_alu instid0(VALU_DEP_2) | instskip(NEXT) | instid1(VALU_DEP_1)
	v_sub_f32_e32 v51, v51, v55
	v_add_f32_e32 v9, v9, v51
	s_delay_alu instid0(VALU_DEP_1) | instskip(NEXT) | instid1(VALU_DEP_1)
	v_add_f32_e32 v56, v52, v9
	v_dual_add_f32 v55, v54, v53 :: v_dual_sub_f32 v52, v52, v56
	s_delay_alu instid0(VALU_DEP_1) | instskip(SKIP_1) | instid1(VALU_DEP_1)
	v_rcp_f32_e32 v51, v55
	v_sub_f32_e32 v54, v54, v55
	v_add_f32_e32 v53, v53, v54
	s_waitcnt_depctr 0xfff
	v_mul_f32_e32 v57, v56, v51
	s_delay_alu instid0(VALU_DEP_1) | instskip(NEXT) | instid1(VALU_DEP_1)
	v_mul_f32_e32 v58, v55, v57
	v_fma_f32 v54, v57, v55, -v58
	s_delay_alu instid0(VALU_DEP_1) | instskip(SKIP_1) | instid1(VALU_DEP_2)
	v_fmac_f32_e32 v54, v57, v53
	v_add_f32_e32 v9, v9, v52
	v_add_f32_e32 v59, v58, v54
	s_delay_alu instid0(VALU_DEP_1) | instskip(SKIP_1) | instid1(VALU_DEP_2)
	v_sub_f32_e32 v60, v56, v59
	v_sub_f32_e32 v52, v59, v58
	;; [unrolled: 1-line block ×3, first 2 shown]
	s_delay_alu instid0(VALU_DEP_2) | instskip(NEXT) | instid1(VALU_DEP_2)
	v_sub_f32_e32 v52, v52, v54
	v_sub_f32_e32 v56, v56, v59
	s_delay_alu instid0(VALU_DEP_1) | instskip(NEXT) | instid1(VALU_DEP_1)
	v_add_f32_e32 v9, v9, v56
	v_add_f32_e32 v9, v52, v9
	s_delay_alu instid0(VALU_DEP_1) | instskip(NEXT) | instid1(VALU_DEP_1)
	v_add_f32_e32 v52, v60, v9
	v_mul_f32_e32 v54, v51, v52
	s_delay_alu instid0(VALU_DEP_1) | instskip(NEXT) | instid1(VALU_DEP_1)
	v_dual_sub_f32 v59, v60, v52 :: v_dual_mul_f32 v56, v55, v54
	v_add_f32_e32 v9, v9, v59
	s_delay_alu instid0(VALU_DEP_2) | instskip(NEXT) | instid1(VALU_DEP_1)
	v_fma_f32 v55, v54, v55, -v56
	v_fmac_f32_e32 v55, v54, v53
	s_delay_alu instid0(VALU_DEP_1) | instskip(NEXT) | instid1(VALU_DEP_1)
	v_add_f32_e32 v53, v56, v55
	v_sub_f32_e32 v58, v52, v53
	s_delay_alu instid0(VALU_DEP_1) | instskip(NEXT) | instid1(VALU_DEP_1)
	v_sub_f32_e32 v52, v52, v58
	v_sub_f32_e32 v52, v52, v53
	s_delay_alu instid0(VALU_DEP_1) | instskip(SKIP_2) | instid1(VALU_DEP_1)
	v_add_f32_e32 v9, v9, v52
	v_add_f32_e32 v52, v57, v54
	v_sub_f32_e32 v56, v53, v56
	v_sub_f32_e32 v53, v56, v55
	s_delay_alu instid0(VALU_DEP_1) | instskip(NEXT) | instid1(VALU_DEP_4)
	v_add_f32_e32 v9, v53, v9
	v_sub_f32_e32 v53, v52, v57
	s_delay_alu instid0(VALU_DEP_2) | instskip(NEXT) | instid1(VALU_DEP_2)
	v_add_f32_e32 v9, v58, v9
	v_sub_f32_e32 v53, v54, v53
	s_delay_alu instid0(VALU_DEP_2) | instskip(NEXT) | instid1(VALU_DEP_1)
	v_mul_f32_e32 v9, v51, v9
	v_add_f32_e32 v9, v53, v9
	s_delay_alu instid0(VALU_DEP_1) | instskip(NEXT) | instid1(VALU_DEP_1)
	v_add_f32_e32 v51, v52, v9
	v_mul_f32_e32 v53, v51, v51
	s_delay_alu instid0(VALU_DEP_1) | instskip(SKIP_1) | instid1(VALU_DEP_2)
	v_fmaak_f32 v54, s67, v53, 0x3ecc95a3
	v_mul_f32_e32 v55, v51, v53
	v_fmaak_f32 v53, v53, v54, 0x3f2aaada
	v_ldexp_f32 v54, v51, 1
	v_sub_f32_e32 v51, v51, v52
	s_delay_alu instid0(VALU_DEP_3) | instskip(SKIP_1) | instid1(VALU_DEP_2)
	v_mul_f32_e32 v53, v55, v53
	v_mul_f32_e32 v55, 0x3f317218, v8
	v_dual_sub_f32 v9, v9, v51 :: v_dual_add_f32 v52, v54, v53
	s_delay_alu instid0(VALU_DEP_1) | instskip(NEXT) | instid1(VALU_DEP_2)
	v_ldexp_f32 v9, v9, 1
	v_sub_f32_e32 v51, v52, v54
	s_delay_alu instid0(VALU_DEP_4) | instskip(NEXT) | instid1(VALU_DEP_1)
	v_fma_f32 v54, 0x3f317218, v8, -v55
	v_dual_sub_f32 v51, v53, v51 :: v_dual_fmac_f32 v54, 0xb102e308, v8
	s_delay_alu instid0(VALU_DEP_1) | instskip(NEXT) | instid1(VALU_DEP_1)
	v_dual_add_f32 v8, v9, v51 :: v_dual_add_f32 v9, v55, v54
	v_add_f32_e32 v51, v52, v8
	s_delay_alu instid0(VALU_DEP_2) | instskip(NEXT) | instid1(VALU_DEP_2)
	v_sub_f32_e32 v55, v9, v55
	v_dual_add_f32 v53, v9, v51 :: v_dual_sub_f32 v52, v51, v52
	s_delay_alu instid0(VALU_DEP_2) | instskip(NEXT) | instid1(VALU_DEP_2)
	v_sub_f32_e32 v54, v54, v55
	v_sub_f32_e32 v56, v53, v9
	s_delay_alu instid0(VALU_DEP_3) | instskip(NEXT) | instid1(VALU_DEP_2)
	v_sub_f32_e32 v8, v8, v52
	v_sub_f32_e32 v57, v53, v56
	;; [unrolled: 1-line block ×3, first 2 shown]
	s_delay_alu instid0(VALU_DEP_2) | instskip(NEXT) | instid1(VALU_DEP_1)
	v_dual_add_f32 v52, v54, v8 :: v_dual_sub_f32 v9, v9, v57
	v_add_f32_e32 v9, v51, v9
	s_delay_alu instid0(VALU_DEP_2) | instskip(NEXT) | instid1(VALU_DEP_2)
	v_sub_f32_e32 v51, v52, v54
	v_add_f32_e32 v9, v52, v9
	s_delay_alu instid0(VALU_DEP_2) | instskip(NEXT) | instid1(VALU_DEP_2)
	v_sub_f32_e32 v52, v52, v51
	v_dual_sub_f32 v8, v8, v51 :: v_dual_add_f32 v55, v53, v9
	s_delay_alu instid0(VALU_DEP_1) | instskip(NEXT) | instid1(VALU_DEP_1)
	v_dual_sub_f32 v52, v54, v52 :: v_dual_sub_f32 v51, v55, v53
	v_dual_add_f32 v8, v8, v52 :: v_dual_sub_f32 v9, v9, v51
	s_delay_alu instid0(VALU_DEP_1) | instskip(NEXT) | instid1(VALU_DEP_1)
	v_add_f32_e32 v8, v8, v9
	v_add_f32_e32 v8, v55, v8
	s_delay_alu instid0(VALU_DEP_1)
	v_cndmask_b32_e32 v51, v8, v4, vcc_lo
.LBB14_48:                              ;   in Loop: Header=BB14_12 Depth=1
	s_or_b32 exec_lo, exec_lo, s21
	v_and_b32_e32 v4, 0xffff0000, v5
	s_delay_alu instid0(VALU_DEP_1) | instskip(NEXT) | instid1(VALU_DEP_1)
	v_add_f32_e32 v52, s52, v4
	v_cmp_ge_f32_e32 vcc_lo, 0x41a00000, v52
	s_and_b32 s20, s63, vcc_lo
	s_delay_alu instid0(SALU_CYCLE_1)
	s_and_saveexec_b32 s21, s20
	s_cbranch_execz .LBB14_50
; %bb.49:                               ;   in Loop: Header=BB14_12 Depth=1
	v_mul_f32_e32 v4, 0x3fb8aa3b, v52
	v_cmp_ngt_f32_e32 vcc_lo, 0xc2ce8ed0, v52
	s_delay_alu instid0(VALU_DEP_2) | instskip(SKIP_1) | instid1(VALU_DEP_2)
	v_rndne_f32_e32 v5, v4
	v_fma_f32 v8, 0x3fb8aa3b, v52, -v4
	v_sub_f32_e32 v4, v4, v5
	s_delay_alu instid0(VALU_DEP_2) | instskip(SKIP_1) | instid1(VALU_DEP_2)
	v_fmac_f32_e32 v8, 0x32a5705f, v52
	v_cvt_i32_f32_e32 v5, v5
	v_add_f32_e32 v4, v4, v8
	s_delay_alu instid0(VALU_DEP_1) | instskip(SKIP_2) | instid1(VALU_DEP_1)
	v_exp_f32_e32 v4, v4
	s_waitcnt_depctr 0xfff
	v_ldexp_f32 v4, v4, v5
	v_cndmask_b32_e32 v4, 0, v4, vcc_lo
	v_cmp_nlt_f32_e32 vcc_lo, 0x42b17218, v52
	s_delay_alu instid0(VALU_DEP_2) | instskip(NEXT) | instid1(VALU_DEP_1)
	v_cndmask_b32_e32 v8, 0x7f800000, v4, vcc_lo
	v_add_f32_e32 v9, 1.0, v8
	s_delay_alu instid0(VALU_DEP_1) | instskip(NEXT) | instid1(VALU_DEP_1)
	v_cvt_f64_f32_e32 v[4:5], v9
	v_frexp_exp_i32_f64_e32 v4, v[4:5]
	v_frexp_mant_f32_e32 v5, v9
	s_delay_alu instid0(VALU_DEP_1) | instskip(SKIP_1) | instid1(VALU_DEP_1)
	v_cmp_gt_f32_e32 vcc_lo, 0x3f2aaaab, v5
	v_add_f32_e32 v5, -1.0, v9
	v_sub_f32_e32 v53, v5, v9
	v_sub_f32_e32 v5, v8, v5
	s_delay_alu instid0(VALU_DEP_2) | instskip(NEXT) | instid1(VALU_DEP_1)
	v_add_f32_e32 v53, 1.0, v53
	v_add_f32_e32 v5, v5, v53
	v_cmp_gt_f32_e64 s20, 0x33800000, v8
	v_subrev_co_ci_u32_e32 v4, vcc_lo, 0, v4, vcc_lo
	v_cmp_eq_f32_e32 vcc_lo, 0x7f800000, v8
	s_delay_alu instid0(VALU_DEP_2) | instskip(SKIP_2) | instid1(VALU_DEP_2)
	v_sub_nc_u32_e32 v52, 0, v4
	v_cvt_f32_i32_e32 v4, v4
	s_or_b32 vcc_lo, s20, vcc_lo
	v_ldexp_f32 v9, v9, v52
	v_ldexp_f32 v5, v5, v52
	s_delay_alu instid0(VALU_DEP_2) | instskip(NEXT) | instid1(VALU_DEP_1)
	v_add_f32_e32 v52, -1.0, v9
	v_dual_add_f32 v54, 1.0, v9 :: v_dual_add_f32 v55, 1.0, v52
	s_delay_alu instid0(VALU_DEP_1) | instskip(NEXT) | instid1(VALU_DEP_1)
	v_add_f32_e32 v53, -1.0, v54
	v_sub_f32_e32 v53, v9, v53
	s_delay_alu instid0(VALU_DEP_3) | instskip(NEXT) | instid1(VALU_DEP_2)
	v_sub_f32_e32 v9, v9, v55
	v_add_f32_e32 v53, v5, v53
	s_delay_alu instid0(VALU_DEP_2) | instskip(NEXT) | instid1(VALU_DEP_1)
	v_add_f32_e32 v5, v5, v9
	v_add_f32_e32 v56, v52, v5
	s_delay_alu instid0(VALU_DEP_1) | instskip(NEXT) | instid1(VALU_DEP_1)
	v_dual_add_f32 v55, v54, v53 :: v_dual_sub_f32 v52, v52, v56
	v_rcp_f32_e32 v9, v55
	v_sub_f32_e32 v54, v54, v55
	s_delay_alu instid0(VALU_DEP_1) | instskip(SKIP_2) | instid1(VALU_DEP_1)
	v_add_f32_e32 v53, v53, v54
	s_waitcnt_depctr 0xfff
	v_mul_f32_e32 v57, v56, v9
	v_mul_f32_e32 v58, v55, v57
	s_delay_alu instid0(VALU_DEP_1) | instskip(NEXT) | instid1(VALU_DEP_1)
	v_fma_f32 v54, v57, v55, -v58
	v_fmac_f32_e32 v54, v57, v53
	s_delay_alu instid0(VALU_DEP_1) | instskip(NEXT) | instid1(VALU_DEP_1)
	v_add_f32_e32 v59, v58, v54
	v_sub_f32_e32 v60, v56, v59
	s_delay_alu instid0(VALU_DEP_1) | instskip(SKIP_1) | instid1(VALU_DEP_2)
	v_sub_f32_e32 v56, v56, v60
	v_dual_add_f32 v5, v5, v52 :: v_dual_sub_f32 v52, v59, v58
	v_sub_f32_e32 v56, v56, v59
	s_delay_alu instid0(VALU_DEP_1) | instskip(NEXT) | instid1(VALU_DEP_1)
	v_dual_sub_f32 v52, v52, v54 :: v_dual_add_f32 v5, v5, v56
	v_add_f32_e32 v5, v52, v5
	s_delay_alu instid0(VALU_DEP_1) | instskip(NEXT) | instid1(VALU_DEP_1)
	v_add_f32_e32 v52, v60, v5
	v_mul_f32_e32 v54, v9, v52
	s_delay_alu instid0(VALU_DEP_1) | instskip(NEXT) | instid1(VALU_DEP_1)
	v_dual_sub_f32 v59, v60, v52 :: v_dual_mul_f32 v56, v55, v54
	v_add_f32_e32 v5, v5, v59
	s_delay_alu instid0(VALU_DEP_2) | instskip(NEXT) | instid1(VALU_DEP_1)
	v_fma_f32 v55, v54, v55, -v56
	v_fmac_f32_e32 v55, v54, v53
	s_delay_alu instid0(VALU_DEP_1) | instskip(NEXT) | instid1(VALU_DEP_1)
	v_add_f32_e32 v53, v56, v55
	v_sub_f32_e32 v58, v52, v53
	s_delay_alu instid0(VALU_DEP_1) | instskip(NEXT) | instid1(VALU_DEP_1)
	v_sub_f32_e32 v52, v52, v58
	v_sub_f32_e32 v52, v52, v53
	s_delay_alu instid0(VALU_DEP_1) | instskip(SKIP_2) | instid1(VALU_DEP_1)
	v_add_f32_e32 v5, v5, v52
	v_add_f32_e32 v52, v57, v54
	v_sub_f32_e32 v56, v53, v56
	v_sub_f32_e32 v53, v56, v55
	s_delay_alu instid0(VALU_DEP_1) | instskip(NEXT) | instid1(VALU_DEP_4)
	v_add_f32_e32 v5, v53, v5
	v_sub_f32_e32 v53, v52, v57
	s_delay_alu instid0(VALU_DEP_2) | instskip(NEXT) | instid1(VALU_DEP_2)
	v_add_f32_e32 v5, v58, v5
	v_sub_f32_e32 v53, v54, v53
	s_delay_alu instid0(VALU_DEP_2) | instskip(NEXT) | instid1(VALU_DEP_1)
	v_mul_f32_e32 v5, v9, v5
	v_add_f32_e32 v5, v53, v5
	s_delay_alu instid0(VALU_DEP_1) | instskip(NEXT) | instid1(VALU_DEP_1)
	v_add_f32_e32 v9, v52, v5
	v_mul_f32_e32 v53, v9, v9
	s_delay_alu instid0(VALU_DEP_1) | instskip(SKIP_1) | instid1(VALU_DEP_2)
	v_fmaak_f32 v54, s67, v53, 0x3ecc95a3
	v_mul_f32_e32 v55, v9, v53
	v_fmaak_f32 v53, v53, v54, 0x3f2aaada
	v_ldexp_f32 v54, v9, 1
	s_delay_alu instid0(VALU_DEP_2) | instskip(NEXT) | instid1(VALU_DEP_1)
	v_mul_f32_e32 v53, v55, v53
	v_dual_sub_f32 v9, v9, v52 :: v_dual_add_f32 v52, v54, v53
	s_delay_alu instid0(VALU_DEP_1) | instskip(NEXT) | instid1(VALU_DEP_2)
	v_sub_f32_e32 v5, v5, v9
	v_sub_f32_e32 v9, v52, v54
	s_delay_alu instid0(VALU_DEP_2) | instskip(NEXT) | instid1(VALU_DEP_2)
	v_ldexp_f32 v5, v5, 1
	v_sub_f32_e32 v9, v53, v9
	v_mul_f32_e32 v55, 0x3f317218, v4
	s_delay_alu instid0(VALU_DEP_1) | instskip(NEXT) | instid1(VALU_DEP_1)
	v_fma_f32 v54, 0x3f317218, v4, -v55
	v_fmac_f32_e32 v54, 0xb102e308, v4
	s_delay_alu instid0(VALU_DEP_1) | instskip(NEXT) | instid1(VALU_DEP_1)
	v_dual_add_f32 v4, v5, v9 :: v_dual_add_f32 v5, v55, v54
	v_add_f32_e32 v9, v52, v4
	s_delay_alu instid0(VALU_DEP_1) | instskip(SKIP_1) | instid1(VALU_DEP_2)
	v_add_f32_e32 v53, v5, v9
	v_sub_f32_e32 v52, v9, v52
	v_sub_f32_e32 v56, v53, v5
	s_delay_alu instid0(VALU_DEP_2) | instskip(NEXT) | instid1(VALU_DEP_2)
	v_dual_sub_f32 v4, v4, v52 :: v_dual_sub_f32 v55, v5, v55
	v_sub_f32_e32 v57, v53, v56
	s_delay_alu instid0(VALU_DEP_2) | instskip(NEXT) | instid1(VALU_DEP_1)
	v_dual_sub_f32 v9, v9, v56 :: v_dual_sub_f32 v54, v54, v55
	v_dual_sub_f32 v5, v5, v57 :: v_dual_add_f32 v52, v54, v4
	s_delay_alu instid0(VALU_DEP_1) | instskip(NEXT) | instid1(VALU_DEP_2)
	v_add_f32_e32 v5, v9, v5
	v_sub_f32_e32 v9, v52, v54
	s_delay_alu instid0(VALU_DEP_2) | instskip(NEXT) | instid1(VALU_DEP_2)
	v_add_f32_e32 v5, v52, v5
	v_sub_f32_e32 v52, v52, v9
	v_sub_f32_e32 v4, v4, v9
	s_delay_alu instid0(VALU_DEP_2) | instskip(NEXT) | instid1(VALU_DEP_1)
	v_dual_add_f32 v55, v53, v5 :: v_dual_sub_f32 v52, v54, v52
	v_dual_sub_f32 v9, v55, v53 :: v_dual_add_f32 v4, v4, v52
	s_delay_alu instid0(VALU_DEP_1) | instskip(NEXT) | instid1(VALU_DEP_1)
	v_sub_f32_e32 v5, v5, v9
	v_add_f32_e32 v4, v4, v5
	s_delay_alu instid0(VALU_DEP_1) | instskip(NEXT) | instid1(VALU_DEP_1)
	v_add_f32_e32 v4, v55, v4
	v_cndmask_b32_e32 v52, v4, v8, vcc_lo
.LBB14_50:                              ;   in Loop: Header=BB14_12 Depth=1
	s_or_b32 exec_lo, exec_lo, s21
	v_lshlrev_b32_e32 v4, 16, v6
	s_delay_alu instid0(VALU_DEP_1) | instskip(NEXT) | instid1(VALU_DEP_1)
	v_add_f32_e32 v53, s52, v4
	v_cmp_ge_f32_e32 vcc_lo, 0x41a00000, v53
	s_and_b32 s20, s63, vcc_lo
	s_delay_alu instid0(SALU_CYCLE_1)
	s_and_saveexec_b32 s21, s20
	s_cbranch_execz .LBB14_52
; %bb.51:                               ;   in Loop: Header=BB14_12 Depth=1
	v_mul_f32_e32 v4, 0x3fb8aa3b, v53
	v_cmp_ngt_f32_e32 vcc_lo, 0xc2ce8ed0, v53
	s_delay_alu instid0(VALU_DEP_2) | instskip(SKIP_1) | instid1(VALU_DEP_2)
	v_rndne_f32_e32 v5, v4
	v_fma_f32 v8, 0x3fb8aa3b, v53, -v4
	v_sub_f32_e32 v4, v4, v5
	s_delay_alu instid0(VALU_DEP_2) | instskip(SKIP_1) | instid1(VALU_DEP_2)
	v_fmac_f32_e32 v8, 0x32a5705f, v53
	v_cvt_i32_f32_e32 v5, v5
	v_add_f32_e32 v4, v4, v8
	s_delay_alu instid0(VALU_DEP_1) | instskip(SKIP_2) | instid1(VALU_DEP_1)
	v_exp_f32_e32 v4, v4
	s_waitcnt_depctr 0xfff
	v_ldexp_f32 v4, v4, v5
	v_cndmask_b32_e32 v4, 0, v4, vcc_lo
	v_cmp_nlt_f32_e32 vcc_lo, 0x42b17218, v53
	s_delay_alu instid0(VALU_DEP_2) | instskip(NEXT) | instid1(VALU_DEP_1)
	v_cndmask_b32_e32 v8, 0x7f800000, v4, vcc_lo
	v_add_f32_e32 v9, 1.0, v8
	s_delay_alu instid0(VALU_DEP_1) | instskip(NEXT) | instid1(VALU_DEP_1)
	v_cvt_f64_f32_e32 v[4:5], v9
	v_frexp_exp_i32_f64_e32 v4, v[4:5]
	v_frexp_mant_f32_e32 v5, v9
	s_delay_alu instid0(VALU_DEP_1) | instskip(SKIP_1) | instid1(VALU_DEP_1)
	v_cmp_gt_f32_e32 vcc_lo, 0x3f2aaaab, v5
	v_add_f32_e32 v5, -1.0, v9
	v_sub_f32_e32 v54, v5, v9
	v_subrev_co_ci_u32_e32 v4, vcc_lo, 0, v4, vcc_lo
	s_delay_alu instid0(VALU_DEP_1) | instskip(SKIP_1) | instid1(VALU_DEP_2)
	v_sub_nc_u32_e32 v53, 0, v4
	v_cvt_f32_i32_e32 v4, v4
	v_ldexp_f32 v9, v9, v53
	s_delay_alu instid0(VALU_DEP_1) | instskip(SKIP_3) | instid1(VALU_DEP_3)
	v_dual_add_f32 v54, 1.0, v54 :: v_dual_add_f32 v55, 1.0, v9
	v_sub_f32_e32 v5, v8, v5
	v_cmp_eq_f32_e32 vcc_lo, 0x7f800000, v8
	v_cmp_gt_f32_e64 s20, 0x33800000, v8
	v_add_f32_e32 v5, v5, v54
	s_delay_alu instid0(VALU_DEP_2) | instskip(NEXT) | instid1(VALU_DEP_1)
	s_or_b32 vcc_lo, s20, vcc_lo
	v_ldexp_f32 v5, v5, v53
	v_dual_add_f32 v53, -1.0, v9 :: v_dual_add_f32 v54, -1.0, v55
	s_delay_alu instid0(VALU_DEP_1) | instskip(NEXT) | instid1(VALU_DEP_2)
	v_add_f32_e32 v56, 1.0, v53
	v_sub_f32_e32 v54, v9, v54
	s_delay_alu instid0(VALU_DEP_2) | instskip(NEXT) | instid1(VALU_DEP_2)
	v_sub_f32_e32 v9, v9, v56
	v_add_f32_e32 v54, v5, v54
	s_delay_alu instid0(VALU_DEP_1) | instskip(NEXT) | instid1(VALU_DEP_1)
	v_dual_add_f32 v5, v5, v9 :: v_dual_add_f32 v56, v55, v54
	v_add_f32_e32 v57, v53, v5
	s_delay_alu instid0(VALU_DEP_2) | instskip(SKIP_1) | instid1(VALU_DEP_1)
	v_rcp_f32_e32 v9, v56
	v_sub_f32_e32 v55, v55, v56
	v_dual_sub_f32 v53, v53, v57 :: v_dual_add_f32 v54, v54, v55
	s_delay_alu instid0(VALU_DEP_1) | instskip(SKIP_2) | instid1(VALU_DEP_1)
	v_add_f32_e32 v5, v5, v53
	s_waitcnt_depctr 0xfff
	v_mul_f32_e32 v58, v57, v9
	v_mul_f32_e32 v59, v56, v58
	s_delay_alu instid0(VALU_DEP_1) | instskip(NEXT) | instid1(VALU_DEP_1)
	v_fma_f32 v55, v58, v56, -v59
	v_fmac_f32_e32 v55, v58, v54
	s_delay_alu instid0(VALU_DEP_1) | instskip(NEXT) | instid1(VALU_DEP_1)
	v_add_f32_e32 v60, v59, v55
	v_sub_f32_e32 v61, v57, v60
	v_sub_f32_e32 v53, v60, v59
	s_delay_alu instid0(VALU_DEP_2) | instskip(NEXT) | instid1(VALU_DEP_2)
	v_sub_f32_e32 v57, v57, v61
	v_sub_f32_e32 v53, v53, v55
	s_delay_alu instid0(VALU_DEP_2) | instskip(NEXT) | instid1(VALU_DEP_1)
	v_sub_f32_e32 v57, v57, v60
	v_add_f32_e32 v5, v5, v57
	s_delay_alu instid0(VALU_DEP_1) | instskip(NEXT) | instid1(VALU_DEP_1)
	v_add_f32_e32 v5, v53, v5
	v_add_f32_e32 v53, v61, v5
	s_delay_alu instid0(VALU_DEP_1) | instskip(NEXT) | instid1(VALU_DEP_1)
	v_mul_f32_e32 v55, v9, v53
	v_mul_f32_e32 v57, v56, v55
	s_delay_alu instid0(VALU_DEP_1) | instskip(NEXT) | instid1(VALU_DEP_1)
	v_fma_f32 v56, v55, v56, -v57
	v_fmac_f32_e32 v56, v55, v54
	v_sub_f32_e32 v60, v61, v53
	s_delay_alu instid0(VALU_DEP_2) | instskip(NEXT) | instid1(VALU_DEP_2)
	v_add_f32_e32 v54, v57, v56
	v_add_f32_e32 v5, v5, v60
	s_delay_alu instid0(VALU_DEP_2) | instskip(NEXT) | instid1(VALU_DEP_1)
	v_sub_f32_e32 v59, v53, v54
	v_sub_f32_e32 v53, v53, v59
	s_delay_alu instid0(VALU_DEP_1) | instskip(NEXT) | instid1(VALU_DEP_1)
	v_sub_f32_e32 v53, v53, v54
	v_add_f32_e32 v5, v5, v53
	v_add_f32_e32 v53, v58, v55
	v_sub_f32_e32 v57, v54, v57
	s_delay_alu instid0(VALU_DEP_1) | instskip(NEXT) | instid1(VALU_DEP_1)
	v_sub_f32_e32 v54, v57, v56
	v_dual_add_f32 v5, v54, v5 :: v_dual_sub_f32 v54, v53, v58
	s_delay_alu instid0(VALU_DEP_1) | instskip(NEXT) | instid1(VALU_DEP_1)
	v_add_f32_e32 v5, v59, v5
	v_dual_sub_f32 v54, v55, v54 :: v_dual_mul_f32 v5, v9, v5
	s_delay_alu instid0(VALU_DEP_1) | instskip(NEXT) | instid1(VALU_DEP_1)
	v_add_f32_e32 v5, v54, v5
	v_add_f32_e32 v9, v53, v5
	s_delay_alu instid0(VALU_DEP_1) | instskip(NEXT) | instid1(VALU_DEP_1)
	v_mul_f32_e32 v54, v9, v9
	v_fmaak_f32 v55, s67, v54, 0x3ecc95a3
	v_mul_f32_e32 v56, v9, v54
	s_delay_alu instid0(VALU_DEP_2) | instskip(SKIP_1) | instid1(VALU_DEP_2)
	v_fmaak_f32 v54, v54, v55, 0x3f2aaada
	v_ldexp_f32 v55, v9, 1
	v_dual_sub_f32 v9, v9, v53 :: v_dual_mul_f32 v54, v56, v54
	s_delay_alu instid0(VALU_DEP_1) | instskip(NEXT) | instid1(VALU_DEP_2)
	v_dual_mul_f32 v56, 0x3f317218, v4 :: v_dual_sub_f32 v5, v5, v9
	v_add_f32_e32 v53, v55, v54
	s_delay_alu instid0(VALU_DEP_2) | instskip(NEXT) | instid1(VALU_DEP_2)
	v_ldexp_f32 v5, v5, 1
	v_sub_f32_e32 v9, v53, v55
	s_delay_alu instid0(VALU_DEP_4) | instskip(NEXT) | instid1(VALU_DEP_2)
	v_fma_f32 v55, 0x3f317218, v4, -v56
	v_sub_f32_e32 v9, v54, v9
	s_delay_alu instid0(VALU_DEP_1) | instskip(NEXT) | instid1(VALU_DEP_1)
	v_dual_fmac_f32 v55, 0xb102e308, v4 :: v_dual_add_f32 v4, v5, v9
	v_add_f32_e32 v5, v56, v55
	s_delay_alu instid0(VALU_DEP_2) | instskip(NEXT) | instid1(VALU_DEP_2)
	v_add_f32_e32 v9, v53, v4
	v_sub_f32_e32 v56, v5, v56
	s_delay_alu instid0(VALU_DEP_1) | instskip(SKIP_1) | instid1(VALU_DEP_2)
	v_dual_add_f32 v54, v5, v9 :: v_dual_sub_f32 v55, v55, v56
	v_sub_f32_e32 v53, v9, v53
	v_sub_f32_e32 v57, v54, v5
	s_delay_alu instid0(VALU_DEP_2) | instskip(NEXT) | instid1(VALU_DEP_2)
	v_sub_f32_e32 v4, v4, v53
	v_sub_f32_e32 v58, v54, v57
	;; [unrolled: 1-line block ×3, first 2 shown]
	s_delay_alu instid0(VALU_DEP_3) | instskip(NEXT) | instid1(VALU_DEP_3)
	v_add_f32_e32 v53, v55, v4
	v_sub_f32_e32 v5, v5, v58
	s_delay_alu instid0(VALU_DEP_1) | instskip(NEXT) | instid1(VALU_DEP_3)
	v_add_f32_e32 v5, v9, v5
	v_sub_f32_e32 v9, v53, v55
	s_delay_alu instid0(VALU_DEP_2) | instskip(NEXT) | instid1(VALU_DEP_2)
	v_add_f32_e32 v5, v53, v5
	v_sub_f32_e32 v53, v53, v9
	v_sub_f32_e32 v4, v4, v9
	s_delay_alu instid0(VALU_DEP_3) | instskip(NEXT) | instid1(VALU_DEP_3)
	v_add_f32_e32 v56, v54, v5
	v_sub_f32_e32 v53, v55, v53
	s_delay_alu instid0(VALU_DEP_2) | instskip(NEXT) | instid1(VALU_DEP_2)
	v_sub_f32_e32 v9, v56, v54
	v_add_f32_e32 v4, v4, v53
	s_delay_alu instid0(VALU_DEP_2) | instskip(NEXT) | instid1(VALU_DEP_1)
	v_sub_f32_e32 v5, v5, v9
	v_add_f32_e32 v4, v4, v5
	s_delay_alu instid0(VALU_DEP_1) | instskip(NEXT) | instid1(VALU_DEP_1)
	v_add_f32_e32 v4, v56, v4
	v_cndmask_b32_e32 v53, v4, v8, vcc_lo
.LBB14_52:                              ;   in Loop: Header=BB14_12 Depth=1
	s_or_b32 exec_lo, exec_lo, s21
	v_and_b32_e32 v4, 0xffff0000, v6
	s_delay_alu instid0(VALU_DEP_1) | instskip(NEXT) | instid1(VALU_DEP_1)
	v_add_f32_e32 v54, s52, v4
	v_cmp_ge_f32_e32 vcc_lo, 0x41a00000, v54
	s_and_b32 s20, s63, vcc_lo
	s_delay_alu instid0(SALU_CYCLE_1)
	s_and_saveexec_b32 s21, s20
	s_cbranch_execz .LBB14_54
; %bb.53:                               ;   in Loop: Header=BB14_12 Depth=1
	v_mul_f32_e32 v4, 0x3fb8aa3b, v54
	v_cmp_ngt_f32_e32 vcc_lo, 0xc2ce8ed0, v54
	s_delay_alu instid0(VALU_DEP_2) | instskip(SKIP_1) | instid1(VALU_DEP_2)
	v_rndne_f32_e32 v5, v4
	v_fma_f32 v6, 0x3fb8aa3b, v54, -v4
	v_sub_f32_e32 v4, v4, v5
	s_delay_alu instid0(VALU_DEP_2) | instskip(SKIP_1) | instid1(VALU_DEP_2)
	v_fmac_f32_e32 v6, 0x32a5705f, v54
	v_cvt_i32_f32_e32 v5, v5
	v_add_f32_e32 v4, v4, v6
	s_delay_alu instid0(VALU_DEP_1) | instskip(SKIP_2) | instid1(VALU_DEP_1)
	v_exp_f32_e32 v4, v4
	s_waitcnt_depctr 0xfff
	v_ldexp_f32 v4, v4, v5
	v_cndmask_b32_e32 v4, 0, v4, vcc_lo
	v_cmp_nlt_f32_e32 vcc_lo, 0x42b17218, v54
	s_delay_alu instid0(VALU_DEP_2) | instskip(NEXT) | instid1(VALU_DEP_1)
	v_cndmask_b32_e32 v6, 0x7f800000, v4, vcc_lo
	v_add_f32_e32 v8, 1.0, v6
	s_delay_alu instid0(VALU_DEP_1) | instskip(NEXT) | instid1(VALU_DEP_1)
	v_cvt_f64_f32_e32 v[4:5], v8
	v_frexp_exp_i32_f64_e32 v4, v[4:5]
	v_frexp_mant_f32_e32 v5, v8
	s_delay_alu instid0(VALU_DEP_1) | instskip(SKIP_1) | instid1(VALU_DEP_1)
	v_cmp_gt_f32_e32 vcc_lo, 0x3f2aaaab, v5
	v_add_f32_e32 v5, -1.0, v8
	v_dual_sub_f32 v54, v5, v8 :: v_dual_sub_f32 v5, v6, v5
	s_delay_alu instid0(VALU_DEP_1) | instskip(NEXT) | instid1(VALU_DEP_1)
	v_add_f32_e32 v54, 1.0, v54
	v_add_f32_e32 v5, v5, v54
	v_subrev_co_ci_u32_e32 v4, vcc_lo, 0, v4, vcc_lo
	s_delay_alu instid0(VALU_DEP_1) | instskip(SKIP_1) | instid1(VALU_DEP_2)
	v_sub_nc_u32_e32 v9, 0, v4
	v_cvt_f32_i32_e32 v4, v4
	v_ldexp_f32 v8, v8, v9
	v_ldexp_f32 v5, v5, v9
	s_delay_alu instid0(VALU_DEP_2) | instskip(NEXT) | instid1(VALU_DEP_1)
	v_add_f32_e32 v55, 1.0, v8
	v_dual_add_f32 v9, -1.0, v8 :: v_dual_add_f32 v54, -1.0, v55
	s_delay_alu instid0(VALU_DEP_1) | instskip(NEXT) | instid1(VALU_DEP_2)
	v_add_f32_e32 v56, 1.0, v9
	v_sub_f32_e32 v54, v8, v54
	s_delay_alu instid0(VALU_DEP_2) | instskip(NEXT) | instid1(VALU_DEP_2)
	v_sub_f32_e32 v8, v8, v56
	v_add_f32_e32 v54, v5, v54
	s_delay_alu instid0(VALU_DEP_2) | instskip(NEXT) | instid1(VALU_DEP_1)
	v_add_f32_e32 v5, v5, v8
	v_add_f32_e32 v57, v9, v5
	v_cmp_eq_f32_e32 vcc_lo, 0x7f800000, v6
	v_cmp_gt_f32_e64 s20, 0x33800000, v6
	s_delay_alu instid0(VALU_DEP_3) | instskip(NEXT) | instid1(VALU_DEP_2)
	v_dual_sub_f32 v9, v9, v57 :: v_dual_add_f32 v56, v55, v54
	s_or_b32 vcc_lo, s20, vcc_lo
	s_delay_alu instid0(VALU_DEP_1) | instskip(NEXT) | instid1(VALU_DEP_2)
	v_add_f32_e32 v5, v5, v9
	v_rcp_f32_e32 v8, v56
	v_sub_f32_e32 v55, v55, v56
	s_delay_alu instid0(VALU_DEP_1) | instskip(SKIP_2) | instid1(VALU_DEP_1)
	v_add_f32_e32 v54, v54, v55
	s_waitcnt_depctr 0xfff
	v_mul_f32_e32 v58, v57, v8
	v_mul_f32_e32 v59, v56, v58
	s_delay_alu instid0(VALU_DEP_1) | instskip(NEXT) | instid1(VALU_DEP_1)
	v_fma_f32 v55, v58, v56, -v59
	v_fmac_f32_e32 v55, v58, v54
	s_delay_alu instid0(VALU_DEP_1) | instskip(NEXT) | instid1(VALU_DEP_1)
	v_add_f32_e32 v60, v59, v55
	v_sub_f32_e32 v61, v57, v60
	s_delay_alu instid0(VALU_DEP_1) | instskip(NEXT) | instid1(VALU_DEP_1)
	v_sub_f32_e32 v57, v57, v61
	v_sub_f32_e32 v57, v57, v60
	s_delay_alu instid0(VALU_DEP_1) | instskip(SKIP_1) | instid1(VALU_DEP_1)
	v_add_f32_e32 v5, v5, v57
	v_sub_f32_e32 v9, v60, v59
	v_sub_f32_e32 v9, v9, v55
	s_delay_alu instid0(VALU_DEP_1) | instskip(NEXT) | instid1(VALU_DEP_1)
	v_add_f32_e32 v5, v9, v5
	v_add_f32_e32 v9, v61, v5
	s_delay_alu instid0(VALU_DEP_1) | instskip(NEXT) | instid1(VALU_DEP_1)
	v_mul_f32_e32 v55, v8, v9
	v_dual_sub_f32 v60, v61, v9 :: v_dual_mul_f32 v57, v56, v55
	s_delay_alu instid0(VALU_DEP_1) | instskip(NEXT) | instid1(VALU_DEP_2)
	v_add_f32_e32 v5, v5, v60
	v_fma_f32 v56, v55, v56, -v57
	s_delay_alu instid0(VALU_DEP_1) | instskip(NEXT) | instid1(VALU_DEP_1)
	v_fmac_f32_e32 v56, v55, v54
	v_add_f32_e32 v54, v57, v56
	s_delay_alu instid0(VALU_DEP_1) | instskip(NEXT) | instid1(VALU_DEP_1)
	v_sub_f32_e32 v59, v9, v54
	v_sub_f32_e32 v9, v9, v59
	s_delay_alu instid0(VALU_DEP_1) | instskip(NEXT) | instid1(VALU_DEP_1)
	v_sub_f32_e32 v9, v9, v54
	v_add_f32_e32 v5, v5, v9
	v_add_f32_e32 v9, v58, v55
	v_sub_f32_e32 v57, v54, v57
	s_delay_alu instid0(VALU_DEP_1) | instskip(NEXT) | instid1(VALU_DEP_1)
	v_sub_f32_e32 v54, v57, v56
	v_dual_add_f32 v5, v54, v5 :: v_dual_sub_f32 v54, v9, v58
	s_delay_alu instid0(VALU_DEP_1) | instskip(NEXT) | instid1(VALU_DEP_1)
	v_add_f32_e32 v5, v59, v5
	v_dual_sub_f32 v54, v55, v54 :: v_dual_mul_f32 v5, v8, v5
	s_delay_alu instid0(VALU_DEP_1) | instskip(NEXT) | instid1(VALU_DEP_1)
	v_add_f32_e32 v5, v54, v5
	v_add_f32_e32 v8, v9, v5
	s_delay_alu instid0(VALU_DEP_1) | instskip(NEXT) | instid1(VALU_DEP_1)
	v_mul_f32_e32 v54, v8, v8
	v_fmaak_f32 v55, s67, v54, 0x3ecc95a3
	v_mul_f32_e32 v56, v8, v54
	s_delay_alu instid0(VALU_DEP_2) | instskip(SKIP_1) | instid1(VALU_DEP_2)
	v_fmaak_f32 v54, v54, v55, 0x3f2aaada
	v_ldexp_f32 v55, v8, 1
	v_mul_f32_e32 v54, v56, v54
	v_sub_f32_e32 v8, v8, v9
	s_delay_alu instid0(VALU_DEP_2) | instskip(NEXT) | instid1(VALU_DEP_2)
	v_dual_mul_f32 v56, 0x3f317218, v4 :: v_dual_add_f32 v9, v55, v54
	v_sub_f32_e32 v5, v5, v8
	s_delay_alu instid0(VALU_DEP_2) | instskip(NEXT) | instid1(VALU_DEP_3)
	v_sub_f32_e32 v8, v9, v55
	v_fma_f32 v55, 0x3f317218, v4, -v56
	s_delay_alu instid0(VALU_DEP_3) | instskip(NEXT) | instid1(VALU_DEP_3)
	v_ldexp_f32 v5, v5, 1
	v_sub_f32_e32 v8, v54, v8
	s_delay_alu instid0(VALU_DEP_3) | instskip(NEXT) | instid1(VALU_DEP_2)
	v_fmac_f32_e32 v55, 0xb102e308, v4
	v_add_f32_e32 v4, v5, v8
	s_delay_alu instid0(VALU_DEP_1) | instskip(NEXT) | instid1(VALU_DEP_1)
	v_add_f32_e32 v8, v9, v4
	v_sub_f32_e32 v9, v8, v9
	s_delay_alu instid0(VALU_DEP_1) | instskip(SKIP_1) | instid1(VALU_DEP_1)
	v_sub_f32_e32 v4, v4, v9
	v_add_f32_e32 v5, v56, v55
	v_add_f32_e32 v54, v5, v8
	s_delay_alu instid0(VALU_DEP_1) | instskip(NEXT) | instid1(VALU_DEP_1)
	v_dual_sub_f32 v56, v5, v56 :: v_dual_sub_f32 v57, v54, v5
	v_dual_sub_f32 v55, v55, v56 :: v_dual_sub_f32 v8, v8, v57
	v_sub_f32_e32 v58, v54, v57
	s_delay_alu instid0(VALU_DEP_1) | instskip(NEXT) | instid1(VALU_DEP_1)
	v_sub_f32_e32 v5, v5, v58
	v_add_f32_e32 v5, v8, v5
	s_delay_alu instid0(VALU_DEP_4) | instskip(NEXT) | instid1(VALU_DEP_1)
	v_add_f32_e32 v9, v55, v4
	v_add_f32_e32 v5, v9, v5
	s_delay_alu instid0(VALU_DEP_1) | instskip(SKIP_1) | instid1(VALU_DEP_1)
	v_add_f32_e32 v56, v54, v5
	v_sub_f32_e32 v8, v9, v55
	v_sub_f32_e32 v9, v9, v8
	;; [unrolled: 1-line block ×3, first 2 shown]
	s_delay_alu instid0(VALU_DEP_2) | instskip(NEXT) | instid1(VALU_DEP_1)
	v_dual_sub_f32 v8, v56, v54 :: v_dual_sub_f32 v9, v55, v9
	v_dual_sub_f32 v5, v5, v8 :: v_dual_add_f32 v4, v4, v9
	s_delay_alu instid0(VALU_DEP_1) | instskip(NEXT) | instid1(VALU_DEP_1)
	v_add_f32_e32 v4, v4, v5
	v_add_f32_e32 v4, v56, v4
	s_delay_alu instid0(VALU_DEP_1)
	v_cndmask_b32_e32 v54, v4, v6, vcc_lo
.LBB14_54:                              ;   in Loop: Header=BB14_12 Depth=1
	s_or_b32 exec_lo, exec_lo, s21
	v_lshlrev_b32_e32 v4, 16, v7
	s_delay_alu instid0(VALU_DEP_1) | instskip(NEXT) | instid1(VALU_DEP_1)
	v_add_f32_e32 v55, s52, v4
	v_cmp_ge_f32_e32 vcc_lo, 0x41a00000, v55
	s_and_b32 s20, s63, vcc_lo
	s_delay_alu instid0(SALU_CYCLE_1)
	s_and_saveexec_b32 s21, s20
	s_cbranch_execz .LBB14_56
; %bb.55:                               ;   in Loop: Header=BB14_12 Depth=1
	v_mul_f32_e32 v4, 0x3fb8aa3b, v55
	v_cmp_ngt_f32_e32 vcc_lo, 0xc2ce8ed0, v55
	s_delay_alu instid0(VALU_DEP_2) | instskip(SKIP_1) | instid1(VALU_DEP_2)
	v_rndne_f32_e32 v5, v4
	v_fma_f32 v6, 0x3fb8aa3b, v55, -v4
	v_sub_f32_e32 v4, v4, v5
	s_delay_alu instid0(VALU_DEP_2) | instskip(SKIP_1) | instid1(VALU_DEP_2)
	v_fmac_f32_e32 v6, 0x32a5705f, v55
	v_cvt_i32_f32_e32 v5, v5
	v_add_f32_e32 v4, v4, v6
	s_delay_alu instid0(VALU_DEP_1) | instskip(SKIP_2) | instid1(VALU_DEP_1)
	v_exp_f32_e32 v4, v4
	s_waitcnt_depctr 0xfff
	v_ldexp_f32 v4, v4, v5
	v_cndmask_b32_e32 v4, 0, v4, vcc_lo
	v_cmp_nlt_f32_e32 vcc_lo, 0x42b17218, v55
	s_delay_alu instid0(VALU_DEP_2) | instskip(NEXT) | instid1(VALU_DEP_1)
	v_cndmask_b32_e32 v6, 0x7f800000, v4, vcc_lo
	v_add_f32_e32 v8, 1.0, v6
	s_delay_alu instid0(VALU_DEP_1) | instskip(NEXT) | instid1(VALU_DEP_1)
	v_cvt_f64_f32_e32 v[4:5], v8
	v_frexp_exp_i32_f64_e32 v4, v[4:5]
	v_frexp_mant_f32_e32 v5, v8
	s_delay_alu instid0(VALU_DEP_1) | instskip(SKIP_1) | instid1(VALU_DEP_1)
	v_cmp_gt_f32_e32 vcc_lo, 0x3f2aaaab, v5
	v_add_f32_e32 v5, -1.0, v8
	v_sub_f32_e32 v55, v5, v8
	v_sub_f32_e32 v5, v6, v5
	s_delay_alu instid0(VALU_DEP_2) | instskip(NEXT) | instid1(VALU_DEP_1)
	v_add_f32_e32 v55, 1.0, v55
	v_add_f32_e32 v5, v5, v55
	v_cmp_gt_f32_e64 s20, 0x33800000, v6
	v_subrev_co_ci_u32_e32 v4, vcc_lo, 0, v4, vcc_lo
	v_cmp_eq_f32_e32 vcc_lo, 0x7f800000, v6
	s_delay_alu instid0(VALU_DEP_2) | instskip(SKIP_2) | instid1(VALU_DEP_2)
	v_sub_nc_u32_e32 v9, 0, v4
	v_cvt_f32_i32_e32 v4, v4
	s_or_b32 vcc_lo, s20, vcc_lo
	v_ldexp_f32 v8, v8, v9
	v_ldexp_f32 v5, v5, v9
	s_delay_alu instid0(VALU_DEP_2) | instskip(SKIP_1) | instid1(VALU_DEP_2)
	v_add_f32_e32 v56, 1.0, v8
	v_add_f32_e32 v9, -1.0, v8
	v_add_f32_e32 v55, -1.0, v56
	s_delay_alu instid0(VALU_DEP_2) | instskip(NEXT) | instid1(VALU_DEP_2)
	v_add_f32_e32 v57, 1.0, v9
	v_sub_f32_e32 v55, v8, v55
	s_delay_alu instid0(VALU_DEP_1) | instskip(NEXT) | instid1(VALU_DEP_1)
	v_dual_sub_f32 v8, v8, v57 :: v_dual_add_f32 v55, v5, v55
	v_add_f32_e32 v5, v5, v8
	s_delay_alu instid0(VALU_DEP_1) | instskip(NEXT) | instid1(VALU_DEP_1)
	v_dual_add_f32 v57, v56, v55 :: v_dual_add_f32 v58, v9, v5
	v_rcp_f32_e32 v8, v57
	s_delay_alu instid0(VALU_DEP_1) | instskip(NEXT) | instid1(VALU_DEP_1)
	v_dual_sub_f32 v56, v56, v57 :: v_dual_sub_f32 v9, v9, v58
	v_add_f32_e32 v55, v55, v56
	s_waitcnt_depctr 0xfff
	v_mul_f32_e32 v59, v58, v8
	s_delay_alu instid0(VALU_DEP_1) | instskip(NEXT) | instid1(VALU_DEP_1)
	v_mul_f32_e32 v60, v57, v59
	v_fma_f32 v56, v59, v57, -v60
	s_delay_alu instid0(VALU_DEP_1) | instskip(NEXT) | instid1(VALU_DEP_1)
	v_dual_fmac_f32 v56, v59, v55 :: v_dual_add_f32 v5, v5, v9
	v_add_f32_e32 v61, v60, v56
	s_delay_alu instid0(VALU_DEP_1) | instskip(NEXT) | instid1(VALU_DEP_1)
	v_sub_f32_e32 v62, v58, v61
	v_dual_sub_f32 v58, v58, v62 :: v_dual_sub_f32 v9, v61, v60
	s_delay_alu instid0(VALU_DEP_1) | instskip(NEXT) | instid1(VALU_DEP_1)
	v_dual_sub_f32 v58, v58, v61 :: v_dual_sub_f32 v9, v9, v56
	v_add_f32_e32 v5, v5, v58
	s_delay_alu instid0(VALU_DEP_1) | instskip(NEXT) | instid1(VALU_DEP_1)
	v_add_f32_e32 v5, v9, v5
	v_add_f32_e32 v9, v62, v5
	s_delay_alu instid0(VALU_DEP_1) | instskip(NEXT) | instid1(VALU_DEP_1)
	v_mul_f32_e32 v56, v8, v9
	v_dual_mul_f32 v58, v57, v56 :: v_dual_sub_f32 v61, v62, v9
	s_delay_alu instid0(VALU_DEP_1) | instskip(NEXT) | instid1(VALU_DEP_2)
	v_fma_f32 v57, v56, v57, -v58
	v_add_f32_e32 v5, v5, v61
	s_delay_alu instid0(VALU_DEP_2) | instskip(NEXT) | instid1(VALU_DEP_1)
	v_fmac_f32_e32 v57, v56, v55
	v_add_f32_e32 v55, v58, v57
	s_delay_alu instid0(VALU_DEP_1) | instskip(NEXT) | instid1(VALU_DEP_1)
	v_sub_f32_e32 v60, v9, v55
	v_dual_sub_f32 v58, v55, v58 :: v_dual_sub_f32 v9, v9, v60
	s_delay_alu instid0(VALU_DEP_1) | instskip(NEXT) | instid1(VALU_DEP_2)
	v_sub_f32_e32 v9, v9, v55
	v_sub_f32_e32 v55, v58, v57
	s_delay_alu instid0(VALU_DEP_2) | instskip(SKIP_1) | instid1(VALU_DEP_2)
	v_add_f32_e32 v5, v5, v9
	v_add_f32_e32 v9, v59, v56
	;; [unrolled: 1-line block ×3, first 2 shown]
	s_delay_alu instid0(VALU_DEP_2) | instskip(NEXT) | instid1(VALU_DEP_2)
	v_sub_f32_e32 v55, v9, v59
	v_add_f32_e32 v5, v60, v5
	s_delay_alu instid0(VALU_DEP_2) | instskip(NEXT) | instid1(VALU_DEP_2)
	v_sub_f32_e32 v55, v56, v55
	v_mul_f32_e32 v5, v8, v5
	s_delay_alu instid0(VALU_DEP_1) | instskip(NEXT) | instid1(VALU_DEP_1)
	v_add_f32_e32 v5, v55, v5
	v_add_f32_e32 v8, v9, v5
	s_delay_alu instid0(VALU_DEP_1) | instskip(NEXT) | instid1(VALU_DEP_1)
	v_mul_f32_e32 v55, v8, v8
	v_fmaak_f32 v56, s67, v55, 0x3ecc95a3
	v_mul_f32_e32 v57, v8, v55
	s_delay_alu instid0(VALU_DEP_2) | instskip(SKIP_1) | instid1(VALU_DEP_2)
	v_fmaak_f32 v55, v55, v56, 0x3f2aaada
	v_ldexp_f32 v56, v8, 1
	v_dual_sub_f32 v8, v8, v9 :: v_dual_mul_f32 v55, v57, v55
	v_mul_f32_e32 v57, 0x3f317218, v4
	s_delay_alu instid0(VALU_DEP_2) | instskip(NEXT) | instid1(VALU_DEP_3)
	v_sub_f32_e32 v5, v5, v8
	v_add_f32_e32 v9, v56, v55
	s_delay_alu instid0(VALU_DEP_2) | instskip(NEXT) | instid1(VALU_DEP_2)
	v_ldexp_f32 v5, v5, 1
	v_sub_f32_e32 v8, v9, v56
	v_fma_f32 v56, 0x3f317218, v4, -v57
	s_delay_alu instid0(VALU_DEP_2) | instskip(NEXT) | instid1(VALU_DEP_2)
	v_sub_f32_e32 v8, v55, v8
	v_fmac_f32_e32 v56, 0xb102e308, v4
	s_delay_alu instid0(VALU_DEP_2) | instskip(NEXT) | instid1(VALU_DEP_2)
	v_add_f32_e32 v4, v5, v8
	v_add_f32_e32 v5, v57, v56
	s_delay_alu instid0(VALU_DEP_2) | instskip(NEXT) | instid1(VALU_DEP_2)
	v_add_f32_e32 v8, v9, v4
	v_sub_f32_e32 v57, v5, v57
	s_delay_alu instid0(VALU_DEP_2) | instskip(SKIP_1) | instid1(VALU_DEP_3)
	v_add_f32_e32 v55, v5, v8
	v_sub_f32_e32 v9, v8, v9
	v_sub_f32_e32 v56, v56, v57
	s_delay_alu instid0(VALU_DEP_3) | instskip(NEXT) | instid1(VALU_DEP_1)
	v_sub_f32_e32 v58, v55, v5
	v_dual_sub_f32 v4, v4, v9 :: v_dual_sub_f32 v59, v55, v58
	v_sub_f32_e32 v8, v8, v58
	s_delay_alu instid0(VALU_DEP_2) | instskip(NEXT) | instid1(VALU_DEP_3)
	v_add_f32_e32 v9, v56, v4
	v_sub_f32_e32 v5, v5, v59
	s_delay_alu instid0(VALU_DEP_1) | instskip(NEXT) | instid1(VALU_DEP_1)
	v_dual_add_f32 v5, v8, v5 :: v_dual_sub_f32 v8, v9, v56
	v_add_f32_e32 v5, v9, v5
	s_delay_alu instid0(VALU_DEP_2) | instskip(NEXT) | instid1(VALU_DEP_2)
	v_sub_f32_e32 v9, v9, v8
	v_dual_sub_f32 v4, v4, v8 :: v_dual_add_f32 v57, v55, v5
	s_delay_alu instid0(VALU_DEP_1) | instskip(NEXT) | instid1(VALU_DEP_1)
	v_dual_sub_f32 v9, v56, v9 :: v_dual_sub_f32 v8, v57, v55
	v_dual_add_f32 v4, v4, v9 :: v_dual_sub_f32 v5, v5, v8
	s_delay_alu instid0(VALU_DEP_1) | instskip(NEXT) | instid1(VALU_DEP_1)
	v_add_f32_e32 v4, v4, v5
	v_add_f32_e32 v4, v57, v4
	s_delay_alu instid0(VALU_DEP_1)
	v_cndmask_b32_e32 v55, v4, v6, vcc_lo
.LBB14_56:                              ;   in Loop: Header=BB14_12 Depth=1
	s_or_b32 exec_lo, exec_lo, s21
	v_and_b32_e32 v4, 0xffff0000, v7
	s_delay_alu instid0(VALU_DEP_1) | instskip(NEXT) | instid1(VALU_DEP_1)
	v_add_f32_e32 v64, s52, v4
	v_cmp_ge_f32_e32 vcc_lo, 0x41a00000, v64
	s_and_b32 s20, s63, vcc_lo
	s_delay_alu instid0(SALU_CYCLE_1)
	s_and_saveexec_b32 s21, s20
	s_cbranch_execz .LBB14_58
; %bb.57:                               ;   in Loop: Header=BB14_12 Depth=1
	v_mul_f32_e32 v4, 0x3fb8aa3b, v64
	v_cmp_ngt_f32_e32 vcc_lo, 0xc2ce8ed0, v64
	s_delay_alu instid0(VALU_DEP_2) | instskip(SKIP_1) | instid1(VALU_DEP_2)
	v_rndne_f32_e32 v5, v4
	v_fma_f32 v6, 0x3fb8aa3b, v64, -v4
	v_sub_f32_e32 v4, v4, v5
	s_delay_alu instid0(VALU_DEP_2) | instskip(SKIP_1) | instid1(VALU_DEP_2)
	v_fmac_f32_e32 v6, 0x32a5705f, v64
	v_cvt_i32_f32_e32 v5, v5
	v_add_f32_e32 v4, v4, v6
	s_delay_alu instid0(VALU_DEP_1) | instskip(SKIP_2) | instid1(VALU_DEP_1)
	v_exp_f32_e32 v4, v4
	s_waitcnt_depctr 0xfff
	v_ldexp_f32 v4, v4, v5
	v_cndmask_b32_e32 v4, 0, v4, vcc_lo
	v_cmp_nlt_f32_e32 vcc_lo, 0x42b17218, v64
	s_delay_alu instid0(VALU_DEP_2) | instskip(NEXT) | instid1(VALU_DEP_1)
	v_cndmask_b32_e32 v6, 0x7f800000, v4, vcc_lo
	v_add_f32_e32 v7, 1.0, v6
	s_delay_alu instid0(VALU_DEP_1) | instskip(NEXT) | instid1(VALU_DEP_1)
	v_cvt_f64_f32_e32 v[4:5], v7
	v_frexp_exp_i32_f64_e32 v4, v[4:5]
	v_frexp_mant_f32_e32 v5, v7
	s_delay_alu instid0(VALU_DEP_1) | instskip(SKIP_1) | instid1(VALU_DEP_1)
	v_cmp_gt_f32_e32 vcc_lo, 0x3f2aaaab, v5
	v_add_f32_e32 v5, -1.0, v7
	v_sub_f32_e32 v9, v5, v7
	v_sub_f32_e32 v5, v6, v5
	s_delay_alu instid0(VALU_DEP_2) | instskip(NEXT) | instid1(VALU_DEP_1)
	v_add_f32_e32 v9, 1.0, v9
	v_add_f32_e32 v5, v5, v9
	v_cmp_gt_f32_e64 s20, 0x33800000, v6
	v_subrev_co_ci_u32_e32 v4, vcc_lo, 0, v4, vcc_lo
	v_cmp_eq_f32_e32 vcc_lo, 0x7f800000, v6
	s_delay_alu instid0(VALU_DEP_2) | instskip(SKIP_2) | instid1(VALU_DEP_2)
	v_sub_nc_u32_e32 v8, 0, v4
	v_cvt_f32_i32_e32 v4, v4
	s_or_b32 vcc_lo, s20, vcc_lo
	v_ldexp_f32 v7, v7, v8
	v_ldexp_f32 v5, v5, v8
	s_delay_alu instid0(VALU_DEP_2) | instskip(NEXT) | instid1(VALU_DEP_1)
	v_add_f32_e32 v56, 1.0, v7
	v_dual_add_f32 v8, -1.0, v7 :: v_dual_add_f32 v9, -1.0, v56
	s_delay_alu instid0(VALU_DEP_1) | instskip(NEXT) | instid1(VALU_DEP_2)
	v_add_f32_e32 v57, 1.0, v8
	v_sub_f32_e32 v9, v7, v9
	s_delay_alu instid0(VALU_DEP_2) | instskip(NEXT) | instid1(VALU_DEP_2)
	v_sub_f32_e32 v7, v7, v57
	v_add_f32_e32 v9, v5, v9
	s_delay_alu instid0(VALU_DEP_2) | instskip(NEXT) | instid1(VALU_DEP_1)
	v_add_f32_e32 v5, v5, v7
	v_add_f32_e32 v58, v8, v5
	s_delay_alu instid0(VALU_DEP_1) | instskip(NEXT) | instid1(VALU_DEP_4)
	v_sub_f32_e32 v8, v8, v58
	v_add_f32_e32 v57, v56, v9
	s_delay_alu instid0(VALU_DEP_1) | instskip(NEXT) | instid1(VALU_DEP_2)
	v_rcp_f32_e32 v7, v57
	v_dual_sub_f32 v56, v56, v57 :: v_dual_add_f32 v5, v5, v8
	s_delay_alu instid0(VALU_DEP_1) | instskip(SKIP_2) | instid1(VALU_DEP_1)
	v_add_f32_e32 v9, v9, v56
	s_waitcnt_depctr 0xfff
	v_mul_f32_e32 v59, v58, v7
	v_mul_f32_e32 v60, v57, v59
	s_delay_alu instid0(VALU_DEP_1) | instskip(NEXT) | instid1(VALU_DEP_1)
	v_fma_f32 v56, v59, v57, -v60
	v_fmac_f32_e32 v56, v59, v9
	s_delay_alu instid0(VALU_DEP_1) | instskip(NEXT) | instid1(VALU_DEP_1)
	v_add_f32_e32 v61, v60, v56
	v_sub_f32_e32 v62, v58, v61
	v_sub_f32_e32 v8, v61, v60
	s_delay_alu instid0(VALU_DEP_2) | instskip(NEXT) | instid1(VALU_DEP_1)
	v_sub_f32_e32 v58, v58, v62
	v_sub_f32_e32 v58, v58, v61
	s_delay_alu instid0(VALU_DEP_1) | instskip(NEXT) | instid1(VALU_DEP_1)
	v_dual_sub_f32 v8, v8, v56 :: v_dual_add_f32 v5, v5, v58
	v_add_f32_e32 v5, v8, v5
	s_delay_alu instid0(VALU_DEP_1) | instskip(NEXT) | instid1(VALU_DEP_1)
	v_add_f32_e32 v8, v62, v5
	v_mul_f32_e32 v56, v7, v8
	v_sub_f32_e32 v61, v62, v8
	s_delay_alu instid0(VALU_DEP_2) | instskip(NEXT) | instid1(VALU_DEP_2)
	v_mul_f32_e32 v58, v57, v56
	v_add_f32_e32 v5, v5, v61
	s_delay_alu instid0(VALU_DEP_2) | instskip(NEXT) | instid1(VALU_DEP_1)
	v_fma_f32 v57, v56, v57, -v58
	v_fmac_f32_e32 v57, v56, v9
	s_delay_alu instid0(VALU_DEP_1) | instskip(NEXT) | instid1(VALU_DEP_1)
	v_add_f32_e32 v9, v58, v57
	v_sub_f32_e32 v60, v8, v9
	s_delay_alu instid0(VALU_DEP_1) | instskip(NEXT) | instid1(VALU_DEP_1)
	v_sub_f32_e32 v8, v8, v60
	v_sub_f32_e32 v8, v8, v9
	s_delay_alu instid0(VALU_DEP_1) | instskip(SKIP_2) | instid1(VALU_DEP_1)
	v_add_f32_e32 v5, v5, v8
	v_add_f32_e32 v8, v59, v56
	v_sub_f32_e32 v58, v9, v58
	v_sub_f32_e32 v9, v58, v57
	s_delay_alu instid0(VALU_DEP_1) | instskip(NEXT) | instid1(VALU_DEP_4)
	v_add_f32_e32 v5, v9, v5
	v_sub_f32_e32 v9, v8, v59
	s_delay_alu instid0(VALU_DEP_2) | instskip(NEXT) | instid1(VALU_DEP_2)
	v_add_f32_e32 v5, v60, v5
	v_sub_f32_e32 v9, v56, v9
	s_delay_alu instid0(VALU_DEP_2) | instskip(NEXT) | instid1(VALU_DEP_1)
	v_mul_f32_e32 v5, v7, v5
	v_add_f32_e32 v5, v9, v5
	s_delay_alu instid0(VALU_DEP_1) | instskip(NEXT) | instid1(VALU_DEP_1)
	v_add_f32_e32 v7, v8, v5
	v_mul_f32_e32 v9, v7, v7
	s_delay_alu instid0(VALU_DEP_1) | instskip(SKIP_1) | instid1(VALU_DEP_2)
	v_fmaak_f32 v56, s67, v9, 0x3ecc95a3
	v_mul_f32_e32 v57, v7, v9
	v_fmaak_f32 v9, v9, v56, 0x3f2aaada
	v_ldexp_f32 v56, v7, 1
	v_sub_f32_e32 v7, v7, v8
	s_delay_alu instid0(VALU_DEP_3) | instskip(SKIP_1) | instid1(VALU_DEP_2)
	v_mul_f32_e32 v9, v57, v9
	v_mul_f32_e32 v57, 0x3f317218, v4
	v_dual_sub_f32 v5, v5, v7 :: v_dual_add_f32 v8, v56, v9
	s_delay_alu instid0(VALU_DEP_1) | instskip(NEXT) | instid1(VALU_DEP_2)
	v_ldexp_f32 v5, v5, 1
	v_sub_f32_e32 v7, v8, v56
	s_delay_alu instid0(VALU_DEP_4) | instskip(NEXT) | instid1(VALU_DEP_1)
	v_fma_f32 v56, 0x3f317218, v4, -v57
	v_dual_sub_f32 v7, v9, v7 :: v_dual_fmac_f32 v56, 0xb102e308, v4
	s_delay_alu instid0(VALU_DEP_1) | instskip(NEXT) | instid1(VALU_DEP_1)
	v_add_f32_e32 v4, v5, v7
	v_add_f32_e32 v7, v8, v4
	s_delay_alu instid0(VALU_DEP_1) | instskip(NEXT) | instid1(VALU_DEP_1)
	v_sub_f32_e32 v8, v7, v8
	v_sub_f32_e32 v4, v4, v8
	v_add_f32_e32 v5, v57, v56
	s_delay_alu instid0(VALU_DEP_1) | instskip(SKIP_1) | instid1(VALU_DEP_2)
	v_add_f32_e32 v9, v5, v7
	v_sub_f32_e32 v57, v5, v57
	v_sub_f32_e32 v58, v9, v5
	s_delay_alu instid0(VALU_DEP_1) | instskip(NEXT) | instid1(VALU_DEP_1)
	v_dual_sub_f32 v56, v56, v57 :: v_dual_sub_f32 v59, v9, v58
	v_dual_sub_f32 v7, v7, v58 :: v_dual_add_f32 v8, v56, v4
	s_delay_alu instid0(VALU_DEP_2) | instskip(NEXT) | instid1(VALU_DEP_1)
	v_sub_f32_e32 v5, v5, v59
	v_add_f32_e32 v5, v7, v5
	s_delay_alu instid0(VALU_DEP_3) | instskip(NEXT) | instid1(VALU_DEP_2)
	v_sub_f32_e32 v7, v8, v56
	v_add_f32_e32 v5, v8, v5
	s_delay_alu instid0(VALU_DEP_2) | instskip(NEXT) | instid1(VALU_DEP_2)
	v_sub_f32_e32 v8, v8, v7
	v_dual_sub_f32 v4, v4, v7 :: v_dual_add_f32 v57, v9, v5
	s_delay_alu instid0(VALU_DEP_1) | instskip(NEXT) | instid1(VALU_DEP_1)
	v_dual_sub_f32 v8, v56, v8 :: v_dual_sub_f32 v7, v57, v9
	v_dual_add_f32 v4, v4, v8 :: v_dual_sub_f32 v5, v5, v7
	s_delay_alu instid0(VALU_DEP_1) | instskip(NEXT) | instid1(VALU_DEP_1)
	v_add_f32_e32 v4, v4, v5
	v_add_f32_e32 v4, v57, v4
	s_delay_alu instid0(VALU_DEP_1)
	v_cndmask_b32_e32 v64, v4, v6, vcc_lo
.LBB14_58:                              ;   in Loop: Header=BB14_12 Depth=1
	s_or_b32 exec_lo, exec_lo, s21
	v_and_b32_e32 v5, 0xffff0000, v2
	v_and_b32_e32 v7, 0xffff0000, v3
	v_lshlrev_b32_e32 v2, 16, v2
	v_lshlrev_b32_e32 v4, 16, v3
	v_and_b32_e32 v6, 0xffff0000, v0
	v_and_b32_e32 v3, 0xffff0000, v1
	v_lshlrev_b32_e32 v1, 16, v1
	v_dual_mul_f32 v59, s53, v2 :: v_dual_lshlrev_b32 v0, 16, v0
	s_delay_alu instid0(VALU_DEP_4) | instskip(NEXT) | instid1(VALU_DEP_3)
	v_dual_mul_f32 v57, s53, v4 :: v_dual_mul_f32 v58, s53, v6
	v_dual_mul_f32 v61, s53, v3 :: v_dual_mul_f32 v62, s53, v1
	v_mul_f32_e32 v56, s53, v5
	s_delay_alu instid0(VALU_DEP_4)
	v_dual_mul_f32 v60, s53, v7 :: v_dual_mul_f32 v63, s53, v0
	s_and_b32 vcc_lo, exec_lo, s64
	s_barrier
	buffer_gl0_inv
	s_cbranch_vccz .LBB14_122
; %bb.59:                               ;   in Loop: Header=BB14_12 Depth=1
	v_dual_mul_f32 v65, v64, v7 :: v_dual_mul_f32 v70, v55, v4
	v_add_co_u32 v7, s20, s41, v47
	s_delay_alu instid0(VALU_DEP_1) | instskip(SKIP_1) | instid1(VALU_DEP_1)
	v_add_co_ci_u32_e64 v8, null, s51, 0, s20
	v_add_co_u32 v9, s20, s45, v47
	v_add_co_ci_u32_e64 v69, null, s48, 0, s20
	s_delay_alu instid0(VALU_DEP_4) | instskip(NEXT) | instid1(VALU_DEP_4)
	v_add_co_u32 v66, vcc_lo, v7, v48
	v_add_co_ci_u32_e32 v67, vcc_lo, 0, v8, vcc_lo
	s_delay_alu instid0(VALU_DEP_4) | instskip(NEXT) | instid1(VALU_DEP_4)
	v_add_co_u32 v68, vcc_lo, v9, v48
	v_add_co_ci_u32_e32 v69, vcc_lo, 0, v69, vcc_lo
	v_cmp_gt_u32_e32 vcc_lo, s23, v10
	s_cmp_lg_u32 s69, 0
	v_cmp_gt_u32_e64 s21, s23, v40
	s_cselect_b32 s31, -1, 0
	s_cmp_eq_u32 s69, s66
	v_cmp_gt_u32_e64 s22, s23, v41
	s_cselect_b32 s70, -1, 0
	s_or_b32 s20, s65, vcc_lo
	v_cmp_gt_u32_e32 vcc_lo, s23, v42
	v_cmp_gt_u32_e64 s24, s23, v43
	v_cmp_gt_u32_e64 s25, s23, v44
	;; [unrolled: 1-line block ×4, first 2 shown]
	v_dual_mul_f32 v71, v54, v5 :: v_dual_mul_f32 v72, v53, v2
	v_dual_mul_f32 v73, v52, v3 :: v_dual_mul_f32 v74, v51, v1
	;; [unrolled: 1-line block ×3, first 2 shown]
	s_mov_b32 s34, 0
	s_or_b32 s21, s65, s21
	s_or_b32 s22, s65, s22
	s_or_b32 s23, s65, vcc_lo
	s_or_b32 s24, s65, s24
	s_or_b32 s25, s65, s25
	;; [unrolled: 1-line block ×4, first 2 shown]
	s_mov_b32 s38, s34
	s_mov_b32 s42, s34
	;; [unrolled: 1-line block ×5, first 2 shown]
	s_branch .LBB14_61
.LBB14_60:                              ;   in Loop: Header=BB14_61 Depth=2
	s_or_b32 exec_lo, exec_lo, s28
	v_cndmask_b32_e64 v5, v94, v7, s11
	v_cndmask_b32_e64 v6, v93, v6, s11
	s_add_i32 s71, s71, -1
	s_add_i32 s72, s72, 8
	s_add_i32 s46, s46, s50
	v_fma_f32 v5, v5, v82, v80
	v_mul_f32_e32 v6, v6, v82
	s_add_i32 s42, s42, s44
	s_add_i32 s38, s38, s40
	s_add_i32 s34, s34, s37
	v_cndmask_b32_e64 v5, v5, v80, s10
	v_cndmask_b32_e64 v6, v6, v82, s10
	s_cmp_eq_u32 s71, 0
	s_waitcnt lgkmcnt(0)
	s_delay_alu instid0(VALU_DEP_1) | instskip(NEXT) | instid1(VALU_DEP_1)
	v_dual_fmac_f32 v5, v4, v6 :: v_dual_and_b32 v4, 0xffff0000, v0
	v_fmac_f32_e32 v77, v5, v83
	s_delay_alu instid0(VALU_DEP_1) | instskip(SKIP_1) | instid1(VALU_DEP_1)
	v_dual_fmac_f32 v58, v77, v4 :: v_dual_and_b32 v7, 0xffff0000, v2
	v_fmac_f32_e32 v78, v77, v85
	v_dual_fmac_f32 v79, v78, v86 :: v_dual_and_b32 v6, 0xffff0000, v1
	s_delay_alu instid0(VALU_DEP_1) | instskip(SKIP_1) | instid1(VALU_DEP_3)
	v_fmac_f32_e32 v81, v79, v88
	v_lshlrev_b32_e32 v1, 16, v1
	v_dual_fmac_f32 v61, v79, v6 :: v_dual_and_b32 v8, 0xffff0000, v3
	s_delay_alu instid0(VALU_DEP_3) | instskip(SKIP_1) | instid1(VALU_DEP_4)
	v_fmac_f32_e32 v84, v81, v92
	v_lshlrev_b32_e32 v0, 16, v0
	v_dual_fmac_f32 v62, v78, v1 :: v_dual_lshlrev_b32 v3, 16, v3
	s_delay_alu instid0(VALU_DEP_3) | instskip(NEXT) | instid1(VALU_DEP_3)
	v_fmac_f32_e32 v87, v84, v90
	v_dual_fmac_f32 v63, v5, v0 :: v_dual_lshlrev_b32 v2, 16, v2
	v_fmac_f32_e32 v56, v84, v7
	s_delay_alu instid0(VALU_DEP_3) | instskip(NEXT) | instid1(VALU_DEP_3)
	v_fmac_f32_e32 v89, v87, v91
	v_fmac_f32_e32 v59, v81, v2
	s_delay_alu instid0(VALU_DEP_2)
	v_dual_fmac_f32 v57, v87, v3 :: v_dual_fmac_f32 v60, v89, v8
	s_cbranch_scc1 .LBB14_122
.LBB14_61:                              ;   Parent Loop BB14_12 Depth=1
                                        ; =>  This Inner Loop Header: Depth=2
	s_lshl_b64 s[28:29], s[34:35], 2
	s_mov_b32 s39, s35
	s_add_u32 s28, s58, s28
	s_addc_u32 s29, s59, s29
	v_dual_mov_b32 v2, 0 :: v_dual_mov_b32 v3, 0
	global_load_b32 v77, v13, s[28:29]
	s_lshl_b64 s[28:29], s[38:39], 1
	s_delay_alu instid0(SALU_CYCLE_1)
	v_add_co_u32 v0, vcc_lo, v66, s28
	v_add_co_ci_u32_e32 v1, vcc_lo, s29, v67, vcc_lo
	s_and_saveexec_b32 s28, s12
	s_cbranch_execz .LBB14_63
; %bb.62:                               ;   in Loop: Header=BB14_61 Depth=2
	global_load_u16 v3, v[0:1], off
.LBB14_63:                              ;   in Loop: Header=BB14_61 Depth=2
	s_or_b32 exec_lo, exec_lo, s28
	s_and_saveexec_b32 s28, s13
	s_cbranch_execz .LBB14_65
; %bb.64:                               ;   in Loop: Header=BB14_61 Depth=2
	global_load_u16 v2, v[0:1], off offset:64
.LBB14_65:                              ;   in Loop: Header=BB14_61 Depth=2
	s_or_b32 exec_lo, exec_lo, s28
	v_dual_mov_b32 v4, 0 :: v_dual_mov_b32 v5, 0
	s_and_saveexec_b32 s28, s14
	s_cbranch_execz .LBB14_67
; %bb.66:                               ;   in Loop: Header=BB14_61 Depth=2
	global_load_u16 v5, v[0:1], off offset:128
.LBB14_67:                              ;   in Loop: Header=BB14_61 Depth=2
	s_or_b32 exec_lo, exec_lo, s28
	s_and_saveexec_b32 s28, s15
	s_cbranch_execz .LBB14_69
; %bb.68:                               ;   in Loop: Header=BB14_61 Depth=2
	global_load_u16 v4, v[0:1], off offset:192
.LBB14_69:                              ;   in Loop: Header=BB14_61 Depth=2
	s_or_b32 exec_lo, exec_lo, s28
	v_dual_mov_b32 v6, 0 :: v_dual_mov_b32 v7, 0
	s_and_saveexec_b32 s28, s16
	s_cbranch_execz .LBB14_71
; %bb.70:                               ;   in Loop: Header=BB14_61 Depth=2
	global_load_u16 v7, v[0:1], off offset:256
.LBB14_71:                              ;   in Loop: Header=BB14_61 Depth=2
	;; [unrolled: 13-line block ×3, first 2 shown]
	s_or_b32 exec_lo, exec_lo, s28
	s_and_saveexec_b32 s28, s19
	s_cbranch_execz .LBB14_77
; %bb.76:                               ;   in Loop: Header=BB14_61 Depth=2
	global_load_u16 v8, v[0:1], off offset:448
.LBB14_77:                              ;   in Loop: Header=BB14_61 Depth=2
	s_or_b32 exec_lo, exec_lo, s28
	s_waitcnt vmcnt(0)
	ds_store_b16 v20, v3
	ds_store_b16 v20, v2 offset:64
	ds_store_b16 v21, v5 offset:128
	;; [unrolled: 1-line block ×7, first 2 shown]
	; wave barrier
	ds_load_b128 v[4:7], v27
	s_mov_b32 s43, s35
	v_dual_mov_b32 v2, 0 :: v_dual_mov_b32 v3, 0
	s_lshl_b64 s[28:29], s[42:43], 1
	s_delay_alu instid0(SALU_CYCLE_1)
	v_add_co_u32 v0, vcc_lo, v68, s28
	v_add_co_ci_u32_e32 v1, vcc_lo, s29, v69, vcc_lo
	s_and_saveexec_b32 s28, s12
	s_cbranch_execz .LBB14_79
; %bb.78:                               ;   in Loop: Header=BB14_61 Depth=2
	global_load_u16 v3, v[0:1], off
.LBB14_79:                              ;   in Loop: Header=BB14_61 Depth=2
	s_or_b32 exec_lo, exec_lo, s28
	s_and_saveexec_b32 s28, s13
	s_cbranch_execz .LBB14_81
; %bb.80:                               ;   in Loop: Header=BB14_61 Depth=2
	global_load_u16 v2, v[0:1], off offset:64
.LBB14_81:                              ;   in Loop: Header=BB14_61 Depth=2
	s_or_b32 exec_lo, exec_lo, s28
	v_dual_mov_b32 v8, 0 :: v_dual_mov_b32 v9, 0
	s_and_saveexec_b32 s28, s14
	s_cbranch_execz .LBB14_83
; %bb.82:                               ;   in Loop: Header=BB14_61 Depth=2
	global_load_u16 v9, v[0:1], off offset:128
.LBB14_83:                              ;   in Loop: Header=BB14_61 Depth=2
	s_or_b32 exec_lo, exec_lo, s28
	s_and_saveexec_b32 s28, s15
	s_cbranch_execz .LBB14_85
; %bb.84:                               ;   in Loop: Header=BB14_61 Depth=2
	global_load_u16 v8, v[0:1], off offset:192
.LBB14_85:                              ;   in Loop: Header=BB14_61 Depth=2
	s_or_b32 exec_lo, exec_lo, s28
	v_dual_mov_b32 v78, 0 :: v_dual_mov_b32 v79, 0
	s_and_saveexec_b32 s28, s16
	s_cbranch_execz .LBB14_87
; %bb.86:                               ;   in Loop: Header=BB14_61 Depth=2
	global_load_u16 v79, v[0:1], off offset:256
.LBB14_87:                              ;   in Loop: Header=BB14_61 Depth=2
	;; [unrolled: 13-line block ×3, first 2 shown]
	s_or_b32 exec_lo, exec_lo, s28
	s_and_saveexec_b32 s28, s19
	s_cbranch_execz .LBB14_93
; %bb.92:                               ;   in Loop: Header=BB14_61 Depth=2
	global_load_u16 v80, v[0:1], off offset:448
.LBB14_93:                              ;   in Loop: Header=BB14_61 Depth=2
	s_or_b32 exec_lo, exec_lo, s28
	s_waitcnt vmcnt(0)
	ds_store_b16 v20, v3 offset:1056
	ds_store_b16 v28, v2 offset:64
	ds_store_b16 v29, v9 offset:128
	ds_store_b16 v30, v8 offset:192
	ds_store_b16 v31, v79 offset:256
	ds_store_b16 v32, v78 offset:320
	ds_store_b16 v33, v81 offset:384
	ds_store_b16 v34, v80 offset:448
	; wave barrier
	ds_load_b128 v[0:3], v27 offset:1056
	s_and_not1_b32 vcc_lo, exec_lo, s31
	s_cbranch_vccnz .LBB14_95
; %bb.94:                               ;   in Loop: Header=BB14_61 Depth=2
	v_mov_b32_e32 v8, s72
	ds_load_b64 v[8:9], v8
	s_cbranch_execz .LBB14_96
	s_branch .LBB14_99
.LBB14_95:                              ;   in Loop: Header=BB14_61 Depth=2
                                        ; implicit-def: $vgpr8
.LBB14_96:                              ;   in Loop: Header=BB14_61 Depth=2
	s_waitcnt lgkmcnt(0)
	v_mov_b32_e32 v9, 0
	s_and_not1_b32 vcc_lo, exec_lo, s33
	s_cbranch_vccnz .LBB14_98
; %bb.97:                               ;   in Loop: Header=BB14_61 Depth=2
	s_mov_b32 s47, s35
	s_delay_alu instid0(SALU_CYCLE_1) | instskip(NEXT) | instid1(SALU_CYCLE_1)
	s_lshl_b64 s[28:29], s[46:47], 1
	s_add_u32 s28, s60, s28
	s_addc_u32 s29, s61, s29
	global_load_u16 v8, v13, s[28:29]
	s_waitcnt vmcnt(0)
	v_lshlrev_b32_e32 v9, 16, v8
.LBB14_98:                              ;   in Loop: Header=BB14_61 Depth=2
	v_mov_b32_e32 v8, 1.0
.LBB14_99:                              ;   in Loop: Header=BB14_61 Depth=2
	v_mul_f32_e32 v87, 0x3fb8aa3b, v77
	s_waitcnt lgkmcnt(9)
	v_lshlrev_b32_e32 v77, 16, v4
	v_and_b32_e32 v4, 0xffff0000, v4
	s_delay_alu instid0(VALU_DEP_1) | instskip(SKIP_1) | instid1(VALU_DEP_4)
	v_mul_f32_e32 v4, v75, v4
	v_mul_f32_e32 v78, v87, v49
	;; [unrolled: 1-line block ×3, first 2 shown]
	v_dual_mul_f32 v80, v87, v50 :: v_dual_lshlrev_b32 v79, 16, v5
	v_mul_f32_e32 v82, v87, v51
	s_delay_alu instid0(VALU_DEP_4) | instskip(SKIP_1) | instid1(VALU_DEP_4)
	v_cmp_gt_f32_e32 vcc_lo, 0xc2fc0000, v78
	v_dual_mul_f32 v84, v87, v52 :: v_dual_lshlrev_b32 v89, 16, v7
	v_cmp_gt_f32_e64 s28, 0xc2fc0000, v80
	s_delay_alu instid0(VALU_DEP_4)
	v_cmp_gt_f32_e64 s29, 0xc2fc0000, v82
	v_cndmask_b32_e64 v78, 0, 0x42800000, vcc_lo
	v_lshlrev_b32_e32 v81, 16, v6
	v_cndmask_b32_e64 v85, 1.0, 0x1f800000, vcc_lo
	v_cndmask_b32_e64 v80, 0, 0x42800000, s28
	v_and_b32_e32 v5, 0xffff0000, v5
	v_fmac_f32_e32 v78, v87, v49
	v_cndmask_b32_e64 v82, 0, 0x42800000, s29
	v_cndmask_b32_e64 v86, 1.0, 0x1f800000, s28
	v_fmac_f32_e32 v80, v87, v50
	v_cmp_gt_f32_e32 vcc_lo, 0xc2fc0000, v84
	v_exp_f32_e32 v78, v78
	v_and_b32_e32 v7, 0xffff0000, v7
	v_dual_fmac_f32 v82, v87, v51 :: v_dual_mul_f32 v5, v73, v5
	v_exp_f32_e32 v83, v80
	v_cndmask_b32_e64 v80, 0, v77, s20
	v_cndmask_b32_e64 v77, 0, v4, s21
	v_cndmask_b32_e64 v84, 0, 0x42800000, vcc_lo
	v_dual_mul_f32 v79, v74, v79 :: v_dual_and_b32 v6, 0xffff0000, v6
	s_delay_alu instid0(TRANS32_DEP_2) | instskip(SKIP_1) | instid1(VALU_DEP_3)
	v_mul_f32_e32 v4, v78, v85
	v_exp_f32_e32 v85, v82
	v_dual_fmac_f32 v84, v87, v52 :: v_dual_mul_f32 v89, v70, v89
	s_delay_alu instid0(TRANS32_DEP_2) | instskip(NEXT) | instid1(VALU_DEP_3)
	v_dual_mul_f32 v78, v83, v86 :: v_dual_mul_f32 v81, v72, v81
	v_cndmask_b32_e64 v82, 1.0, v4, s20
	v_dual_mul_f32 v4, v87, v53 :: v_dual_mul_f32 v7, v65, v7
	s_delay_alu instid0(VALU_DEP_3) | instskip(SKIP_2) | instid1(VALU_DEP_4)
	v_cndmask_b32_e64 v83, 1.0, v78, s21
	v_cndmask_b32_e64 v78, 1.0, 0x1f800000, s29
	v_mul_f32_e32 v86, v87, v54
	v_cmp_gt_f32_e64 s28, 0xc2fc0000, v4
	v_exp_f32_e32 v84, v84
	v_mul_f32_e32 v91, v87, v64
	v_mul_f32_e32 v85, v85, v78
	v_cndmask_b32_e64 v78, 0, v79, s22
	v_cndmask_b32_e64 v4, 0, 0x42800000, s28
	v_cndmask_b32_e64 v79, 1.0, 0x1f800000, vcc_lo
	v_cmp_gt_f32_e32 vcc_lo, 0xc2fc0000, v86
	v_mul_f32_e32 v6, v71, v6
	v_cndmask_b32_e64 v85, 1.0, v85, s22
	v_fmac_f32_e32 v4, v87, v53
	v_mul_f32_e32 v84, v84, v79
	v_cndmask_b32_e64 v88, 0, 0x42800000, vcc_lo
	v_cndmask_b32_e64 v79, 0, v5, s23
	v_cndmask_b32_e64 v5, 1.0, 0x1f800000, s28
	v_exp_f32_e32 v4, v4
	v_cndmask_b32_e64 v86, 1.0, v84, s23
	v_fmac_f32_e32 v88, v87, v54
	v_cmp_gt_f32_e64 s28, 0xc2fc0000, v91
	v_fma_f32 v91, v83, v80, v77
	v_cndmask_b32_e64 v81, 0, v81, s24
	s_delay_alu instid0(VALU_DEP_4) | instskip(SKIP_1) | instid1(TRANS32_DEP_2)
	v_exp_f32_e32 v84, v88
	v_mul_f32_e32 v88, v87, v55
	v_mul_f32_e32 v4, v4, v5
	v_cndmask_b32_e64 v5, 1.0, 0x1f800000, vcc_lo
	s_delay_alu instid0(VALU_DEP_3) | instskip(NEXT) | instid1(VALU_DEP_3)
	v_cmp_gt_f32_e32 vcc_lo, 0xc2fc0000, v88
	v_cndmask_b32_e64 v88, 1.0, v4, s24
	s_waitcnt_depctr 0xfff
	v_mul_f32_e32 v4, v84, v5
	v_cndmask_b32_e64 v90, 0, 0x42800000, vcc_lo
	v_cndmask_b32_e64 v84, 0, v6, s25
	v_cndmask_b32_e64 v5, 0, 0x42800000, s28
	v_mul_f32_e32 v6, v83, v82
	v_cndmask_b32_e64 v92, 1.0, v4, s25
	v_fmac_f32_e32 v90, v87, v55
	s_delay_alu instid0(VALU_DEP_3) | instskip(SKIP_1) | instid1(VALU_DEP_3)
	v_dual_fmac_f32 v5, v87, v64 :: v_dual_mul_f32 v4, v6, v85
	v_fma_f32 v6, v91, v85, v78
	v_exp_f32_e32 v90, v90
	v_cndmask_b32_e64 v87, 1.0, 0x1f800000, vcc_lo
	s_delay_alu instid0(VALU_DEP_3) | instskip(SKIP_2) | instid1(VALU_DEP_2)
	v_exp_f32_e32 v5, v5
	v_mul_f32_e32 v4, v4, v86
	v_fma_f32 v6, v6, v86, v79
	v_mul_f32_e32 v4, v4, v88
	s_delay_alu instid0(VALU_DEP_2) | instskip(NEXT) | instid1(TRANS32_DEP_2)
	v_fma_f32 v6, v6, v88, v81
	v_mul_f32_e32 v90, v90, v87
	v_cndmask_b32_e64 v87, 0, v89, s26
	v_cndmask_b32_e64 v89, 1.0, 0x1f800000, s28
	v_mul_f32_e32 v4, v4, v92
	v_fma_f32 v6, v6, v92, v84
	v_cndmask_b32_e64 v90, 1.0, v90, s26
	s_delay_alu instid0(VALU_DEP_4) | instskip(SKIP_1) | instid1(VALU_DEP_3)
	v_mul_f32_e32 v5, v5, v89
	v_cndmask_b32_e64 v89, 0, v7, s27
	v_mul_f32_e32 v4, v4, v90
	s_delay_alu instid0(VALU_DEP_3) | instskip(SKIP_1) | instid1(VALU_DEP_2)
	v_cndmask_b32_e64 v91, 1.0, v5, s27
	v_fma_f32 v5, v6, v90, v87
	v_mul_f32_e32 v4, v4, v91
	s_delay_alu instid0(VALU_DEP_2) | instskip(NEXT) | instid1(VALU_DEP_2)
	v_fma_f32 v5, v5, v91, v89
	v_mov_b32_dpp v7, v4 row_shr:1 row_mask:0xf bank_mask:0xf
	s_delay_alu instid0(VALU_DEP_2)
	v_mov_b32_dpp v6, v5 row_shr:1 row_mask:0xf bank_mask:0xf
	s_and_saveexec_b32 s28, s0
; %bb.100:                              ;   in Loop: Header=BB14_61 Depth=2
	s_delay_alu instid0(VALU_DEP_2) | instskip(NEXT) | instid1(VALU_DEP_1)
	v_mul_f32_e32 v7, v4, v7
	v_dual_fmac_f32 v5, v4, v6 :: v_dual_mov_b32 v4, v7
; %bb.101:                              ;   in Loop: Header=BB14_61 Depth=2
	s_or_b32 exec_lo, exec_lo, s28
	s_delay_alu instid0(VALU_DEP_1) | instskip(NEXT) | instid1(VALU_DEP_2)
	v_mov_b32_dpp v6, v4 row_shr:2 row_mask:0xf bank_mask:0xf
	v_mov_b32_dpp v7, v5 row_shr:2 row_mask:0xf bank_mask:0xf
	s_and_saveexec_b32 s28, s1
; %bb.102:                              ;   in Loop: Header=BB14_61 Depth=2
	s_delay_alu instid0(VALU_DEP_1) | instskip(NEXT) | instid1(VALU_DEP_3)
	v_fmac_f32_e32 v5, v4, v7
	v_mul_f32_e32 v4, v4, v6
; %bb.103:                              ;   in Loop: Header=BB14_61 Depth=2
	s_or_b32 exec_lo, exec_lo, s28
	s_delay_alu instid0(VALU_DEP_1) | instskip(NEXT) | instid1(VALU_DEP_3)
	v_mov_b32_dpp v6, v4 row_shr:4 row_mask:0xf bank_mask:0xf
	v_mov_b32_dpp v7, v5 row_shr:4 row_mask:0xf bank_mask:0xf
	s_and_saveexec_b32 s28, s2
; %bb.104:                              ;   in Loop: Header=BB14_61 Depth=2
	s_delay_alu instid0(VALU_DEP_1) | instskip(NEXT) | instid1(VALU_DEP_3)
	v_fmac_f32_e32 v5, v4, v7
	v_mul_f32_e32 v4, v4, v6
; %bb.105:                              ;   in Loop: Header=BB14_61 Depth=2
	s_or_b32 exec_lo, exec_lo, s28
	s_delay_alu instid0(VALU_DEP_1) | instskip(NEXT) | instid1(VALU_DEP_3)
	v_mov_b32_dpp v6, v4 row_shr:8 row_mask:0xf bank_mask:0xf
	v_mov_b32_dpp v7, v5 row_shr:8 row_mask:0xf bank_mask:0xf
	s_and_saveexec_b32 s28, s3
; %bb.106:                              ;   in Loop: Header=BB14_61 Depth=2
	s_delay_alu instid0(VALU_DEP_1) | instskip(NEXT) | instid1(VALU_DEP_3)
	v_fmac_f32_e32 v5, v4, v7
	v_mul_f32_e32 v4, v4, v6
; %bb.107:                              ;   in Loop: Header=BB14_61 Depth=2
	s_or_b32 exec_lo, exec_lo, s28
	ds_swizzle_b32 v7, v4 offset:swizzle(BROADCAST,32,15)
	ds_swizzle_b32 v6, v5 offset:swizzle(BROADCAST,32,15)
	s_and_saveexec_b32 s28, s4
	s_cbranch_execz .LBB14_109
; %bb.108:                              ;   in Loop: Header=BB14_61 Depth=2
	s_waitcnt lgkmcnt(1)
	v_mul_f32_e32 v7, v4, v7
	s_waitcnt lgkmcnt(0)
	s_delay_alu instid0(VALU_DEP_1)
	v_dual_fmac_f32 v5, v4, v6 :: v_dual_mov_b32 v4, v7
.LBB14_109:                             ;   in Loop: Header=BB14_61 Depth=2
	s_or_b32 exec_lo, exec_lo, s28
	s_and_saveexec_b32 s28, s5
	s_cbranch_execz .LBB14_111
; %bb.110:                              ;   in Loop: Header=BB14_61 Depth=2
	ds_store_b64 v35, v[4:5] offset:2112
.LBB14_111:                             ;   in Loop: Header=BB14_61 Depth=2
	s_or_b32 exec_lo, exec_lo, s28
	s_waitcnt lgkmcnt(0)
	s_waitcnt_vscnt null, 0x0
	s_barrier
	buffer_gl0_inv
	s_and_saveexec_b32 s28, s6
	s_cbranch_execz .LBB14_113
; %bb.112:                              ;   in Loop: Header=BB14_61 Depth=2
	ds_load_b64 v[6:7], v36 offset:2112
	s_waitcnt lgkmcnt(0)
	v_mov_b32_dpp v93, v6 row_shr:1 row_mask:0xf bank_mask:0xf
	v_mov_b32_dpp v94, v7 row_shr:1 row_mask:0xf bank_mask:0xf
	s_delay_alu instid0(VALU_DEP_2) | instskip(NEXT) | instid1(VALU_DEP_2)
	v_mul_f32_e32 v93, v6, v93
	v_fma_f32 v94, v6, v94, v7
	s_delay_alu instid0(VALU_DEP_2) | instskip(NEXT) | instid1(VALU_DEP_2)
	v_cndmask_b32_e64 v6, v93, v6, s7
	v_cndmask_b32_e64 v7, v94, v7, s7
	ds_store_b64 v36, v[6:7] offset:2112
.LBB14_113:                             ;   in Loop: Header=BB14_61 Depth=2
	s_or_b32 exec_lo, exec_lo, s28
	s_waitcnt lgkmcnt(0)
	s_barrier
	buffer_gl0_inv
                                        ; implicit-def: $vgpr7
	s_and_saveexec_b32 s28, s9
	s_cbranch_execz .LBB14_115
; %bb.114:                              ;   in Loop: Header=BB14_61 Depth=2
	ds_load_b64 v[6:7], v35 offset:2104
	s_waitcnt lgkmcnt(0)
	v_mul_f32_e32 v93, v4, v6
	s_delay_alu instid0(VALU_DEP_1)
	v_dual_fmac_f32 v5, v4, v7 :: v_dual_mov_b32 v4, v93
.LBB14_115:                             ;   in Loop: Header=BB14_61 Depth=2
	s_or_b32 exec_lo, exec_lo, s28
	ds_bpermute_b32 v93, v37, v4
	ds_bpermute_b32 v94, v37, v5
	s_and_saveexec_b32 s28, s8
	s_cbranch_execz .LBB14_119
; %bb.116:                              ;   in Loop: Header=BB14_61 Depth=2
	ds_load_b64 v[4:5], v13 offset:2120
	s_and_saveexec_b32 s29, s10
	s_cbranch_execz .LBB14_118
; %bb.117:                              ;   in Loop: Header=BB14_61 Depth=2
	ds_store_b64 v13, v[8:9] offset:2120
.LBB14_118:                             ;   in Loop: Header=BB14_61 Depth=2
	s_or_b32 exec_lo, exec_lo, s29
	s_waitcnt lgkmcnt(0)
	v_fmac_f32_e32 v5, v4, v9
	s_delay_alu instid0(VALU_DEP_1)
	v_dual_mul_f32 v8, v8, v4 :: v_dual_mov_b32 v9, v5
.LBB14_119:                             ;   in Loop: Header=BB14_61 Depth=2
	s_or_b32 exec_lo, exec_lo, s28
	s_waitcnt lgkmcnt(0)
	s_barrier
	buffer_gl0_inv
	ds_load_b32 v4, v13 offset:2124
	s_and_saveexec_b32 s28, s10
	s_cbranch_execz .LBB14_60
; %bb.120:                              ;   in Loop: Header=BB14_61 Depth=2
	v_mov_b32_e32 v5, s72
	s_and_not1_b32 vcc_lo, exec_lo, s70
	ds_store_b64 v5, v[8:9]
	s_cbranch_vccnz .LBB14_60
; %bb.121:                              ;   in Loop: Header=BB14_61 Depth=2
	v_bfe_u32 v5, v9, 16, 1
	v_cmp_o_f32_e32 vcc_lo, v9, v9
	s_mov_b32 s47, s35
	s_delay_alu instid0(SALU_CYCLE_1) | instskip(NEXT) | instid1(VALU_DEP_2)
	s_lshl_b64 s[74:75], s[46:47], 1
	v_add3_u32 v5, v9, v5, 0x7fff
	s_add_u32 s74, s60, s74
	s_addc_u32 s75, s61, s75
	s_delay_alu instid0(VALU_DEP_1) | instskip(NEXT) | instid1(VALU_DEP_1)
	v_lshrrev_b32_e32 v5, 16, v5
	v_cndmask_b32_e32 v5, 0x7fc0, v5, vcc_lo
	global_store_b16 v13, v5, s[74:75]
	s_branch .LBB14_60
.LBB14_122:                             ;   in Loop: Header=BB14_12 Depth=1
	v_bfe_u32 v0, v63, 16, 1
	v_bfe_u32 v2, v62, 16, 1
	;; [unrolled: 1-line block ×3, first 2 shown]
	v_cmp_o_f32_e32 vcc_lo, v63, v63
	v_bfe_u32 v4, v59, 16, 1
	v_add3_u32 v0, v63, v0, 0x7fff
	v_add3_u32 v2, v62, v2, 0x7fff
	;; [unrolled: 1-line block ×3, first 2 shown]
	v_bfe_u32 v5, v56, 16, 1
	v_bfe_u32 v6, v57, 16, 1
	v_lshrrev_b32_e32 v0, 16, v0
	v_lshrrev_b32_e32 v2, 16, v2
	;; [unrolled: 1-line block ×3, first 2 shown]
	v_bfe_u32 v7, v60, 16, 1
	v_add3_u32 v4, v59, v4, 0x7fff
	v_cndmask_b32_e32 v0, 0x7fc0, v0, vcc_lo
	v_cmp_o_f32_e32 vcc_lo, v62, v62
	v_add3_u32 v6, v57, v6, 0x7fff
	v_bfe_u32 v1, v58, 16, 1
	s_waitcnt_vscnt null, 0x0
	s_barrier
	v_cndmask_b32_e32 v8, 0x7fc0, v2, vcc_lo
	v_cmp_o_f32_e32 vcc_lo, v61, v61
	v_add3_u32 v2, v56, v5, 0x7fff
	v_add3_u32 v5, v60, v7, 0x7fff
	;; [unrolled: 1-line block ×3, first 2 shown]
	buffer_gl0_inv
	v_cndmask_b32_e32 v7, 0x7fc0, v3, vcc_lo
	v_lshrrev_b32_e32 v3, 16, v4
	v_cmp_o_f32_e32 vcc_lo, v59, v59
	v_lshrrev_b32_e32 v4, 16, v6
	v_lshrrev_b32_e32 v5, 16, v5
	v_lshrrev_b32_e32 v2, 16, v2
	v_lshrrev_b32_e32 v1, 16, v1
	v_cndmask_b32_e32 v6, 0x7fc0, v3, vcc_lo
	v_cmp_o_f32_e32 vcc_lo, v57, v57
	s_mov_b32 s31, s35
	s_delay_alu instid0(SALU_CYCLE_1) | instskip(SKIP_4) | instid1(VALU_DEP_2)
	s_lshl_b64 s[20:21], s[30:31], 1
	v_cndmask_b32_e32 v3, 0x7fc0, v4, vcc_lo
	v_cmp_o_f32_e32 vcc_lo, v60, v60
	v_cndmask_b32_e32 v4, 0x7fc0, v5, vcc_lo
	v_cmp_o_f32_e32 vcc_lo, v56, v56
	v_perm_b32 v3, v4, v3, 0x5040100
	v_cndmask_b32_e32 v2, 0x7fc0, v2, vcc_lo
	v_cmp_o_f32_e32 vcc_lo, v58, v58
	s_delay_alu instid0(VALU_DEP_2) | instskip(SKIP_2) | instid1(VALU_DEP_2)
	v_perm_b32 v2, v2, v6, 0x5040100
	v_cndmask_b32_e32 v5, 0x7fc0, v1, vcc_lo
	v_perm_b32 v1, v7, v8, 0x5040100
	v_perm_b32 v0, v5, v0, 0x5040100
	ds_store_b128 v27, v[0:3]
	; wave barrier
	ds_load_u16 v8, v20 offset:64
	ds_load_u16 v7, v21 offset:128
	;; [unrolled: 1-line block ×7, first 2 shown]
	v_add_co_u32 v0, vcc_lo, v38, s20
	v_add_co_ci_u32_e32 v1, vcc_lo, s21, v39, vcc_lo
	s_and_saveexec_b32 s20, s12
	s_cbranch_execnz .LBB14_132
; %bb.123:                              ;   in Loop: Header=BB14_12 Depth=1
	s_or_b32 exec_lo, exec_lo, s20
	s_and_saveexec_b32 s12, s13
	s_cbranch_execnz .LBB14_133
.LBB14_124:                             ;   in Loop: Header=BB14_12 Depth=1
	s_or_b32 exec_lo, exec_lo, s12
	s_and_saveexec_b32 s12, s14
	s_cbranch_execnz .LBB14_134
.LBB14_125:                             ;   in Loop: Header=BB14_12 Depth=1
	s_or_b32 exec_lo, exec_lo, s12
	s_and_saveexec_b32 s12, s15
	s_cbranch_execnz .LBB14_135
.LBB14_126:                             ;   in Loop: Header=BB14_12 Depth=1
	s_or_b32 exec_lo, exec_lo, s12
	s_and_saveexec_b32 s12, s16
	s_cbranch_execnz .LBB14_136
.LBB14_127:                             ;   in Loop: Header=BB14_12 Depth=1
	s_or_b32 exec_lo, exec_lo, s12
	s_and_saveexec_b32 s12, s17
	s_cbranch_execnz .LBB14_137
.LBB14_128:                             ;   in Loop: Header=BB14_12 Depth=1
	s_or_b32 exec_lo, exec_lo, s12
	s_and_saveexec_b32 s12, s18
	s_cbranch_execnz .LBB14_138
.LBB14_129:                             ;   in Loop: Header=BB14_12 Depth=1
	s_or_b32 exec_lo, exec_lo, s12
	s_and_saveexec_b32 s12, s19
	s_cbranch_execz .LBB14_11
	s_branch .LBB14_139
.LBB14_130:                             ;   in Loop: Header=BB14_12 Depth=1
	global_load_u16 v51, v[4:5], off offset:320
	s_or_b32 exec_lo, exec_lo, s20
	s_and_saveexec_b32 s20, s18
	s_cbranch_execz .LBB14_40
.LBB14_131:                             ;   in Loop: Header=BB14_12 Depth=1
	global_load_u16 v50, v[4:5], off offset:384
	s_or_b32 exec_lo, exec_lo, s20
	v_mov_b32_e32 v52, 0
	s_and_saveexec_b32 s20, s19
	s_cbranch_execnz .LBB14_41
	s_branch .LBB14_42
.LBB14_132:                             ;   in Loop: Header=BB14_12 Depth=1
	ds_load_u16 v9, v20
	s_waitcnt lgkmcnt(0)
	global_store_b16 v[0:1], v9, off
	s_or_b32 exec_lo, exec_lo, s20
	s_and_saveexec_b32 s12, s13
	s_cbranch_execz .LBB14_124
.LBB14_133:                             ;   in Loop: Header=BB14_12 Depth=1
	s_waitcnt lgkmcnt(6)
	global_store_b16 v[0:1], v8, off offset:64
	s_or_b32 exec_lo, exec_lo, s12
	s_and_saveexec_b32 s12, s14
	s_cbranch_execz .LBB14_125
.LBB14_134:                             ;   in Loop: Header=BB14_12 Depth=1
	s_waitcnt lgkmcnt(5)
	global_store_b16 v[0:1], v7, off offset:128
	s_or_b32 exec_lo, exec_lo, s12
	s_and_saveexec_b32 s12, s15
	s_cbranch_execz .LBB14_126
.LBB14_135:                             ;   in Loop: Header=BB14_12 Depth=1
	s_waitcnt lgkmcnt(4)
	global_store_b16 v[0:1], v6, off offset:192
	s_or_b32 exec_lo, exec_lo, s12
	s_and_saveexec_b32 s12, s16
	s_cbranch_execz .LBB14_127
.LBB14_136:                             ;   in Loop: Header=BB14_12 Depth=1
	s_waitcnt lgkmcnt(3)
	global_store_b16 v[0:1], v5, off offset:256
	s_or_b32 exec_lo, exec_lo, s12
	s_and_saveexec_b32 s12, s17
	s_cbranch_execz .LBB14_128
.LBB14_137:                             ;   in Loop: Header=BB14_12 Depth=1
	s_waitcnt lgkmcnt(2)
	global_store_b16 v[0:1], v4, off offset:320
	s_or_b32 exec_lo, exec_lo, s12
	s_and_saveexec_b32 s12, s18
	s_cbranch_execz .LBB14_129
.LBB14_138:                             ;   in Loop: Header=BB14_12 Depth=1
	s_waitcnt lgkmcnt(1)
	global_store_b16 v[0:1], v3, off offset:384
	s_or_b32 exec_lo, exec_lo, s12
	s_and_saveexec_b32 s12, s19
	s_cbranch_execz .LBB14_11
.LBB14_139:                             ;   in Loop: Header=BB14_12 Depth=1
	s_waitcnt lgkmcnt(0)
	global_store_b16 v[0:1], v2, off offset:448
	s_branch .LBB14_11
.LBB14_140:
	s_nop 0
	s_sendmsg sendmsg(MSG_DEALLOC_VGPRS)
	s_endpgm
	.section	.rodata,"a",@progbits
	.p2align	6, 0x0
	.amdhsa_kernel _Z25selective_scan_fwd_kernelI32Selective_Scan_fwd_kernel_traitsILi64ELi8ELi1ELb0ELb1ELb1ELb0ELb1EN3c108BFloat16EfS2_EEv13SSMParamsBase
		.amdhsa_group_segment_fixed_size 0
		.amdhsa_private_segment_fixed_size 0
		.amdhsa_kernarg_size 248
		.amdhsa_user_sgpr_count 14
		.amdhsa_user_sgpr_dispatch_ptr 0
		.amdhsa_user_sgpr_queue_ptr 0
		.amdhsa_user_sgpr_kernarg_segment_ptr 1
		.amdhsa_user_sgpr_dispatch_id 0
		.amdhsa_user_sgpr_private_segment_size 0
		.amdhsa_wavefront_size32 1
		.amdhsa_uses_dynamic_stack 0
		.amdhsa_enable_private_segment 0
		.amdhsa_system_sgpr_workgroup_id_x 1
		.amdhsa_system_sgpr_workgroup_id_y 1
		.amdhsa_system_sgpr_workgroup_id_z 0
		.amdhsa_system_sgpr_workgroup_info 0
		.amdhsa_system_vgpr_workitem_id 0
		.amdhsa_next_free_vgpr 95
		.amdhsa_next_free_sgpr 76
		.amdhsa_reserve_vcc 1
		.amdhsa_float_round_mode_32 0
		.amdhsa_float_round_mode_16_64 0
		.amdhsa_float_denorm_mode_32 3
		.amdhsa_float_denorm_mode_16_64 3
		.amdhsa_dx10_clamp 1
		.amdhsa_ieee_mode 1
		.amdhsa_fp16_overflow 0
		.amdhsa_workgroup_processor_mode 1
		.amdhsa_memory_ordered 1
		.amdhsa_forward_progress 0
		.amdhsa_shared_vgpr_count 0
		.amdhsa_exception_fp_ieee_invalid_op 0
		.amdhsa_exception_fp_denorm_src 0
		.amdhsa_exception_fp_ieee_div_zero 0
		.amdhsa_exception_fp_ieee_overflow 0
		.amdhsa_exception_fp_ieee_underflow 0
		.amdhsa_exception_fp_ieee_inexact 0
		.amdhsa_exception_int_div_zero 0
	.end_amdhsa_kernel
	.section	.text._Z25selective_scan_fwd_kernelI32Selective_Scan_fwd_kernel_traitsILi64ELi8ELi1ELb0ELb1ELb1ELb0ELb1EN3c108BFloat16EfS2_EEv13SSMParamsBase,"axG",@progbits,_Z25selective_scan_fwd_kernelI32Selective_Scan_fwd_kernel_traitsILi64ELi8ELi1ELb0ELb1ELb1ELb0ELb1EN3c108BFloat16EfS2_EEv13SSMParamsBase,comdat
.Lfunc_end14:
	.size	_Z25selective_scan_fwd_kernelI32Selective_Scan_fwd_kernel_traitsILi64ELi8ELi1ELb0ELb1ELb1ELb0ELb1EN3c108BFloat16EfS2_EEv13SSMParamsBase, .Lfunc_end14-_Z25selective_scan_fwd_kernelI32Selective_Scan_fwd_kernel_traitsILi64ELi8ELi1ELb0ELb1ELb1ELb0ELb1EN3c108BFloat16EfS2_EEv13SSMParamsBase
                                        ; -- End function
	.section	.AMDGPU.csdata,"",@progbits
; Kernel info:
; codeLenInByte = 11836
; NumSgprs: 78
; NumVgprs: 95
; ScratchSize: 0
; MemoryBound: 0
; FloatMode: 240
; IeeeMode: 1
; LDSByteSize: 0 bytes/workgroup (compile time only)
; SGPRBlocks: 9
; VGPRBlocks: 11
; NumSGPRsForWavesPerEU: 78
; NumVGPRsForWavesPerEU: 95
; Occupancy: 16
; WaveLimiterHint : 1
; COMPUTE_PGM_RSRC2:SCRATCH_EN: 0
; COMPUTE_PGM_RSRC2:USER_SGPR: 14
; COMPUTE_PGM_RSRC2:TRAP_HANDLER: 0
; COMPUTE_PGM_RSRC2:TGID_X_EN: 1
; COMPUTE_PGM_RSRC2:TGID_Y_EN: 1
; COMPUTE_PGM_RSRC2:TGID_Z_EN: 0
; COMPUTE_PGM_RSRC2:TIDIG_COMP_CNT: 0
	.section	.text._Z25selective_scan_fwd_kernelI32Selective_Scan_fwd_kernel_traitsILi64ELi8ELi1ELb0ELb1ELb1ELb0ELb0EN3c108BFloat16EfS2_EEv13SSMParamsBase,"axG",@progbits,_Z25selective_scan_fwd_kernelI32Selective_Scan_fwd_kernel_traitsILi64ELi8ELi1ELb0ELb1ELb1ELb0ELb0EN3c108BFloat16EfS2_EEv13SSMParamsBase,comdat
	.protected	_Z25selective_scan_fwd_kernelI32Selective_Scan_fwd_kernel_traitsILi64ELi8ELi1ELb0ELb1ELb1ELb0ELb0EN3c108BFloat16EfS2_EEv13SSMParamsBase ; -- Begin function _Z25selective_scan_fwd_kernelI32Selective_Scan_fwd_kernel_traitsILi64ELi8ELi1ELb0ELb1ELb1ELb0ELb0EN3c108BFloat16EfS2_EEv13SSMParamsBase
	.globl	_Z25selective_scan_fwd_kernelI32Selective_Scan_fwd_kernel_traitsILi64ELi8ELi1ELb0ELb1ELb1ELb0ELb0EN3c108BFloat16EfS2_EEv13SSMParamsBase
	.p2align	8
	.type	_Z25selective_scan_fwd_kernelI32Selective_Scan_fwd_kernel_traitsILi64ELi8ELi1ELb0ELb1ELb1ELb0ELb0EN3c108BFloat16EfS2_EEv13SSMParamsBase,@function
_Z25selective_scan_fwd_kernelI32Selective_Scan_fwd_kernel_traitsILi64ELi8ELi1ELb0ELb1ELb1ELb0ELb0EN3c108BFloat16EfS2_EEv13SSMParamsBase: ; @_Z25selective_scan_fwd_kernelI32Selective_Scan_fwd_kernel_traitsILi64ELi8ELi1ELb0ELb1ELb1ELb0ELb0EN3c108BFloat16EfS2_EEv13SSMParamsBase
; %bb.0:
	s_clause 0x1
	s_load_b32 s9, s[0:1], 0x18
	s_load_b128 s[4:7], s[0:1], 0xe8
	s_mov_b32 s12, s15
	s_mov_b32 s33, 0
	s_waitcnt lgkmcnt(0)
	s_abs_i32 s8, s9
	s_cmp_eq_u64 s[6:7], 0
	v_cvt_f32_u32_e32 v1, s8
	s_delay_alu instid0(VALU_DEP_1) | instskip(SKIP_2) | instid1(VALU_DEP_1)
	v_rcp_iflag_f32_e32 v1, v1
	s_waitcnt_depctr 0xfff
	v_mul_f32_e32 v1, 0x4f7ffffe, v1
	v_cvt_u32_f32_e32 v1, v1
	s_delay_alu instid0(VALU_DEP_1)
	v_readfirstlane_b32 s10, v1
	s_cbranch_scc1 .LBB15_2
; %bb.1:
	v_mov_b32_e32 v1, 0
	s_ashr_i32 s3, s14, 31
	s_add_u32 s2, s6, s14
	s_addc_u32 s3, s7, s3
	global_load_u8 v1, v1, s[2:3]
	s_waitcnt vmcnt(0)
	v_and_b32_e32 v1, 1, v1
	s_delay_alu instid0(VALU_DEP_1)
	v_cmp_eq_u32_e64 s33, 1, v1
.LBB15_2:
	s_load_b64 s[6:7], s[0:1], 0x20
	s_cmp_eq_u64 s[4:5], 0
	s_cbranch_scc1 .LBB15_4
; %bb.3:
	s_ashr_i32 s15, s14, 31
	s_delay_alu instid0(SALU_CYCLE_1) | instskip(NEXT) | instid1(SALU_CYCLE_1)
	s_lshl_b64 s[2:3], s[14:15], 2
	s_add_u32 s2, s4, s2
	s_addc_u32 s3, s5, s3
	s_load_b32 s2, s[2:3], 0x0
	s_waitcnt lgkmcnt(0)
	s_ashr_i32 s3, s2, 31
	s_delay_alu instid0(SALU_CYCLE_1)
	s_cmp_eq_u64 s[6:7], s[2:3]
	s_cbranch_scc0 .LBB15_5
	s_branch .LBB15_140
.LBB15_4:
	s_mov_b32 s2, s14
	s_delay_alu instid0(SALU_CYCLE_1)
	s_ashr_i32 s3, s2, 31
	s_waitcnt lgkmcnt(0)
	s_cmp_eq_u64 s[6:7], s[2:3]
	s_cbranch_scc1 .LBB15_140
.LBB15_5:
	s_clause 0x1
	s_load_b512 s[16:31], s[0:1], 0x88
	s_load_b64 s[34:35], s[0:1], 0x8
	s_mov_b32 s54, 0
	s_mov_b32 s55, 0
	s_waitcnt lgkmcnt(0)
	s_cmp_eq_u64 s[22:23], 0
	s_cbranch_scc1 .LBB15_7
; %bb.6:
	s_ashr_i32 s13, s12, 31
	s_delay_alu instid0(SALU_CYCLE_1) | instskip(NEXT) | instid1(SALU_CYCLE_1)
	s_lshl_b64 s[4:5], s[12:13], 2
	s_add_u32 s4, s22, s4
	s_addc_u32 s5, s23, s5
	s_load_b32 s55, s[4:5], 0x0
.LBB15_7:
	s_cmp_eq_u64 s[28:29], 0
	s_cbranch_scc1 .LBB15_9
; %bb.8:
	s_ashr_i32 s13, s12, 31
	s_delay_alu instid0(SALU_CYCLE_1) | instskip(NEXT) | instid1(SALU_CYCLE_1)
	s_lshl_b64 s[4:5], s[12:13], 2
	s_add_u32 s4, s28, s4
	s_addc_u32 s5, s29, s5
	s_load_b32 s54, s[4:5], 0x0
.LBB15_9:
	s_cmp_lt_i32 s34, 1
	s_cbranch_scc1 .LBB15_140
; %bb.10:
	s_sub_i32 s3, 0, s8
	s_clause 0x1
	s_load_b64 s[4:5], s[0:1], 0x5c
	s_load_b128 s[44:47], s[0:1], 0x4c
	s_mul_i32 s3, s3, s10
	s_abs_i32 s6, s12
	s_mul_hi_u32 s3, s10, s3
	s_ashr_i32 s9, s9, 31
	s_add_i32 s10, s10, s3
	s_ashr_i32 s3, s12, 31
	s_mul_hi_u32 s7, s6, s10
	s_xor_b32 s3, s3, s9
	s_mul_i32 s10, s7, s8
	s_add_i32 s9, s7, 1
	s_sub_i32 s6, s6, s10
	s_load_b256 s[36:43], s[0:1], 0x2c
	s_sub_i32 s10, s6, s8
	s_cmp_ge_u32 s6, s8
	s_mov_b32 s53, 0
	s_cselect_b32 s7, s9, s7
	s_cselect_b32 s6, s10, s6
	s_add_i32 s9, s7, 1
	s_cmp_ge_u32 s6, s8
	s_waitcnt lgkmcnt(0)
	s_mul_i32 s52, s46, s14
	s_cselect_b32 s6, s9, s7
	s_clause 0x1
	s_load_b128 s[48:51], s[0:1], 0x7c
	s_load_b64 s[10:11], s[0:1], 0x6c
	s_xor_b32 s8, s6, s3
	s_lshl_b64 s[6:7], s[52:53], 1
	s_sub_i32 s3, s8, s3
	s_mul_i32 s52, s47, s12
	s_add_u32 s8, s24, s6
	s_addc_u32 s9, s25, s7
	s_lshl_b64 s[6:7], s[52:53], 1
	s_mul_i32 s52, s4, s14
	s_add_u32 s56, s8, s6
	s_addc_u32 s57, s9, s7
	s_lshl_b64 s[6:7], s[52:53], 1
	;; [unrolled: 4-line block ×3, first 2 shown]
	v_dual_mov_b32 v13, 0 :: v_dual_lshlrev_b32 v10, 3, v0
	s_add_u32 s58, s6, s4
	s_mul_i32 s52, s36, s12
	s_addc_u32 s36, s7, s5
	s_load_b64 s[6:7], s[0:1], 0xc8
	s_lshl_b64 s[4:5], s[52:53], 2
	v_mbcnt_lo_u32_b32 v1, -1, 0
	v_and_b32_e32 v2, 0x100, v10
	s_mul_i32 s52, s38, s14
	s_add_u32 s59, s16, s4
	s_addc_u32 s60, s17, s5
	s_lshl_b64 s[4:5], s[52:53], 1
	s_mul_i32 s52, s3, s41
	s_load_b32 s0, s[0:1], 0x28
	s_add_u32 s8, s18, s4
	v_or_b32_e32 v11, v1, v2
	s_addc_u32 s9, s19, s5
	s_lshl_b64 s[4:5], s[52:53], 1
	s_mul_i32 s52, s42, s14
	s_add_u32 s41, s8, s4
	s_waitcnt lgkmcnt(0)
	s_addc_u32 s51, s9, s5
	s_lshl_b64 s[4:5], s[52:53], 1
	s_mul_i32 s52, s3, s45
	v_or_b32_e32 v12, 0x60, v11
	s_add_u32 s8, s20, s4
	s_addc_u32 s3, s21, s5
	s_lshl_b64 s[4:5], s[52:53], 1
	s_mul_i32 s52, s2, s48
	s_add_u32 s45, s8, s4
	s_addc_u32 s48, s3, s5
	s_lshl_b64 s[2:3], s[52:53], 1
	v_lshrrev_b32_e32 v3, 5, v12
	v_or_b32_e32 v17, 0xa0, v11
	v_or_b32_e32 v19, 0xe0, v11
	s_mul_i32 s52, s49, s12
	s_add_u32 s4, s6, s2
	s_addc_u32 s5, s7, s3
	s_lshl_b64 s[2:3], s[52:53], 1
	v_or_b32_e32 v15, 64, v11
	s_add_u32 s49, s4, s2
	v_or_b32_e32 v16, 0x80, v11
	v_and_b32_e32 v3, 10, v3
	v_or_b32_e32 v18, 0xc0, v11
	v_and_b32_e32 v6, 32, v0
	v_lshrrev_b32_e32 v7, 5, v17
	v_lshrrev_b32_e32 v24, 5, v19
	s_addc_u32 s61, s5, s3
	s_add_i32 s1, s34, 0x7ff
	v_lshrrev_b32_e32 v4, 5, v2
	s_lshr_b32 s62, s1, 11
	s_bitcmp1_b32 s0, 0
	v_lshrrev_b32_e32 v5, 5, v15
	v_add_lshl_u32 v3, v3, v11, 1
	v_lshrrev_b32_e32 v8, 5, v16
	v_or_b32_e32 v9, v1, v6
	v_and_b32_e32 v7, 12, v7
	v_lshrrev_b32_e32 v23, 5, v18
	v_and_b32_e32 v26, 14, v24
	s_cselect_b32 s63, -1, 0
	s_cmp_gt_i32 s35, 0
	v_add_lshl_u32 v4, v4, v11, 1
	s_cselect_b32 s64, -1, 0
	s_add_i32 s0, 0, 0x420
	v_add_lshl_u32 v5, v5, v11, 1
	v_add_nc_u32_e32 v22, 0, v3
	v_add_lshl_u32 v8, v8, v11, 1
	v_lshrrev_b32_e32 v25, 2, v9
	v_add_lshl_u32 v7, v7, v11, 1
	v_add_lshl_u32 v33, v23, v11, 1
	;; [unrolled: 1-line block ×3, first 2 shown]
	v_add_nc_u32_e32 v30, s0, v3
	v_and_b32_e32 v3, 15, v1
	s_and_b32 s1, s34, 0x1ff
	v_and_b32_e32 v27, 14, v25
	v_add_nc_u32_e32 v25, 0, v33
	v_add_nc_u32_e32 v26, 0, v34
	;; [unrolled: 1-line block ×7, first 2 shown]
	s_cmp_eq_u32 s1, 0
	v_add_nc_u32_e32 v34, s0, v34
	v_cmp_ne_u32_e64 s0, 0, v3
	v_cmp_lt_u32_e64 s1, 1, v3
	v_cmp_lt_u32_e64 s2, 3, v3
	;; [unrolled: 1-line block ×3, first 2 shown]
	v_add_nc_u32_e32 v3, -1, v1
	v_add_nc_u32_e32 v20, 0, v4
	v_lshrrev_b32_e32 v4, 2, v0
	v_or_b32_e32 v6, 31, v6
	s_mul_i32 s52, s10, s14
	v_cmp_gt_i32_e32 vcc_lo, 0, v3
	s_cselect_b32 s65, -1, 0
	v_and_b32_e32 v4, 8, v4
	s_lshl_b64 s[14:15], s[52:53], 1
	s_add_i32 s66, s62, -1
	v_cndmask_b32_e32 v3, v3, v1, vcc_lo
	s_mul_i32 s52, s11, s12
	v_cmp_eq_u32_e64 s5, v6, v0
	v_cmp_gt_u32_e64 s6, 2, v0
	v_cmp_gt_u32_e64 s8, 32, v0
	v_cmp_lt_u32_e64 s9, 31, v0
	v_cmp_eq_u32_e64 s10, 0, v0
	s_add_u32 s14, s30, s14
	v_lshlrev_b32_e32 v0, 1, v1
	s_addc_u32 s11, s31, s15
	s_lshl_b64 s[12:13], s[52:53], 1
	v_add_nc_u32_e32 v35, 0, v4
	v_and_b32_e32 v4, 1, v1
	s_add_u32 s12, s14, s12
	v_lshlrev_b32_e32 v37, 2, v3
	s_addc_u32 s11, s11, s13
	v_lshlrev_b32_e32 v3, 1, v2
	v_add_co_u32 v0, s12, s12, v0
	v_add_nc_u32_e32 v21, 0, v5
	v_lshl_add_u32 v9, v9, 3, v27
	v_and_b32_e32 v5, 16, v1
	v_cmp_eq_u32_e64 s7, 0, v4
	v_add_co_ci_u32_e64 v4, null, s11, 0, s12
	v_add_co_u32 v38, vcc_lo, v0, v3
	v_or_b32_e32 v14, 32, v11
	v_add_nc_u32_e32 v23, 0, v8
	v_add_nc_u32_e32 v24, 0, v7
	v_lshl_add_u32 v27, v9, 1, 0
	v_cmp_ne_u32_e64 s4, 0, v5
	v_add_nc_u32_e32 v36, 0, v10
	v_cmp_eq_u32_e64 s11, 0, v1
	v_add_co_ci_u32_e32 v39, vcc_lo, 0, v4, vcc_lo
	v_or_b32_e32 v40, 1, v10
	v_or_b32_e32 v41, 2, v10
	;; [unrolled: 1-line block ×7, first 2 shown]
	v_lshlrev_b32_e32 v47, 1, v1
	v_lshlrev_b32_e32 v48, 1, v2
	s_mov_b32 s67, 0x3e9b6dac
	s_add_i32 s68, 0, 0x850
	s_mov_b32 s69, 0
	s_branch .LBB15_12
.LBB15_11:                              ;   in Loop: Header=BB15_12 Depth=1
	s_or_b32 exec_lo, exec_lo, s12
	s_add_u32 s58, s58, 0x400
	s_addc_u32 s36, s36, 0
	s_add_u32 s56, s56, 0x400
	s_addc_u32 s57, s57, 0
	;; [unrolled: 2-line block ×4, first 2 shown]
	s_add_i32 s69, s69, 1
	s_delay_alu instid0(SALU_CYCLE_1)
	s_cmp_eq_u32 s69, s62
	s_cbranch_scc1 .LBB15_140
.LBB15_12:                              ; =>This Loop Header: Depth=1
                                        ;     Child Loop BB15_61 Depth 2
	v_add_co_u32 v0, s12, s56, v47
	s_delay_alu instid0(VALU_DEP_1) | instskip(SKIP_1) | instid1(VALU_DEP_2)
	v_add_co_ci_u32_e64 v1, null, s57, 0, s12
	s_lshl_b32 s30, s69, 9
	v_add_co_u32 v0, vcc_lo, v0, v48
	s_sub_i32 s23, s34, s30
	s_delay_alu instid0(VALU_DEP_2)
	v_add_co_ci_u32_e32 v1, vcc_lo, 0, v1, vcc_lo
	v_cmp_gt_u32_e64 s12, s23, v11
	s_waitcnt lgkmcnt(0)
	v_mov_b32_e32 v2, 0
	s_waitcnt_vscnt null, 0x0
	s_barrier
	buffer_gl0_inv
	s_and_saveexec_b32 s13, s12
	s_cbranch_execz .LBB15_14
; %bb.13:                               ;   in Loop: Header=BB15_12 Depth=1
	global_load_u16 v2, v[0:1], off
.LBB15_14:                              ;   in Loop: Header=BB15_12 Depth=1
	s_or_b32 exec_lo, exec_lo, s13
	v_cmp_gt_u32_e64 s13, s23, v14
	v_dual_mov_b32 v3, 0 :: v_dual_mov_b32 v4, 0
	s_delay_alu instid0(VALU_DEP_2)
	s_and_saveexec_b32 s14, s13
	s_cbranch_execz .LBB15_16
; %bb.15:                               ;   in Loop: Header=BB15_12 Depth=1
	global_load_u16 v4, v[0:1], off offset:64
.LBB15_16:                              ;   in Loop: Header=BB15_12 Depth=1
	s_or_b32 exec_lo, exec_lo, s14
	v_cmp_gt_u32_e64 s14, s23, v15
	s_delay_alu instid0(VALU_DEP_1)
	s_and_saveexec_b32 s15, s14
	s_cbranch_execz .LBB15_18
; %bb.17:                               ;   in Loop: Header=BB15_12 Depth=1
	global_load_u16 v3, v[0:1], off offset:128
.LBB15_18:                              ;   in Loop: Header=BB15_12 Depth=1
	s_or_b32 exec_lo, exec_lo, s15
	v_cmp_gt_u32_e64 s15, s23, v12
	v_mov_b32_e32 v5, 0
	v_mov_b32_e32 v7, 0
	s_delay_alu instid0(VALU_DEP_3)
	s_and_saveexec_b32 s16, s15
	s_cbranch_execz .LBB15_20
; %bb.19:                               ;   in Loop: Header=BB15_12 Depth=1
	global_load_u16 v7, v[0:1], off offset:192
.LBB15_20:                              ;   in Loop: Header=BB15_12 Depth=1
	s_or_b32 exec_lo, exec_lo, s16
	v_cmp_gt_u32_e64 s16, s23, v16
	s_delay_alu instid0(VALU_DEP_1)
	s_and_saveexec_b32 s17, s16
	s_cbranch_execz .LBB15_22
; %bb.21:                               ;   in Loop: Header=BB15_12 Depth=1
	global_load_u16 v5, v[0:1], off offset:256
.LBB15_22:                              ;   in Loop: Header=BB15_12 Depth=1
	s_or_b32 exec_lo, exec_lo, s17
	v_cmp_gt_u32_e64 s17, s23, v17
	v_dual_mov_b32 v8, 0 :: v_dual_mov_b32 v9, 0
	s_delay_alu instid0(VALU_DEP_2)
	s_and_saveexec_b32 s18, s17
	s_cbranch_execz .LBB15_24
; %bb.23:                               ;   in Loop: Header=BB15_12 Depth=1
	global_load_u16 v9, v[0:1], off offset:320
.LBB15_24:                              ;   in Loop: Header=BB15_12 Depth=1
	s_or_b32 exec_lo, exec_lo, s18
	v_cmp_gt_u32_e64 s18, s23, v18
	s_delay_alu instid0(VALU_DEP_1)
	s_and_saveexec_b32 s19, s18
	s_cbranch_execz .LBB15_26
; %bb.25:                               ;   in Loop: Header=BB15_12 Depth=1
	global_load_u16 v8, v[0:1], off offset:384
.LBB15_26:                              ;   in Loop: Header=BB15_12 Depth=1
	s_or_b32 exec_lo, exec_lo, s19
	v_cmp_gt_u32_e64 s19, s23, v19
	v_dual_mov_b32 v6, 0 :: v_dual_mov_b32 v49, 0
	s_delay_alu instid0(VALU_DEP_2)
	s_and_saveexec_b32 s20, s19
	s_cbranch_execz .LBB15_28
; %bb.27:                               ;   in Loop: Header=BB15_12 Depth=1
	global_load_u16 v49, v[0:1], off offset:448
.LBB15_28:                              ;   in Loop: Header=BB15_12 Depth=1
	s_or_b32 exec_lo, exec_lo, s20
	s_waitcnt vmcnt(0)
	ds_store_b16 v20, v2
	ds_store_b16 v20, v4 offset:64
	ds_store_b16 v21, v3 offset:128
	;; [unrolled: 1-line block ×7, first 2 shown]
	; wave barrier
	ds_load_b128 v[0:3], v27
	v_add_co_u32 v4, s20, s58, v47
	s_delay_alu instid0(VALU_DEP_1) | instskip(SKIP_1) | instid1(VALU_DEP_2)
	v_add_co_ci_u32_e64 v5, null, s36, 0, s20
	s_waitcnt lgkmcnt(0)
	v_add_co_u32 v4, vcc_lo, v4, v48
	s_delay_alu instid0(VALU_DEP_2)
	v_add_co_ci_u32_e32 v5, vcc_lo, 0, v5, vcc_lo
	s_barrier
	buffer_gl0_inv
	s_and_saveexec_b32 s20, s12
	s_cbranch_execz .LBB15_30
; %bb.29:                               ;   in Loop: Header=BB15_12 Depth=1
	global_load_u16 v6, v[4:5], off
.LBB15_30:                              ;   in Loop: Header=BB15_12 Depth=1
	s_or_b32 exec_lo, exec_lo, s20
	v_dual_mov_b32 v7, 0 :: v_dual_mov_b32 v8, 0
	s_and_saveexec_b32 s20, s13
	s_cbranch_execz .LBB15_32
; %bb.31:                               ;   in Loop: Header=BB15_12 Depth=1
	global_load_u16 v8, v[4:5], off offset:64
.LBB15_32:                              ;   in Loop: Header=BB15_12 Depth=1
	s_or_b32 exec_lo, exec_lo, s20
	s_and_saveexec_b32 s20, s14
	s_cbranch_execz .LBB15_34
; %bb.33:                               ;   in Loop: Header=BB15_12 Depth=1
	global_load_u16 v7, v[4:5], off offset:128
.LBB15_34:                              ;   in Loop: Header=BB15_12 Depth=1
	s_or_b32 exec_lo, exec_lo, s20
	v_mov_b32_e32 v9, 0
	v_mov_b32_e32 v49, 0
	s_and_saveexec_b32 s20, s15
	s_cbranch_execz .LBB15_36
; %bb.35:                               ;   in Loop: Header=BB15_12 Depth=1
	global_load_u16 v49, v[4:5], off offset:192
.LBB15_36:                              ;   in Loop: Header=BB15_12 Depth=1
	s_or_b32 exec_lo, exec_lo, s20
	s_and_saveexec_b32 s20, s16
	s_cbranch_execz .LBB15_38
; %bb.37:                               ;   in Loop: Header=BB15_12 Depth=1
	global_load_u16 v9, v[4:5], off offset:256
.LBB15_38:                              ;   in Loop: Header=BB15_12 Depth=1
	s_or_b32 exec_lo, exec_lo, s20
	v_dual_mov_b32 v50, 0 :: v_dual_mov_b32 v51, 0
	s_and_saveexec_b32 s20, s17
	s_cbranch_execnz .LBB15_130
; %bb.39:                               ;   in Loop: Header=BB15_12 Depth=1
	s_or_b32 exec_lo, exec_lo, s20
	s_and_saveexec_b32 s20, s18
	s_cbranch_execnz .LBB15_131
.LBB15_40:                              ;   in Loop: Header=BB15_12 Depth=1
	s_or_b32 exec_lo, exec_lo, s20
	v_mov_b32_e32 v52, 0
	s_and_saveexec_b32 s20, s19
	s_cbranch_execz .LBB15_42
.LBB15_41:                              ;   in Loop: Header=BB15_12 Depth=1
	global_load_u16 v52, v[4:5], off offset:448
.LBB15_42:                              ;   in Loop: Header=BB15_12 Depth=1
	s_or_b32 exec_lo, exec_lo, s20
	s_waitcnt vmcnt(0)
	ds_store_b16 v20, v6
	ds_store_b16 v20, v8 offset:64
	ds_store_b16 v21, v7 offset:128
	;; [unrolled: 1-line block ×7, first 2 shown]
	; wave barrier
	ds_load_b128 v[4:7], v27
	s_waitcnt lgkmcnt(0)
	v_lshlrev_b32_e32 v8, 16, v4
	s_delay_alu instid0(VALU_DEP_1) | instskip(NEXT) | instid1(VALU_DEP_1)
	v_add_f32_e32 v49, s54, v8
	v_cmp_ge_f32_e32 vcc_lo, 0x41a00000, v49
	s_and_b32 s20, s63, vcc_lo
	s_delay_alu instid0(SALU_CYCLE_1)
	s_and_saveexec_b32 s21, s20
	s_cbranch_execz .LBB15_44
; %bb.43:                               ;   in Loop: Header=BB15_12 Depth=1
	v_mul_f32_e32 v8, 0x3fb8aa3b, v49
	v_cmp_ngt_f32_e32 vcc_lo, 0xc2ce8ed0, v49
	s_delay_alu instid0(VALU_DEP_2) | instskip(SKIP_1) | instid1(VALU_DEP_2)
	v_rndne_f32_e32 v9, v8
	v_fma_f32 v50, 0x3fb8aa3b, v49, -v8
	v_sub_f32_e32 v8, v8, v9
	s_delay_alu instid0(VALU_DEP_2) | instskip(SKIP_1) | instid1(VALU_DEP_2)
	v_fmac_f32_e32 v50, 0x32a5705f, v49
	v_cvt_i32_f32_e32 v9, v9
	v_add_f32_e32 v8, v8, v50
	s_delay_alu instid0(VALU_DEP_1) | instskip(SKIP_2) | instid1(VALU_DEP_1)
	v_exp_f32_e32 v8, v8
	s_waitcnt_depctr 0xfff
	v_ldexp_f32 v8, v8, v9
	v_cndmask_b32_e32 v8, 0, v8, vcc_lo
	v_cmp_nlt_f32_e32 vcc_lo, 0x42b17218, v49
	s_delay_alu instid0(VALU_DEP_2) | instskip(NEXT) | instid1(VALU_DEP_1)
	v_cndmask_b32_e32 v49, 0x7f800000, v8, vcc_lo
	v_add_f32_e32 v50, 1.0, v49
	s_delay_alu instid0(VALU_DEP_1) | instskip(NEXT) | instid1(VALU_DEP_1)
	v_cvt_f64_f32_e32 v[8:9], v50
	v_frexp_exp_i32_f64_e32 v8, v[8:9]
	v_frexp_mant_f32_e32 v9, v50
	s_delay_alu instid0(VALU_DEP_1) | instskip(SKIP_1) | instid1(VALU_DEP_1)
	v_cmp_gt_f32_e32 vcc_lo, 0x3f2aaaab, v9
	v_add_f32_e32 v9, -1.0, v50
	v_sub_f32_e32 v52, v9, v50
	v_sub_f32_e32 v9, v49, v9
	v_cmp_gt_f32_e64 s20, 0x33800000, v49
	s_delay_alu instid0(VALU_DEP_3) | instskip(NEXT) | instid1(VALU_DEP_1)
	v_add_f32_e32 v52, 1.0, v52
	v_add_f32_e32 v9, v9, v52
	v_subrev_co_ci_u32_e32 v8, vcc_lo, 0, v8, vcc_lo
	v_cmp_eq_f32_e32 vcc_lo, 0x7f800000, v49
	s_delay_alu instid0(VALU_DEP_2) | instskip(SKIP_2) | instid1(VALU_DEP_2)
	v_sub_nc_u32_e32 v51, 0, v8
	v_cvt_f32_i32_e32 v8, v8
	s_or_b32 vcc_lo, s20, vcc_lo
	v_ldexp_f32 v50, v50, v51
	v_ldexp_f32 v9, v9, v51
	s_delay_alu instid0(VALU_DEP_2) | instskip(NEXT) | instid1(VALU_DEP_1)
	v_add_f32_e32 v53, 1.0, v50
	v_dual_add_f32 v51, -1.0, v50 :: v_dual_add_f32 v52, -1.0, v53
	s_delay_alu instid0(VALU_DEP_1) | instskip(NEXT) | instid1(VALU_DEP_2)
	v_add_f32_e32 v54, 1.0, v51
	v_sub_f32_e32 v52, v50, v52
	s_delay_alu instid0(VALU_DEP_2) | instskip(NEXT) | instid1(VALU_DEP_2)
	v_sub_f32_e32 v50, v50, v54
	v_add_f32_e32 v52, v9, v52
	s_delay_alu instid0(VALU_DEP_2) | instskip(NEXT) | instid1(VALU_DEP_1)
	v_add_f32_e32 v9, v9, v50
	v_dual_add_f32 v55, v51, v9 :: v_dual_add_f32 v54, v53, v52
	s_delay_alu instid0(VALU_DEP_1) | instskip(NEXT) | instid1(VALU_DEP_2)
	v_sub_f32_e32 v51, v51, v55
	v_rcp_f32_e32 v50, v54
	v_sub_f32_e32 v53, v53, v54
	s_delay_alu instid0(VALU_DEP_1) | instskip(SKIP_2) | instid1(VALU_DEP_1)
	v_dual_add_f32 v9, v9, v51 :: v_dual_add_f32 v52, v52, v53
	s_waitcnt_depctr 0xfff
	v_mul_f32_e32 v56, v55, v50
	v_mul_f32_e32 v57, v54, v56
	s_delay_alu instid0(VALU_DEP_1) | instskip(NEXT) | instid1(VALU_DEP_1)
	v_fma_f32 v53, v56, v54, -v57
	v_fmac_f32_e32 v53, v56, v52
	s_delay_alu instid0(VALU_DEP_1) | instskip(NEXT) | instid1(VALU_DEP_1)
	v_add_f32_e32 v58, v57, v53
	v_sub_f32_e32 v59, v55, v58
	s_delay_alu instid0(VALU_DEP_1) | instskip(NEXT) | instid1(VALU_DEP_1)
	v_sub_f32_e32 v55, v55, v59
	v_sub_f32_e32 v55, v55, v58
	;; [unrolled: 1-line block ×3, first 2 shown]
	s_delay_alu instid0(VALU_DEP_2) | instskip(NEXT) | instid1(VALU_DEP_2)
	v_add_f32_e32 v9, v9, v55
	v_sub_f32_e32 v51, v51, v53
	s_delay_alu instid0(VALU_DEP_1) | instskip(NEXT) | instid1(VALU_DEP_1)
	v_add_f32_e32 v9, v51, v9
	v_add_f32_e32 v51, v59, v9
	s_delay_alu instid0(VALU_DEP_1) | instskip(NEXT) | instid1(VALU_DEP_1)
	v_mul_f32_e32 v53, v50, v51
	v_dual_sub_f32 v58, v59, v51 :: v_dual_mul_f32 v55, v54, v53
	s_delay_alu instid0(VALU_DEP_1) | instskip(NEXT) | instid1(VALU_DEP_2)
	v_add_f32_e32 v9, v9, v58
	v_fma_f32 v54, v53, v54, -v55
	s_delay_alu instid0(VALU_DEP_1) | instskip(NEXT) | instid1(VALU_DEP_1)
	v_fmac_f32_e32 v54, v53, v52
	v_add_f32_e32 v52, v55, v54
	s_delay_alu instid0(VALU_DEP_1) | instskip(NEXT) | instid1(VALU_DEP_1)
	v_sub_f32_e32 v57, v51, v52
	v_sub_f32_e32 v51, v51, v57
	s_delay_alu instid0(VALU_DEP_1) | instskip(NEXT) | instid1(VALU_DEP_1)
	v_sub_f32_e32 v51, v51, v52
	v_add_f32_e32 v9, v9, v51
	v_add_f32_e32 v51, v56, v53
	v_sub_f32_e32 v55, v52, v55
	s_delay_alu instid0(VALU_DEP_1) | instskip(NEXT) | instid1(VALU_DEP_1)
	v_sub_f32_e32 v52, v55, v54
	v_dual_add_f32 v9, v52, v9 :: v_dual_sub_f32 v52, v51, v56
	s_delay_alu instid0(VALU_DEP_1) | instskip(NEXT) | instid1(VALU_DEP_1)
	v_add_f32_e32 v9, v57, v9
	v_dual_sub_f32 v52, v53, v52 :: v_dual_mul_f32 v9, v50, v9
	s_delay_alu instid0(VALU_DEP_1) | instskip(NEXT) | instid1(VALU_DEP_1)
	v_add_f32_e32 v9, v52, v9
	v_add_f32_e32 v50, v51, v9
	s_delay_alu instid0(VALU_DEP_1) | instskip(NEXT) | instid1(VALU_DEP_1)
	v_mul_f32_e32 v52, v50, v50
	v_fmaak_f32 v53, s67, v52, 0x3ecc95a3
	v_mul_f32_e32 v54, v50, v52
	s_delay_alu instid0(VALU_DEP_2) | instskip(SKIP_2) | instid1(VALU_DEP_3)
	v_fmaak_f32 v52, v52, v53, 0x3f2aaada
	v_ldexp_f32 v53, v50, 1
	v_sub_f32_e32 v50, v50, v51
	v_mul_f32_e32 v52, v54, v52
	v_mul_f32_e32 v54, 0x3f317218, v8
	s_delay_alu instid0(VALU_DEP_2) | instskip(NEXT) | instid1(VALU_DEP_1)
	v_add_f32_e32 v51, v53, v52
	v_dual_sub_f32 v9, v9, v50 :: v_dual_sub_f32 v50, v51, v53
	s_delay_alu instid0(VALU_DEP_3) | instskip(NEXT) | instid1(VALU_DEP_2)
	v_fma_f32 v53, 0x3f317218, v8, -v54
	v_ldexp_f32 v9, v9, 1
	s_delay_alu instid0(VALU_DEP_2) | instskip(NEXT) | instid1(VALU_DEP_1)
	v_dual_sub_f32 v50, v52, v50 :: v_dual_fmac_f32 v53, 0xb102e308, v8
	v_dual_add_f32 v8, v9, v50 :: v_dual_add_f32 v9, v54, v53
	s_delay_alu instid0(VALU_DEP_1) | instskip(NEXT) | instid1(VALU_DEP_1)
	v_add_f32_e32 v50, v51, v8
	v_add_f32_e32 v52, v9, v50
	s_delay_alu instid0(VALU_DEP_1) | instskip(NEXT) | instid1(VALU_DEP_1)
	v_sub_f32_e32 v55, v52, v9
	v_sub_f32_e32 v56, v52, v55
	;; [unrolled: 1-line block ×4, first 2 shown]
	s_delay_alu instid0(VALU_DEP_2) | instskip(SKIP_1) | instid1(VALU_DEP_1)
	v_sub_f32_e32 v8, v8, v51
	v_sub_f32_e32 v54, v9, v54
	;; [unrolled: 1-line block ×3, first 2 shown]
	s_delay_alu instid0(VALU_DEP_1) | instskip(SKIP_1) | instid1(VALU_DEP_1)
	v_add_f32_e32 v51, v53, v8
	v_sub_f32_e32 v9, v9, v56
	v_add_f32_e32 v9, v50, v9
	s_delay_alu instid0(VALU_DEP_3) | instskip(NEXT) | instid1(VALU_DEP_1)
	v_sub_f32_e32 v50, v51, v53
	v_dual_sub_f32 v8, v8, v50 :: v_dual_add_f32 v9, v51, v9
	s_delay_alu instid0(VALU_DEP_1) | instskip(NEXT) | instid1(VALU_DEP_1)
	v_dual_sub_f32 v51, v51, v50 :: v_dual_add_f32 v54, v52, v9
	v_dual_sub_f32 v51, v53, v51 :: v_dual_sub_f32 v50, v54, v52
	s_delay_alu instid0(VALU_DEP_1) | instskip(NEXT) | instid1(VALU_DEP_1)
	v_dual_add_f32 v8, v8, v51 :: v_dual_sub_f32 v9, v9, v50
	v_add_f32_e32 v8, v8, v9
	s_delay_alu instid0(VALU_DEP_1) | instskip(NEXT) | instid1(VALU_DEP_1)
	v_add_f32_e32 v8, v54, v8
	v_cndmask_b32_e32 v49, v8, v49, vcc_lo
.LBB15_44:                              ;   in Loop: Header=BB15_12 Depth=1
	s_or_b32 exec_lo, exec_lo, s21
	v_and_b32_e32 v4, 0xffff0000, v4
	s_delay_alu instid0(VALU_DEP_1) | instskip(NEXT) | instid1(VALU_DEP_1)
	v_add_f32_e32 v50, s54, v4
	v_cmp_ge_f32_e32 vcc_lo, 0x41a00000, v50
	s_and_b32 s20, s63, vcc_lo
	s_delay_alu instid0(SALU_CYCLE_1)
	s_and_saveexec_b32 s21, s20
	s_cbranch_execz .LBB15_46
; %bb.45:                               ;   in Loop: Header=BB15_12 Depth=1
	v_mul_f32_e32 v4, 0x3fb8aa3b, v50
	v_cmp_ngt_f32_e32 vcc_lo, 0xc2ce8ed0, v50
	s_delay_alu instid0(VALU_DEP_2) | instskip(SKIP_1) | instid1(VALU_DEP_1)
	v_rndne_f32_e32 v8, v4
	v_fma_f32 v9, 0x3fb8aa3b, v50, -v4
	v_dual_sub_f32 v4, v4, v8 :: v_dual_fmac_f32 v9, 0x32a5705f, v50
	v_cvt_i32_f32_e32 v8, v8
	s_delay_alu instid0(VALU_DEP_2) | instskip(NEXT) | instid1(VALU_DEP_1)
	v_add_f32_e32 v4, v4, v9
	v_exp_f32_e32 v4, v4
	s_waitcnt_depctr 0xfff
	v_ldexp_f32 v4, v4, v8
	s_delay_alu instid0(VALU_DEP_1) | instskip(SKIP_1) | instid1(VALU_DEP_2)
	v_cndmask_b32_e32 v4, 0, v4, vcc_lo
	v_cmp_nlt_f32_e32 vcc_lo, 0x42b17218, v50
	v_cndmask_b32_e32 v4, 0x7f800000, v4, vcc_lo
	s_delay_alu instid0(VALU_DEP_1) | instskip(NEXT) | instid1(VALU_DEP_1)
	v_add_f32_e32 v50, 1.0, v4
	v_cvt_f64_f32_e32 v[8:9], v50
	s_delay_alu instid0(VALU_DEP_1) | instskip(SKIP_1) | instid1(VALU_DEP_1)
	v_frexp_exp_i32_f64_e32 v8, v[8:9]
	v_frexp_mant_f32_e32 v9, v50
	v_cmp_gt_f32_e32 vcc_lo, 0x3f2aaaab, v9
	v_add_f32_e32 v9, -1.0, v50
	s_delay_alu instid0(VALU_DEP_1) | instskip(NEXT) | instid1(VALU_DEP_1)
	v_dual_sub_f32 v52, v9, v50 :: v_dual_sub_f32 v9, v4, v9
	v_add_f32_e32 v52, 1.0, v52
	s_delay_alu instid0(VALU_DEP_1) | instskip(SKIP_1) | instid1(VALU_DEP_1)
	v_add_f32_e32 v9, v9, v52
	v_subrev_co_ci_u32_e32 v8, vcc_lo, 0, v8, vcc_lo
	v_sub_nc_u32_e32 v51, 0, v8
	v_cvt_f32_i32_e32 v8, v8
	s_delay_alu instid0(VALU_DEP_2) | instskip(SKIP_1) | instid1(VALU_DEP_2)
	v_ldexp_f32 v50, v50, v51
	v_ldexp_f32 v9, v9, v51
	v_add_f32_e32 v53, 1.0, v50
	v_add_f32_e32 v51, -1.0, v50
	v_cmp_eq_f32_e32 vcc_lo, 0x7f800000, v4
	v_cmp_gt_f32_e64 s20, 0x33800000, v4
	s_delay_alu instid0(VALU_DEP_4) | instskip(NEXT) | instid1(VALU_DEP_4)
	v_add_f32_e32 v52, -1.0, v53
	v_add_f32_e32 v54, 1.0, v51
	s_delay_alu instid0(VALU_DEP_3) | instskip(NEXT) | instid1(VALU_DEP_2)
	s_or_b32 vcc_lo, s20, vcc_lo
	v_sub_f32_e32 v52, v50, v52
	s_delay_alu instid0(VALU_DEP_2) | instskip(NEXT) | instid1(VALU_DEP_2)
	v_sub_f32_e32 v50, v50, v54
	v_add_f32_e32 v52, v9, v52
	s_delay_alu instid0(VALU_DEP_2) | instskip(NEXT) | instid1(VALU_DEP_1)
	v_add_f32_e32 v9, v9, v50
	v_add_f32_e32 v55, v51, v9
	s_delay_alu instid0(VALU_DEP_1) | instskip(NEXT) | instid1(VALU_DEP_1)
	v_dual_sub_f32 v51, v51, v55 :: v_dual_add_f32 v54, v53, v52
	v_add_f32_e32 v9, v9, v51
	s_delay_alu instid0(VALU_DEP_2) | instskip(SKIP_1) | instid1(VALU_DEP_1)
	v_rcp_f32_e32 v50, v54
	v_sub_f32_e32 v53, v53, v54
	v_add_f32_e32 v52, v52, v53
	s_waitcnt_depctr 0xfff
	v_mul_f32_e32 v56, v55, v50
	s_delay_alu instid0(VALU_DEP_1) | instskip(NEXT) | instid1(VALU_DEP_1)
	v_mul_f32_e32 v57, v54, v56
	v_fma_f32 v53, v56, v54, -v57
	s_delay_alu instid0(VALU_DEP_1) | instskip(NEXT) | instid1(VALU_DEP_1)
	v_fmac_f32_e32 v53, v56, v52
	v_add_f32_e32 v58, v57, v53
	s_delay_alu instid0(VALU_DEP_1) | instskip(SKIP_1) | instid1(VALU_DEP_2)
	v_sub_f32_e32 v59, v55, v58
	v_sub_f32_e32 v51, v58, v57
	;; [unrolled: 1-line block ×3, first 2 shown]
	s_delay_alu instid0(VALU_DEP_2) | instskip(NEXT) | instid1(VALU_DEP_2)
	v_sub_f32_e32 v51, v51, v53
	v_sub_f32_e32 v55, v55, v58
	s_delay_alu instid0(VALU_DEP_1) | instskip(NEXT) | instid1(VALU_DEP_1)
	v_add_f32_e32 v9, v9, v55
	v_add_f32_e32 v9, v51, v9
	s_delay_alu instid0(VALU_DEP_1) | instskip(NEXT) | instid1(VALU_DEP_1)
	v_add_f32_e32 v51, v59, v9
	v_mul_f32_e32 v53, v50, v51
	s_delay_alu instid0(VALU_DEP_1) | instskip(NEXT) | instid1(VALU_DEP_1)
	v_dual_sub_f32 v58, v59, v51 :: v_dual_mul_f32 v55, v54, v53
	v_add_f32_e32 v9, v9, v58
	s_delay_alu instid0(VALU_DEP_2) | instskip(NEXT) | instid1(VALU_DEP_1)
	v_fma_f32 v54, v53, v54, -v55
	v_fmac_f32_e32 v54, v53, v52
	s_delay_alu instid0(VALU_DEP_1) | instskip(NEXT) | instid1(VALU_DEP_1)
	v_add_f32_e32 v52, v55, v54
	v_sub_f32_e32 v57, v51, v52
	s_delay_alu instid0(VALU_DEP_1) | instskip(NEXT) | instid1(VALU_DEP_1)
	v_sub_f32_e32 v51, v51, v57
	v_sub_f32_e32 v51, v51, v52
	s_delay_alu instid0(VALU_DEP_1) | instskip(SKIP_2) | instid1(VALU_DEP_1)
	v_add_f32_e32 v9, v9, v51
	v_add_f32_e32 v51, v56, v53
	v_sub_f32_e32 v55, v52, v55
	v_sub_f32_e32 v52, v55, v54
	s_delay_alu instid0(VALU_DEP_1) | instskip(NEXT) | instid1(VALU_DEP_1)
	v_dual_add_f32 v9, v52, v9 :: v_dual_sub_f32 v52, v51, v56
	v_add_f32_e32 v9, v57, v9
	s_delay_alu instid0(VALU_DEP_1) | instskip(NEXT) | instid1(VALU_DEP_1)
	v_dual_sub_f32 v52, v53, v52 :: v_dual_mul_f32 v9, v50, v9
	v_add_f32_e32 v9, v52, v9
	s_delay_alu instid0(VALU_DEP_1) | instskip(NEXT) | instid1(VALU_DEP_1)
	v_add_f32_e32 v50, v51, v9
	v_mul_f32_e32 v52, v50, v50
	s_delay_alu instid0(VALU_DEP_1) | instskip(SKIP_1) | instid1(VALU_DEP_2)
	v_fmaak_f32 v53, s67, v52, 0x3ecc95a3
	v_mul_f32_e32 v54, v50, v52
	v_fmaak_f32 v52, v52, v53, 0x3f2aaada
	v_ldexp_f32 v53, v50, 1
	v_sub_f32_e32 v50, v50, v51
	s_delay_alu instid0(VALU_DEP_3) | instskip(SKIP_1) | instid1(VALU_DEP_2)
	v_mul_f32_e32 v52, v54, v52
	v_mul_f32_e32 v54, 0x3f317218, v8
	v_add_f32_e32 v51, v53, v52
	s_delay_alu instid0(VALU_DEP_1) | instskip(NEXT) | instid1(VALU_DEP_3)
	v_dual_sub_f32 v9, v9, v50 :: v_dual_sub_f32 v50, v51, v53
	v_fma_f32 v53, 0x3f317218, v8, -v54
	s_delay_alu instid0(VALU_DEP_2) | instskip(NEXT) | instid1(VALU_DEP_2)
	v_ldexp_f32 v9, v9, 1
	v_dual_sub_f32 v50, v52, v50 :: v_dual_fmac_f32 v53, 0xb102e308, v8
	s_delay_alu instid0(VALU_DEP_1) | instskip(NEXT) | instid1(VALU_DEP_1)
	v_dual_add_f32 v8, v9, v50 :: v_dual_add_f32 v9, v54, v53
	v_add_f32_e32 v50, v51, v8
	s_delay_alu instid0(VALU_DEP_1) | instskip(NEXT) | instid1(VALU_DEP_1)
	v_add_f32_e32 v52, v9, v50
	v_sub_f32_e32 v55, v52, v9
	s_delay_alu instid0(VALU_DEP_1) | instskip(SKIP_2) | instid1(VALU_DEP_2)
	v_sub_f32_e32 v56, v52, v55
	v_sub_f32_e32 v51, v50, v51
	;; [unrolled: 1-line block ×5, first 2 shown]
	s_delay_alu instid0(VALU_DEP_1) | instskip(NEXT) | instid1(VALU_DEP_1)
	v_sub_f32_e32 v53, v53, v54
	v_add_f32_e32 v51, v53, v8
	v_sub_f32_e32 v9, v9, v56
	s_delay_alu instid0(VALU_DEP_1) | instskip(NEXT) | instid1(VALU_DEP_3)
	v_add_f32_e32 v9, v50, v9
	v_sub_f32_e32 v50, v51, v53
	s_delay_alu instid0(VALU_DEP_1) | instskip(NEXT) | instid1(VALU_DEP_1)
	v_dual_sub_f32 v8, v8, v50 :: v_dual_add_f32 v9, v51, v9
	v_dual_sub_f32 v51, v51, v50 :: v_dual_add_f32 v54, v52, v9
	s_delay_alu instid0(VALU_DEP_1) | instskip(NEXT) | instid1(VALU_DEP_1)
	v_dual_sub_f32 v51, v53, v51 :: v_dual_sub_f32 v50, v54, v52
	v_dual_add_f32 v8, v8, v51 :: v_dual_sub_f32 v9, v9, v50
	s_delay_alu instid0(VALU_DEP_1) | instskip(NEXT) | instid1(VALU_DEP_1)
	v_add_f32_e32 v8, v8, v9
	v_add_f32_e32 v8, v54, v8
	s_delay_alu instid0(VALU_DEP_1)
	v_cndmask_b32_e32 v50, v8, v4, vcc_lo
.LBB15_46:                              ;   in Loop: Header=BB15_12 Depth=1
	s_or_b32 exec_lo, exec_lo, s21
	v_lshlrev_b32_e32 v4, 16, v5
	s_delay_alu instid0(VALU_DEP_1) | instskip(NEXT) | instid1(VALU_DEP_1)
	v_add_f32_e32 v51, s54, v4
	v_cmp_ge_f32_e32 vcc_lo, 0x41a00000, v51
	s_and_b32 s20, s63, vcc_lo
	s_delay_alu instid0(SALU_CYCLE_1)
	s_and_saveexec_b32 s21, s20
	s_cbranch_execz .LBB15_48
; %bb.47:                               ;   in Loop: Header=BB15_12 Depth=1
	v_mul_f32_e32 v4, 0x3fb8aa3b, v51
	v_cmp_ngt_f32_e32 vcc_lo, 0xc2ce8ed0, v51
	s_delay_alu instid0(VALU_DEP_2) | instskip(SKIP_1) | instid1(VALU_DEP_1)
	v_rndne_f32_e32 v8, v4
	v_fma_f32 v9, 0x3fb8aa3b, v51, -v4
	v_dual_sub_f32 v4, v4, v8 :: v_dual_fmac_f32 v9, 0x32a5705f, v51
	v_cvt_i32_f32_e32 v8, v8
	s_delay_alu instid0(VALU_DEP_2) | instskip(NEXT) | instid1(VALU_DEP_1)
	v_add_f32_e32 v4, v4, v9
	v_exp_f32_e32 v4, v4
	s_waitcnt_depctr 0xfff
	v_ldexp_f32 v4, v4, v8
	s_delay_alu instid0(VALU_DEP_1) | instskip(SKIP_1) | instid1(VALU_DEP_2)
	v_cndmask_b32_e32 v4, 0, v4, vcc_lo
	v_cmp_nlt_f32_e32 vcc_lo, 0x42b17218, v51
	v_cndmask_b32_e32 v4, 0x7f800000, v4, vcc_lo
	s_delay_alu instid0(VALU_DEP_1) | instskip(NEXT) | instid1(VALU_DEP_1)
	v_add_f32_e32 v51, 1.0, v4
	v_cvt_f64_f32_e32 v[8:9], v51
	s_delay_alu instid0(VALU_DEP_1) | instskip(SKIP_1) | instid1(VALU_DEP_1)
	v_frexp_exp_i32_f64_e32 v8, v[8:9]
	v_frexp_mant_f32_e32 v9, v51
	v_cmp_gt_f32_e32 vcc_lo, 0x3f2aaaab, v9
	v_add_f32_e32 v9, -1.0, v51
	s_delay_alu instid0(VALU_DEP_1) | instskip(NEXT) | instid1(VALU_DEP_1)
	v_sub_f32_e32 v53, v9, v51
	v_add_f32_e32 v53, 1.0, v53
	v_subrev_co_ci_u32_e32 v8, vcc_lo, 0, v8, vcc_lo
	s_delay_alu instid0(VALU_DEP_1) | instskip(SKIP_1) | instid1(VALU_DEP_2)
	v_sub_nc_u32_e32 v52, 0, v8
	v_cvt_f32_i32_e32 v8, v8
	v_ldexp_f32 v51, v51, v52
	s_delay_alu instid0(VALU_DEP_1) | instskip(NEXT) | instid1(VALU_DEP_1)
	v_dual_sub_f32 v9, v4, v9 :: v_dual_add_f32 v54, 1.0, v51
	v_add_f32_e32 v9, v9, v53
	v_cmp_eq_f32_e32 vcc_lo, 0x7f800000, v4
	v_cmp_gt_f32_e64 s20, 0x33800000, v4
	s_delay_alu instid0(VALU_DEP_4) | instskip(NEXT) | instid1(VALU_DEP_4)
	v_add_f32_e32 v53, -1.0, v54
	v_ldexp_f32 v9, v9, v52
	v_add_f32_e32 v52, -1.0, v51
	s_delay_alu instid0(VALU_DEP_4) | instskip(NEXT) | instid1(VALU_DEP_3)
	s_or_b32 vcc_lo, s20, vcc_lo
	v_sub_f32_e32 v53, v51, v53
	s_delay_alu instid0(VALU_DEP_2) | instskip(NEXT) | instid1(VALU_DEP_2)
	v_add_f32_e32 v55, 1.0, v52
	v_add_f32_e32 v53, v9, v53
	s_delay_alu instid0(VALU_DEP_2) | instskip(NEXT) | instid1(VALU_DEP_1)
	v_sub_f32_e32 v51, v51, v55
	v_add_f32_e32 v9, v9, v51
	s_delay_alu instid0(VALU_DEP_1) | instskip(NEXT) | instid1(VALU_DEP_1)
	v_add_f32_e32 v56, v52, v9
	v_dual_add_f32 v55, v54, v53 :: v_dual_sub_f32 v52, v52, v56
	s_delay_alu instid0(VALU_DEP_1) | instskip(SKIP_1) | instid1(VALU_DEP_1)
	v_rcp_f32_e32 v51, v55
	v_sub_f32_e32 v54, v54, v55
	v_add_f32_e32 v53, v53, v54
	s_waitcnt_depctr 0xfff
	v_mul_f32_e32 v57, v56, v51
	s_delay_alu instid0(VALU_DEP_1) | instskip(NEXT) | instid1(VALU_DEP_1)
	v_mul_f32_e32 v58, v55, v57
	v_fma_f32 v54, v57, v55, -v58
	s_delay_alu instid0(VALU_DEP_1) | instskip(SKIP_1) | instid1(VALU_DEP_2)
	v_fmac_f32_e32 v54, v57, v53
	v_add_f32_e32 v9, v9, v52
	v_add_f32_e32 v59, v58, v54
	s_delay_alu instid0(VALU_DEP_1) | instskip(SKIP_1) | instid1(VALU_DEP_2)
	v_sub_f32_e32 v60, v56, v59
	v_sub_f32_e32 v52, v59, v58
	;; [unrolled: 1-line block ×3, first 2 shown]
	s_delay_alu instid0(VALU_DEP_2) | instskip(NEXT) | instid1(VALU_DEP_2)
	v_sub_f32_e32 v52, v52, v54
	v_sub_f32_e32 v56, v56, v59
	s_delay_alu instid0(VALU_DEP_1) | instskip(NEXT) | instid1(VALU_DEP_1)
	v_add_f32_e32 v9, v9, v56
	v_add_f32_e32 v9, v52, v9
	s_delay_alu instid0(VALU_DEP_1) | instskip(NEXT) | instid1(VALU_DEP_1)
	v_add_f32_e32 v52, v60, v9
	v_mul_f32_e32 v54, v51, v52
	s_delay_alu instid0(VALU_DEP_1) | instskip(NEXT) | instid1(VALU_DEP_1)
	v_dual_sub_f32 v59, v60, v52 :: v_dual_mul_f32 v56, v55, v54
	v_add_f32_e32 v9, v9, v59
	s_delay_alu instid0(VALU_DEP_2) | instskip(NEXT) | instid1(VALU_DEP_1)
	v_fma_f32 v55, v54, v55, -v56
	v_fmac_f32_e32 v55, v54, v53
	s_delay_alu instid0(VALU_DEP_1) | instskip(NEXT) | instid1(VALU_DEP_1)
	v_add_f32_e32 v53, v56, v55
	v_sub_f32_e32 v58, v52, v53
	s_delay_alu instid0(VALU_DEP_1) | instskip(NEXT) | instid1(VALU_DEP_1)
	v_sub_f32_e32 v52, v52, v58
	v_sub_f32_e32 v52, v52, v53
	s_delay_alu instid0(VALU_DEP_1) | instskip(SKIP_2) | instid1(VALU_DEP_1)
	v_add_f32_e32 v9, v9, v52
	v_add_f32_e32 v52, v57, v54
	v_sub_f32_e32 v56, v53, v56
	v_sub_f32_e32 v53, v56, v55
	s_delay_alu instid0(VALU_DEP_1) | instskip(NEXT) | instid1(VALU_DEP_4)
	v_add_f32_e32 v9, v53, v9
	v_sub_f32_e32 v53, v52, v57
	s_delay_alu instid0(VALU_DEP_2) | instskip(NEXT) | instid1(VALU_DEP_2)
	v_add_f32_e32 v9, v58, v9
	v_sub_f32_e32 v53, v54, v53
	s_delay_alu instid0(VALU_DEP_2) | instskip(NEXT) | instid1(VALU_DEP_1)
	v_mul_f32_e32 v9, v51, v9
	v_add_f32_e32 v9, v53, v9
	s_delay_alu instid0(VALU_DEP_1) | instskip(NEXT) | instid1(VALU_DEP_1)
	v_add_f32_e32 v51, v52, v9
	v_mul_f32_e32 v53, v51, v51
	s_delay_alu instid0(VALU_DEP_1) | instskip(SKIP_1) | instid1(VALU_DEP_2)
	v_fmaak_f32 v54, s67, v53, 0x3ecc95a3
	v_mul_f32_e32 v55, v51, v53
	v_fmaak_f32 v53, v53, v54, 0x3f2aaada
	v_ldexp_f32 v54, v51, 1
	v_sub_f32_e32 v51, v51, v52
	s_delay_alu instid0(VALU_DEP_3) | instskip(SKIP_1) | instid1(VALU_DEP_2)
	v_mul_f32_e32 v53, v55, v53
	v_mul_f32_e32 v55, 0x3f317218, v8
	v_dual_sub_f32 v9, v9, v51 :: v_dual_add_f32 v52, v54, v53
	s_delay_alu instid0(VALU_DEP_1) | instskip(NEXT) | instid1(VALU_DEP_2)
	v_ldexp_f32 v9, v9, 1
	v_sub_f32_e32 v51, v52, v54
	s_delay_alu instid0(VALU_DEP_4) | instskip(NEXT) | instid1(VALU_DEP_1)
	v_fma_f32 v54, 0x3f317218, v8, -v55
	v_dual_sub_f32 v51, v53, v51 :: v_dual_fmac_f32 v54, 0xb102e308, v8
	s_delay_alu instid0(VALU_DEP_1) | instskip(NEXT) | instid1(VALU_DEP_1)
	v_dual_add_f32 v8, v9, v51 :: v_dual_add_f32 v9, v55, v54
	v_add_f32_e32 v51, v52, v8
	s_delay_alu instid0(VALU_DEP_2) | instskip(NEXT) | instid1(VALU_DEP_2)
	v_sub_f32_e32 v55, v9, v55
	v_dual_add_f32 v53, v9, v51 :: v_dual_sub_f32 v52, v51, v52
	s_delay_alu instid0(VALU_DEP_2) | instskip(NEXT) | instid1(VALU_DEP_2)
	v_sub_f32_e32 v54, v54, v55
	v_sub_f32_e32 v56, v53, v9
	s_delay_alu instid0(VALU_DEP_3) | instskip(NEXT) | instid1(VALU_DEP_2)
	v_sub_f32_e32 v8, v8, v52
	v_sub_f32_e32 v57, v53, v56
	;; [unrolled: 1-line block ×3, first 2 shown]
	s_delay_alu instid0(VALU_DEP_2) | instskip(NEXT) | instid1(VALU_DEP_1)
	v_dual_add_f32 v52, v54, v8 :: v_dual_sub_f32 v9, v9, v57
	v_add_f32_e32 v9, v51, v9
	s_delay_alu instid0(VALU_DEP_2) | instskip(NEXT) | instid1(VALU_DEP_2)
	v_sub_f32_e32 v51, v52, v54
	v_add_f32_e32 v9, v52, v9
	s_delay_alu instid0(VALU_DEP_2) | instskip(NEXT) | instid1(VALU_DEP_2)
	v_sub_f32_e32 v52, v52, v51
	v_dual_sub_f32 v8, v8, v51 :: v_dual_add_f32 v55, v53, v9
	s_delay_alu instid0(VALU_DEP_1) | instskip(NEXT) | instid1(VALU_DEP_1)
	v_dual_sub_f32 v52, v54, v52 :: v_dual_sub_f32 v51, v55, v53
	v_dual_add_f32 v8, v8, v52 :: v_dual_sub_f32 v9, v9, v51
	s_delay_alu instid0(VALU_DEP_1) | instskip(NEXT) | instid1(VALU_DEP_1)
	v_add_f32_e32 v8, v8, v9
	v_add_f32_e32 v8, v55, v8
	s_delay_alu instid0(VALU_DEP_1)
	v_cndmask_b32_e32 v51, v8, v4, vcc_lo
.LBB15_48:                              ;   in Loop: Header=BB15_12 Depth=1
	s_or_b32 exec_lo, exec_lo, s21
	v_and_b32_e32 v4, 0xffff0000, v5
	s_delay_alu instid0(VALU_DEP_1) | instskip(NEXT) | instid1(VALU_DEP_1)
	v_add_f32_e32 v52, s54, v4
	v_cmp_ge_f32_e32 vcc_lo, 0x41a00000, v52
	s_and_b32 s20, s63, vcc_lo
	s_delay_alu instid0(SALU_CYCLE_1)
	s_and_saveexec_b32 s21, s20
	s_cbranch_execz .LBB15_50
; %bb.49:                               ;   in Loop: Header=BB15_12 Depth=1
	v_mul_f32_e32 v4, 0x3fb8aa3b, v52
	v_cmp_ngt_f32_e32 vcc_lo, 0xc2ce8ed0, v52
	s_delay_alu instid0(VALU_DEP_2) | instskip(SKIP_1) | instid1(VALU_DEP_2)
	v_rndne_f32_e32 v5, v4
	v_fma_f32 v8, 0x3fb8aa3b, v52, -v4
	v_sub_f32_e32 v4, v4, v5
	s_delay_alu instid0(VALU_DEP_2) | instskip(SKIP_1) | instid1(VALU_DEP_2)
	v_fmac_f32_e32 v8, 0x32a5705f, v52
	v_cvt_i32_f32_e32 v5, v5
	v_add_f32_e32 v4, v4, v8
	s_delay_alu instid0(VALU_DEP_1) | instskip(SKIP_2) | instid1(VALU_DEP_1)
	v_exp_f32_e32 v4, v4
	s_waitcnt_depctr 0xfff
	v_ldexp_f32 v4, v4, v5
	v_cndmask_b32_e32 v4, 0, v4, vcc_lo
	v_cmp_nlt_f32_e32 vcc_lo, 0x42b17218, v52
	s_delay_alu instid0(VALU_DEP_2) | instskip(NEXT) | instid1(VALU_DEP_1)
	v_cndmask_b32_e32 v8, 0x7f800000, v4, vcc_lo
	v_add_f32_e32 v9, 1.0, v8
	s_delay_alu instid0(VALU_DEP_1) | instskip(NEXT) | instid1(VALU_DEP_1)
	v_cvt_f64_f32_e32 v[4:5], v9
	v_frexp_exp_i32_f64_e32 v4, v[4:5]
	v_frexp_mant_f32_e32 v5, v9
	s_delay_alu instid0(VALU_DEP_1) | instskip(SKIP_1) | instid1(VALU_DEP_1)
	v_cmp_gt_f32_e32 vcc_lo, 0x3f2aaaab, v5
	v_add_f32_e32 v5, -1.0, v9
	v_sub_f32_e32 v53, v5, v9
	v_sub_f32_e32 v5, v8, v5
	s_delay_alu instid0(VALU_DEP_2) | instskip(NEXT) | instid1(VALU_DEP_1)
	v_add_f32_e32 v53, 1.0, v53
	v_add_f32_e32 v5, v5, v53
	v_cmp_gt_f32_e64 s20, 0x33800000, v8
	v_subrev_co_ci_u32_e32 v4, vcc_lo, 0, v4, vcc_lo
	v_cmp_eq_f32_e32 vcc_lo, 0x7f800000, v8
	s_delay_alu instid0(VALU_DEP_2) | instskip(SKIP_2) | instid1(VALU_DEP_2)
	v_sub_nc_u32_e32 v52, 0, v4
	v_cvt_f32_i32_e32 v4, v4
	s_or_b32 vcc_lo, s20, vcc_lo
	v_ldexp_f32 v9, v9, v52
	v_ldexp_f32 v5, v5, v52
	s_delay_alu instid0(VALU_DEP_2) | instskip(NEXT) | instid1(VALU_DEP_1)
	v_add_f32_e32 v52, -1.0, v9
	v_dual_add_f32 v54, 1.0, v9 :: v_dual_add_f32 v55, 1.0, v52
	s_delay_alu instid0(VALU_DEP_1) | instskip(NEXT) | instid1(VALU_DEP_1)
	v_add_f32_e32 v53, -1.0, v54
	v_sub_f32_e32 v53, v9, v53
	s_delay_alu instid0(VALU_DEP_3) | instskip(NEXT) | instid1(VALU_DEP_2)
	v_sub_f32_e32 v9, v9, v55
	v_add_f32_e32 v53, v5, v53
	s_delay_alu instid0(VALU_DEP_2) | instskip(NEXT) | instid1(VALU_DEP_1)
	v_add_f32_e32 v5, v5, v9
	v_add_f32_e32 v56, v52, v5
	s_delay_alu instid0(VALU_DEP_1) | instskip(NEXT) | instid1(VALU_DEP_1)
	v_dual_add_f32 v55, v54, v53 :: v_dual_sub_f32 v52, v52, v56
	v_rcp_f32_e32 v9, v55
	v_sub_f32_e32 v54, v54, v55
	s_delay_alu instid0(VALU_DEP_1) | instskip(SKIP_2) | instid1(VALU_DEP_1)
	v_add_f32_e32 v53, v53, v54
	s_waitcnt_depctr 0xfff
	v_mul_f32_e32 v57, v56, v9
	v_mul_f32_e32 v58, v55, v57
	s_delay_alu instid0(VALU_DEP_1) | instskip(NEXT) | instid1(VALU_DEP_1)
	v_fma_f32 v54, v57, v55, -v58
	v_fmac_f32_e32 v54, v57, v53
	s_delay_alu instid0(VALU_DEP_1) | instskip(NEXT) | instid1(VALU_DEP_1)
	v_add_f32_e32 v59, v58, v54
	v_sub_f32_e32 v60, v56, v59
	s_delay_alu instid0(VALU_DEP_1) | instskip(SKIP_1) | instid1(VALU_DEP_2)
	v_sub_f32_e32 v56, v56, v60
	v_dual_add_f32 v5, v5, v52 :: v_dual_sub_f32 v52, v59, v58
	v_sub_f32_e32 v56, v56, v59
	s_delay_alu instid0(VALU_DEP_1) | instskip(NEXT) | instid1(VALU_DEP_1)
	v_dual_sub_f32 v52, v52, v54 :: v_dual_add_f32 v5, v5, v56
	v_add_f32_e32 v5, v52, v5
	s_delay_alu instid0(VALU_DEP_1) | instskip(NEXT) | instid1(VALU_DEP_1)
	v_add_f32_e32 v52, v60, v5
	v_mul_f32_e32 v54, v9, v52
	s_delay_alu instid0(VALU_DEP_1) | instskip(NEXT) | instid1(VALU_DEP_1)
	v_dual_sub_f32 v59, v60, v52 :: v_dual_mul_f32 v56, v55, v54
	v_add_f32_e32 v5, v5, v59
	s_delay_alu instid0(VALU_DEP_2) | instskip(NEXT) | instid1(VALU_DEP_1)
	v_fma_f32 v55, v54, v55, -v56
	v_fmac_f32_e32 v55, v54, v53
	s_delay_alu instid0(VALU_DEP_1) | instskip(NEXT) | instid1(VALU_DEP_1)
	v_add_f32_e32 v53, v56, v55
	v_sub_f32_e32 v58, v52, v53
	s_delay_alu instid0(VALU_DEP_1) | instskip(NEXT) | instid1(VALU_DEP_1)
	v_sub_f32_e32 v52, v52, v58
	v_sub_f32_e32 v52, v52, v53
	s_delay_alu instid0(VALU_DEP_1) | instskip(SKIP_2) | instid1(VALU_DEP_1)
	v_add_f32_e32 v5, v5, v52
	v_add_f32_e32 v52, v57, v54
	v_sub_f32_e32 v56, v53, v56
	v_sub_f32_e32 v53, v56, v55
	s_delay_alu instid0(VALU_DEP_1) | instskip(NEXT) | instid1(VALU_DEP_4)
	v_add_f32_e32 v5, v53, v5
	v_sub_f32_e32 v53, v52, v57
	s_delay_alu instid0(VALU_DEP_2) | instskip(NEXT) | instid1(VALU_DEP_2)
	v_add_f32_e32 v5, v58, v5
	v_sub_f32_e32 v53, v54, v53
	s_delay_alu instid0(VALU_DEP_2) | instskip(NEXT) | instid1(VALU_DEP_1)
	v_mul_f32_e32 v5, v9, v5
	v_add_f32_e32 v5, v53, v5
	s_delay_alu instid0(VALU_DEP_1) | instskip(NEXT) | instid1(VALU_DEP_1)
	v_add_f32_e32 v9, v52, v5
	v_mul_f32_e32 v53, v9, v9
	s_delay_alu instid0(VALU_DEP_1) | instskip(SKIP_1) | instid1(VALU_DEP_2)
	v_fmaak_f32 v54, s67, v53, 0x3ecc95a3
	v_mul_f32_e32 v55, v9, v53
	v_fmaak_f32 v53, v53, v54, 0x3f2aaada
	v_ldexp_f32 v54, v9, 1
	s_delay_alu instid0(VALU_DEP_2) | instskip(NEXT) | instid1(VALU_DEP_1)
	v_mul_f32_e32 v53, v55, v53
	v_dual_sub_f32 v9, v9, v52 :: v_dual_add_f32 v52, v54, v53
	s_delay_alu instid0(VALU_DEP_1) | instskip(NEXT) | instid1(VALU_DEP_2)
	v_sub_f32_e32 v5, v5, v9
	v_sub_f32_e32 v9, v52, v54
	s_delay_alu instid0(VALU_DEP_2) | instskip(NEXT) | instid1(VALU_DEP_2)
	v_ldexp_f32 v5, v5, 1
	v_sub_f32_e32 v9, v53, v9
	v_mul_f32_e32 v55, 0x3f317218, v4
	s_delay_alu instid0(VALU_DEP_1) | instskip(NEXT) | instid1(VALU_DEP_1)
	v_fma_f32 v54, 0x3f317218, v4, -v55
	v_fmac_f32_e32 v54, 0xb102e308, v4
	s_delay_alu instid0(VALU_DEP_1) | instskip(NEXT) | instid1(VALU_DEP_1)
	v_dual_add_f32 v4, v5, v9 :: v_dual_add_f32 v5, v55, v54
	v_add_f32_e32 v9, v52, v4
	s_delay_alu instid0(VALU_DEP_1) | instskip(SKIP_1) | instid1(VALU_DEP_2)
	v_add_f32_e32 v53, v5, v9
	v_sub_f32_e32 v52, v9, v52
	v_sub_f32_e32 v56, v53, v5
	s_delay_alu instid0(VALU_DEP_2) | instskip(NEXT) | instid1(VALU_DEP_2)
	v_dual_sub_f32 v4, v4, v52 :: v_dual_sub_f32 v55, v5, v55
	v_sub_f32_e32 v57, v53, v56
	s_delay_alu instid0(VALU_DEP_2) | instskip(NEXT) | instid1(VALU_DEP_1)
	v_dual_sub_f32 v9, v9, v56 :: v_dual_sub_f32 v54, v54, v55
	v_dual_sub_f32 v5, v5, v57 :: v_dual_add_f32 v52, v54, v4
	s_delay_alu instid0(VALU_DEP_1) | instskip(NEXT) | instid1(VALU_DEP_2)
	v_add_f32_e32 v5, v9, v5
	v_sub_f32_e32 v9, v52, v54
	s_delay_alu instid0(VALU_DEP_2) | instskip(NEXT) | instid1(VALU_DEP_2)
	v_add_f32_e32 v5, v52, v5
	v_sub_f32_e32 v52, v52, v9
	v_sub_f32_e32 v4, v4, v9
	s_delay_alu instid0(VALU_DEP_2) | instskip(NEXT) | instid1(VALU_DEP_1)
	v_dual_add_f32 v55, v53, v5 :: v_dual_sub_f32 v52, v54, v52
	v_dual_sub_f32 v9, v55, v53 :: v_dual_add_f32 v4, v4, v52
	s_delay_alu instid0(VALU_DEP_1) | instskip(NEXT) | instid1(VALU_DEP_1)
	v_sub_f32_e32 v5, v5, v9
	v_add_f32_e32 v4, v4, v5
	s_delay_alu instid0(VALU_DEP_1) | instskip(NEXT) | instid1(VALU_DEP_1)
	v_add_f32_e32 v4, v55, v4
	v_cndmask_b32_e32 v52, v4, v8, vcc_lo
.LBB15_50:                              ;   in Loop: Header=BB15_12 Depth=1
	s_or_b32 exec_lo, exec_lo, s21
	v_lshlrev_b32_e32 v4, 16, v6
	s_delay_alu instid0(VALU_DEP_1) | instskip(NEXT) | instid1(VALU_DEP_1)
	v_add_f32_e32 v53, s54, v4
	v_cmp_ge_f32_e32 vcc_lo, 0x41a00000, v53
	s_and_b32 s20, s63, vcc_lo
	s_delay_alu instid0(SALU_CYCLE_1)
	s_and_saveexec_b32 s21, s20
	s_cbranch_execz .LBB15_52
; %bb.51:                               ;   in Loop: Header=BB15_12 Depth=1
	v_mul_f32_e32 v4, 0x3fb8aa3b, v53
	v_cmp_ngt_f32_e32 vcc_lo, 0xc2ce8ed0, v53
	s_delay_alu instid0(VALU_DEP_2) | instskip(SKIP_1) | instid1(VALU_DEP_2)
	v_rndne_f32_e32 v5, v4
	v_fma_f32 v8, 0x3fb8aa3b, v53, -v4
	v_sub_f32_e32 v4, v4, v5
	s_delay_alu instid0(VALU_DEP_2) | instskip(SKIP_1) | instid1(VALU_DEP_2)
	v_fmac_f32_e32 v8, 0x32a5705f, v53
	v_cvt_i32_f32_e32 v5, v5
	v_add_f32_e32 v4, v4, v8
	s_delay_alu instid0(VALU_DEP_1) | instskip(SKIP_2) | instid1(VALU_DEP_1)
	v_exp_f32_e32 v4, v4
	s_waitcnt_depctr 0xfff
	v_ldexp_f32 v4, v4, v5
	v_cndmask_b32_e32 v4, 0, v4, vcc_lo
	v_cmp_nlt_f32_e32 vcc_lo, 0x42b17218, v53
	s_delay_alu instid0(VALU_DEP_2) | instskip(NEXT) | instid1(VALU_DEP_1)
	v_cndmask_b32_e32 v8, 0x7f800000, v4, vcc_lo
	v_add_f32_e32 v9, 1.0, v8
	s_delay_alu instid0(VALU_DEP_1) | instskip(NEXT) | instid1(VALU_DEP_1)
	v_cvt_f64_f32_e32 v[4:5], v9
	v_frexp_exp_i32_f64_e32 v4, v[4:5]
	v_frexp_mant_f32_e32 v5, v9
	s_delay_alu instid0(VALU_DEP_1) | instskip(SKIP_1) | instid1(VALU_DEP_1)
	v_cmp_gt_f32_e32 vcc_lo, 0x3f2aaaab, v5
	v_add_f32_e32 v5, -1.0, v9
	v_sub_f32_e32 v54, v5, v9
	v_subrev_co_ci_u32_e32 v4, vcc_lo, 0, v4, vcc_lo
	s_delay_alu instid0(VALU_DEP_1) | instskip(SKIP_1) | instid1(VALU_DEP_2)
	v_sub_nc_u32_e32 v53, 0, v4
	v_cvt_f32_i32_e32 v4, v4
	v_ldexp_f32 v9, v9, v53
	s_delay_alu instid0(VALU_DEP_1) | instskip(SKIP_3) | instid1(VALU_DEP_3)
	v_dual_add_f32 v54, 1.0, v54 :: v_dual_add_f32 v55, 1.0, v9
	v_sub_f32_e32 v5, v8, v5
	v_cmp_eq_f32_e32 vcc_lo, 0x7f800000, v8
	v_cmp_gt_f32_e64 s20, 0x33800000, v8
	v_add_f32_e32 v5, v5, v54
	s_delay_alu instid0(VALU_DEP_2) | instskip(NEXT) | instid1(VALU_DEP_1)
	s_or_b32 vcc_lo, s20, vcc_lo
	v_ldexp_f32 v5, v5, v53
	v_dual_add_f32 v53, -1.0, v9 :: v_dual_add_f32 v54, -1.0, v55
	s_delay_alu instid0(VALU_DEP_1) | instskip(NEXT) | instid1(VALU_DEP_2)
	v_add_f32_e32 v56, 1.0, v53
	v_sub_f32_e32 v54, v9, v54
	s_delay_alu instid0(VALU_DEP_2) | instskip(NEXT) | instid1(VALU_DEP_2)
	v_sub_f32_e32 v9, v9, v56
	v_add_f32_e32 v54, v5, v54
	s_delay_alu instid0(VALU_DEP_1) | instskip(NEXT) | instid1(VALU_DEP_1)
	v_dual_add_f32 v5, v5, v9 :: v_dual_add_f32 v56, v55, v54
	v_add_f32_e32 v57, v53, v5
	s_delay_alu instid0(VALU_DEP_2) | instskip(SKIP_1) | instid1(VALU_DEP_1)
	v_rcp_f32_e32 v9, v56
	v_sub_f32_e32 v55, v55, v56
	v_dual_sub_f32 v53, v53, v57 :: v_dual_add_f32 v54, v54, v55
	s_delay_alu instid0(VALU_DEP_1) | instskip(SKIP_2) | instid1(VALU_DEP_1)
	v_add_f32_e32 v5, v5, v53
	s_waitcnt_depctr 0xfff
	v_mul_f32_e32 v58, v57, v9
	v_mul_f32_e32 v59, v56, v58
	s_delay_alu instid0(VALU_DEP_1) | instskip(NEXT) | instid1(VALU_DEP_1)
	v_fma_f32 v55, v58, v56, -v59
	v_fmac_f32_e32 v55, v58, v54
	s_delay_alu instid0(VALU_DEP_1) | instskip(NEXT) | instid1(VALU_DEP_1)
	v_add_f32_e32 v60, v59, v55
	v_sub_f32_e32 v61, v57, v60
	v_sub_f32_e32 v53, v60, v59
	s_delay_alu instid0(VALU_DEP_2) | instskip(NEXT) | instid1(VALU_DEP_2)
	v_sub_f32_e32 v57, v57, v61
	v_sub_f32_e32 v53, v53, v55
	s_delay_alu instid0(VALU_DEP_2) | instskip(NEXT) | instid1(VALU_DEP_1)
	v_sub_f32_e32 v57, v57, v60
	v_add_f32_e32 v5, v5, v57
	s_delay_alu instid0(VALU_DEP_1) | instskip(NEXT) | instid1(VALU_DEP_1)
	v_add_f32_e32 v5, v53, v5
	v_add_f32_e32 v53, v61, v5
	s_delay_alu instid0(VALU_DEP_1) | instskip(NEXT) | instid1(VALU_DEP_1)
	v_mul_f32_e32 v55, v9, v53
	v_mul_f32_e32 v57, v56, v55
	s_delay_alu instid0(VALU_DEP_1) | instskip(NEXT) | instid1(VALU_DEP_1)
	v_fma_f32 v56, v55, v56, -v57
	v_fmac_f32_e32 v56, v55, v54
	v_sub_f32_e32 v60, v61, v53
	s_delay_alu instid0(VALU_DEP_2) | instskip(NEXT) | instid1(VALU_DEP_2)
	v_add_f32_e32 v54, v57, v56
	v_add_f32_e32 v5, v5, v60
	s_delay_alu instid0(VALU_DEP_2) | instskip(NEXT) | instid1(VALU_DEP_1)
	v_sub_f32_e32 v59, v53, v54
	v_sub_f32_e32 v53, v53, v59
	s_delay_alu instid0(VALU_DEP_1) | instskip(NEXT) | instid1(VALU_DEP_1)
	v_sub_f32_e32 v53, v53, v54
	v_add_f32_e32 v5, v5, v53
	v_add_f32_e32 v53, v58, v55
	v_sub_f32_e32 v57, v54, v57
	s_delay_alu instid0(VALU_DEP_1) | instskip(NEXT) | instid1(VALU_DEP_1)
	v_sub_f32_e32 v54, v57, v56
	v_dual_add_f32 v5, v54, v5 :: v_dual_sub_f32 v54, v53, v58
	s_delay_alu instid0(VALU_DEP_1) | instskip(NEXT) | instid1(VALU_DEP_1)
	v_add_f32_e32 v5, v59, v5
	v_dual_sub_f32 v54, v55, v54 :: v_dual_mul_f32 v5, v9, v5
	s_delay_alu instid0(VALU_DEP_1) | instskip(NEXT) | instid1(VALU_DEP_1)
	v_add_f32_e32 v5, v54, v5
	v_add_f32_e32 v9, v53, v5
	s_delay_alu instid0(VALU_DEP_1) | instskip(NEXT) | instid1(VALU_DEP_1)
	v_mul_f32_e32 v54, v9, v9
	v_fmaak_f32 v55, s67, v54, 0x3ecc95a3
	v_mul_f32_e32 v56, v9, v54
	s_delay_alu instid0(VALU_DEP_2) | instskip(SKIP_1) | instid1(VALU_DEP_2)
	v_fmaak_f32 v54, v54, v55, 0x3f2aaada
	v_ldexp_f32 v55, v9, 1
	v_dual_sub_f32 v9, v9, v53 :: v_dual_mul_f32 v54, v56, v54
	s_delay_alu instid0(VALU_DEP_1) | instskip(NEXT) | instid1(VALU_DEP_2)
	v_dual_mul_f32 v56, 0x3f317218, v4 :: v_dual_sub_f32 v5, v5, v9
	v_add_f32_e32 v53, v55, v54
	s_delay_alu instid0(VALU_DEP_2) | instskip(NEXT) | instid1(VALU_DEP_2)
	v_ldexp_f32 v5, v5, 1
	v_sub_f32_e32 v9, v53, v55
	s_delay_alu instid0(VALU_DEP_4) | instskip(NEXT) | instid1(VALU_DEP_2)
	v_fma_f32 v55, 0x3f317218, v4, -v56
	v_sub_f32_e32 v9, v54, v9
	s_delay_alu instid0(VALU_DEP_1) | instskip(NEXT) | instid1(VALU_DEP_1)
	v_dual_fmac_f32 v55, 0xb102e308, v4 :: v_dual_add_f32 v4, v5, v9
	v_add_f32_e32 v5, v56, v55
	s_delay_alu instid0(VALU_DEP_2) | instskip(NEXT) | instid1(VALU_DEP_2)
	v_add_f32_e32 v9, v53, v4
	v_sub_f32_e32 v56, v5, v56
	s_delay_alu instid0(VALU_DEP_1) | instskip(SKIP_1) | instid1(VALU_DEP_2)
	v_dual_add_f32 v54, v5, v9 :: v_dual_sub_f32 v55, v55, v56
	v_sub_f32_e32 v53, v9, v53
	v_sub_f32_e32 v57, v54, v5
	s_delay_alu instid0(VALU_DEP_2) | instskip(NEXT) | instid1(VALU_DEP_2)
	v_sub_f32_e32 v4, v4, v53
	v_sub_f32_e32 v58, v54, v57
	;; [unrolled: 1-line block ×3, first 2 shown]
	s_delay_alu instid0(VALU_DEP_3) | instskip(NEXT) | instid1(VALU_DEP_3)
	v_add_f32_e32 v53, v55, v4
	v_sub_f32_e32 v5, v5, v58
	s_delay_alu instid0(VALU_DEP_1) | instskip(NEXT) | instid1(VALU_DEP_3)
	v_add_f32_e32 v5, v9, v5
	v_sub_f32_e32 v9, v53, v55
	s_delay_alu instid0(VALU_DEP_2) | instskip(NEXT) | instid1(VALU_DEP_2)
	v_add_f32_e32 v5, v53, v5
	v_sub_f32_e32 v53, v53, v9
	v_sub_f32_e32 v4, v4, v9
	s_delay_alu instid0(VALU_DEP_3) | instskip(NEXT) | instid1(VALU_DEP_3)
	v_add_f32_e32 v56, v54, v5
	v_sub_f32_e32 v53, v55, v53
	s_delay_alu instid0(VALU_DEP_2) | instskip(NEXT) | instid1(VALU_DEP_2)
	v_sub_f32_e32 v9, v56, v54
	v_add_f32_e32 v4, v4, v53
	s_delay_alu instid0(VALU_DEP_2) | instskip(NEXT) | instid1(VALU_DEP_1)
	v_sub_f32_e32 v5, v5, v9
	v_add_f32_e32 v4, v4, v5
	s_delay_alu instid0(VALU_DEP_1) | instskip(NEXT) | instid1(VALU_DEP_1)
	v_add_f32_e32 v4, v56, v4
	v_cndmask_b32_e32 v53, v4, v8, vcc_lo
.LBB15_52:                              ;   in Loop: Header=BB15_12 Depth=1
	s_or_b32 exec_lo, exec_lo, s21
	v_and_b32_e32 v4, 0xffff0000, v6
	s_delay_alu instid0(VALU_DEP_1) | instskip(NEXT) | instid1(VALU_DEP_1)
	v_add_f32_e32 v54, s54, v4
	v_cmp_ge_f32_e32 vcc_lo, 0x41a00000, v54
	s_and_b32 s20, s63, vcc_lo
	s_delay_alu instid0(SALU_CYCLE_1)
	s_and_saveexec_b32 s21, s20
	s_cbranch_execz .LBB15_54
; %bb.53:                               ;   in Loop: Header=BB15_12 Depth=1
	v_mul_f32_e32 v4, 0x3fb8aa3b, v54
	v_cmp_ngt_f32_e32 vcc_lo, 0xc2ce8ed0, v54
	s_delay_alu instid0(VALU_DEP_2) | instskip(SKIP_1) | instid1(VALU_DEP_2)
	v_rndne_f32_e32 v5, v4
	v_fma_f32 v6, 0x3fb8aa3b, v54, -v4
	v_sub_f32_e32 v4, v4, v5
	s_delay_alu instid0(VALU_DEP_2) | instskip(SKIP_1) | instid1(VALU_DEP_2)
	v_fmac_f32_e32 v6, 0x32a5705f, v54
	v_cvt_i32_f32_e32 v5, v5
	v_add_f32_e32 v4, v4, v6
	s_delay_alu instid0(VALU_DEP_1) | instskip(SKIP_2) | instid1(VALU_DEP_1)
	v_exp_f32_e32 v4, v4
	s_waitcnt_depctr 0xfff
	v_ldexp_f32 v4, v4, v5
	v_cndmask_b32_e32 v4, 0, v4, vcc_lo
	v_cmp_nlt_f32_e32 vcc_lo, 0x42b17218, v54
	s_delay_alu instid0(VALU_DEP_2) | instskip(NEXT) | instid1(VALU_DEP_1)
	v_cndmask_b32_e32 v6, 0x7f800000, v4, vcc_lo
	v_add_f32_e32 v8, 1.0, v6
	s_delay_alu instid0(VALU_DEP_1) | instskip(NEXT) | instid1(VALU_DEP_1)
	v_cvt_f64_f32_e32 v[4:5], v8
	v_frexp_exp_i32_f64_e32 v4, v[4:5]
	v_frexp_mant_f32_e32 v5, v8
	s_delay_alu instid0(VALU_DEP_1) | instskip(SKIP_1) | instid1(VALU_DEP_1)
	v_cmp_gt_f32_e32 vcc_lo, 0x3f2aaaab, v5
	v_add_f32_e32 v5, -1.0, v8
	v_dual_sub_f32 v54, v5, v8 :: v_dual_sub_f32 v5, v6, v5
	s_delay_alu instid0(VALU_DEP_1) | instskip(NEXT) | instid1(VALU_DEP_1)
	v_add_f32_e32 v54, 1.0, v54
	v_add_f32_e32 v5, v5, v54
	v_subrev_co_ci_u32_e32 v4, vcc_lo, 0, v4, vcc_lo
	s_delay_alu instid0(VALU_DEP_1) | instskip(SKIP_1) | instid1(VALU_DEP_2)
	v_sub_nc_u32_e32 v9, 0, v4
	v_cvt_f32_i32_e32 v4, v4
	v_ldexp_f32 v8, v8, v9
	v_ldexp_f32 v5, v5, v9
	s_delay_alu instid0(VALU_DEP_2) | instskip(NEXT) | instid1(VALU_DEP_1)
	v_add_f32_e32 v55, 1.0, v8
	v_dual_add_f32 v9, -1.0, v8 :: v_dual_add_f32 v54, -1.0, v55
	s_delay_alu instid0(VALU_DEP_1) | instskip(NEXT) | instid1(VALU_DEP_2)
	v_add_f32_e32 v56, 1.0, v9
	v_sub_f32_e32 v54, v8, v54
	s_delay_alu instid0(VALU_DEP_2) | instskip(NEXT) | instid1(VALU_DEP_2)
	v_sub_f32_e32 v8, v8, v56
	v_add_f32_e32 v54, v5, v54
	s_delay_alu instid0(VALU_DEP_2) | instskip(NEXT) | instid1(VALU_DEP_1)
	v_add_f32_e32 v5, v5, v8
	v_add_f32_e32 v57, v9, v5
	v_cmp_eq_f32_e32 vcc_lo, 0x7f800000, v6
	v_cmp_gt_f32_e64 s20, 0x33800000, v6
	s_delay_alu instid0(VALU_DEP_3) | instskip(NEXT) | instid1(VALU_DEP_2)
	v_dual_sub_f32 v9, v9, v57 :: v_dual_add_f32 v56, v55, v54
	s_or_b32 vcc_lo, s20, vcc_lo
	s_delay_alu instid0(VALU_DEP_1) | instskip(NEXT) | instid1(VALU_DEP_2)
	v_add_f32_e32 v5, v5, v9
	v_rcp_f32_e32 v8, v56
	v_sub_f32_e32 v55, v55, v56
	s_delay_alu instid0(VALU_DEP_1) | instskip(SKIP_2) | instid1(VALU_DEP_1)
	v_add_f32_e32 v54, v54, v55
	s_waitcnt_depctr 0xfff
	v_mul_f32_e32 v58, v57, v8
	v_mul_f32_e32 v59, v56, v58
	s_delay_alu instid0(VALU_DEP_1) | instskip(NEXT) | instid1(VALU_DEP_1)
	v_fma_f32 v55, v58, v56, -v59
	v_fmac_f32_e32 v55, v58, v54
	s_delay_alu instid0(VALU_DEP_1) | instskip(NEXT) | instid1(VALU_DEP_1)
	v_add_f32_e32 v60, v59, v55
	v_sub_f32_e32 v61, v57, v60
	s_delay_alu instid0(VALU_DEP_1) | instskip(NEXT) | instid1(VALU_DEP_1)
	v_sub_f32_e32 v57, v57, v61
	v_sub_f32_e32 v57, v57, v60
	s_delay_alu instid0(VALU_DEP_1) | instskip(SKIP_1) | instid1(VALU_DEP_1)
	v_add_f32_e32 v5, v5, v57
	v_sub_f32_e32 v9, v60, v59
	v_sub_f32_e32 v9, v9, v55
	s_delay_alu instid0(VALU_DEP_1) | instskip(NEXT) | instid1(VALU_DEP_1)
	v_add_f32_e32 v5, v9, v5
	v_add_f32_e32 v9, v61, v5
	s_delay_alu instid0(VALU_DEP_1) | instskip(NEXT) | instid1(VALU_DEP_1)
	v_mul_f32_e32 v55, v8, v9
	v_dual_sub_f32 v60, v61, v9 :: v_dual_mul_f32 v57, v56, v55
	s_delay_alu instid0(VALU_DEP_1) | instskip(NEXT) | instid1(VALU_DEP_2)
	v_add_f32_e32 v5, v5, v60
	v_fma_f32 v56, v55, v56, -v57
	s_delay_alu instid0(VALU_DEP_1) | instskip(NEXT) | instid1(VALU_DEP_1)
	v_fmac_f32_e32 v56, v55, v54
	v_add_f32_e32 v54, v57, v56
	s_delay_alu instid0(VALU_DEP_1) | instskip(NEXT) | instid1(VALU_DEP_1)
	v_sub_f32_e32 v59, v9, v54
	v_sub_f32_e32 v9, v9, v59
	s_delay_alu instid0(VALU_DEP_1) | instskip(NEXT) | instid1(VALU_DEP_1)
	v_sub_f32_e32 v9, v9, v54
	v_add_f32_e32 v5, v5, v9
	v_add_f32_e32 v9, v58, v55
	v_sub_f32_e32 v57, v54, v57
	s_delay_alu instid0(VALU_DEP_1) | instskip(NEXT) | instid1(VALU_DEP_1)
	v_sub_f32_e32 v54, v57, v56
	v_dual_add_f32 v5, v54, v5 :: v_dual_sub_f32 v54, v9, v58
	s_delay_alu instid0(VALU_DEP_1) | instskip(NEXT) | instid1(VALU_DEP_1)
	v_add_f32_e32 v5, v59, v5
	v_dual_sub_f32 v54, v55, v54 :: v_dual_mul_f32 v5, v8, v5
	s_delay_alu instid0(VALU_DEP_1) | instskip(NEXT) | instid1(VALU_DEP_1)
	v_add_f32_e32 v5, v54, v5
	v_add_f32_e32 v8, v9, v5
	s_delay_alu instid0(VALU_DEP_1) | instskip(NEXT) | instid1(VALU_DEP_1)
	v_mul_f32_e32 v54, v8, v8
	v_fmaak_f32 v55, s67, v54, 0x3ecc95a3
	v_mul_f32_e32 v56, v8, v54
	s_delay_alu instid0(VALU_DEP_2) | instskip(SKIP_1) | instid1(VALU_DEP_2)
	v_fmaak_f32 v54, v54, v55, 0x3f2aaada
	v_ldexp_f32 v55, v8, 1
	v_mul_f32_e32 v54, v56, v54
	v_sub_f32_e32 v8, v8, v9
	s_delay_alu instid0(VALU_DEP_2) | instskip(NEXT) | instid1(VALU_DEP_2)
	v_dual_mul_f32 v56, 0x3f317218, v4 :: v_dual_add_f32 v9, v55, v54
	v_sub_f32_e32 v5, v5, v8
	s_delay_alu instid0(VALU_DEP_2) | instskip(NEXT) | instid1(VALU_DEP_3)
	v_sub_f32_e32 v8, v9, v55
	v_fma_f32 v55, 0x3f317218, v4, -v56
	s_delay_alu instid0(VALU_DEP_3) | instskip(NEXT) | instid1(VALU_DEP_3)
	v_ldexp_f32 v5, v5, 1
	v_sub_f32_e32 v8, v54, v8
	s_delay_alu instid0(VALU_DEP_3) | instskip(NEXT) | instid1(VALU_DEP_2)
	v_fmac_f32_e32 v55, 0xb102e308, v4
	v_add_f32_e32 v4, v5, v8
	s_delay_alu instid0(VALU_DEP_1) | instskip(NEXT) | instid1(VALU_DEP_1)
	v_add_f32_e32 v8, v9, v4
	v_sub_f32_e32 v9, v8, v9
	s_delay_alu instid0(VALU_DEP_1) | instskip(SKIP_1) | instid1(VALU_DEP_1)
	v_sub_f32_e32 v4, v4, v9
	v_add_f32_e32 v5, v56, v55
	v_add_f32_e32 v54, v5, v8
	s_delay_alu instid0(VALU_DEP_1) | instskip(NEXT) | instid1(VALU_DEP_1)
	v_dual_sub_f32 v56, v5, v56 :: v_dual_sub_f32 v57, v54, v5
	v_dual_sub_f32 v55, v55, v56 :: v_dual_sub_f32 v8, v8, v57
	v_sub_f32_e32 v58, v54, v57
	s_delay_alu instid0(VALU_DEP_1) | instskip(NEXT) | instid1(VALU_DEP_1)
	v_sub_f32_e32 v5, v5, v58
	v_add_f32_e32 v5, v8, v5
	s_delay_alu instid0(VALU_DEP_4) | instskip(NEXT) | instid1(VALU_DEP_1)
	v_add_f32_e32 v9, v55, v4
	v_add_f32_e32 v5, v9, v5
	s_delay_alu instid0(VALU_DEP_1) | instskip(SKIP_1) | instid1(VALU_DEP_1)
	v_add_f32_e32 v56, v54, v5
	v_sub_f32_e32 v8, v9, v55
	v_sub_f32_e32 v9, v9, v8
	;; [unrolled: 1-line block ×3, first 2 shown]
	s_delay_alu instid0(VALU_DEP_2) | instskip(NEXT) | instid1(VALU_DEP_1)
	v_dual_sub_f32 v8, v56, v54 :: v_dual_sub_f32 v9, v55, v9
	v_dual_sub_f32 v5, v5, v8 :: v_dual_add_f32 v4, v4, v9
	s_delay_alu instid0(VALU_DEP_1) | instskip(NEXT) | instid1(VALU_DEP_1)
	v_add_f32_e32 v4, v4, v5
	v_add_f32_e32 v4, v56, v4
	s_delay_alu instid0(VALU_DEP_1)
	v_cndmask_b32_e32 v54, v4, v6, vcc_lo
.LBB15_54:                              ;   in Loop: Header=BB15_12 Depth=1
	s_or_b32 exec_lo, exec_lo, s21
	v_lshlrev_b32_e32 v4, 16, v7
	s_delay_alu instid0(VALU_DEP_1) | instskip(NEXT) | instid1(VALU_DEP_1)
	v_add_f32_e32 v55, s54, v4
	v_cmp_ge_f32_e32 vcc_lo, 0x41a00000, v55
	s_and_b32 s20, s63, vcc_lo
	s_delay_alu instid0(SALU_CYCLE_1)
	s_and_saveexec_b32 s21, s20
	s_cbranch_execz .LBB15_56
; %bb.55:                               ;   in Loop: Header=BB15_12 Depth=1
	v_mul_f32_e32 v4, 0x3fb8aa3b, v55
	v_cmp_ngt_f32_e32 vcc_lo, 0xc2ce8ed0, v55
	s_delay_alu instid0(VALU_DEP_2) | instskip(SKIP_1) | instid1(VALU_DEP_2)
	v_rndne_f32_e32 v5, v4
	v_fma_f32 v6, 0x3fb8aa3b, v55, -v4
	v_sub_f32_e32 v4, v4, v5
	s_delay_alu instid0(VALU_DEP_2) | instskip(SKIP_1) | instid1(VALU_DEP_2)
	v_fmac_f32_e32 v6, 0x32a5705f, v55
	v_cvt_i32_f32_e32 v5, v5
	v_add_f32_e32 v4, v4, v6
	s_delay_alu instid0(VALU_DEP_1) | instskip(SKIP_2) | instid1(VALU_DEP_1)
	v_exp_f32_e32 v4, v4
	s_waitcnt_depctr 0xfff
	v_ldexp_f32 v4, v4, v5
	v_cndmask_b32_e32 v4, 0, v4, vcc_lo
	v_cmp_nlt_f32_e32 vcc_lo, 0x42b17218, v55
	s_delay_alu instid0(VALU_DEP_2) | instskip(NEXT) | instid1(VALU_DEP_1)
	v_cndmask_b32_e32 v6, 0x7f800000, v4, vcc_lo
	v_add_f32_e32 v8, 1.0, v6
	s_delay_alu instid0(VALU_DEP_1) | instskip(NEXT) | instid1(VALU_DEP_1)
	v_cvt_f64_f32_e32 v[4:5], v8
	v_frexp_exp_i32_f64_e32 v4, v[4:5]
	v_frexp_mant_f32_e32 v5, v8
	s_delay_alu instid0(VALU_DEP_1) | instskip(SKIP_1) | instid1(VALU_DEP_1)
	v_cmp_gt_f32_e32 vcc_lo, 0x3f2aaaab, v5
	v_add_f32_e32 v5, -1.0, v8
	v_sub_f32_e32 v55, v5, v8
	v_sub_f32_e32 v5, v6, v5
	s_delay_alu instid0(VALU_DEP_2) | instskip(NEXT) | instid1(VALU_DEP_1)
	v_add_f32_e32 v55, 1.0, v55
	v_add_f32_e32 v5, v5, v55
	v_cmp_gt_f32_e64 s20, 0x33800000, v6
	v_subrev_co_ci_u32_e32 v4, vcc_lo, 0, v4, vcc_lo
	v_cmp_eq_f32_e32 vcc_lo, 0x7f800000, v6
	s_delay_alu instid0(VALU_DEP_2) | instskip(SKIP_2) | instid1(VALU_DEP_2)
	v_sub_nc_u32_e32 v9, 0, v4
	v_cvt_f32_i32_e32 v4, v4
	s_or_b32 vcc_lo, s20, vcc_lo
	v_ldexp_f32 v8, v8, v9
	v_ldexp_f32 v5, v5, v9
	s_delay_alu instid0(VALU_DEP_2) | instskip(SKIP_1) | instid1(VALU_DEP_2)
	v_add_f32_e32 v56, 1.0, v8
	v_add_f32_e32 v9, -1.0, v8
	v_add_f32_e32 v55, -1.0, v56
	s_delay_alu instid0(VALU_DEP_2) | instskip(NEXT) | instid1(VALU_DEP_2)
	v_add_f32_e32 v57, 1.0, v9
	v_sub_f32_e32 v55, v8, v55
	s_delay_alu instid0(VALU_DEP_1) | instskip(NEXT) | instid1(VALU_DEP_1)
	v_dual_sub_f32 v8, v8, v57 :: v_dual_add_f32 v55, v5, v55
	v_add_f32_e32 v5, v5, v8
	s_delay_alu instid0(VALU_DEP_1) | instskip(NEXT) | instid1(VALU_DEP_1)
	v_dual_add_f32 v57, v56, v55 :: v_dual_add_f32 v58, v9, v5
	v_rcp_f32_e32 v8, v57
	s_delay_alu instid0(VALU_DEP_1) | instskip(NEXT) | instid1(VALU_DEP_1)
	v_dual_sub_f32 v56, v56, v57 :: v_dual_sub_f32 v9, v9, v58
	v_add_f32_e32 v55, v55, v56
	s_waitcnt_depctr 0xfff
	v_mul_f32_e32 v59, v58, v8
	s_delay_alu instid0(VALU_DEP_1) | instskip(NEXT) | instid1(VALU_DEP_1)
	v_mul_f32_e32 v60, v57, v59
	v_fma_f32 v56, v59, v57, -v60
	s_delay_alu instid0(VALU_DEP_1) | instskip(NEXT) | instid1(VALU_DEP_1)
	v_dual_fmac_f32 v56, v59, v55 :: v_dual_add_f32 v5, v5, v9
	v_add_f32_e32 v61, v60, v56
	s_delay_alu instid0(VALU_DEP_1) | instskip(NEXT) | instid1(VALU_DEP_1)
	v_sub_f32_e32 v62, v58, v61
	v_dual_sub_f32 v58, v58, v62 :: v_dual_sub_f32 v9, v61, v60
	s_delay_alu instid0(VALU_DEP_1) | instskip(NEXT) | instid1(VALU_DEP_1)
	v_dual_sub_f32 v58, v58, v61 :: v_dual_sub_f32 v9, v9, v56
	v_add_f32_e32 v5, v5, v58
	s_delay_alu instid0(VALU_DEP_1) | instskip(NEXT) | instid1(VALU_DEP_1)
	v_add_f32_e32 v5, v9, v5
	v_add_f32_e32 v9, v62, v5
	s_delay_alu instid0(VALU_DEP_1) | instskip(NEXT) | instid1(VALU_DEP_1)
	v_mul_f32_e32 v56, v8, v9
	v_dual_mul_f32 v58, v57, v56 :: v_dual_sub_f32 v61, v62, v9
	s_delay_alu instid0(VALU_DEP_1) | instskip(NEXT) | instid1(VALU_DEP_2)
	v_fma_f32 v57, v56, v57, -v58
	v_add_f32_e32 v5, v5, v61
	s_delay_alu instid0(VALU_DEP_2) | instskip(NEXT) | instid1(VALU_DEP_1)
	v_fmac_f32_e32 v57, v56, v55
	v_add_f32_e32 v55, v58, v57
	s_delay_alu instid0(VALU_DEP_1) | instskip(NEXT) | instid1(VALU_DEP_1)
	v_sub_f32_e32 v60, v9, v55
	v_dual_sub_f32 v58, v55, v58 :: v_dual_sub_f32 v9, v9, v60
	s_delay_alu instid0(VALU_DEP_1) | instskip(NEXT) | instid1(VALU_DEP_2)
	v_sub_f32_e32 v9, v9, v55
	v_sub_f32_e32 v55, v58, v57
	s_delay_alu instid0(VALU_DEP_2) | instskip(SKIP_1) | instid1(VALU_DEP_2)
	v_add_f32_e32 v5, v5, v9
	v_add_f32_e32 v9, v59, v56
	;; [unrolled: 1-line block ×3, first 2 shown]
	s_delay_alu instid0(VALU_DEP_2) | instskip(NEXT) | instid1(VALU_DEP_2)
	v_sub_f32_e32 v55, v9, v59
	v_add_f32_e32 v5, v60, v5
	s_delay_alu instid0(VALU_DEP_2) | instskip(NEXT) | instid1(VALU_DEP_2)
	v_sub_f32_e32 v55, v56, v55
	v_mul_f32_e32 v5, v8, v5
	s_delay_alu instid0(VALU_DEP_1) | instskip(NEXT) | instid1(VALU_DEP_1)
	v_add_f32_e32 v5, v55, v5
	v_add_f32_e32 v8, v9, v5
	s_delay_alu instid0(VALU_DEP_1) | instskip(NEXT) | instid1(VALU_DEP_1)
	v_mul_f32_e32 v55, v8, v8
	v_fmaak_f32 v56, s67, v55, 0x3ecc95a3
	v_mul_f32_e32 v57, v8, v55
	s_delay_alu instid0(VALU_DEP_2) | instskip(SKIP_1) | instid1(VALU_DEP_2)
	v_fmaak_f32 v55, v55, v56, 0x3f2aaada
	v_ldexp_f32 v56, v8, 1
	v_dual_sub_f32 v8, v8, v9 :: v_dual_mul_f32 v55, v57, v55
	v_mul_f32_e32 v57, 0x3f317218, v4
	s_delay_alu instid0(VALU_DEP_2) | instskip(NEXT) | instid1(VALU_DEP_3)
	v_sub_f32_e32 v5, v5, v8
	v_add_f32_e32 v9, v56, v55
	s_delay_alu instid0(VALU_DEP_2) | instskip(NEXT) | instid1(VALU_DEP_2)
	v_ldexp_f32 v5, v5, 1
	v_sub_f32_e32 v8, v9, v56
	v_fma_f32 v56, 0x3f317218, v4, -v57
	s_delay_alu instid0(VALU_DEP_2) | instskip(NEXT) | instid1(VALU_DEP_2)
	v_sub_f32_e32 v8, v55, v8
	v_fmac_f32_e32 v56, 0xb102e308, v4
	s_delay_alu instid0(VALU_DEP_2) | instskip(NEXT) | instid1(VALU_DEP_2)
	v_add_f32_e32 v4, v5, v8
	v_add_f32_e32 v5, v57, v56
	s_delay_alu instid0(VALU_DEP_2) | instskip(NEXT) | instid1(VALU_DEP_2)
	v_add_f32_e32 v8, v9, v4
	v_sub_f32_e32 v57, v5, v57
	s_delay_alu instid0(VALU_DEP_2) | instskip(SKIP_1) | instid1(VALU_DEP_3)
	v_add_f32_e32 v55, v5, v8
	v_sub_f32_e32 v9, v8, v9
	v_sub_f32_e32 v56, v56, v57
	s_delay_alu instid0(VALU_DEP_3) | instskip(NEXT) | instid1(VALU_DEP_1)
	v_sub_f32_e32 v58, v55, v5
	v_dual_sub_f32 v4, v4, v9 :: v_dual_sub_f32 v59, v55, v58
	v_sub_f32_e32 v8, v8, v58
	s_delay_alu instid0(VALU_DEP_2) | instskip(NEXT) | instid1(VALU_DEP_3)
	v_add_f32_e32 v9, v56, v4
	v_sub_f32_e32 v5, v5, v59
	s_delay_alu instid0(VALU_DEP_1) | instskip(NEXT) | instid1(VALU_DEP_1)
	v_dual_add_f32 v5, v8, v5 :: v_dual_sub_f32 v8, v9, v56
	v_add_f32_e32 v5, v9, v5
	s_delay_alu instid0(VALU_DEP_2) | instskip(NEXT) | instid1(VALU_DEP_2)
	v_sub_f32_e32 v9, v9, v8
	v_dual_sub_f32 v4, v4, v8 :: v_dual_add_f32 v57, v55, v5
	s_delay_alu instid0(VALU_DEP_1) | instskip(NEXT) | instid1(VALU_DEP_1)
	v_dual_sub_f32 v9, v56, v9 :: v_dual_sub_f32 v8, v57, v55
	v_dual_add_f32 v4, v4, v9 :: v_dual_sub_f32 v5, v5, v8
	s_delay_alu instid0(VALU_DEP_1) | instskip(NEXT) | instid1(VALU_DEP_1)
	v_add_f32_e32 v4, v4, v5
	v_add_f32_e32 v4, v57, v4
	s_delay_alu instid0(VALU_DEP_1)
	v_cndmask_b32_e32 v55, v4, v6, vcc_lo
.LBB15_56:                              ;   in Loop: Header=BB15_12 Depth=1
	s_or_b32 exec_lo, exec_lo, s21
	v_and_b32_e32 v4, 0xffff0000, v7
	s_delay_alu instid0(VALU_DEP_1) | instskip(NEXT) | instid1(VALU_DEP_1)
	v_add_f32_e32 v64, s54, v4
	v_cmp_ge_f32_e32 vcc_lo, 0x41a00000, v64
	s_and_b32 s20, s63, vcc_lo
	s_delay_alu instid0(SALU_CYCLE_1)
	s_and_saveexec_b32 s21, s20
	s_cbranch_execz .LBB15_58
; %bb.57:                               ;   in Loop: Header=BB15_12 Depth=1
	v_mul_f32_e32 v4, 0x3fb8aa3b, v64
	v_cmp_ngt_f32_e32 vcc_lo, 0xc2ce8ed0, v64
	s_delay_alu instid0(VALU_DEP_2) | instskip(SKIP_1) | instid1(VALU_DEP_2)
	v_rndne_f32_e32 v5, v4
	v_fma_f32 v6, 0x3fb8aa3b, v64, -v4
	v_sub_f32_e32 v4, v4, v5
	s_delay_alu instid0(VALU_DEP_2) | instskip(SKIP_1) | instid1(VALU_DEP_2)
	v_fmac_f32_e32 v6, 0x32a5705f, v64
	v_cvt_i32_f32_e32 v5, v5
	v_add_f32_e32 v4, v4, v6
	s_delay_alu instid0(VALU_DEP_1) | instskip(SKIP_2) | instid1(VALU_DEP_1)
	v_exp_f32_e32 v4, v4
	s_waitcnt_depctr 0xfff
	v_ldexp_f32 v4, v4, v5
	v_cndmask_b32_e32 v4, 0, v4, vcc_lo
	v_cmp_nlt_f32_e32 vcc_lo, 0x42b17218, v64
	s_delay_alu instid0(VALU_DEP_2) | instskip(NEXT) | instid1(VALU_DEP_1)
	v_cndmask_b32_e32 v6, 0x7f800000, v4, vcc_lo
	v_add_f32_e32 v7, 1.0, v6
	s_delay_alu instid0(VALU_DEP_1) | instskip(NEXT) | instid1(VALU_DEP_1)
	v_cvt_f64_f32_e32 v[4:5], v7
	v_frexp_exp_i32_f64_e32 v4, v[4:5]
	v_frexp_mant_f32_e32 v5, v7
	s_delay_alu instid0(VALU_DEP_1) | instskip(SKIP_1) | instid1(VALU_DEP_1)
	v_cmp_gt_f32_e32 vcc_lo, 0x3f2aaaab, v5
	v_add_f32_e32 v5, -1.0, v7
	v_sub_f32_e32 v9, v5, v7
	v_sub_f32_e32 v5, v6, v5
	s_delay_alu instid0(VALU_DEP_2) | instskip(NEXT) | instid1(VALU_DEP_1)
	v_add_f32_e32 v9, 1.0, v9
	v_add_f32_e32 v5, v5, v9
	v_cmp_gt_f32_e64 s20, 0x33800000, v6
	v_subrev_co_ci_u32_e32 v4, vcc_lo, 0, v4, vcc_lo
	v_cmp_eq_f32_e32 vcc_lo, 0x7f800000, v6
	s_delay_alu instid0(VALU_DEP_2) | instskip(SKIP_2) | instid1(VALU_DEP_2)
	v_sub_nc_u32_e32 v8, 0, v4
	v_cvt_f32_i32_e32 v4, v4
	s_or_b32 vcc_lo, s20, vcc_lo
	v_ldexp_f32 v7, v7, v8
	v_ldexp_f32 v5, v5, v8
	s_delay_alu instid0(VALU_DEP_2) | instskip(NEXT) | instid1(VALU_DEP_1)
	v_add_f32_e32 v56, 1.0, v7
	v_dual_add_f32 v8, -1.0, v7 :: v_dual_add_f32 v9, -1.0, v56
	s_delay_alu instid0(VALU_DEP_1) | instskip(NEXT) | instid1(VALU_DEP_2)
	v_add_f32_e32 v57, 1.0, v8
	v_sub_f32_e32 v9, v7, v9
	s_delay_alu instid0(VALU_DEP_2) | instskip(NEXT) | instid1(VALU_DEP_2)
	v_sub_f32_e32 v7, v7, v57
	v_add_f32_e32 v9, v5, v9
	s_delay_alu instid0(VALU_DEP_2) | instskip(NEXT) | instid1(VALU_DEP_1)
	v_add_f32_e32 v5, v5, v7
	v_add_f32_e32 v58, v8, v5
	s_delay_alu instid0(VALU_DEP_1) | instskip(NEXT) | instid1(VALU_DEP_4)
	v_sub_f32_e32 v8, v8, v58
	v_add_f32_e32 v57, v56, v9
	s_delay_alu instid0(VALU_DEP_1) | instskip(NEXT) | instid1(VALU_DEP_2)
	v_rcp_f32_e32 v7, v57
	v_dual_sub_f32 v56, v56, v57 :: v_dual_add_f32 v5, v5, v8
	s_delay_alu instid0(VALU_DEP_1) | instskip(SKIP_2) | instid1(VALU_DEP_1)
	v_add_f32_e32 v9, v9, v56
	s_waitcnt_depctr 0xfff
	v_mul_f32_e32 v59, v58, v7
	v_mul_f32_e32 v60, v57, v59
	s_delay_alu instid0(VALU_DEP_1) | instskip(NEXT) | instid1(VALU_DEP_1)
	v_fma_f32 v56, v59, v57, -v60
	v_fmac_f32_e32 v56, v59, v9
	s_delay_alu instid0(VALU_DEP_1) | instskip(NEXT) | instid1(VALU_DEP_1)
	v_add_f32_e32 v61, v60, v56
	v_sub_f32_e32 v62, v58, v61
	v_sub_f32_e32 v8, v61, v60
	s_delay_alu instid0(VALU_DEP_2) | instskip(NEXT) | instid1(VALU_DEP_1)
	v_sub_f32_e32 v58, v58, v62
	v_sub_f32_e32 v58, v58, v61
	s_delay_alu instid0(VALU_DEP_1) | instskip(NEXT) | instid1(VALU_DEP_1)
	v_dual_sub_f32 v8, v8, v56 :: v_dual_add_f32 v5, v5, v58
	v_add_f32_e32 v5, v8, v5
	s_delay_alu instid0(VALU_DEP_1) | instskip(NEXT) | instid1(VALU_DEP_1)
	v_add_f32_e32 v8, v62, v5
	v_mul_f32_e32 v56, v7, v8
	v_sub_f32_e32 v61, v62, v8
	s_delay_alu instid0(VALU_DEP_2) | instskip(NEXT) | instid1(VALU_DEP_2)
	v_mul_f32_e32 v58, v57, v56
	v_add_f32_e32 v5, v5, v61
	s_delay_alu instid0(VALU_DEP_2) | instskip(NEXT) | instid1(VALU_DEP_1)
	v_fma_f32 v57, v56, v57, -v58
	v_fmac_f32_e32 v57, v56, v9
	s_delay_alu instid0(VALU_DEP_1) | instskip(NEXT) | instid1(VALU_DEP_1)
	v_add_f32_e32 v9, v58, v57
	v_sub_f32_e32 v60, v8, v9
	s_delay_alu instid0(VALU_DEP_1) | instskip(NEXT) | instid1(VALU_DEP_1)
	v_sub_f32_e32 v8, v8, v60
	v_sub_f32_e32 v8, v8, v9
	s_delay_alu instid0(VALU_DEP_1) | instskip(SKIP_2) | instid1(VALU_DEP_1)
	v_add_f32_e32 v5, v5, v8
	v_add_f32_e32 v8, v59, v56
	v_sub_f32_e32 v58, v9, v58
	v_sub_f32_e32 v9, v58, v57
	s_delay_alu instid0(VALU_DEP_1) | instskip(NEXT) | instid1(VALU_DEP_4)
	v_add_f32_e32 v5, v9, v5
	v_sub_f32_e32 v9, v8, v59
	s_delay_alu instid0(VALU_DEP_2) | instskip(NEXT) | instid1(VALU_DEP_2)
	v_add_f32_e32 v5, v60, v5
	v_sub_f32_e32 v9, v56, v9
	s_delay_alu instid0(VALU_DEP_2) | instskip(NEXT) | instid1(VALU_DEP_1)
	v_mul_f32_e32 v5, v7, v5
	v_add_f32_e32 v5, v9, v5
	s_delay_alu instid0(VALU_DEP_1) | instskip(NEXT) | instid1(VALU_DEP_1)
	v_add_f32_e32 v7, v8, v5
	v_mul_f32_e32 v9, v7, v7
	s_delay_alu instid0(VALU_DEP_1) | instskip(SKIP_1) | instid1(VALU_DEP_2)
	v_fmaak_f32 v56, s67, v9, 0x3ecc95a3
	v_mul_f32_e32 v57, v7, v9
	v_fmaak_f32 v9, v9, v56, 0x3f2aaada
	v_ldexp_f32 v56, v7, 1
	v_sub_f32_e32 v7, v7, v8
	s_delay_alu instid0(VALU_DEP_3) | instskip(SKIP_1) | instid1(VALU_DEP_2)
	v_mul_f32_e32 v9, v57, v9
	v_mul_f32_e32 v57, 0x3f317218, v4
	v_dual_sub_f32 v5, v5, v7 :: v_dual_add_f32 v8, v56, v9
	s_delay_alu instid0(VALU_DEP_1) | instskip(NEXT) | instid1(VALU_DEP_2)
	v_ldexp_f32 v5, v5, 1
	v_sub_f32_e32 v7, v8, v56
	s_delay_alu instid0(VALU_DEP_4) | instskip(NEXT) | instid1(VALU_DEP_1)
	v_fma_f32 v56, 0x3f317218, v4, -v57
	v_dual_sub_f32 v7, v9, v7 :: v_dual_fmac_f32 v56, 0xb102e308, v4
	s_delay_alu instid0(VALU_DEP_1) | instskip(NEXT) | instid1(VALU_DEP_1)
	v_add_f32_e32 v4, v5, v7
	v_add_f32_e32 v7, v8, v4
	s_delay_alu instid0(VALU_DEP_1) | instskip(NEXT) | instid1(VALU_DEP_1)
	v_sub_f32_e32 v8, v7, v8
	v_sub_f32_e32 v4, v4, v8
	v_add_f32_e32 v5, v57, v56
	s_delay_alu instid0(VALU_DEP_1) | instskip(SKIP_1) | instid1(VALU_DEP_2)
	v_add_f32_e32 v9, v5, v7
	v_sub_f32_e32 v57, v5, v57
	v_sub_f32_e32 v58, v9, v5
	s_delay_alu instid0(VALU_DEP_1) | instskip(NEXT) | instid1(VALU_DEP_1)
	v_dual_sub_f32 v56, v56, v57 :: v_dual_sub_f32 v59, v9, v58
	v_dual_sub_f32 v7, v7, v58 :: v_dual_add_f32 v8, v56, v4
	s_delay_alu instid0(VALU_DEP_2) | instskip(NEXT) | instid1(VALU_DEP_1)
	v_sub_f32_e32 v5, v5, v59
	v_add_f32_e32 v5, v7, v5
	s_delay_alu instid0(VALU_DEP_3) | instskip(NEXT) | instid1(VALU_DEP_2)
	v_sub_f32_e32 v7, v8, v56
	v_add_f32_e32 v5, v8, v5
	s_delay_alu instid0(VALU_DEP_2) | instskip(NEXT) | instid1(VALU_DEP_2)
	v_sub_f32_e32 v8, v8, v7
	v_dual_sub_f32 v4, v4, v7 :: v_dual_add_f32 v57, v9, v5
	s_delay_alu instid0(VALU_DEP_1) | instskip(NEXT) | instid1(VALU_DEP_1)
	v_dual_sub_f32 v8, v56, v8 :: v_dual_sub_f32 v7, v57, v9
	v_dual_add_f32 v4, v4, v8 :: v_dual_sub_f32 v5, v5, v7
	s_delay_alu instid0(VALU_DEP_1) | instskip(NEXT) | instid1(VALU_DEP_1)
	v_add_f32_e32 v4, v4, v5
	v_add_f32_e32 v4, v57, v4
	s_delay_alu instid0(VALU_DEP_1)
	v_cndmask_b32_e32 v64, v4, v6, vcc_lo
.LBB15_58:                              ;   in Loop: Header=BB15_12 Depth=1
	s_or_b32 exec_lo, exec_lo, s21
	v_and_b32_e32 v5, 0xffff0000, v2
	v_and_b32_e32 v7, 0xffff0000, v3
	v_lshlrev_b32_e32 v2, 16, v2
	v_lshlrev_b32_e32 v4, 16, v3
	v_and_b32_e32 v6, 0xffff0000, v0
	v_and_b32_e32 v3, 0xffff0000, v1
	v_lshlrev_b32_e32 v1, 16, v1
	v_dual_mul_f32 v59, s55, v2 :: v_dual_lshlrev_b32 v0, 16, v0
	s_delay_alu instid0(VALU_DEP_4) | instskip(NEXT) | instid1(VALU_DEP_3)
	v_dual_mul_f32 v57, s55, v4 :: v_dual_mul_f32 v58, s55, v6
	v_dual_mul_f32 v61, s55, v3 :: v_dual_mul_f32 v62, s55, v1
	v_mul_f32_e32 v56, s55, v5
	s_delay_alu instid0(VALU_DEP_4)
	v_dual_mul_f32 v60, s55, v7 :: v_dual_mul_f32 v63, s55, v0
	s_and_b32 vcc_lo, exec_lo, s64
	s_barrier
	buffer_gl0_inv
	s_cbranch_vccz .LBB15_122
; %bb.59:                               ;   in Loop: Header=BB15_12 Depth=1
	v_dual_mul_f32 v65, v64, v7 :: v_dual_mul_f32 v70, v55, v4
	v_add_co_u32 v7, s20, s41, v47
	s_delay_alu instid0(VALU_DEP_1) | instskip(SKIP_1) | instid1(VALU_DEP_1)
	v_add_co_ci_u32_e64 v8, null, s51, 0, s20
	v_add_co_u32 v9, s20, s45, v47
	v_add_co_ci_u32_e64 v69, null, s48, 0, s20
	s_delay_alu instid0(VALU_DEP_4) | instskip(NEXT) | instid1(VALU_DEP_4)
	v_add_co_u32 v66, vcc_lo, v7, v48
	v_add_co_ci_u32_e32 v67, vcc_lo, 0, v8, vcc_lo
	s_delay_alu instid0(VALU_DEP_4) | instskip(NEXT) | instid1(VALU_DEP_4)
	v_add_co_u32 v68, vcc_lo, v9, v48
	v_add_co_ci_u32_e32 v69, vcc_lo, 0, v69, vcc_lo
	v_cmp_gt_u32_e32 vcc_lo, s23, v10
	s_cmp_lg_u32 s69, 0
	v_cmp_gt_u32_e64 s21, s23, v40
	s_cselect_b32 s31, -1, 0
	s_cmp_eq_u32 s69, s66
	v_cmp_gt_u32_e64 s22, s23, v41
	s_cselect_b32 s70, -1, 0
	s_or_b32 s20, s65, vcc_lo
	v_cmp_gt_u32_e32 vcc_lo, s23, v42
	v_cmp_gt_u32_e64 s24, s23, v43
	v_cmp_gt_u32_e64 s25, s23, v44
	;; [unrolled: 1-line block ×4, first 2 shown]
	v_dual_mul_f32 v71, v54, v5 :: v_dual_mul_f32 v72, v53, v2
	v_dual_mul_f32 v73, v52, v3 :: v_dual_mul_f32 v74, v51, v1
	;; [unrolled: 1-line block ×3, first 2 shown]
	s_mov_b32 s52, 0
	s_or_b32 s21, s65, s21
	s_or_b32 s22, s65, s22
	s_or_b32 s23, s65, vcc_lo
	s_or_b32 s24, s65, s24
	s_or_b32 s25, s65, s25
	;; [unrolled: 1-line block ×4, first 2 shown]
	s_mov_b32 s38, s52
	s_mov_b32 s42, s52
	;; [unrolled: 1-line block ×5, first 2 shown]
	s_branch .LBB15_61
.LBB15_60:                              ;   in Loop: Header=BB15_61 Depth=2
	s_or_b32 exec_lo, exec_lo, s28
	v_cndmask_b32_e64 v5, v94, v7, s11
	v_cndmask_b32_e64 v6, v93, v6, s11
	s_add_i32 s71, s71, -1
	s_add_i32 s72, s72, 8
	s_add_i32 s46, s46, s50
	v_fma_f32 v5, v5, v82, v80
	v_mul_f32_e32 v6, v6, v82
	s_add_i32 s42, s42, s44
	s_add_i32 s38, s38, s40
	;; [unrolled: 1-line block ×3, first 2 shown]
	v_cndmask_b32_e64 v5, v5, v80, s10
	v_cndmask_b32_e64 v6, v6, v82, s10
	s_cmp_eq_u32 s71, 0
	s_waitcnt lgkmcnt(0)
	s_delay_alu instid0(VALU_DEP_1) | instskip(NEXT) | instid1(VALU_DEP_1)
	v_dual_fmac_f32 v5, v4, v6 :: v_dual_and_b32 v4, 0xffff0000, v0
	v_fmac_f32_e32 v77, v5, v83
	s_delay_alu instid0(VALU_DEP_1) | instskip(SKIP_1) | instid1(VALU_DEP_1)
	v_dual_fmac_f32 v58, v77, v4 :: v_dual_and_b32 v7, 0xffff0000, v2
	v_fmac_f32_e32 v78, v77, v85
	v_dual_fmac_f32 v79, v78, v86 :: v_dual_and_b32 v6, 0xffff0000, v1
	s_delay_alu instid0(VALU_DEP_1) | instskip(SKIP_1) | instid1(VALU_DEP_3)
	v_fmac_f32_e32 v81, v79, v88
	v_lshlrev_b32_e32 v1, 16, v1
	v_dual_fmac_f32 v61, v79, v6 :: v_dual_and_b32 v8, 0xffff0000, v3
	s_delay_alu instid0(VALU_DEP_3) | instskip(SKIP_1) | instid1(VALU_DEP_4)
	v_fmac_f32_e32 v84, v81, v92
	v_lshlrev_b32_e32 v0, 16, v0
	v_dual_fmac_f32 v62, v78, v1 :: v_dual_lshlrev_b32 v3, 16, v3
	s_delay_alu instid0(VALU_DEP_3) | instskip(NEXT) | instid1(VALU_DEP_3)
	v_fmac_f32_e32 v87, v84, v90
	v_dual_fmac_f32 v63, v5, v0 :: v_dual_lshlrev_b32 v2, 16, v2
	v_fmac_f32_e32 v56, v84, v7
	s_delay_alu instid0(VALU_DEP_3) | instskip(NEXT) | instid1(VALU_DEP_3)
	v_fmac_f32_e32 v89, v87, v91
	v_fmac_f32_e32 v59, v81, v2
	s_delay_alu instid0(VALU_DEP_2)
	v_dual_fmac_f32 v57, v87, v3 :: v_dual_fmac_f32 v60, v89, v8
	s_cbranch_scc1 .LBB15_122
.LBB15_61:                              ;   Parent Loop BB15_12 Depth=1
                                        ; =>  This Inner Loop Header: Depth=2
	s_lshl_b64 s[28:29], s[52:53], 2
	s_mov_b32 s39, s53
	s_add_u32 s28, s59, s28
	s_addc_u32 s29, s60, s29
	v_dual_mov_b32 v2, 0 :: v_dual_mov_b32 v3, 0
	global_load_b32 v77, v13, s[28:29]
	s_lshl_b64 s[28:29], s[38:39], 1
	s_delay_alu instid0(SALU_CYCLE_1)
	v_add_co_u32 v0, vcc_lo, v66, s28
	v_add_co_ci_u32_e32 v1, vcc_lo, s29, v67, vcc_lo
	s_and_saveexec_b32 s28, s12
	s_cbranch_execz .LBB15_63
; %bb.62:                               ;   in Loop: Header=BB15_61 Depth=2
	global_load_u16 v3, v[0:1], off
.LBB15_63:                              ;   in Loop: Header=BB15_61 Depth=2
	s_or_b32 exec_lo, exec_lo, s28
	s_and_saveexec_b32 s28, s13
	s_cbranch_execz .LBB15_65
; %bb.64:                               ;   in Loop: Header=BB15_61 Depth=2
	global_load_u16 v2, v[0:1], off offset:64
.LBB15_65:                              ;   in Loop: Header=BB15_61 Depth=2
	s_or_b32 exec_lo, exec_lo, s28
	v_dual_mov_b32 v4, 0 :: v_dual_mov_b32 v5, 0
	s_and_saveexec_b32 s28, s14
	s_cbranch_execz .LBB15_67
; %bb.66:                               ;   in Loop: Header=BB15_61 Depth=2
	global_load_u16 v5, v[0:1], off offset:128
.LBB15_67:                              ;   in Loop: Header=BB15_61 Depth=2
	s_or_b32 exec_lo, exec_lo, s28
	s_and_saveexec_b32 s28, s15
	s_cbranch_execz .LBB15_69
; %bb.68:                               ;   in Loop: Header=BB15_61 Depth=2
	global_load_u16 v4, v[0:1], off offset:192
.LBB15_69:                              ;   in Loop: Header=BB15_61 Depth=2
	s_or_b32 exec_lo, exec_lo, s28
	v_dual_mov_b32 v6, 0 :: v_dual_mov_b32 v7, 0
	s_and_saveexec_b32 s28, s16
	s_cbranch_execz .LBB15_71
; %bb.70:                               ;   in Loop: Header=BB15_61 Depth=2
	global_load_u16 v7, v[0:1], off offset:256
.LBB15_71:                              ;   in Loop: Header=BB15_61 Depth=2
	;; [unrolled: 13-line block ×3, first 2 shown]
	s_or_b32 exec_lo, exec_lo, s28
	s_and_saveexec_b32 s28, s19
	s_cbranch_execz .LBB15_77
; %bb.76:                               ;   in Loop: Header=BB15_61 Depth=2
	global_load_u16 v8, v[0:1], off offset:448
.LBB15_77:                              ;   in Loop: Header=BB15_61 Depth=2
	s_or_b32 exec_lo, exec_lo, s28
	s_waitcnt vmcnt(0)
	ds_store_b16 v20, v3
	ds_store_b16 v20, v2 offset:64
	ds_store_b16 v21, v5 offset:128
	;; [unrolled: 1-line block ×7, first 2 shown]
	; wave barrier
	ds_load_b128 v[4:7], v27
	s_mov_b32 s43, s53
	v_dual_mov_b32 v2, 0 :: v_dual_mov_b32 v3, 0
	s_lshl_b64 s[28:29], s[42:43], 1
	s_delay_alu instid0(SALU_CYCLE_1)
	v_add_co_u32 v0, vcc_lo, v68, s28
	v_add_co_ci_u32_e32 v1, vcc_lo, s29, v69, vcc_lo
	s_and_saveexec_b32 s28, s12
	s_cbranch_execz .LBB15_79
; %bb.78:                               ;   in Loop: Header=BB15_61 Depth=2
	global_load_u16 v3, v[0:1], off
.LBB15_79:                              ;   in Loop: Header=BB15_61 Depth=2
	s_or_b32 exec_lo, exec_lo, s28
	s_and_saveexec_b32 s28, s13
	s_cbranch_execz .LBB15_81
; %bb.80:                               ;   in Loop: Header=BB15_61 Depth=2
	global_load_u16 v2, v[0:1], off offset:64
.LBB15_81:                              ;   in Loop: Header=BB15_61 Depth=2
	s_or_b32 exec_lo, exec_lo, s28
	v_dual_mov_b32 v8, 0 :: v_dual_mov_b32 v9, 0
	s_and_saveexec_b32 s28, s14
	s_cbranch_execz .LBB15_83
; %bb.82:                               ;   in Loop: Header=BB15_61 Depth=2
	global_load_u16 v9, v[0:1], off offset:128
.LBB15_83:                              ;   in Loop: Header=BB15_61 Depth=2
	s_or_b32 exec_lo, exec_lo, s28
	s_and_saveexec_b32 s28, s15
	s_cbranch_execz .LBB15_85
; %bb.84:                               ;   in Loop: Header=BB15_61 Depth=2
	global_load_u16 v8, v[0:1], off offset:192
.LBB15_85:                              ;   in Loop: Header=BB15_61 Depth=2
	s_or_b32 exec_lo, exec_lo, s28
	v_dual_mov_b32 v78, 0 :: v_dual_mov_b32 v79, 0
	s_and_saveexec_b32 s28, s16
	s_cbranch_execz .LBB15_87
; %bb.86:                               ;   in Loop: Header=BB15_61 Depth=2
	global_load_u16 v79, v[0:1], off offset:256
.LBB15_87:                              ;   in Loop: Header=BB15_61 Depth=2
	;; [unrolled: 13-line block ×3, first 2 shown]
	s_or_b32 exec_lo, exec_lo, s28
	s_and_saveexec_b32 s28, s19
	s_cbranch_execz .LBB15_93
; %bb.92:                               ;   in Loop: Header=BB15_61 Depth=2
	global_load_u16 v80, v[0:1], off offset:448
.LBB15_93:                              ;   in Loop: Header=BB15_61 Depth=2
	s_or_b32 exec_lo, exec_lo, s28
	s_waitcnt vmcnt(0)
	ds_store_b16 v20, v3 offset:1056
	ds_store_b16 v28, v2 offset:64
	;; [unrolled: 1-line block ×8, first 2 shown]
	; wave barrier
	ds_load_b128 v[0:3], v27 offset:1056
	s_and_not1_b32 vcc_lo, exec_lo, s31
	s_cbranch_vccnz .LBB15_95
; %bb.94:                               ;   in Loop: Header=BB15_61 Depth=2
	v_mov_b32_e32 v8, s72
	ds_load_b64 v[8:9], v8
	s_cbranch_execz .LBB15_96
	s_branch .LBB15_99
.LBB15_95:                              ;   in Loop: Header=BB15_61 Depth=2
                                        ; implicit-def: $vgpr8
.LBB15_96:                              ;   in Loop: Header=BB15_61 Depth=2
	s_waitcnt lgkmcnt(0)
	v_mov_b32_e32 v9, 0
	s_and_not1_b32 vcc_lo, exec_lo, s33
	s_cbranch_vccnz .LBB15_98
; %bb.97:                               ;   in Loop: Header=BB15_61 Depth=2
	s_mov_b32 s47, s53
	s_delay_alu instid0(SALU_CYCLE_1) | instskip(NEXT) | instid1(SALU_CYCLE_1)
	s_lshl_b64 s[28:29], s[46:47], 1
	s_add_u32 s28, s49, s28
	s_addc_u32 s29, s61, s29
	global_load_u16 v8, v13, s[28:29]
	s_waitcnt vmcnt(0)
	v_lshlrev_b32_e32 v9, 16, v8
.LBB15_98:                              ;   in Loop: Header=BB15_61 Depth=2
	v_mov_b32_e32 v8, 1.0
.LBB15_99:                              ;   in Loop: Header=BB15_61 Depth=2
	v_mul_f32_e32 v87, 0x3fb8aa3b, v77
	s_waitcnt lgkmcnt(9)
	v_lshlrev_b32_e32 v77, 16, v4
	v_and_b32_e32 v4, 0xffff0000, v4
	s_delay_alu instid0(VALU_DEP_1) | instskip(SKIP_1) | instid1(VALU_DEP_4)
	v_mul_f32_e32 v4, v75, v4
	v_mul_f32_e32 v78, v87, v49
	v_mul_f32_e32 v77, v76, v77
	v_dual_mul_f32 v80, v87, v50 :: v_dual_lshlrev_b32 v79, 16, v5
	v_mul_f32_e32 v82, v87, v51
	s_delay_alu instid0(VALU_DEP_4) | instskip(SKIP_1) | instid1(VALU_DEP_4)
	v_cmp_gt_f32_e32 vcc_lo, 0xc2fc0000, v78
	v_dual_mul_f32 v84, v87, v52 :: v_dual_lshlrev_b32 v89, 16, v7
	v_cmp_gt_f32_e64 s28, 0xc2fc0000, v80
	s_delay_alu instid0(VALU_DEP_4)
	v_cmp_gt_f32_e64 s29, 0xc2fc0000, v82
	v_cndmask_b32_e64 v78, 0, 0x42800000, vcc_lo
	v_lshlrev_b32_e32 v81, 16, v6
	v_cndmask_b32_e64 v85, 1.0, 0x1f800000, vcc_lo
	v_cndmask_b32_e64 v80, 0, 0x42800000, s28
	v_and_b32_e32 v5, 0xffff0000, v5
	v_fmac_f32_e32 v78, v87, v49
	v_cndmask_b32_e64 v82, 0, 0x42800000, s29
	v_cndmask_b32_e64 v86, 1.0, 0x1f800000, s28
	v_fmac_f32_e32 v80, v87, v50
	v_cmp_gt_f32_e32 vcc_lo, 0xc2fc0000, v84
	v_exp_f32_e32 v78, v78
	v_and_b32_e32 v7, 0xffff0000, v7
	v_dual_fmac_f32 v82, v87, v51 :: v_dual_mul_f32 v5, v73, v5
	v_exp_f32_e32 v83, v80
	v_cndmask_b32_e64 v80, 0, v77, s20
	v_cndmask_b32_e64 v77, 0, v4, s21
	v_cndmask_b32_e64 v84, 0, 0x42800000, vcc_lo
	v_dual_mul_f32 v79, v74, v79 :: v_dual_and_b32 v6, 0xffff0000, v6
	s_delay_alu instid0(TRANS32_DEP_2) | instskip(SKIP_1) | instid1(VALU_DEP_3)
	v_mul_f32_e32 v4, v78, v85
	v_exp_f32_e32 v85, v82
	v_dual_fmac_f32 v84, v87, v52 :: v_dual_mul_f32 v89, v70, v89
	s_delay_alu instid0(TRANS32_DEP_2) | instskip(NEXT) | instid1(VALU_DEP_3)
	v_dual_mul_f32 v78, v83, v86 :: v_dual_mul_f32 v81, v72, v81
	v_cndmask_b32_e64 v82, 1.0, v4, s20
	v_dual_mul_f32 v4, v87, v53 :: v_dual_mul_f32 v7, v65, v7
	s_delay_alu instid0(VALU_DEP_3) | instskip(SKIP_2) | instid1(VALU_DEP_4)
	v_cndmask_b32_e64 v83, 1.0, v78, s21
	v_cndmask_b32_e64 v78, 1.0, 0x1f800000, s29
	v_mul_f32_e32 v86, v87, v54
	v_cmp_gt_f32_e64 s28, 0xc2fc0000, v4
	v_exp_f32_e32 v84, v84
	v_mul_f32_e32 v91, v87, v64
	v_mul_f32_e32 v85, v85, v78
	v_cndmask_b32_e64 v78, 0, v79, s22
	v_cndmask_b32_e64 v4, 0, 0x42800000, s28
	v_cndmask_b32_e64 v79, 1.0, 0x1f800000, vcc_lo
	v_cmp_gt_f32_e32 vcc_lo, 0xc2fc0000, v86
	v_mul_f32_e32 v6, v71, v6
	v_cndmask_b32_e64 v85, 1.0, v85, s22
	v_fmac_f32_e32 v4, v87, v53
	v_mul_f32_e32 v84, v84, v79
	v_cndmask_b32_e64 v88, 0, 0x42800000, vcc_lo
	v_cndmask_b32_e64 v79, 0, v5, s23
	v_cndmask_b32_e64 v5, 1.0, 0x1f800000, s28
	v_exp_f32_e32 v4, v4
	v_cndmask_b32_e64 v86, 1.0, v84, s23
	v_fmac_f32_e32 v88, v87, v54
	v_cmp_gt_f32_e64 s28, 0xc2fc0000, v91
	v_fma_f32 v91, v83, v80, v77
	v_cndmask_b32_e64 v81, 0, v81, s24
	s_delay_alu instid0(VALU_DEP_4) | instskip(SKIP_1) | instid1(TRANS32_DEP_2)
	v_exp_f32_e32 v84, v88
	v_mul_f32_e32 v88, v87, v55
	v_mul_f32_e32 v4, v4, v5
	v_cndmask_b32_e64 v5, 1.0, 0x1f800000, vcc_lo
	s_delay_alu instid0(VALU_DEP_3) | instskip(NEXT) | instid1(VALU_DEP_3)
	v_cmp_gt_f32_e32 vcc_lo, 0xc2fc0000, v88
	v_cndmask_b32_e64 v88, 1.0, v4, s24
	s_waitcnt_depctr 0xfff
	v_mul_f32_e32 v4, v84, v5
	v_cndmask_b32_e64 v90, 0, 0x42800000, vcc_lo
	v_cndmask_b32_e64 v84, 0, v6, s25
	v_cndmask_b32_e64 v5, 0, 0x42800000, s28
	v_mul_f32_e32 v6, v83, v82
	v_cndmask_b32_e64 v92, 1.0, v4, s25
	v_fmac_f32_e32 v90, v87, v55
	s_delay_alu instid0(VALU_DEP_3) | instskip(SKIP_1) | instid1(VALU_DEP_3)
	v_dual_fmac_f32 v5, v87, v64 :: v_dual_mul_f32 v4, v6, v85
	v_fma_f32 v6, v91, v85, v78
	v_exp_f32_e32 v90, v90
	v_cndmask_b32_e64 v87, 1.0, 0x1f800000, vcc_lo
	s_delay_alu instid0(VALU_DEP_3) | instskip(SKIP_2) | instid1(VALU_DEP_2)
	v_exp_f32_e32 v5, v5
	v_mul_f32_e32 v4, v4, v86
	v_fma_f32 v6, v6, v86, v79
	v_mul_f32_e32 v4, v4, v88
	s_delay_alu instid0(VALU_DEP_2) | instskip(NEXT) | instid1(TRANS32_DEP_2)
	v_fma_f32 v6, v6, v88, v81
	v_mul_f32_e32 v90, v90, v87
	v_cndmask_b32_e64 v87, 0, v89, s26
	v_cndmask_b32_e64 v89, 1.0, 0x1f800000, s28
	v_mul_f32_e32 v4, v4, v92
	v_fma_f32 v6, v6, v92, v84
	v_cndmask_b32_e64 v90, 1.0, v90, s26
	s_delay_alu instid0(VALU_DEP_4) | instskip(SKIP_1) | instid1(VALU_DEP_3)
	v_mul_f32_e32 v5, v5, v89
	v_cndmask_b32_e64 v89, 0, v7, s27
	v_mul_f32_e32 v4, v4, v90
	s_delay_alu instid0(VALU_DEP_3) | instskip(SKIP_1) | instid1(VALU_DEP_2)
	v_cndmask_b32_e64 v91, 1.0, v5, s27
	v_fma_f32 v5, v6, v90, v87
	v_mul_f32_e32 v4, v4, v91
	s_delay_alu instid0(VALU_DEP_2) | instskip(NEXT) | instid1(VALU_DEP_2)
	v_fma_f32 v5, v5, v91, v89
	v_mov_b32_dpp v7, v4 row_shr:1 row_mask:0xf bank_mask:0xf
	s_delay_alu instid0(VALU_DEP_2)
	v_mov_b32_dpp v6, v5 row_shr:1 row_mask:0xf bank_mask:0xf
	s_and_saveexec_b32 s28, s0
; %bb.100:                              ;   in Loop: Header=BB15_61 Depth=2
	s_delay_alu instid0(VALU_DEP_2) | instskip(NEXT) | instid1(VALU_DEP_1)
	v_mul_f32_e32 v7, v4, v7
	v_dual_fmac_f32 v5, v4, v6 :: v_dual_mov_b32 v4, v7
; %bb.101:                              ;   in Loop: Header=BB15_61 Depth=2
	s_or_b32 exec_lo, exec_lo, s28
	s_delay_alu instid0(VALU_DEP_1) | instskip(NEXT) | instid1(VALU_DEP_2)
	v_mov_b32_dpp v6, v4 row_shr:2 row_mask:0xf bank_mask:0xf
	v_mov_b32_dpp v7, v5 row_shr:2 row_mask:0xf bank_mask:0xf
	s_and_saveexec_b32 s28, s1
; %bb.102:                              ;   in Loop: Header=BB15_61 Depth=2
	s_delay_alu instid0(VALU_DEP_1) | instskip(NEXT) | instid1(VALU_DEP_3)
	v_fmac_f32_e32 v5, v4, v7
	v_mul_f32_e32 v4, v4, v6
; %bb.103:                              ;   in Loop: Header=BB15_61 Depth=2
	s_or_b32 exec_lo, exec_lo, s28
	s_delay_alu instid0(VALU_DEP_1) | instskip(NEXT) | instid1(VALU_DEP_3)
	v_mov_b32_dpp v6, v4 row_shr:4 row_mask:0xf bank_mask:0xf
	v_mov_b32_dpp v7, v5 row_shr:4 row_mask:0xf bank_mask:0xf
	s_and_saveexec_b32 s28, s2
; %bb.104:                              ;   in Loop: Header=BB15_61 Depth=2
	s_delay_alu instid0(VALU_DEP_1) | instskip(NEXT) | instid1(VALU_DEP_3)
	v_fmac_f32_e32 v5, v4, v7
	v_mul_f32_e32 v4, v4, v6
; %bb.105:                              ;   in Loop: Header=BB15_61 Depth=2
	s_or_b32 exec_lo, exec_lo, s28
	s_delay_alu instid0(VALU_DEP_1) | instskip(NEXT) | instid1(VALU_DEP_3)
	v_mov_b32_dpp v6, v4 row_shr:8 row_mask:0xf bank_mask:0xf
	v_mov_b32_dpp v7, v5 row_shr:8 row_mask:0xf bank_mask:0xf
	s_and_saveexec_b32 s28, s3
; %bb.106:                              ;   in Loop: Header=BB15_61 Depth=2
	s_delay_alu instid0(VALU_DEP_1) | instskip(NEXT) | instid1(VALU_DEP_3)
	v_fmac_f32_e32 v5, v4, v7
	v_mul_f32_e32 v4, v4, v6
; %bb.107:                              ;   in Loop: Header=BB15_61 Depth=2
	s_or_b32 exec_lo, exec_lo, s28
	ds_swizzle_b32 v7, v4 offset:swizzle(BROADCAST,32,15)
	ds_swizzle_b32 v6, v5 offset:swizzle(BROADCAST,32,15)
	s_and_saveexec_b32 s28, s4
	s_cbranch_execz .LBB15_109
; %bb.108:                              ;   in Loop: Header=BB15_61 Depth=2
	s_waitcnt lgkmcnt(1)
	v_mul_f32_e32 v7, v4, v7
	s_waitcnt lgkmcnt(0)
	s_delay_alu instid0(VALU_DEP_1)
	v_dual_fmac_f32 v5, v4, v6 :: v_dual_mov_b32 v4, v7
.LBB15_109:                             ;   in Loop: Header=BB15_61 Depth=2
	s_or_b32 exec_lo, exec_lo, s28
	s_and_saveexec_b32 s28, s5
	s_cbranch_execz .LBB15_111
; %bb.110:                              ;   in Loop: Header=BB15_61 Depth=2
	ds_store_b64 v35, v[4:5] offset:2112
.LBB15_111:                             ;   in Loop: Header=BB15_61 Depth=2
	s_or_b32 exec_lo, exec_lo, s28
	s_waitcnt lgkmcnt(0)
	s_waitcnt_vscnt null, 0x0
	s_barrier
	buffer_gl0_inv
	s_and_saveexec_b32 s28, s6
	s_cbranch_execz .LBB15_113
; %bb.112:                              ;   in Loop: Header=BB15_61 Depth=2
	ds_load_b64 v[6:7], v36 offset:2112
	s_waitcnt lgkmcnt(0)
	v_mov_b32_dpp v93, v6 row_shr:1 row_mask:0xf bank_mask:0xf
	v_mov_b32_dpp v94, v7 row_shr:1 row_mask:0xf bank_mask:0xf
	s_delay_alu instid0(VALU_DEP_2) | instskip(NEXT) | instid1(VALU_DEP_2)
	v_mul_f32_e32 v93, v6, v93
	v_fma_f32 v94, v6, v94, v7
	s_delay_alu instid0(VALU_DEP_2) | instskip(NEXT) | instid1(VALU_DEP_2)
	v_cndmask_b32_e64 v6, v93, v6, s7
	v_cndmask_b32_e64 v7, v94, v7, s7
	ds_store_b64 v36, v[6:7] offset:2112
.LBB15_113:                             ;   in Loop: Header=BB15_61 Depth=2
	s_or_b32 exec_lo, exec_lo, s28
	s_waitcnt lgkmcnt(0)
	s_barrier
	buffer_gl0_inv
                                        ; implicit-def: $vgpr7
	s_and_saveexec_b32 s28, s9
	s_cbranch_execz .LBB15_115
; %bb.114:                              ;   in Loop: Header=BB15_61 Depth=2
	ds_load_b64 v[6:7], v35 offset:2104
	s_waitcnt lgkmcnt(0)
	v_mul_f32_e32 v93, v4, v6
	s_delay_alu instid0(VALU_DEP_1)
	v_dual_fmac_f32 v5, v4, v7 :: v_dual_mov_b32 v4, v93
.LBB15_115:                             ;   in Loop: Header=BB15_61 Depth=2
	s_or_b32 exec_lo, exec_lo, s28
	ds_bpermute_b32 v93, v37, v4
	ds_bpermute_b32 v94, v37, v5
	s_and_saveexec_b32 s28, s8
	s_cbranch_execz .LBB15_119
; %bb.116:                              ;   in Loop: Header=BB15_61 Depth=2
	ds_load_b64 v[4:5], v13 offset:2120
	s_and_saveexec_b32 s29, s10
	s_cbranch_execz .LBB15_118
; %bb.117:                              ;   in Loop: Header=BB15_61 Depth=2
	ds_store_b64 v13, v[8:9] offset:2120
.LBB15_118:                             ;   in Loop: Header=BB15_61 Depth=2
	s_or_b32 exec_lo, exec_lo, s29
	s_waitcnt lgkmcnt(0)
	v_fmac_f32_e32 v5, v4, v9
	s_delay_alu instid0(VALU_DEP_1)
	v_dual_mul_f32 v8, v8, v4 :: v_dual_mov_b32 v9, v5
.LBB15_119:                             ;   in Loop: Header=BB15_61 Depth=2
	s_or_b32 exec_lo, exec_lo, s28
	s_waitcnt lgkmcnt(0)
	s_barrier
	buffer_gl0_inv
	ds_load_b32 v4, v13 offset:2124
	s_and_saveexec_b32 s28, s10
	s_cbranch_execz .LBB15_60
; %bb.120:                              ;   in Loop: Header=BB15_61 Depth=2
	v_mov_b32_e32 v5, s72
	s_and_not1_b32 vcc_lo, exec_lo, s70
	ds_store_b64 v5, v[8:9]
	s_cbranch_vccnz .LBB15_60
; %bb.121:                              ;   in Loop: Header=BB15_61 Depth=2
	v_bfe_u32 v5, v9, 16, 1
	v_cmp_o_f32_e32 vcc_lo, v9, v9
	s_mov_b32 s47, s53
	s_delay_alu instid0(SALU_CYCLE_1) | instskip(NEXT) | instid1(VALU_DEP_2)
	s_lshl_b64 s[74:75], s[46:47], 1
	v_add3_u32 v5, v9, v5, 0x7fff
	s_add_u32 s74, s49, s74
	s_addc_u32 s75, s61, s75
	s_delay_alu instid0(VALU_DEP_1) | instskip(NEXT) | instid1(VALU_DEP_1)
	v_lshrrev_b32_e32 v5, 16, v5
	v_cndmask_b32_e32 v5, 0x7fc0, v5, vcc_lo
	global_store_b16 v13, v5, s[74:75]
	s_branch .LBB15_60
.LBB15_122:                             ;   in Loop: Header=BB15_12 Depth=1
	v_bfe_u32 v0, v63, 16, 1
	v_bfe_u32 v2, v62, 16, 1
	;; [unrolled: 1-line block ×3, first 2 shown]
	v_cmp_o_f32_e32 vcc_lo, v63, v63
	v_bfe_u32 v4, v59, 16, 1
	v_add3_u32 v0, v63, v0, 0x7fff
	v_add3_u32 v2, v62, v2, 0x7fff
	v_add3_u32 v3, v61, v3, 0x7fff
	v_bfe_u32 v5, v56, 16, 1
	v_bfe_u32 v6, v57, 16, 1
	v_lshrrev_b32_e32 v0, 16, v0
	v_lshrrev_b32_e32 v2, 16, v2
	;; [unrolled: 1-line block ×3, first 2 shown]
	v_bfe_u32 v7, v60, 16, 1
	v_add3_u32 v4, v59, v4, 0x7fff
	v_cndmask_b32_e32 v0, 0x7fc0, v0, vcc_lo
	v_cmp_o_f32_e32 vcc_lo, v62, v62
	v_add3_u32 v6, v57, v6, 0x7fff
	v_bfe_u32 v1, v58, 16, 1
	s_waitcnt_vscnt null, 0x0
	s_barrier
	v_cndmask_b32_e32 v8, 0x7fc0, v2, vcc_lo
	v_cmp_o_f32_e32 vcc_lo, v61, v61
	v_add3_u32 v2, v56, v5, 0x7fff
	v_add3_u32 v5, v60, v7, 0x7fff
	;; [unrolled: 1-line block ×3, first 2 shown]
	buffer_gl0_inv
	v_cndmask_b32_e32 v7, 0x7fc0, v3, vcc_lo
	v_lshrrev_b32_e32 v3, 16, v4
	v_cmp_o_f32_e32 vcc_lo, v59, v59
	v_lshrrev_b32_e32 v4, 16, v6
	v_lshrrev_b32_e32 v5, 16, v5
	;; [unrolled: 1-line block ×4, first 2 shown]
	v_cndmask_b32_e32 v6, 0x7fc0, v3, vcc_lo
	v_cmp_o_f32_e32 vcc_lo, v57, v57
	s_mov_b32 s31, s53
	s_delay_alu instid0(SALU_CYCLE_1) | instskip(SKIP_4) | instid1(VALU_DEP_2)
	s_lshl_b64 s[20:21], s[30:31], 1
	v_cndmask_b32_e32 v3, 0x7fc0, v4, vcc_lo
	v_cmp_o_f32_e32 vcc_lo, v60, v60
	v_cndmask_b32_e32 v4, 0x7fc0, v5, vcc_lo
	v_cmp_o_f32_e32 vcc_lo, v56, v56
	v_perm_b32 v3, v4, v3, 0x5040100
	v_cndmask_b32_e32 v2, 0x7fc0, v2, vcc_lo
	v_cmp_o_f32_e32 vcc_lo, v58, v58
	s_delay_alu instid0(VALU_DEP_2) | instskip(SKIP_2) | instid1(VALU_DEP_2)
	v_perm_b32 v2, v2, v6, 0x5040100
	v_cndmask_b32_e32 v5, 0x7fc0, v1, vcc_lo
	v_perm_b32 v1, v7, v8, 0x5040100
	v_perm_b32 v0, v5, v0, 0x5040100
	ds_store_b128 v27, v[0:3]
	; wave barrier
	ds_load_u16 v8, v20 offset:64
	ds_load_u16 v7, v21 offset:128
	;; [unrolled: 1-line block ×7, first 2 shown]
	v_add_co_u32 v0, vcc_lo, v38, s20
	v_add_co_ci_u32_e32 v1, vcc_lo, s21, v39, vcc_lo
	s_and_saveexec_b32 s20, s12
	s_cbranch_execnz .LBB15_132
; %bb.123:                              ;   in Loop: Header=BB15_12 Depth=1
	s_or_b32 exec_lo, exec_lo, s20
	s_and_saveexec_b32 s12, s13
	s_cbranch_execnz .LBB15_133
.LBB15_124:                             ;   in Loop: Header=BB15_12 Depth=1
	s_or_b32 exec_lo, exec_lo, s12
	s_and_saveexec_b32 s12, s14
	s_cbranch_execnz .LBB15_134
.LBB15_125:                             ;   in Loop: Header=BB15_12 Depth=1
	s_or_b32 exec_lo, exec_lo, s12
	s_and_saveexec_b32 s12, s15
	s_cbranch_execnz .LBB15_135
.LBB15_126:                             ;   in Loop: Header=BB15_12 Depth=1
	s_or_b32 exec_lo, exec_lo, s12
	s_and_saveexec_b32 s12, s16
	s_cbranch_execnz .LBB15_136
.LBB15_127:                             ;   in Loop: Header=BB15_12 Depth=1
	s_or_b32 exec_lo, exec_lo, s12
	s_and_saveexec_b32 s12, s17
	s_cbranch_execnz .LBB15_137
.LBB15_128:                             ;   in Loop: Header=BB15_12 Depth=1
	s_or_b32 exec_lo, exec_lo, s12
	s_and_saveexec_b32 s12, s18
	s_cbranch_execnz .LBB15_138
.LBB15_129:                             ;   in Loop: Header=BB15_12 Depth=1
	s_or_b32 exec_lo, exec_lo, s12
	s_and_saveexec_b32 s12, s19
	s_cbranch_execz .LBB15_11
	s_branch .LBB15_139
.LBB15_130:                             ;   in Loop: Header=BB15_12 Depth=1
	global_load_u16 v51, v[4:5], off offset:320
	s_or_b32 exec_lo, exec_lo, s20
	s_and_saveexec_b32 s20, s18
	s_cbranch_execz .LBB15_40
.LBB15_131:                             ;   in Loop: Header=BB15_12 Depth=1
	global_load_u16 v50, v[4:5], off offset:384
	s_or_b32 exec_lo, exec_lo, s20
	v_mov_b32_e32 v52, 0
	s_and_saveexec_b32 s20, s19
	s_cbranch_execnz .LBB15_41
	s_branch .LBB15_42
.LBB15_132:                             ;   in Loop: Header=BB15_12 Depth=1
	ds_load_u16 v9, v20
	s_waitcnt lgkmcnt(0)
	global_store_b16 v[0:1], v9, off
	s_or_b32 exec_lo, exec_lo, s20
	s_and_saveexec_b32 s12, s13
	s_cbranch_execz .LBB15_124
.LBB15_133:                             ;   in Loop: Header=BB15_12 Depth=1
	s_waitcnt lgkmcnt(6)
	global_store_b16 v[0:1], v8, off offset:64
	s_or_b32 exec_lo, exec_lo, s12
	s_and_saveexec_b32 s12, s14
	s_cbranch_execz .LBB15_125
.LBB15_134:                             ;   in Loop: Header=BB15_12 Depth=1
	s_waitcnt lgkmcnt(5)
	global_store_b16 v[0:1], v7, off offset:128
	s_or_b32 exec_lo, exec_lo, s12
	s_and_saveexec_b32 s12, s15
	s_cbranch_execz .LBB15_126
.LBB15_135:                             ;   in Loop: Header=BB15_12 Depth=1
	s_waitcnt lgkmcnt(4)
	global_store_b16 v[0:1], v6, off offset:192
	s_or_b32 exec_lo, exec_lo, s12
	s_and_saveexec_b32 s12, s16
	s_cbranch_execz .LBB15_127
.LBB15_136:                             ;   in Loop: Header=BB15_12 Depth=1
	s_waitcnt lgkmcnt(3)
	global_store_b16 v[0:1], v5, off offset:256
	s_or_b32 exec_lo, exec_lo, s12
	s_and_saveexec_b32 s12, s17
	s_cbranch_execz .LBB15_128
.LBB15_137:                             ;   in Loop: Header=BB15_12 Depth=1
	s_waitcnt lgkmcnt(2)
	global_store_b16 v[0:1], v4, off offset:320
	s_or_b32 exec_lo, exec_lo, s12
	s_and_saveexec_b32 s12, s18
	s_cbranch_execz .LBB15_129
.LBB15_138:                             ;   in Loop: Header=BB15_12 Depth=1
	s_waitcnt lgkmcnt(1)
	global_store_b16 v[0:1], v3, off offset:384
	s_or_b32 exec_lo, exec_lo, s12
	s_and_saveexec_b32 s12, s19
	s_cbranch_execz .LBB15_11
.LBB15_139:                             ;   in Loop: Header=BB15_12 Depth=1
	s_waitcnt lgkmcnt(0)
	global_store_b16 v[0:1], v2, off offset:448
	s_branch .LBB15_11
.LBB15_140:
	s_nop 0
	s_sendmsg sendmsg(MSG_DEALLOC_VGPRS)
	s_endpgm
	.section	.rodata,"a",@progbits
	.p2align	6, 0x0
	.amdhsa_kernel _Z25selective_scan_fwd_kernelI32Selective_Scan_fwd_kernel_traitsILi64ELi8ELi1ELb0ELb1ELb1ELb0ELb0EN3c108BFloat16EfS2_EEv13SSMParamsBase
		.amdhsa_group_segment_fixed_size 0
		.amdhsa_private_segment_fixed_size 0
		.amdhsa_kernarg_size 248
		.amdhsa_user_sgpr_count 14
		.amdhsa_user_sgpr_dispatch_ptr 0
		.amdhsa_user_sgpr_queue_ptr 0
		.amdhsa_user_sgpr_kernarg_segment_ptr 1
		.amdhsa_user_sgpr_dispatch_id 0
		.amdhsa_user_sgpr_private_segment_size 0
		.amdhsa_wavefront_size32 1
		.amdhsa_uses_dynamic_stack 0
		.amdhsa_enable_private_segment 0
		.amdhsa_system_sgpr_workgroup_id_x 1
		.amdhsa_system_sgpr_workgroup_id_y 1
		.amdhsa_system_sgpr_workgroup_id_z 0
		.amdhsa_system_sgpr_workgroup_info 0
		.amdhsa_system_vgpr_workitem_id 0
		.amdhsa_next_free_vgpr 95
		.amdhsa_next_free_sgpr 76
		.amdhsa_reserve_vcc 1
		.amdhsa_float_round_mode_32 0
		.amdhsa_float_round_mode_16_64 0
		.amdhsa_float_denorm_mode_32 3
		.amdhsa_float_denorm_mode_16_64 3
		.amdhsa_dx10_clamp 1
		.amdhsa_ieee_mode 1
		.amdhsa_fp16_overflow 0
		.amdhsa_workgroup_processor_mode 1
		.amdhsa_memory_ordered 1
		.amdhsa_forward_progress 0
		.amdhsa_shared_vgpr_count 0
		.amdhsa_exception_fp_ieee_invalid_op 0
		.amdhsa_exception_fp_denorm_src 0
		.amdhsa_exception_fp_ieee_div_zero 0
		.amdhsa_exception_fp_ieee_overflow 0
		.amdhsa_exception_fp_ieee_underflow 0
		.amdhsa_exception_fp_ieee_inexact 0
		.amdhsa_exception_int_div_zero 0
	.end_amdhsa_kernel
	.section	.text._Z25selective_scan_fwd_kernelI32Selective_Scan_fwd_kernel_traitsILi64ELi8ELi1ELb0ELb1ELb1ELb0ELb0EN3c108BFloat16EfS2_EEv13SSMParamsBase,"axG",@progbits,_Z25selective_scan_fwd_kernelI32Selective_Scan_fwd_kernel_traitsILi64ELi8ELi1ELb0ELb1ELb1ELb0ELb0EN3c108BFloat16EfS2_EEv13SSMParamsBase,comdat
.Lfunc_end15:
	.size	_Z25selective_scan_fwd_kernelI32Selective_Scan_fwd_kernel_traitsILi64ELi8ELi1ELb0ELb1ELb1ELb0ELb0EN3c108BFloat16EfS2_EEv13SSMParamsBase, .Lfunc_end15-_Z25selective_scan_fwd_kernelI32Selective_Scan_fwd_kernel_traitsILi64ELi8ELi1ELb0ELb1ELb1ELb0ELb0EN3c108BFloat16EfS2_EEv13SSMParamsBase
                                        ; -- End function
	.section	.AMDGPU.csdata,"",@progbits
; Kernel info:
; codeLenInByte = 11844
; NumSgprs: 78
; NumVgprs: 95
; ScratchSize: 0
; MemoryBound: 0
; FloatMode: 240
; IeeeMode: 1
; LDSByteSize: 0 bytes/workgroup (compile time only)
; SGPRBlocks: 9
; VGPRBlocks: 11
; NumSGPRsForWavesPerEU: 78
; NumVGPRsForWavesPerEU: 95
; Occupancy: 16
; WaveLimiterHint : 0
; COMPUTE_PGM_RSRC2:SCRATCH_EN: 0
; COMPUTE_PGM_RSRC2:USER_SGPR: 14
; COMPUTE_PGM_RSRC2:TRAP_HANDLER: 0
; COMPUTE_PGM_RSRC2:TGID_X_EN: 1
; COMPUTE_PGM_RSRC2:TGID_Y_EN: 1
; COMPUTE_PGM_RSRC2:TGID_Z_EN: 0
; COMPUTE_PGM_RSRC2:TIDIG_COMP_CNT: 0
	.section	.text._Z25selective_scan_fwd_kernelI32Selective_Scan_fwd_kernel_traitsILi64ELi16ELi1ELb1ELb1ELb1ELb1ELb1EN3c108BFloat16EfS2_EEv13SSMParamsBase,"axG",@progbits,_Z25selective_scan_fwd_kernelI32Selective_Scan_fwd_kernel_traitsILi64ELi16ELi1ELb1ELb1ELb1ELb1ELb1EN3c108BFloat16EfS2_EEv13SSMParamsBase,comdat
	.protected	_Z25selective_scan_fwd_kernelI32Selective_Scan_fwd_kernel_traitsILi64ELi16ELi1ELb1ELb1ELb1ELb1ELb1EN3c108BFloat16EfS2_EEv13SSMParamsBase ; -- Begin function _Z25selective_scan_fwd_kernelI32Selective_Scan_fwd_kernel_traitsILi64ELi16ELi1ELb1ELb1ELb1ELb1ELb1EN3c108BFloat16EfS2_EEv13SSMParamsBase
	.globl	_Z25selective_scan_fwd_kernelI32Selective_Scan_fwd_kernel_traitsILi64ELi16ELi1ELb1ELb1ELb1ELb1ELb1EN3c108BFloat16EfS2_EEv13SSMParamsBase
	.p2align	8
	.type	_Z25selective_scan_fwd_kernelI32Selective_Scan_fwd_kernel_traitsILi64ELi16ELi1ELb1ELb1ELb1ELb1ELb1EN3c108BFloat16EfS2_EEv13SSMParamsBase,@function
_Z25selective_scan_fwd_kernelI32Selective_Scan_fwd_kernel_traitsILi64ELi16ELi1ELb1ELb1ELb1ELb1ELb1EN3c108BFloat16EfS2_EEv13SSMParamsBase: ; @_Z25selective_scan_fwd_kernelI32Selective_Scan_fwd_kernel_traitsILi64ELi16ELi1ELb1ELb1ELb1ELb1ELb1EN3c108BFloat16EfS2_EEv13SSMParamsBase
; %bb.0:
	s_clause 0x2
	s_load_b32 s11, s[0:1], 0x18
	s_load_b256 s[36:43], s[0:1], 0xc8
	s_load_b128 s[4:7], s[0:1], 0xe8
	s_mov_b32 s12, s15
	s_ashr_i32 s15, s14, 31
	s_mov_b32 s47, 0
	s_lshl_b64 s[8:9], s[14:15], 2
	s_waitcnt lgkmcnt(0)
	s_abs_i32 s10, s11
	s_add_u32 s2, s42, s8
	v_cvt_f32_u32_e32 v1, s10
	s_addc_u32 s3, s43, s9
	s_cmp_eq_u64 s[6:7], 0
	s_delay_alu instid0(VALU_DEP_1) | instskip(SKIP_2) | instid1(VALU_DEP_1)
	v_rcp_iflag_f32_e32 v1, v1
	s_waitcnt_depctr 0xfff
	v_mul_f32_e32 v1, 0x4f7ffffe, v1
	v_cvt_u32_f32_e32 v1, v1
	s_delay_alu instid0(VALU_DEP_1)
	v_readfirstlane_b32 s33, v1
	s_cbranch_scc1 .LBB16_2
; %bb.1:
	v_mov_b32_e32 v1, 0
	s_add_u32 s6, s6, s14
	s_addc_u32 s7, s7, s15
	global_load_u8 v1, v1, s[6:7]
	s_waitcnt vmcnt(0)
	v_and_b32_e32 v1, 1, v1
	s_delay_alu instid0(VALU_DEP_1)
	v_cmp_eq_u32_e64 s47, 1, v1
.LBB16_2:
	s_load_b64 s[6:7], s[0:1], 0x20
	s_cmp_eq_u64 s[4:5], 0
	s_cbranch_scc1 .LBB16_4
; %bb.3:
	s_add_u32 s4, s4, s8
	s_addc_u32 s5, s5, s9
	s_load_b32 s14, s[4:5], 0x0
	s_waitcnt lgkmcnt(0)
	s_ashr_i32 s15, s14, 31
.LBB16_4:
	s_waitcnt lgkmcnt(0)
	s_cmp_eq_u64 s[6:7], s[14:15]
	s_cbranch_scc1 .LBB16_300
; %bb.5:
	s_load_b512 s[16:31], s[0:1], 0x88
	s_load_b64 s[34:35], s[2:3], 0x0
	s_mov_b32 s66, 0
	s_mov_b32 s67, 0
	s_waitcnt lgkmcnt(0)
	s_cmp_eq_u64 s[22:23], 0
	s_cbranch_scc1 .LBB16_7
; %bb.6:
	s_ashr_i32 s13, s12, 31
	s_delay_alu instid0(SALU_CYCLE_1) | instskip(NEXT) | instid1(SALU_CYCLE_1)
	s_lshl_b64 s[2:3], s[12:13], 2
	s_add_u32 s2, s22, s2
	s_addc_u32 s3, s23, s3
	s_load_b32 s67, s[2:3], 0x0
.LBB16_7:
	s_cmp_eq_u64 s[28:29], 0
	s_cbranch_scc1 .LBB16_9
; %bb.8:
	s_ashr_i32 s13, s12, 31
	s_delay_alu instid0(SALU_CYCLE_1) | instskip(NEXT) | instid1(SALU_CYCLE_1)
	s_lshl_b64 s[2:3], s[12:13], 2
	s_add_u32 s2, s28, s2
	s_addc_u32 s3, s29, s3
	s_load_b32 s66, s[2:3], 0x0
.LBB16_9:
	s_sub_i32 s68, s35, s34
	s_delay_alu instid0(SALU_CYCLE_1)
	s_cmp_lt_i32 s68, 1
	s_cbranch_scc1 .LBB16_300
; %bb.10:
	s_sub_i32 s2, 0, s10
	s_load_b256 s[48:55], s[0:1], 0x4c
	s_mul_i32 s2, s2, s33
	s_abs_i32 s3, s12
	s_mul_hi_u32 s2, s33, s2
	s_ashr_i32 s5, s11, 31
	s_add_i32 s33, s33, s2
	s_ashr_i32 s2, s12, 31
	s_mul_hi_u32 s4, s3, s33
	s_xor_b32 s5, s2, s5
	s_mul_i32 s6, s4, s10
	s_load_b256 s[56:63], s[0:1], 0x2c
	s_sub_i32 s2, s3, s6
	s_add_i32 s3, s4, 1
	s_sub_i32 s6, s2, s10
	s_cmp_ge_u32 s2, s10
	s_mov_b32 s65, 0
	s_cselect_b32 s3, s3, s4
	s_cselect_b32 s2, s6, s2
	s_add_i32 s4, s3, 1
	s_cmp_ge_u32 s2, s10
	s_waitcnt lgkmcnt(0)
	s_mul_i32 s64, s34, s50
	s_cselect_b32 s4, s4, s3
	s_lshl_b64 s[2:3], s[64:65], 1
	s_xor_b32 s4, s4, s5
	s_mul_i32 s64, s51, s12
	s_sub_i32 s6, s4, s5
	s_add_u32 s4, s24, s2
	s_addc_u32 s5, s25, s3
	s_lshl_b64 s[2:3], s[64:65], 1
	s_mul_i32 s64, s34, s52
	s_add_u32 s63, s4, s2
	s_addc_u32 s69, s5, s3
	s_lshl_b64 s[2:3], s[64:65], 1
	s_mul_i32 s64, s53, s12
	;; [unrolled: 4-line block ×3, first 2 shown]
	s_add_u32 s70, s4, s2
	s_addc_u32 s56, s5, s3
	s_load_b64 s[4:5], s[0:1], 0x7c
	v_dual_mov_b32 v21, 0 :: v_dual_lshlrev_b32 v18, 4, v0
	s_lshl_b64 s[2:3], s[64:65], 2
	s_mul_i32 s64, s34, s58
	s_add_u32 s71, s16, s2
	v_mbcnt_lo_u32_b32 v19, -1, 0
	v_and_b32_e32 v1, 0x200, v18
	s_addc_u32 s72, s17, s3
	s_lshl_b64 s[2:3], s[64:65], 1
	s_mul_i32 s64, s6, s61
	s_add_u32 s7, s18, s2
	s_addc_u32 s8, s19, s3
	s_clause 0x3
	s_load_b128 s[16:19], s[0:1], 0x6c
	s_load_b32 s74, s[0:1], 0x84
	s_load_b32 s77, s[0:1], 0xc
	;; [unrolled: 1-line block ×3, first 2 shown]
	v_or_b32_e32 v20, v19, v1
	s_lshl_b64 s[2:3], s[64:65], 1
	s_mul_i32 s64, s34, s62
	s_add_u32 s61, s7, s2
	s_addc_u32 s62, s8, s3
	s_lshl_b64 s[2:3], s[64:65], 1
	s_mul_i32 s64, s6, s49
	v_or_b32_e32 v24, 0x60, v20
	v_and_b32_e32 v14, 32, v0
	s_add_u32 s7, s20, s2
	s_addc_u32 s6, s21, s3
	s_lshl_b64 s[2:3], s[64:65], 1
	s_waitcnt lgkmcnt(0)
	s_mul_i32 s64, s14, s4
	s_add_u32 s49, s7, s2
	s_addc_u32 s73, s6, s3
	s_lshl_b64 s[2:3], s[64:65], 1
	v_or_b32_e32 v26, 0xa0, v20
	v_or_b32_e32 v28, 0xe0, v20
	;; [unrolled: 1-line block ×5, first 2 shown]
	v_lshrrev_b32_e32 v2, 5, v24
	v_or_b32_e32 v36, 0x1e0, v20
	v_or_b32_e32 v16, v19, v14
	s_mul_i32 s64, s5, s12
	s_add_u32 s4, s36, s2
	s_addc_u32 s5, s37, s3
	s_lshl_b64 s[2:3], s[64:65], 1
	v_or_b32_e32 v23, 64, v20
	s_add_u32 s75, s4, s2
	v_or_b32_e32 v25, 0x80, v20
	v_or_b32_e32 v27, 0xc0, v20
	;; [unrolled: 1-line block ×6, first 2 shown]
	v_and_b32_e32 v2, 18, v2
	v_lshrrev_b32_e32 v5, 5, v26
	v_lshrrev_b32_e32 v8, 5, v28
	;; [unrolled: 1-line block ×6, first 2 shown]
	v_lshrrev_b16 v50, 1, v16
	s_addc_u32 s76, s5, s3
	s_add_i32 s2, s68, 0x7ff
	v_lshrrev_b32_e32 v3, 5, v1
	s_lshr_b32 s78, s2, 11
	s_bitcmp1_b32 s0, 0
	v_lshrrev_b32_e32 v4, 5, v23
	v_lshrrev_b32_e32 v6, 5, v25
	v_add_lshl_u32 v2, v2, v20, 1
	v_and_b32_e32 v5, 20, v5
	v_lshrrev_b32_e32 v7, 5, v27
	v_and_b32_e32 v8, 22, v8
	v_lshrrev_b32_e32 v10, 5, v29
	;; [unrolled: 2-line block ×5, first 2 shown]
	v_and_b32_e32 v51, 30, v49
	v_lshlrev_b32_e32 v16, 4, v16
	v_and_b32_e32 v52, 30, v50
	s_cselect_b32 s79, -1, 0
	s_cmp_gt_i32 s77, 0
	v_add_lshl_u32 v3, v3, v20, 1
	s_cselect_b32 s80, -1, 0
	s_add_i32 s0, 0, 0x840
	v_add_lshl_u32 v4, v4, v20, 1
	v_add_lshl_u32 v6, v6, v20, 1
	v_add_nc_u32_e32 v39, 0, v2
	v_add_lshl_u32 v5, v5, v20, 1
	v_add_lshl_u32 v7, v7, v20, 1
	;; [unrolled: 1-line block ×12, first 2 shown]
	v_add_nc_u32_e32 v55, s0, v2
	v_and_b32_e32 v2, 15, v19
	s_and_b32 s1, s68, 0x3ff
	v_add_nc_u32_e32 v51, 0, v67
	v_add_nc_u32_e32 v53, s0, v3
	v_add_nc_u32_e32 v54, s0, v4
	v_add_nc_u32_e32 v56, s0, v6
	v_add_nc_u32_e32 v57, s0, v5
	v_add_nc_u32_e32 v58, s0, v7
	v_add_nc_u32_e32 v59, s0, v8
	v_add_nc_u32_e32 v60, s0, v10
	v_add_nc_u32_e32 v61, s0, v9
	v_add_nc_u32_e32 v62, s0, v12
	v_add_nc_u32_e32 v63, s0, v11
	v_add_nc_u32_e32 v64, s0, v13
	v_add_nc_u32_e32 v65, s0, v15
	v_add_nc_u32_e32 v66, s0, v17
	v_add_nc_u32_e32 v67, s0, v67
	s_cmp_eq_u32 s1, 0
	v_add_nc_u32_e32 v68, s0, v16
	v_cmp_ne_u32_e64 s0, 0, v2
	v_cmp_lt_u32_e64 s1, 1, v2
	v_cmp_lt_u32_e64 s2, 3, v2
	;; [unrolled: 1-line block ×3, first 2 shown]
	v_add_nc_u32_e32 v2, -1, v19
	v_add_nc_u32_e32 v37, 0, v3
	v_lshrrev_b32_e32 v3, 2, v0
	s_mul_i32 s64, s34, s16
	v_add_nc_u32_e32 v41, 0, v5
	v_or_b32_e32 v5, 31, v14
	v_cmp_gt_i32_e32 vcc_lo, 0, v2
	s_cselect_b32 s81, -1, 0
	s_lshl_b64 s[14:15], s[64:65], 1
	v_and_b32_e32 v3, 8, v3
	s_add_i32 s82, s78, -1
	v_cndmask_b32_e32 v2, v2, v19, vcc_lo
	s_mul_i32 s64, s17, s12
	s_add_u32 s13, s30, s14
	s_addc_u32 s16, s31, s15
	s_lshl_b64 s[14:15], s[64:65], 1
	v_cmp_eq_u32_e64 s5, v5, v0
	v_cmp_gt_u32_e64 s6, 2, v0
	v_lshl_add_u32 v70, v0, 3, 0
	v_cmp_gt_u32_e64 s8, 32, v0
	v_cmp_lt_u32_e64 s9, 31, v0
	v_cmp_eq_u32_e64 s10, 0, v0
	s_mul_i32 s64, s34, s54
	v_lshlrev_b32_e32 v0, 1, v19
	s_add_u32 s13, s13, s14
	v_add_nc_u32_e32 v69, 0, v3
	v_and_b32_e32 v3, 1, v19
	s_addc_u32 s16, s16, s15
	s_lshl_b64 s[14:15], s[64:65], 1
	v_add_nc_u32_e32 v38, 0, v4
	v_and_b32_e32 v4, 16, v19
	s_mul_i32 s64, s55, s12
	s_add_u32 s17, s38, s14
	v_lshlrev_b32_e32 v71, 2, v2
	s_addc_u32 s20, s39, s15
	s_lshl_b64 s[14:15], s[64:65], 1
	v_add_co_u32 v2, s13, s13, v0
	s_mul_i32 s64, s34, s18
	v_cmp_eq_u32_e64 s7, 0, v3
	v_add_co_ci_u32_e64 v3, null, s16, 0, s13
	s_add_u32 s16, s17, s14
	v_cmp_ne_u32_e64 s4, 0, v4
	s_addc_u32 s17, s20, s15
	s_lshl_b64 s[14:15], s[64:65], 1
	v_lshlrev_b32_e32 v4, 1, v1
	s_mul_i32 s64, s19, s12
	s_add_u32 s14, s40, s14
	s_addc_u32 s15, s41, s15
	s_lshl_b64 s[12:13], s[64:65], 1
	v_add_co_u32 v72, vcc_lo, v2, v4
	s_add_u32 s12, s14, s12
	v_add_co_u32 v2, s14, s16, v0
	v_add_co_ci_u32_e32 v73, vcc_lo, 0, v3, vcc_lo
	v_add_co_ci_u32_e64 v3, null, s17, 0, s14
	s_addc_u32 s13, s15, s13
	v_add_co_u32 v0, s12, s12, v0
	s_delay_alu instid0(VALU_DEP_1) | instskip(SKIP_2) | instid1(VALU_DEP_4)
	v_add_co_ci_u32_e64 v5, null, s13, 0, s12
	v_add_co_u32 v74, vcc_lo, v2, v4
	v_add_co_ci_u32_e32 v75, vcc_lo, 0, v3, vcc_lo
	v_add_co_u32 v76, vcc_lo, v0, v4
	v_or_b32_e32 v22, 32, v20
	v_add_nc_u32_e32 v40, 0, v6
	v_add_nc_u32_e32 v42, 0, v7
	;; [unrolled: 1-line block ×11, first 2 shown]
	v_cmp_eq_u32_e64 s11, 0, v19
	v_add_co_ci_u32_e32 v77, vcc_lo, 0, v5, vcc_lo
	v_or_b32_e32 v78, 1, v18
	v_or_b32_e32 v79, 2, v18
	v_or_b32_e32 v80, 3, v18
	v_or_b32_e32 v81, 4, v18
	v_or_b32_e32 v82, 5, v18
	v_or_b32_e32 v83, 6, v18
	v_or_b32_e32 v84, 7, v18
	v_or_b32_e32 v85, 8, v18
	v_or_b32_e32 v86, 9, v18
	v_or_b32_e32 v87, 10, v18
	v_or_b32_e32 v88, 11, v18
	v_or_b32_e32 v89, 12, v18
	v_or_b32_e32 v90, 13, v18
	v_or_b32_e32 v91, 14, v18
	v_or_b32_e32 v92, 15, v18
	v_lshlrev_b32_e32 v93, 1, v1
	s_mov_b32 s83, 0x3e9b6dac
	s_add_i32 s84, 0, 0x1090
	s_mov_b32 s85, 0
	s_branch .LBB16_12
.LBB16_11:                              ;   in Loop: Header=BB16_12 Depth=1
	s_or_b32 exec_lo, exec_lo, s12
	s_add_u32 s70, s70, 0x800
	s_addc_u32 s56, s56, 0
	s_add_u32 s63, s63, 0x800
	s_addc_u32 s69, s69, 0
	;; [unrolled: 2-line block ×4, first 2 shown]
	s_add_i32 s85, s85, 1
	s_delay_alu instid0(SALU_CYCLE_1)
	s_cmp_lg_u32 s85, s78
	s_cbranch_scc0 .LBB16_300
.LBB16_12:                              ; =>This Loop Header: Depth=1
                                        ;     Child Loop BB16_109 Depth 2
	s_waitcnt lgkmcnt(14)
	v_lshlrev_b32_e32 v16, 1, v19
	s_lshl_b32 s50, s85, 10
	s_waitcnt lgkmcnt(0)
	v_mov_b32_e32 v2, 0
	s_sub_i32 s40, s68, s50
	v_add_co_u32 v0, s12, s63, v16
	s_delay_alu instid0(VALU_DEP_1) | instskip(SKIP_1) | instid1(VALU_DEP_3)
	v_add_co_ci_u32_e64 v1, null, s69, 0, s12
	v_cmp_gt_u32_e64 s12, s40, v20
	v_add_co_u32 v0, vcc_lo, v0, v93
	s_delay_alu instid0(VALU_DEP_3)
	v_add_co_ci_u32_e32 v1, vcc_lo, 0, v1, vcc_lo
	s_waitcnt_vscnt null, 0x0
	s_barrier
	buffer_gl0_inv
	s_and_saveexec_b32 s13, s12
	s_cbranch_execz .LBB16_14
; %bb.13:                               ;   in Loop: Header=BB16_12 Depth=1
	global_load_u16 v2, v[0:1], off
.LBB16_14:                              ;   in Loop: Header=BB16_12 Depth=1
	s_or_b32 exec_lo, exec_lo, s13
	v_cmp_gt_u32_e64 s13, s40, v22
	v_dual_mov_b32 v3, 0 :: v_dual_mov_b32 v4, 0
	s_delay_alu instid0(VALU_DEP_2)
	s_and_saveexec_b32 s14, s13
	s_cbranch_execz .LBB16_16
; %bb.15:                               ;   in Loop: Header=BB16_12 Depth=1
	global_load_u16 v4, v[0:1], off offset:64
.LBB16_16:                              ;   in Loop: Header=BB16_12 Depth=1
	s_or_b32 exec_lo, exec_lo, s14
	v_cmp_gt_u32_e64 s14, s40, v23
	s_delay_alu instid0(VALU_DEP_1)
	s_and_saveexec_b32 s15, s14
	s_cbranch_execz .LBB16_18
; %bb.17:                               ;   in Loop: Header=BB16_12 Depth=1
	global_load_u16 v3, v[0:1], off offset:128
.LBB16_18:                              ;   in Loop: Header=BB16_12 Depth=1
	s_or_b32 exec_lo, exec_lo, s15
	v_cmp_gt_u32_e64 s15, s40, v24
	v_dual_mov_b32 v5, 0 :: v_dual_mov_b32 v6, 0
	s_delay_alu instid0(VALU_DEP_2)
	s_and_saveexec_b32 s16, s15
	s_cbranch_execz .LBB16_20
; %bb.19:                               ;   in Loop: Header=BB16_12 Depth=1
	global_load_u16 v6, v[0:1], off offset:192
.LBB16_20:                              ;   in Loop: Header=BB16_12 Depth=1
	s_or_b32 exec_lo, exec_lo, s16
	v_cmp_gt_u32_e64 s16, s40, v25
	s_delay_alu instid0(VALU_DEP_1)
	s_and_saveexec_b32 s17, s16
	s_cbranch_execz .LBB16_22
; %bb.21:                               ;   in Loop: Header=BB16_12 Depth=1
	global_load_u16 v5, v[0:1], off offset:256
.LBB16_22:                              ;   in Loop: Header=BB16_12 Depth=1
	;; [unrolled: 17-line block ×3, first 2 shown]
	s_or_b32 exec_lo, exec_lo, s19
	v_cmp_gt_u32_e64 s19, s40, v28
	v_mov_b32_e32 v9, 0
	v_mov_b32_e32 v11, 0
	s_delay_alu instid0(VALU_DEP_3)
	s_and_saveexec_b32 s20, s19
	s_cbranch_execz .LBB16_28
; %bb.27:                               ;   in Loop: Header=BB16_12 Depth=1
	global_load_u16 v11, v[0:1], off offset:448
.LBB16_28:                              ;   in Loop: Header=BB16_12 Depth=1
	s_or_b32 exec_lo, exec_lo, s20
	v_cmp_gt_u32_e64 s20, s40, v29
	s_delay_alu instid0(VALU_DEP_1)
	s_and_saveexec_b32 s21, s20
	s_cbranch_execz .LBB16_30
; %bb.29:                               ;   in Loop: Header=BB16_12 Depth=1
	global_load_u16 v9, v[0:1], off offset:512
.LBB16_30:                              ;   in Loop: Header=BB16_12 Depth=1
	s_or_b32 exec_lo, exec_lo, s21
	v_cmp_gt_u32_e64 s21, s40, v30
	v_dual_mov_b32 v12, 0 :: v_dual_mov_b32 v13, 0
	s_delay_alu instid0(VALU_DEP_2)
	s_and_saveexec_b32 s22, s21
	s_cbranch_execz .LBB16_32
; %bb.31:                               ;   in Loop: Header=BB16_12 Depth=1
	global_load_u16 v13, v[0:1], off offset:576
.LBB16_32:                              ;   in Loop: Header=BB16_12 Depth=1
	s_or_b32 exec_lo, exec_lo, s22
	v_cmp_gt_u32_e64 s22, s40, v31
	s_delay_alu instid0(VALU_DEP_1)
	s_and_saveexec_b32 s23, s22
	s_cbranch_execz .LBB16_34
; %bb.33:                               ;   in Loop: Header=BB16_12 Depth=1
	global_load_u16 v12, v[0:1], off offset:640
.LBB16_34:                              ;   in Loop: Header=BB16_12 Depth=1
	s_or_b32 exec_lo, exec_lo, s23
	v_cmp_gt_u32_e64 s23, s40, v32
	v_dual_mov_b32 v14, 0 :: v_dual_mov_b32 v15, 0
	s_delay_alu instid0(VALU_DEP_2)
	;; [unrolled: 17-line block ×4, first 2 shown]
	s_and_saveexec_b32 s28, s27
	s_cbranch_execz .LBB16_44
; %bb.43:                               ;   in Loop: Header=BB16_12 Depth=1
	global_load_u16 v95, v[0:1], off offset:960
.LBB16_44:                              ;   in Loop: Header=BB16_12 Depth=1
	s_or_b32 exec_lo, exec_lo, s28
	s_waitcnt vmcnt(0)
	ds_store_b16 v37, v2
	ds_store_b16 v37, v4 offset:64
	ds_store_b16 v38, v3 offset:128
	;; [unrolled: 1-line block ×15, first 2 shown]
	; wave barrier
	ds_load_b128 v[0:3], v52
	ds_load_b128 v[4:7], v52 offset:16
	v_add_co_u32 v8, s28, s70, v16
	s_delay_alu instid0(VALU_DEP_1) | instskip(SKIP_1) | instid1(VALU_DEP_2)
	v_add_co_ci_u32_e64 v9, null, s56, 0, s28
	s_waitcnt lgkmcnt(0)
	v_add_co_u32 v8, vcc_lo, v8, v93
	s_delay_alu instid0(VALU_DEP_2)
	v_add_co_ci_u32_e32 v9, vcc_lo, 0, v9, vcc_lo
	s_barrier
	buffer_gl0_inv
	s_and_saveexec_b32 s28, s12
	s_cbranch_execz .LBB16_46
; %bb.45:                               ;   in Loop: Header=BB16_12 Depth=1
	global_load_u16 v10, v[8:9], off
.LBB16_46:                              ;   in Loop: Header=BB16_12 Depth=1
	s_or_b32 exec_lo, exec_lo, s28
	v_dual_mov_b32 v11, 0 :: v_dual_mov_b32 v12, 0
	s_and_saveexec_b32 s28, s13
	s_cbranch_execz .LBB16_48
; %bb.47:                               ;   in Loop: Header=BB16_12 Depth=1
	global_load_u16 v12, v[8:9], off offset:64
.LBB16_48:                              ;   in Loop: Header=BB16_12 Depth=1
	s_or_b32 exec_lo, exec_lo, s28
	s_and_saveexec_b32 s28, s14
	s_cbranch_execz .LBB16_50
; %bb.49:                               ;   in Loop: Header=BB16_12 Depth=1
	global_load_u16 v11, v[8:9], off offset:128
.LBB16_50:                              ;   in Loop: Header=BB16_12 Depth=1
	s_or_b32 exec_lo, exec_lo, s28
	v_dual_mov_b32 v13, 0 :: v_dual_mov_b32 v14, 0
	s_and_saveexec_b32 s28, s15
	s_cbranch_execz .LBB16_52
; %bb.51:                               ;   in Loop: Header=BB16_12 Depth=1
	global_load_u16 v14, v[8:9], off offset:192
.LBB16_52:                              ;   in Loop: Header=BB16_12 Depth=1
	s_or_b32 exec_lo, exec_lo, s28
	s_and_saveexec_b32 s28, s16
	s_cbranch_execz .LBB16_54
; %bb.53:                               ;   in Loop: Header=BB16_12 Depth=1
	global_load_u16 v13, v[8:9], off offset:256
.LBB16_54:                              ;   in Loop: Header=BB16_12 Depth=1
	s_or_b32 exec_lo, exec_lo, s28
	v_mov_b32_e32 v15, 0
	v_mov_b32_e32 v17, 0
	s_and_saveexec_b32 s28, s17
	s_cbranch_execz .LBB16_56
; %bb.55:                               ;   in Loop: Header=BB16_12 Depth=1
	global_load_u16 v17, v[8:9], off offset:320
.LBB16_56:                              ;   in Loop: Header=BB16_12 Depth=1
	s_or_b32 exec_lo, exec_lo, s28
	s_and_saveexec_b32 s28, s18
	s_cbranch_execz .LBB16_58
; %bb.57:                               ;   in Loop: Header=BB16_12 Depth=1
	global_load_u16 v15, v[8:9], off offset:384
.LBB16_58:                              ;   in Loop: Header=BB16_12 Depth=1
	s_or_b32 exec_lo, exec_lo, s28
	v_dual_mov_b32 v94, 0 :: v_dual_mov_b32 v95, 0
	s_and_saveexec_b32 s28, s19
	s_cbranch_execz .LBB16_60
; %bb.59:                               ;   in Loop: Header=BB16_12 Depth=1
	global_load_u16 v95, v[8:9], off offset:448
.LBB16_60:                              ;   in Loop: Header=BB16_12 Depth=1
	s_or_b32 exec_lo, exec_lo, s28
	s_and_saveexec_b32 s28, s20
	s_cbranch_execz .LBB16_62
; %bb.61:                               ;   in Loop: Header=BB16_12 Depth=1
	global_load_u16 v94, v[8:9], off offset:512
.LBB16_62:                              ;   in Loop: Header=BB16_12 Depth=1
	s_or_b32 exec_lo, exec_lo, s28
	v_dual_mov_b32 v96, 0 :: v_dual_mov_b32 v97, 0
	s_and_saveexec_b32 s28, s21
	s_cbranch_execz .LBB16_64
; %bb.63:                               ;   in Loop: Header=BB16_12 Depth=1
	global_load_u16 v97, v[8:9], off offset:576
.LBB16_64:                              ;   in Loop: Header=BB16_12 Depth=1
	s_or_b32 exec_lo, exec_lo, s28
	s_and_saveexec_b32 s28, s22
	s_cbranch_execz .LBB16_66
; %bb.65:                               ;   in Loop: Header=BB16_12 Depth=1
	global_load_u16 v96, v[8:9], off offset:640
.LBB16_66:                              ;   in Loop: Header=BB16_12 Depth=1
	s_or_b32 exec_lo, exec_lo, s28
	v_dual_mov_b32 v98, 0 :: v_dual_mov_b32 v99, 0
	s_and_saveexec_b32 s28, s23
	s_cbranch_execz .LBB16_68
; %bb.67:                               ;   in Loop: Header=BB16_12 Depth=1
	global_load_u16 v99, v[8:9], off offset:704
.LBB16_68:                              ;   in Loop: Header=BB16_12 Depth=1
	s_or_b32 exec_lo, exec_lo, s28
	s_and_saveexec_b32 s28, s24
	s_cbranch_execz .LBB16_70
; %bb.69:                               ;   in Loop: Header=BB16_12 Depth=1
	global_load_u16 v98, v[8:9], off offset:768
.LBB16_70:                              ;   in Loop: Header=BB16_12 Depth=1
	s_or_b32 exec_lo, exec_lo, s28
	v_dual_mov_b32 v100, 0 :: v_dual_mov_b32 v101, 0
	s_and_saveexec_b32 s28, s25
	s_cbranch_execnz .LBB16_267
; %bb.71:                               ;   in Loop: Header=BB16_12 Depth=1
	s_or_b32 exec_lo, exec_lo, s28
	s_and_saveexec_b32 s28, s26
	s_cbranch_execnz .LBB16_268
.LBB16_72:                              ;   in Loop: Header=BB16_12 Depth=1
	s_or_b32 exec_lo, exec_lo, s28
	v_mov_b32_e32 v102, 0
	s_and_saveexec_b32 s28, s27
	s_cbranch_execz .LBB16_74
.LBB16_73:                              ;   in Loop: Header=BB16_12 Depth=1
	global_load_u16 v102, v[8:9], off offset:960
.LBB16_74:                              ;   in Loop: Header=BB16_12 Depth=1
	s_or_b32 exec_lo, exec_lo, s28
	s_waitcnt vmcnt(0)
	ds_store_b16 v37, v10
	ds_store_b16 v37, v12 offset:64
	ds_store_b16 v38, v11 offset:128
	;; [unrolled: 1-line block ×15, first 2 shown]
	; wave barrier
	ds_load_b128 v[12:15], v52
	ds_load_b128 v[8:11], v52 offset:16
	s_waitcnt lgkmcnt(1)
	v_lshlrev_b32_e32 v17, 16, v12
	s_delay_alu instid0(VALU_DEP_1) | instskip(NEXT) | instid1(VALU_DEP_1)
	v_add_f32_e32 v94, s66, v17
	v_cmp_ge_f32_e32 vcc_lo, 0x41a00000, v94
	s_and_b32 s28, s79, vcc_lo
	s_delay_alu instid0(SALU_CYCLE_1)
	s_and_saveexec_b32 s29, s28
	s_cbranch_execz .LBB16_76
; %bb.75:                               ;   in Loop: Header=BB16_12 Depth=1
	v_mul_f32_e32 v17, 0x3fb8aa3b, v94
	v_cmp_ngt_f32_e32 vcc_lo, 0xc2ce8ed0, v94
	s_delay_alu instid0(VALU_DEP_2) | instskip(SKIP_1) | instid1(VALU_DEP_1)
	v_rndne_f32_e32 v95, v17
	v_fma_f32 v96, 0x3fb8aa3b, v94, -v17
	v_dual_sub_f32 v17, v17, v95 :: v_dual_fmac_f32 v96, 0x32a5705f, v94
	v_cvt_i32_f32_e32 v95, v95
	s_delay_alu instid0(VALU_DEP_2) | instskip(NEXT) | instid1(VALU_DEP_1)
	v_add_f32_e32 v17, v17, v96
	v_exp_f32_e32 v17, v17
	s_waitcnt_depctr 0xfff
	v_ldexp_f32 v17, v17, v95
	s_delay_alu instid0(VALU_DEP_1) | instskip(SKIP_1) | instid1(VALU_DEP_2)
	v_cndmask_b32_e32 v17, 0, v17, vcc_lo
	v_cmp_nlt_f32_e32 vcc_lo, 0x42b17218, v94
	v_cndmask_b32_e32 v17, 0x7f800000, v17, vcc_lo
	s_delay_alu instid0(VALU_DEP_1) | instskip(NEXT) | instid1(VALU_DEP_1)
	v_add_f32_e32 v96, 1.0, v17
	v_cvt_f64_f32_e32 v[94:95], v96
	s_delay_alu instid0(VALU_DEP_1) | instskip(SKIP_1) | instid1(VALU_DEP_1)
	v_frexp_exp_i32_f64_e32 v94, v[94:95]
	v_frexp_mant_f32_e32 v95, v96
	v_cmp_gt_f32_e32 vcc_lo, 0x3f2aaaab, v95
	v_add_f32_e32 v95, -1.0, v96
	s_delay_alu instid0(VALU_DEP_1) | instskip(NEXT) | instid1(VALU_DEP_1)
	v_dual_sub_f32 v98, v95, v96 :: v_dual_sub_f32 v95, v17, v95
	v_add_f32_e32 v98, 1.0, v98
	v_subrev_co_ci_u32_e32 v94, vcc_lo, 0, v94, vcc_lo
	s_delay_alu instid0(VALU_DEP_1) | instskip(SKIP_1) | instid1(VALU_DEP_2)
	v_sub_nc_u32_e32 v97, 0, v94
	v_cvt_f32_i32_e32 v94, v94
	v_ldexp_f32 v96, v96, v97
	v_add_f32_e32 v95, v95, v98
	s_delay_alu instid0(VALU_DEP_1) | instskip(NEXT) | instid1(VALU_DEP_3)
	v_ldexp_f32 v95, v95, v97
	v_add_f32_e32 v99, 1.0, v96
	s_delay_alu instid0(VALU_DEP_1) | instskip(NEXT) | instid1(VALU_DEP_1)
	v_add_f32_e32 v98, -1.0, v99
	v_sub_f32_e32 v98, v96, v98
	v_cmp_eq_f32_e32 vcc_lo, 0x7f800000, v17
	v_cmp_gt_f32_e64 s28, 0x33800000, v17
	s_delay_alu instid0(VALU_DEP_3) | instskip(NEXT) | instid1(VALU_DEP_2)
	v_dual_add_f32 v98, v95, v98 :: v_dual_add_f32 v97, -1.0, v96
	s_or_b32 vcc_lo, s28, vcc_lo
	s_delay_alu instid0(VALU_DEP_1) | instskip(NEXT) | instid1(VALU_DEP_1)
	v_add_f32_e32 v100, 1.0, v97
	v_sub_f32_e32 v96, v96, v100
	s_delay_alu instid0(VALU_DEP_3) | instskip(NEXT) | instid1(VALU_DEP_1)
	v_add_f32_e32 v100, v99, v98
	v_sub_f32_e32 v99, v99, v100
	s_delay_alu instid0(VALU_DEP_3) | instskip(SKIP_1) | instid1(VALU_DEP_2)
	v_add_f32_e32 v95, v95, v96
	v_rcp_f32_e32 v96, v100
	v_add_f32_e32 v98, v98, v99
	s_delay_alu instid0(VALU_DEP_2) | instskip(NEXT) | instid1(VALU_DEP_1)
	v_add_f32_e32 v101, v97, v95
	v_sub_f32_e32 v97, v97, v101
	s_waitcnt_depctr 0xfff
	v_dual_mul_f32 v102, v101, v96 :: v_dual_add_f32 v95, v95, v97
	s_delay_alu instid0(VALU_DEP_1) | instskip(NEXT) | instid1(VALU_DEP_1)
	v_mul_f32_e32 v103, v100, v102
	v_fma_f32 v99, v102, v100, -v103
	s_delay_alu instid0(VALU_DEP_1) | instskip(NEXT) | instid1(VALU_DEP_1)
	v_fmac_f32_e32 v99, v102, v98
	v_add_f32_e32 v104, v103, v99
	s_delay_alu instid0(VALU_DEP_1) | instskip(NEXT) | instid1(VALU_DEP_1)
	v_sub_f32_e32 v105, v101, v104
	v_sub_f32_e32 v101, v101, v105
	;; [unrolled: 1-line block ×3, first 2 shown]
	s_delay_alu instid0(VALU_DEP_2) | instskip(NEXT) | instid1(VALU_DEP_2)
	v_sub_f32_e32 v101, v101, v104
	v_sub_f32_e32 v97, v97, v99
	s_delay_alu instid0(VALU_DEP_2) | instskip(NEXT) | instid1(VALU_DEP_1)
	v_add_f32_e32 v95, v95, v101
	v_add_f32_e32 v95, v97, v95
	s_delay_alu instid0(VALU_DEP_1) | instskip(NEXT) | instid1(VALU_DEP_1)
	v_add_f32_e32 v97, v105, v95
	v_mul_f32_e32 v99, v96, v97
	s_delay_alu instid0(VALU_DEP_1) | instskip(NEXT) | instid1(VALU_DEP_1)
	v_dual_sub_f32 v104, v105, v97 :: v_dual_mul_f32 v101, v100, v99
	v_add_f32_e32 v95, v95, v104
	s_delay_alu instid0(VALU_DEP_2) | instskip(NEXT) | instid1(VALU_DEP_1)
	v_fma_f32 v100, v99, v100, -v101
	v_fmac_f32_e32 v100, v99, v98
	s_delay_alu instid0(VALU_DEP_1) | instskip(NEXT) | instid1(VALU_DEP_1)
	v_add_f32_e32 v98, v101, v100
	v_sub_f32_e32 v103, v97, v98
	v_sub_f32_e32 v101, v98, v101
	s_delay_alu instid0(VALU_DEP_2) | instskip(NEXT) | instid1(VALU_DEP_1)
	v_sub_f32_e32 v97, v97, v103
	v_sub_f32_e32 v97, v97, v98
	s_delay_alu instid0(VALU_DEP_1) | instskip(SKIP_1) | instid1(VALU_DEP_1)
	v_dual_sub_f32 v98, v101, v100 :: v_dual_add_f32 v95, v95, v97
	v_add_f32_e32 v97, v102, v99
	v_dual_add_f32 v95, v98, v95 :: v_dual_sub_f32 v98, v97, v102
	s_delay_alu instid0(VALU_DEP_1) | instskip(NEXT) | instid1(VALU_DEP_1)
	v_add_f32_e32 v95, v103, v95
	v_dual_sub_f32 v98, v99, v98 :: v_dual_mul_f32 v95, v96, v95
	s_delay_alu instid0(VALU_DEP_1) | instskip(NEXT) | instid1(VALU_DEP_1)
	v_add_f32_e32 v95, v98, v95
	v_add_f32_e32 v96, v97, v95
	s_delay_alu instid0(VALU_DEP_1) | instskip(NEXT) | instid1(VALU_DEP_1)
	v_mul_f32_e32 v98, v96, v96
	v_fmaak_f32 v99, s83, v98, 0x3ecc95a3
	v_mul_f32_e32 v100, v96, v98
	s_delay_alu instid0(VALU_DEP_2) | instskip(SKIP_2) | instid1(VALU_DEP_3)
	v_fmaak_f32 v98, v98, v99, 0x3f2aaada
	v_ldexp_f32 v99, v96, 1
	v_sub_f32_e32 v96, v96, v97
	v_mul_f32_e32 v98, v100, v98
	s_delay_alu instid0(VALU_DEP_2) | instskip(NEXT) | instid1(VALU_DEP_2)
	v_dual_mul_f32 v100, 0x3f317218, v94 :: v_dual_sub_f32 v95, v95, v96
	v_add_f32_e32 v97, v99, v98
	s_delay_alu instid0(VALU_DEP_2) | instskip(NEXT) | instid1(VALU_DEP_2)
	v_ldexp_f32 v95, v95, 1
	v_sub_f32_e32 v96, v97, v99
	s_delay_alu instid0(VALU_DEP_4) | instskip(NEXT) | instid1(VALU_DEP_1)
	v_fma_f32 v99, 0x3f317218, v94, -v100
	v_dual_sub_f32 v96, v98, v96 :: v_dual_fmac_f32 v99, 0xb102e308, v94
	s_delay_alu instid0(VALU_DEP_1) | instskip(NEXT) | instid1(VALU_DEP_1)
	v_dual_add_f32 v94, v95, v96 :: v_dual_add_f32 v95, v100, v99
	v_add_f32_e32 v96, v97, v94
	s_delay_alu instid0(VALU_DEP_2) | instskip(NEXT) | instid1(VALU_DEP_2)
	v_sub_f32_e32 v100, v95, v100
	v_dual_add_f32 v98, v95, v96 :: v_dual_sub_f32 v97, v96, v97
	s_delay_alu instid0(VALU_DEP_2) | instskip(NEXT) | instid1(VALU_DEP_2)
	v_sub_f32_e32 v99, v99, v100
	v_sub_f32_e32 v101, v98, v95
	s_delay_alu instid0(VALU_DEP_3) | instskip(NEXT) | instid1(VALU_DEP_2)
	v_sub_f32_e32 v94, v94, v97
	v_sub_f32_e32 v102, v98, v101
	s_delay_alu instid0(VALU_DEP_2) | instskip(NEXT) | instid1(VALU_DEP_2)
	v_dual_sub_f32 v96, v96, v101 :: v_dual_add_f32 v97, v99, v94
	v_sub_f32_e32 v95, v95, v102
	s_delay_alu instid0(VALU_DEP_1) | instskip(NEXT) | instid1(VALU_DEP_3)
	v_add_f32_e32 v95, v96, v95
	v_sub_f32_e32 v96, v97, v99
	s_delay_alu instid0(VALU_DEP_2) | instskip(NEXT) | instid1(VALU_DEP_2)
	v_add_f32_e32 v95, v97, v95
	v_sub_f32_e32 v97, v97, v96
	v_sub_f32_e32 v94, v94, v96
	s_delay_alu instid0(VALU_DEP_2) | instskip(NEXT) | instid1(VALU_DEP_1)
	v_dual_add_f32 v100, v98, v95 :: v_dual_sub_f32 v97, v99, v97
	v_sub_f32_e32 v96, v100, v98
	s_delay_alu instid0(VALU_DEP_1) | instskip(NEXT) | instid1(VALU_DEP_1)
	v_dual_add_f32 v94, v94, v97 :: v_dual_sub_f32 v95, v95, v96
	v_add_f32_e32 v94, v94, v95
	s_delay_alu instid0(VALU_DEP_1) | instskip(NEXT) | instid1(VALU_DEP_1)
	v_add_f32_e32 v94, v100, v94
	v_cndmask_b32_e32 v94, v94, v17, vcc_lo
.LBB16_76:                              ;   in Loop: Header=BB16_12 Depth=1
	s_or_b32 exec_lo, exec_lo, s29
	v_and_b32_e32 v12, 0xffff0000, v12
	s_delay_alu instid0(VALU_DEP_1) | instskip(NEXT) | instid1(VALU_DEP_1)
	v_add_f32_e32 v95, s66, v12
	v_cmp_ge_f32_e32 vcc_lo, 0x41a00000, v95
	s_and_b32 s28, s79, vcc_lo
	s_delay_alu instid0(SALU_CYCLE_1)
	s_and_saveexec_b32 s29, s28
	s_cbranch_execz .LBB16_78
; %bb.77:                               ;   in Loop: Header=BB16_12 Depth=1
	v_mul_f32_e32 v12, 0x3fb8aa3b, v95
	v_cmp_ngt_f32_e32 vcc_lo, 0xc2ce8ed0, v95
	s_delay_alu instid0(VALU_DEP_2) | instskip(SKIP_1) | instid1(VALU_DEP_2)
	v_rndne_f32_e32 v17, v12
	v_fma_f32 v96, 0x3fb8aa3b, v95, -v12
	v_sub_f32_e32 v12, v12, v17
	s_delay_alu instid0(VALU_DEP_2) | instskip(SKIP_1) | instid1(VALU_DEP_2)
	v_fmac_f32_e32 v96, 0x32a5705f, v95
	v_cvt_i32_f32_e32 v17, v17
	v_add_f32_e32 v12, v12, v96
	s_delay_alu instid0(VALU_DEP_1) | instskip(SKIP_2) | instid1(VALU_DEP_1)
	v_exp_f32_e32 v12, v12
	s_waitcnt_depctr 0xfff
	v_ldexp_f32 v12, v12, v17
	v_cndmask_b32_e32 v12, 0, v12, vcc_lo
	v_cmp_nlt_f32_e32 vcc_lo, 0x42b17218, v95
	s_delay_alu instid0(VALU_DEP_2) | instskip(NEXT) | instid1(VALU_DEP_1)
	v_cndmask_b32_e32 v12, 0x7f800000, v12, vcc_lo
	v_add_f32_e32 v17, 1.0, v12
	s_delay_alu instid0(VALU_DEP_1) | instskip(NEXT) | instid1(VALU_DEP_1)
	v_cvt_f64_f32_e32 v[95:96], v17
	v_frexp_exp_i32_f64_e32 v95, v[95:96]
	v_frexp_mant_f32_e32 v96, v17
	s_delay_alu instid0(VALU_DEP_1) | instskip(SKIP_1) | instid1(VALU_DEP_1)
	v_cmp_gt_f32_e32 vcc_lo, 0x3f2aaaab, v96
	v_add_f32_e32 v96, -1.0, v17
	v_sub_f32_e32 v98, v96, v17
	v_sub_f32_e32 v96, v12, v96
	s_delay_alu instid0(VALU_DEP_2) | instskip(NEXT) | instid1(VALU_DEP_1)
	v_add_f32_e32 v98, 1.0, v98
	v_add_f32_e32 v96, v96, v98
	v_subrev_co_ci_u32_e32 v95, vcc_lo, 0, v95, vcc_lo
	s_delay_alu instid0(VALU_DEP_1) | instskip(SKIP_1) | instid1(VALU_DEP_2)
	v_sub_nc_u32_e32 v97, 0, v95
	v_cvt_f32_i32_e32 v95, v95
	v_ldexp_f32 v17, v17, v97
	v_ldexp_f32 v96, v96, v97
	s_delay_alu instid0(VALU_DEP_2) | instskip(NEXT) | instid1(VALU_DEP_1)
	v_add_f32_e32 v99, 1.0, v17
	v_dual_add_f32 v97, -1.0, v17 :: v_dual_add_f32 v98, -1.0, v99
	s_delay_alu instid0(VALU_DEP_1) | instskip(NEXT) | instid1(VALU_DEP_2)
	v_add_f32_e32 v100, 1.0, v97
	v_sub_f32_e32 v98, v17, v98
	s_delay_alu instid0(VALU_DEP_2) | instskip(NEXT) | instid1(VALU_DEP_1)
	v_sub_f32_e32 v17, v17, v100
	v_add_f32_e32 v17, v96, v17
	s_delay_alu instid0(VALU_DEP_1) | instskip(SKIP_2) | instid1(VALU_DEP_3)
	v_add_f32_e32 v101, v97, v17
	v_cmp_eq_f32_e32 vcc_lo, 0x7f800000, v12
	v_cmp_gt_f32_e64 s28, 0x33800000, v12
	v_dual_sub_f32 v97, v97, v101 :: v_dual_add_f32 v98, v96, v98
	s_delay_alu instid0(VALU_DEP_2) | instskip(NEXT) | instid1(VALU_DEP_1)
	s_or_b32 vcc_lo, s28, vcc_lo
	v_dual_add_f32 v17, v17, v97 :: v_dual_add_f32 v100, v99, v98
	s_delay_alu instid0(VALU_DEP_1) | instskip(SKIP_1) | instid1(VALU_DEP_1)
	v_rcp_f32_e32 v96, v100
	v_sub_f32_e32 v99, v99, v100
	v_add_f32_e32 v98, v98, v99
	s_waitcnt_depctr 0xfff
	v_mul_f32_e32 v102, v101, v96
	s_delay_alu instid0(VALU_DEP_1) | instskip(NEXT) | instid1(VALU_DEP_1)
	v_mul_f32_e32 v103, v100, v102
	v_fma_f32 v99, v102, v100, -v103
	s_delay_alu instid0(VALU_DEP_1) | instskip(NEXT) | instid1(VALU_DEP_1)
	v_fmac_f32_e32 v99, v102, v98
	v_add_f32_e32 v104, v103, v99
	s_delay_alu instid0(VALU_DEP_1) | instskip(SKIP_1) | instid1(VALU_DEP_2)
	v_sub_f32_e32 v105, v101, v104
	v_sub_f32_e32 v97, v104, v103
	;; [unrolled: 1-line block ×3, first 2 shown]
	s_delay_alu instid0(VALU_DEP_2) | instskip(NEXT) | instid1(VALU_DEP_2)
	v_sub_f32_e32 v97, v97, v99
	v_sub_f32_e32 v101, v101, v104
	s_delay_alu instid0(VALU_DEP_1) | instskip(NEXT) | instid1(VALU_DEP_1)
	v_add_f32_e32 v17, v17, v101
	v_add_f32_e32 v17, v97, v17
	s_delay_alu instid0(VALU_DEP_1) | instskip(NEXT) | instid1(VALU_DEP_1)
	v_add_f32_e32 v97, v105, v17
	v_mul_f32_e32 v99, v96, v97
	s_delay_alu instid0(VALU_DEP_1) | instskip(NEXT) | instid1(VALU_DEP_1)
	v_mul_f32_e32 v101, v100, v99
	v_fma_f32 v100, v99, v100, -v101
	s_delay_alu instid0(VALU_DEP_1) | instskip(SKIP_1) | instid1(VALU_DEP_2)
	v_fmac_f32_e32 v100, v99, v98
	v_sub_f32_e32 v104, v105, v97
	v_add_f32_e32 v98, v101, v100
	s_delay_alu instid0(VALU_DEP_2) | instskip(NEXT) | instid1(VALU_DEP_2)
	v_add_f32_e32 v17, v17, v104
	v_sub_f32_e32 v103, v97, v98
	s_delay_alu instid0(VALU_DEP_1) | instskip(NEXT) | instid1(VALU_DEP_1)
	v_sub_f32_e32 v97, v97, v103
	v_sub_f32_e32 v97, v97, v98
	s_delay_alu instid0(VALU_DEP_1) | instskip(SKIP_2) | instid1(VALU_DEP_1)
	v_add_f32_e32 v17, v17, v97
	v_add_f32_e32 v97, v102, v99
	v_sub_f32_e32 v101, v98, v101
	v_sub_f32_e32 v98, v101, v100
	s_delay_alu instid0(VALU_DEP_1) | instskip(NEXT) | instid1(VALU_DEP_1)
	v_dual_add_f32 v17, v98, v17 :: v_dual_sub_f32 v98, v97, v102
	v_add_f32_e32 v17, v103, v17
	s_delay_alu instid0(VALU_DEP_1) | instskip(NEXT) | instid1(VALU_DEP_1)
	v_dual_sub_f32 v98, v99, v98 :: v_dual_mul_f32 v17, v96, v17
	v_add_f32_e32 v17, v98, v17
	s_delay_alu instid0(VALU_DEP_1) | instskip(NEXT) | instid1(VALU_DEP_1)
	v_add_f32_e32 v96, v97, v17
	v_mul_f32_e32 v98, v96, v96
	s_delay_alu instid0(VALU_DEP_1) | instskip(SKIP_1) | instid1(VALU_DEP_2)
	v_fmaak_f32 v99, s83, v98, 0x3ecc95a3
	v_mul_f32_e32 v100, v96, v98
	v_fmaak_f32 v98, v98, v99, 0x3f2aaada
	v_ldexp_f32 v99, v96, 1
	s_delay_alu instid0(VALU_DEP_2) | instskip(SKIP_1) | instid1(VALU_DEP_2)
	v_mul_f32_e32 v98, v100, v98
	v_sub_f32_e32 v96, v96, v97
	v_dual_mul_f32 v100, 0x3f317218, v95 :: v_dual_add_f32 v97, v99, v98
	s_delay_alu instid0(VALU_DEP_2) | instskip(NEXT) | instid1(VALU_DEP_2)
	v_sub_f32_e32 v17, v17, v96
	v_sub_f32_e32 v96, v97, v99
	s_delay_alu instid0(VALU_DEP_3) | instskip(NEXT) | instid1(VALU_DEP_3)
	v_fma_f32 v99, 0x3f317218, v95, -v100
	v_ldexp_f32 v17, v17, 1
	s_delay_alu instid0(VALU_DEP_2) | instskip(NEXT) | instid1(VALU_DEP_1)
	v_dual_sub_f32 v96, v98, v96 :: v_dual_fmac_f32 v99, 0xb102e308, v95
	v_add_f32_e32 v17, v17, v96
	s_delay_alu instid0(VALU_DEP_1) | instskip(NEXT) | instid1(VALU_DEP_1)
	v_dual_add_f32 v95, v100, v99 :: v_dual_add_f32 v96, v97, v17
	v_sub_f32_e32 v100, v95, v100
	s_delay_alu instid0(VALU_DEP_2) | instskip(NEXT) | instid1(VALU_DEP_2)
	v_dual_add_f32 v98, v95, v96 :: v_dual_sub_f32 v97, v96, v97
	v_sub_f32_e32 v99, v99, v100
	s_delay_alu instid0(VALU_DEP_2) | instskip(NEXT) | instid1(VALU_DEP_1)
	v_sub_f32_e32 v101, v98, v95
	v_sub_f32_e32 v102, v98, v101
	;; [unrolled: 1-line block ×4, first 2 shown]
	s_delay_alu instid0(VALU_DEP_1) | instskip(NEXT) | instid1(VALU_DEP_4)
	v_add_f32_e32 v97, v99, v17
	v_sub_f32_e32 v95, v95, v102
	s_delay_alu instid0(VALU_DEP_1) | instskip(NEXT) | instid1(VALU_DEP_3)
	v_add_f32_e32 v95, v96, v95
	v_sub_f32_e32 v96, v97, v99
	s_delay_alu instid0(VALU_DEP_2) | instskip(NEXT) | instid1(VALU_DEP_2)
	v_add_f32_e32 v95, v97, v95
	v_sub_f32_e32 v97, v97, v96
	s_delay_alu instid0(VALU_DEP_2) | instskip(NEXT) | instid1(VALU_DEP_1)
	v_dual_sub_f32 v17, v17, v96 :: v_dual_add_f32 v100, v98, v95
	v_dual_sub_f32 v96, v100, v98 :: v_dual_sub_f32 v97, v99, v97
	s_delay_alu instid0(VALU_DEP_1) | instskip(NEXT) | instid1(VALU_DEP_2)
	v_sub_f32_e32 v95, v95, v96
	v_add_f32_e32 v17, v17, v97
	s_delay_alu instid0(VALU_DEP_1) | instskip(NEXT) | instid1(VALU_DEP_1)
	v_add_f32_e32 v17, v17, v95
	v_add_f32_e32 v17, v100, v17
	s_delay_alu instid0(VALU_DEP_1)
	v_cndmask_b32_e32 v95, v17, v12, vcc_lo
.LBB16_78:                              ;   in Loop: Header=BB16_12 Depth=1
	s_or_b32 exec_lo, exec_lo, s29
	v_lshlrev_b32_e32 v12, 16, v13
	s_delay_alu instid0(VALU_DEP_1) | instskip(NEXT) | instid1(VALU_DEP_1)
	v_add_f32_e32 v96, s66, v12
	v_cmp_ge_f32_e32 vcc_lo, 0x41a00000, v96
	s_and_b32 s28, s79, vcc_lo
	s_delay_alu instid0(SALU_CYCLE_1)
	s_and_saveexec_b32 s29, s28
	s_cbranch_execz .LBB16_80
; %bb.79:                               ;   in Loop: Header=BB16_12 Depth=1
	v_mul_f32_e32 v12, 0x3fb8aa3b, v96
	v_cmp_ngt_f32_e32 vcc_lo, 0xc2ce8ed0, v96
	s_delay_alu instid0(VALU_DEP_2) | instskip(SKIP_1) | instid1(VALU_DEP_1)
	v_rndne_f32_e32 v17, v12
	v_fma_f32 v97, 0x3fb8aa3b, v96, -v12
	v_dual_sub_f32 v12, v12, v17 :: v_dual_fmac_f32 v97, 0x32a5705f, v96
	v_cvt_i32_f32_e32 v17, v17
	s_delay_alu instid0(VALU_DEP_2) | instskip(NEXT) | instid1(VALU_DEP_1)
	v_add_f32_e32 v12, v12, v97
	v_exp_f32_e32 v12, v12
	s_waitcnt_depctr 0xfff
	v_ldexp_f32 v12, v12, v17
	s_delay_alu instid0(VALU_DEP_1) | instskip(SKIP_1) | instid1(VALU_DEP_2)
	v_cndmask_b32_e32 v12, 0, v12, vcc_lo
	v_cmp_nlt_f32_e32 vcc_lo, 0x42b17218, v96
	v_cndmask_b32_e32 v12, 0x7f800000, v12, vcc_lo
	s_delay_alu instid0(VALU_DEP_1) | instskip(NEXT) | instid1(VALU_DEP_1)
	v_add_f32_e32 v17, 1.0, v12
	v_cvt_f64_f32_e32 v[96:97], v17
	s_delay_alu instid0(VALU_DEP_1) | instskip(SKIP_1) | instid1(VALU_DEP_1)
	v_frexp_exp_i32_f64_e32 v96, v[96:97]
	v_frexp_mant_f32_e32 v97, v17
	v_cmp_gt_f32_e32 vcc_lo, 0x3f2aaaab, v97
	v_add_f32_e32 v97, -1.0, v17
	s_delay_alu instid0(VALU_DEP_1) | instskip(SKIP_1) | instid1(VALU_DEP_2)
	v_sub_f32_e32 v99, v97, v17
	v_sub_f32_e32 v97, v12, v97
	v_add_f32_e32 v99, 1.0, v99
	s_delay_alu instid0(VALU_DEP_1) | instskip(SKIP_3) | instid1(VALU_DEP_2)
	v_add_f32_e32 v97, v97, v99
	v_cmp_gt_f32_e64 s28, 0x33800000, v12
	v_subrev_co_ci_u32_e32 v96, vcc_lo, 0, v96, vcc_lo
	v_cmp_eq_f32_e32 vcc_lo, 0x7f800000, v12
	v_sub_nc_u32_e32 v98, 0, v96
	v_cvt_f32_i32_e32 v96, v96
	s_or_b32 vcc_lo, s28, vcc_lo
	s_delay_alu instid0(VALU_DEP_2) | instskip(SKIP_1) | instid1(VALU_DEP_2)
	v_ldexp_f32 v17, v17, v98
	v_ldexp_f32 v97, v97, v98
	v_add_f32_e32 v100, 1.0, v17
	s_delay_alu instid0(VALU_DEP_1) | instskip(NEXT) | instid1(VALU_DEP_1)
	v_dual_add_f32 v98, -1.0, v17 :: v_dual_add_f32 v99, -1.0, v100
	v_add_f32_e32 v101, 1.0, v98
	s_delay_alu instid0(VALU_DEP_2) | instskip(NEXT) | instid1(VALU_DEP_2)
	v_sub_f32_e32 v99, v17, v99
	v_sub_f32_e32 v17, v17, v101
	s_delay_alu instid0(VALU_DEP_1) | instskip(NEXT) | instid1(VALU_DEP_1)
	v_add_f32_e32 v17, v97, v17
	v_dual_add_f32 v102, v98, v17 :: v_dual_add_f32 v99, v97, v99
	s_delay_alu instid0(VALU_DEP_1) | instskip(NEXT) | instid1(VALU_DEP_1)
	v_dual_sub_f32 v98, v98, v102 :: v_dual_add_f32 v101, v100, v99
	v_rcp_f32_e32 v97, v101
	v_sub_f32_e32 v100, v100, v101
	s_delay_alu instid0(VALU_DEP_1) | instskip(SKIP_2) | instid1(VALU_DEP_1)
	v_add_f32_e32 v99, v99, v100
	s_waitcnt_depctr 0xfff
	v_mul_f32_e32 v103, v102, v97
	v_mul_f32_e32 v104, v101, v103
	s_delay_alu instid0(VALU_DEP_1) | instskip(NEXT) | instid1(VALU_DEP_1)
	v_fma_f32 v100, v103, v101, -v104
	v_fmac_f32_e32 v100, v103, v99
	s_delay_alu instid0(VALU_DEP_1) | instskip(NEXT) | instid1(VALU_DEP_1)
	v_add_f32_e32 v105, v104, v100
	v_sub_f32_e32 v106, v102, v105
	s_delay_alu instid0(VALU_DEP_1) | instskip(SKIP_2) | instid1(VALU_DEP_3)
	v_sub_f32_e32 v102, v102, v106
	v_add_f32_e32 v17, v17, v98
	v_sub_f32_e32 v98, v105, v104
	v_sub_f32_e32 v102, v102, v105
	s_delay_alu instid0(VALU_DEP_1) | instskip(NEXT) | instid1(VALU_DEP_1)
	v_dual_sub_f32 v98, v98, v100 :: v_dual_add_f32 v17, v17, v102
	v_add_f32_e32 v17, v98, v17
	s_delay_alu instid0(VALU_DEP_1) | instskip(NEXT) | instid1(VALU_DEP_1)
	v_add_f32_e32 v98, v106, v17
	v_mul_f32_e32 v100, v97, v98
	s_delay_alu instid0(VALU_DEP_1) | instskip(NEXT) | instid1(VALU_DEP_1)
	v_dual_sub_f32 v105, v106, v98 :: v_dual_mul_f32 v102, v101, v100
	v_add_f32_e32 v17, v17, v105
	s_delay_alu instid0(VALU_DEP_2) | instskip(NEXT) | instid1(VALU_DEP_1)
	v_fma_f32 v101, v100, v101, -v102
	v_fmac_f32_e32 v101, v100, v99
	s_delay_alu instid0(VALU_DEP_1) | instskip(NEXT) | instid1(VALU_DEP_1)
	v_add_f32_e32 v99, v102, v101
	v_sub_f32_e32 v104, v98, v99
	s_delay_alu instid0(VALU_DEP_1) | instskip(NEXT) | instid1(VALU_DEP_1)
	v_sub_f32_e32 v98, v98, v104
	v_sub_f32_e32 v98, v98, v99
	s_delay_alu instid0(VALU_DEP_1) | instskip(SKIP_1) | instid1(VALU_DEP_1)
	v_dual_add_f32 v17, v17, v98 :: v_dual_add_f32 v98, v103, v100
	v_sub_f32_e32 v102, v99, v102
	v_sub_f32_e32 v99, v102, v101
	s_delay_alu instid0(VALU_DEP_1) | instskip(NEXT) | instid1(VALU_DEP_4)
	v_add_f32_e32 v17, v99, v17
	v_sub_f32_e32 v99, v98, v103
	s_delay_alu instid0(VALU_DEP_2) | instskip(NEXT) | instid1(VALU_DEP_2)
	v_add_f32_e32 v17, v104, v17
	v_sub_f32_e32 v99, v100, v99
	s_delay_alu instid0(VALU_DEP_2) | instskip(NEXT) | instid1(VALU_DEP_1)
	v_mul_f32_e32 v17, v97, v17
	v_add_f32_e32 v17, v99, v17
	s_delay_alu instid0(VALU_DEP_1) | instskip(NEXT) | instid1(VALU_DEP_1)
	v_add_f32_e32 v97, v98, v17
	v_mul_f32_e32 v99, v97, v97
	s_delay_alu instid0(VALU_DEP_1) | instskip(SKIP_1) | instid1(VALU_DEP_2)
	v_fmaak_f32 v100, s83, v99, 0x3ecc95a3
	v_mul_f32_e32 v101, v97, v99
	v_fmaak_f32 v99, v99, v100, 0x3f2aaada
	v_ldexp_f32 v100, v97, 1
	v_sub_f32_e32 v97, v97, v98
	s_delay_alu instid0(VALU_DEP_3) | instskip(SKIP_1) | instid1(VALU_DEP_2)
	v_mul_f32_e32 v99, v101, v99
	v_mul_f32_e32 v101, 0x3f317218, v96
	v_dual_sub_f32 v17, v17, v97 :: v_dual_add_f32 v98, v100, v99
	s_delay_alu instid0(VALU_DEP_1) | instskip(NEXT) | instid1(VALU_DEP_2)
	v_ldexp_f32 v17, v17, 1
	v_sub_f32_e32 v97, v98, v100
	s_delay_alu instid0(VALU_DEP_4) | instskip(NEXT) | instid1(VALU_DEP_1)
	v_fma_f32 v100, 0x3f317218, v96, -v101
	v_dual_sub_f32 v97, v99, v97 :: v_dual_fmac_f32 v100, 0xb102e308, v96
	s_delay_alu instid0(VALU_DEP_1) | instskip(NEXT) | instid1(VALU_DEP_1)
	v_add_f32_e32 v17, v17, v97
	v_dual_add_f32 v96, v101, v100 :: v_dual_add_f32 v97, v98, v17
	s_delay_alu instid0(VALU_DEP_1) | instskip(NEXT) | instid1(VALU_DEP_2)
	v_sub_f32_e32 v101, v96, v101
	v_dual_add_f32 v99, v96, v97 :: v_dual_sub_f32 v98, v97, v98
	s_delay_alu instid0(VALU_DEP_2) | instskip(NEXT) | instid1(VALU_DEP_2)
	v_sub_f32_e32 v100, v100, v101
	v_dual_sub_f32 v102, v99, v96 :: v_dual_sub_f32 v17, v17, v98
	s_delay_alu instid0(VALU_DEP_1) | instskip(NEXT) | instid1(VALU_DEP_2)
	v_sub_f32_e32 v103, v99, v102
	v_dual_sub_f32 v97, v97, v102 :: v_dual_add_f32 v98, v100, v17
	s_delay_alu instid0(VALU_DEP_2) | instskip(NEXT) | instid1(VALU_DEP_1)
	v_sub_f32_e32 v96, v96, v103
	v_add_f32_e32 v96, v97, v96
	s_delay_alu instid0(VALU_DEP_3) | instskip(NEXT) | instid1(VALU_DEP_2)
	v_sub_f32_e32 v97, v98, v100
	v_add_f32_e32 v96, v98, v96
	s_delay_alu instid0(VALU_DEP_2) | instskip(SKIP_1) | instid1(VALU_DEP_2)
	v_sub_f32_e32 v98, v98, v97
	v_sub_f32_e32 v17, v17, v97
	v_dual_add_f32 v101, v99, v96 :: v_dual_sub_f32 v98, v100, v98
	s_delay_alu instid0(VALU_DEP_1) | instskip(NEXT) | instid1(VALU_DEP_1)
	v_sub_f32_e32 v97, v101, v99
	v_dual_add_f32 v17, v17, v98 :: v_dual_sub_f32 v96, v96, v97
	s_delay_alu instid0(VALU_DEP_1) | instskip(NEXT) | instid1(VALU_DEP_1)
	v_add_f32_e32 v17, v17, v96
	v_add_f32_e32 v17, v101, v17
	s_delay_alu instid0(VALU_DEP_1)
	v_cndmask_b32_e32 v96, v17, v12, vcc_lo
.LBB16_80:                              ;   in Loop: Header=BB16_12 Depth=1
	s_or_b32 exec_lo, exec_lo, s29
	v_and_b32_e32 v12, 0xffff0000, v13
	s_delay_alu instid0(VALU_DEP_1) | instskip(NEXT) | instid1(VALU_DEP_1)
	v_add_f32_e32 v97, s66, v12
	v_cmp_ge_f32_e32 vcc_lo, 0x41a00000, v97
	s_and_b32 s28, s79, vcc_lo
	s_delay_alu instid0(SALU_CYCLE_1)
	s_and_saveexec_b32 s29, s28
	s_cbranch_execz .LBB16_82
; %bb.81:                               ;   in Loop: Header=BB16_12 Depth=1
	v_mul_f32_e32 v12, 0x3fb8aa3b, v97
	v_cmp_ngt_f32_e32 vcc_lo, 0xc2ce8ed0, v97
	s_delay_alu instid0(VALU_DEP_2) | instskip(SKIP_1) | instid1(VALU_DEP_2)
	v_rndne_f32_e32 v13, v12
	v_fma_f32 v17, 0x3fb8aa3b, v97, -v12
	v_sub_f32_e32 v12, v12, v13
	s_delay_alu instid0(VALU_DEP_2) | instskip(SKIP_1) | instid1(VALU_DEP_2)
	v_fmac_f32_e32 v17, 0x32a5705f, v97
	v_cvt_i32_f32_e32 v13, v13
	v_add_f32_e32 v12, v12, v17
	s_delay_alu instid0(VALU_DEP_1) | instskip(SKIP_2) | instid1(VALU_DEP_1)
	v_exp_f32_e32 v12, v12
	s_waitcnt_depctr 0xfff
	v_ldexp_f32 v12, v12, v13
	v_cndmask_b32_e32 v12, 0, v12, vcc_lo
	v_cmp_nlt_f32_e32 vcc_lo, 0x42b17218, v97
	s_delay_alu instid0(VALU_DEP_2) | instskip(NEXT) | instid1(VALU_DEP_1)
	v_cndmask_b32_e32 v17, 0x7f800000, v12, vcc_lo
	v_add_f32_e32 v97, 1.0, v17
	s_delay_alu instid0(VALU_DEP_1) | instskip(NEXT) | instid1(VALU_DEP_1)
	v_cvt_f64_f32_e32 v[12:13], v97
	v_frexp_exp_i32_f64_e32 v12, v[12:13]
	v_frexp_mant_f32_e32 v13, v97
	s_delay_alu instid0(VALU_DEP_1) | instskip(SKIP_1) | instid1(VALU_DEP_1)
	v_cmp_gt_f32_e32 vcc_lo, 0x3f2aaaab, v13
	v_add_f32_e32 v13, -1.0, v97
	v_sub_f32_e32 v99, v13, v97
	s_delay_alu instid0(VALU_DEP_1) | instskip(SKIP_1) | instid1(VALU_DEP_1)
	v_add_f32_e32 v99, 1.0, v99
	v_subrev_co_ci_u32_e32 v12, vcc_lo, 0, v12, vcc_lo
	v_sub_nc_u32_e32 v98, 0, v12
	v_cvt_f32_i32_e32 v12, v12
	s_delay_alu instid0(VALU_DEP_2) | instskip(NEXT) | instid1(VALU_DEP_1)
	v_ldexp_f32 v97, v97, v98
	v_add_f32_e32 v100, 1.0, v97
	v_sub_f32_e32 v13, v17, v13
	v_cmp_eq_f32_e32 vcc_lo, 0x7f800000, v17
	v_cmp_gt_f32_e64 s28, 0x33800000, v17
	s_delay_alu instid0(VALU_DEP_3) | instskip(SKIP_1) | instid1(VALU_DEP_3)
	v_add_f32_e32 v13, v13, v99
	v_add_f32_e32 v99, -1.0, v100
	s_or_b32 vcc_lo, s28, vcc_lo
	s_delay_alu instid0(VALU_DEP_2) | instskip(NEXT) | instid1(VALU_DEP_2)
	v_ldexp_f32 v13, v13, v98
	v_dual_add_f32 v98, -1.0, v97 :: v_dual_sub_f32 v99, v97, v99
	s_delay_alu instid0(VALU_DEP_1) | instskip(NEXT) | instid1(VALU_DEP_2)
	v_add_f32_e32 v101, 1.0, v98
	v_add_f32_e32 v99, v13, v99
	s_delay_alu instid0(VALU_DEP_2) | instskip(NEXT) | instid1(VALU_DEP_1)
	v_sub_f32_e32 v97, v97, v101
	v_add_f32_e32 v13, v13, v97
	s_delay_alu instid0(VALU_DEP_1) | instskip(NEXT) | instid1(VALU_DEP_1)
	v_dual_add_f32 v102, v98, v13 :: v_dual_add_f32 v101, v100, v99
	v_sub_f32_e32 v98, v98, v102
	s_delay_alu instid0(VALU_DEP_2) | instskip(NEXT) | instid1(VALU_DEP_1)
	v_rcp_f32_e32 v97, v101
	v_dual_sub_f32 v100, v100, v101 :: v_dual_add_f32 v13, v13, v98
	s_delay_alu instid0(VALU_DEP_1) | instskip(SKIP_2) | instid1(VALU_DEP_1)
	v_add_f32_e32 v99, v99, v100
	s_waitcnt_depctr 0xfff
	v_mul_f32_e32 v103, v102, v97
	v_mul_f32_e32 v104, v101, v103
	s_delay_alu instid0(VALU_DEP_1) | instskip(NEXT) | instid1(VALU_DEP_1)
	v_fma_f32 v100, v103, v101, -v104
	v_fmac_f32_e32 v100, v103, v99
	s_delay_alu instid0(VALU_DEP_1) | instskip(NEXT) | instid1(VALU_DEP_1)
	v_add_f32_e32 v105, v104, v100
	v_sub_f32_e32 v106, v102, v105
	v_sub_f32_e32 v98, v105, v104
	s_delay_alu instid0(VALU_DEP_2) | instskip(NEXT) | instid1(VALU_DEP_2)
	v_sub_f32_e32 v102, v102, v106
	v_sub_f32_e32 v98, v98, v100
	s_delay_alu instid0(VALU_DEP_2) | instskip(NEXT) | instid1(VALU_DEP_1)
	v_sub_f32_e32 v102, v102, v105
	v_add_f32_e32 v13, v13, v102
	s_delay_alu instid0(VALU_DEP_1) | instskip(NEXT) | instid1(VALU_DEP_1)
	v_add_f32_e32 v13, v98, v13
	v_add_f32_e32 v98, v106, v13
	s_delay_alu instid0(VALU_DEP_1) | instskip(NEXT) | instid1(VALU_DEP_1)
	v_mul_f32_e32 v100, v97, v98
	v_dual_sub_f32 v105, v106, v98 :: v_dual_mul_f32 v102, v101, v100
	s_delay_alu instid0(VALU_DEP_1) | instskip(NEXT) | instid1(VALU_DEP_1)
	v_fma_f32 v101, v100, v101, -v102
	v_fmac_f32_e32 v101, v100, v99
	s_delay_alu instid0(VALU_DEP_1) | instskip(NEXT) | instid1(VALU_DEP_1)
	v_add_f32_e32 v99, v102, v101
	v_dual_add_f32 v13, v13, v105 :: v_dual_sub_f32 v104, v98, v99
	s_delay_alu instid0(VALU_DEP_1) | instskip(NEXT) | instid1(VALU_DEP_1)
	v_sub_f32_e32 v98, v98, v104
	v_sub_f32_e32 v98, v98, v99
	s_delay_alu instid0(VALU_DEP_1) | instskip(SKIP_1) | instid1(VALU_DEP_1)
	v_dual_add_f32 v13, v13, v98 :: v_dual_add_f32 v98, v103, v100
	v_sub_f32_e32 v102, v99, v102
	v_sub_f32_e32 v99, v102, v101
	s_delay_alu instid0(VALU_DEP_1) | instskip(NEXT) | instid1(VALU_DEP_4)
	v_add_f32_e32 v13, v99, v13
	v_sub_f32_e32 v99, v98, v103
	s_delay_alu instid0(VALU_DEP_2) | instskip(NEXT) | instid1(VALU_DEP_2)
	v_add_f32_e32 v13, v104, v13
	v_sub_f32_e32 v99, v100, v99
	s_delay_alu instid0(VALU_DEP_2) | instskip(NEXT) | instid1(VALU_DEP_1)
	v_mul_f32_e32 v13, v97, v13
	v_add_f32_e32 v13, v99, v13
	s_delay_alu instid0(VALU_DEP_1) | instskip(NEXT) | instid1(VALU_DEP_1)
	v_add_f32_e32 v97, v98, v13
	v_mul_f32_e32 v99, v97, v97
	s_delay_alu instid0(VALU_DEP_1) | instskip(SKIP_1) | instid1(VALU_DEP_2)
	v_fmaak_f32 v100, s83, v99, 0x3ecc95a3
	v_mul_f32_e32 v101, v97, v99
	v_fmaak_f32 v99, v99, v100, 0x3f2aaada
	v_ldexp_f32 v100, v97, 1
	v_sub_f32_e32 v97, v97, v98
	s_delay_alu instid0(VALU_DEP_3) | instskip(SKIP_1) | instid1(VALU_DEP_2)
	v_mul_f32_e32 v99, v101, v99
	v_mul_f32_e32 v101, 0x3f317218, v12
	v_dual_sub_f32 v13, v13, v97 :: v_dual_add_f32 v98, v100, v99
	s_delay_alu instid0(VALU_DEP_1) | instskip(NEXT) | instid1(VALU_DEP_2)
	v_ldexp_f32 v13, v13, 1
	v_sub_f32_e32 v97, v98, v100
	s_delay_alu instid0(VALU_DEP_4) | instskip(NEXT) | instid1(VALU_DEP_1)
	v_fma_f32 v100, 0x3f317218, v12, -v101
	v_dual_sub_f32 v97, v99, v97 :: v_dual_fmac_f32 v100, 0xb102e308, v12
	s_delay_alu instid0(VALU_DEP_1) | instskip(NEXT) | instid1(VALU_DEP_2)
	v_add_f32_e32 v12, v13, v97
	v_add_f32_e32 v13, v101, v100
	s_delay_alu instid0(VALU_DEP_2) | instskip(NEXT) | instid1(VALU_DEP_2)
	v_add_f32_e32 v97, v98, v12
	v_sub_f32_e32 v101, v13, v101
	s_delay_alu instid0(VALU_DEP_2) | instskip(SKIP_1) | instid1(VALU_DEP_3)
	v_add_f32_e32 v99, v13, v97
	v_sub_f32_e32 v98, v97, v98
	v_sub_f32_e32 v100, v100, v101
	s_delay_alu instid0(VALU_DEP_3) | instskip(NEXT) | instid1(VALU_DEP_3)
	v_sub_f32_e32 v102, v99, v13
	v_sub_f32_e32 v12, v12, v98
	s_delay_alu instid0(VALU_DEP_2) | instskip(NEXT) | instid1(VALU_DEP_2)
	v_sub_f32_e32 v103, v99, v102
	v_dual_sub_f32 v97, v97, v102 :: v_dual_add_f32 v98, v100, v12
	s_delay_alu instid0(VALU_DEP_2) | instskip(NEXT) | instid1(VALU_DEP_1)
	v_sub_f32_e32 v13, v13, v103
	v_add_f32_e32 v13, v97, v13
	s_delay_alu instid0(VALU_DEP_3) | instskip(NEXT) | instid1(VALU_DEP_2)
	v_sub_f32_e32 v97, v98, v100
	v_add_f32_e32 v13, v98, v13
	s_delay_alu instid0(VALU_DEP_2) | instskip(SKIP_1) | instid1(VALU_DEP_1)
	v_sub_f32_e32 v12, v12, v97
	v_sub_f32_e32 v98, v98, v97
	v_dual_add_f32 v101, v99, v13 :: v_dual_sub_f32 v98, v100, v98
	s_delay_alu instid0(VALU_DEP_1) | instskip(NEXT) | instid1(VALU_DEP_1)
	v_dual_sub_f32 v97, v101, v99 :: v_dual_add_f32 v12, v12, v98
	v_sub_f32_e32 v13, v13, v97
	s_delay_alu instid0(VALU_DEP_1) | instskip(NEXT) | instid1(VALU_DEP_1)
	v_add_f32_e32 v12, v12, v13
	v_add_f32_e32 v12, v101, v12
	s_delay_alu instid0(VALU_DEP_1)
	v_cndmask_b32_e32 v97, v12, v17, vcc_lo
.LBB16_82:                              ;   in Loop: Header=BB16_12 Depth=1
	s_or_b32 exec_lo, exec_lo, s29
	v_lshlrev_b32_e32 v12, 16, v14
	s_delay_alu instid0(VALU_DEP_1) | instskip(NEXT) | instid1(VALU_DEP_1)
	v_add_f32_e32 v98, s66, v12
	v_cmp_ge_f32_e32 vcc_lo, 0x41a00000, v98
	s_and_b32 s28, s79, vcc_lo
	s_delay_alu instid0(SALU_CYCLE_1)
	s_and_saveexec_b32 s29, s28
	s_cbranch_execz .LBB16_84
; %bb.83:                               ;   in Loop: Header=BB16_12 Depth=1
	v_mul_f32_e32 v12, 0x3fb8aa3b, v98
	v_cmp_ngt_f32_e32 vcc_lo, 0xc2ce8ed0, v98
	s_delay_alu instid0(VALU_DEP_2) | instskip(SKIP_1) | instid1(VALU_DEP_1)
	v_rndne_f32_e32 v13, v12
	v_fma_f32 v17, 0x3fb8aa3b, v98, -v12
	v_dual_sub_f32 v12, v12, v13 :: v_dual_fmac_f32 v17, 0x32a5705f, v98
	v_cvt_i32_f32_e32 v13, v13
	s_delay_alu instid0(VALU_DEP_2) | instskip(NEXT) | instid1(VALU_DEP_1)
	v_add_f32_e32 v12, v12, v17
	v_exp_f32_e32 v12, v12
	s_waitcnt_depctr 0xfff
	v_ldexp_f32 v12, v12, v13
	s_delay_alu instid0(VALU_DEP_1) | instskip(SKIP_1) | instid1(VALU_DEP_2)
	v_cndmask_b32_e32 v12, 0, v12, vcc_lo
	v_cmp_nlt_f32_e32 vcc_lo, 0x42b17218, v98
	v_cndmask_b32_e32 v17, 0x7f800000, v12, vcc_lo
	s_delay_alu instid0(VALU_DEP_1) | instskip(NEXT) | instid1(VALU_DEP_1)
	v_add_f32_e32 v98, 1.0, v17
	v_cvt_f64_f32_e32 v[12:13], v98
	s_delay_alu instid0(VALU_DEP_1) | instskip(SKIP_1) | instid1(VALU_DEP_1)
	v_frexp_exp_i32_f64_e32 v12, v[12:13]
	v_frexp_mant_f32_e32 v13, v98
	v_cmp_gt_f32_e32 vcc_lo, 0x3f2aaaab, v13
	v_add_f32_e32 v13, -1.0, v98
	s_delay_alu instid0(VALU_DEP_1) | instskip(SKIP_2) | instid1(VALU_DEP_3)
	v_sub_f32_e32 v100, v13, v98
	v_sub_f32_e32 v13, v17, v13
	v_cmp_gt_f32_e64 s28, 0x33800000, v17
	v_add_f32_e32 v100, 1.0, v100
	s_delay_alu instid0(VALU_DEP_1) | instskip(SKIP_2) | instid1(VALU_DEP_2)
	v_add_f32_e32 v13, v13, v100
	v_subrev_co_ci_u32_e32 v12, vcc_lo, 0, v12, vcc_lo
	v_cmp_eq_f32_e32 vcc_lo, 0x7f800000, v17
	v_sub_nc_u32_e32 v99, 0, v12
	v_cvt_f32_i32_e32 v12, v12
	s_or_b32 vcc_lo, s28, vcc_lo
	s_delay_alu instid0(VALU_DEP_2) | instskip(SKIP_1) | instid1(VALU_DEP_2)
	v_ldexp_f32 v98, v98, v99
	v_ldexp_f32 v13, v13, v99
	v_add_f32_e32 v99, -1.0, v98
	s_delay_alu instid0(VALU_DEP_1) | instskip(NEXT) | instid1(VALU_DEP_1)
	v_dual_add_f32 v101, 1.0, v98 :: v_dual_add_f32 v102, 1.0, v99
	v_add_f32_e32 v100, -1.0, v101
	s_delay_alu instid0(VALU_DEP_1) | instskip(NEXT) | instid1(VALU_DEP_3)
	v_sub_f32_e32 v100, v98, v100
	v_sub_f32_e32 v98, v98, v102
	s_delay_alu instid0(VALU_DEP_2) | instskip(NEXT) | instid1(VALU_DEP_2)
	v_add_f32_e32 v100, v13, v100
	v_add_f32_e32 v13, v13, v98
	s_delay_alu instid0(VALU_DEP_1) | instskip(NEXT) | instid1(VALU_DEP_1)
	v_dual_add_f32 v103, v99, v13 :: v_dual_add_f32 v102, v101, v100
	v_sub_f32_e32 v99, v99, v103
	s_delay_alu instid0(VALU_DEP_2) | instskip(SKIP_1) | instid1(VALU_DEP_1)
	v_rcp_f32_e32 v98, v102
	v_sub_f32_e32 v101, v101, v102
	v_dual_add_f32 v13, v13, v99 :: v_dual_add_f32 v100, v100, v101
	s_waitcnt_depctr 0xfff
	v_mul_f32_e32 v104, v103, v98
	s_delay_alu instid0(VALU_DEP_1) | instskip(NEXT) | instid1(VALU_DEP_1)
	v_mul_f32_e32 v105, v102, v104
	v_fma_f32 v101, v104, v102, -v105
	s_delay_alu instid0(VALU_DEP_1) | instskip(NEXT) | instid1(VALU_DEP_1)
	v_fmac_f32_e32 v101, v104, v100
	v_add_f32_e32 v106, v105, v101
	s_delay_alu instid0(VALU_DEP_1) | instskip(SKIP_1) | instid1(VALU_DEP_2)
	v_sub_f32_e32 v107, v103, v106
	v_sub_f32_e32 v99, v106, v105
	;; [unrolled: 1-line block ×3, first 2 shown]
	s_delay_alu instid0(VALU_DEP_2) | instskip(NEXT) | instid1(VALU_DEP_2)
	v_sub_f32_e32 v99, v99, v101
	v_sub_f32_e32 v103, v103, v106
	s_delay_alu instid0(VALU_DEP_1) | instskip(NEXT) | instid1(VALU_DEP_1)
	v_add_f32_e32 v13, v13, v103
	v_add_f32_e32 v13, v99, v13
	s_delay_alu instid0(VALU_DEP_1) | instskip(NEXT) | instid1(VALU_DEP_1)
	v_add_f32_e32 v99, v107, v13
	v_mul_f32_e32 v101, v98, v99
	s_delay_alu instid0(VALU_DEP_1) | instskip(NEXT) | instid1(VALU_DEP_1)
	v_dual_sub_f32 v106, v107, v99 :: v_dual_mul_f32 v103, v102, v101
	v_add_f32_e32 v13, v13, v106
	s_delay_alu instid0(VALU_DEP_2) | instskip(NEXT) | instid1(VALU_DEP_1)
	v_fma_f32 v102, v101, v102, -v103
	v_fmac_f32_e32 v102, v101, v100
	s_delay_alu instid0(VALU_DEP_1) | instskip(NEXT) | instid1(VALU_DEP_1)
	v_add_f32_e32 v100, v103, v102
	v_sub_f32_e32 v105, v99, v100
	s_delay_alu instid0(VALU_DEP_1) | instskip(NEXT) | instid1(VALU_DEP_1)
	v_sub_f32_e32 v99, v99, v105
	v_sub_f32_e32 v99, v99, v100
	s_delay_alu instid0(VALU_DEP_1) | instskip(SKIP_2) | instid1(VALU_DEP_1)
	v_add_f32_e32 v13, v13, v99
	v_add_f32_e32 v99, v104, v101
	v_sub_f32_e32 v103, v100, v103
	v_sub_f32_e32 v100, v103, v102
	s_delay_alu instid0(VALU_DEP_1) | instskip(NEXT) | instid1(VALU_DEP_1)
	v_dual_add_f32 v13, v100, v13 :: v_dual_sub_f32 v100, v99, v104
	v_add_f32_e32 v13, v105, v13
	s_delay_alu instid0(VALU_DEP_1) | instskip(NEXT) | instid1(VALU_DEP_1)
	v_dual_sub_f32 v100, v101, v100 :: v_dual_mul_f32 v13, v98, v13
	v_add_f32_e32 v13, v100, v13
	s_delay_alu instid0(VALU_DEP_1) | instskip(NEXT) | instid1(VALU_DEP_1)
	v_add_f32_e32 v98, v99, v13
	v_mul_f32_e32 v100, v98, v98
	s_delay_alu instid0(VALU_DEP_1) | instskip(SKIP_1) | instid1(VALU_DEP_2)
	v_fmaak_f32 v101, s83, v100, 0x3ecc95a3
	v_mul_f32_e32 v102, v98, v100
	v_fmaak_f32 v100, v100, v101, 0x3f2aaada
	v_ldexp_f32 v101, v98, 1
	v_sub_f32_e32 v98, v98, v99
	s_delay_alu instid0(VALU_DEP_3) | instskip(NEXT) | instid1(VALU_DEP_2)
	v_mul_f32_e32 v100, v102, v100
	v_dual_mul_f32 v102, 0x3f317218, v12 :: v_dual_sub_f32 v13, v13, v98
	s_delay_alu instid0(VALU_DEP_2) | instskip(NEXT) | instid1(VALU_DEP_2)
	v_add_f32_e32 v99, v101, v100
	v_ldexp_f32 v13, v13, 1
	s_delay_alu instid0(VALU_DEP_2) | instskip(NEXT) | instid1(VALU_DEP_4)
	v_sub_f32_e32 v98, v99, v101
	v_fma_f32 v101, 0x3f317218, v12, -v102
	s_delay_alu instid0(VALU_DEP_1) | instskip(NEXT) | instid1(VALU_DEP_1)
	v_dual_sub_f32 v98, v100, v98 :: v_dual_fmac_f32 v101, 0xb102e308, v12
	v_add_f32_e32 v12, v13, v98
	s_delay_alu instid0(VALU_DEP_1) | instskip(NEXT) | instid1(VALU_DEP_1)
	v_add_f32_e32 v98, v99, v12
	v_sub_f32_e32 v99, v98, v99
	s_delay_alu instid0(VALU_DEP_1) | instskip(NEXT) | instid1(VALU_DEP_1)
	v_dual_sub_f32 v12, v12, v99 :: v_dual_add_f32 v13, v102, v101
	v_add_f32_e32 v100, v13, v98
	s_delay_alu instid0(VALU_DEP_1) | instskip(NEXT) | instid1(VALU_DEP_1)
	v_dual_sub_f32 v102, v13, v102 :: v_dual_sub_f32 v103, v100, v13
	v_dual_sub_f32 v101, v101, v102 :: v_dual_sub_f32 v104, v100, v103
	s_delay_alu instid0(VALU_DEP_1) | instskip(NEXT) | instid1(VALU_DEP_2)
	v_dual_sub_f32 v98, v98, v103 :: v_dual_add_f32 v99, v101, v12
	v_sub_f32_e32 v13, v13, v104
	s_delay_alu instid0(VALU_DEP_1) | instskip(NEXT) | instid1(VALU_DEP_3)
	v_add_f32_e32 v13, v98, v13
	v_sub_f32_e32 v98, v99, v101
	s_delay_alu instid0(VALU_DEP_2) | instskip(NEXT) | instid1(VALU_DEP_2)
	v_add_f32_e32 v13, v99, v13
	v_sub_f32_e32 v99, v99, v98
	v_sub_f32_e32 v12, v12, v98
	s_delay_alu instid0(VALU_DEP_2) | instskip(NEXT) | instid1(VALU_DEP_1)
	v_dual_add_f32 v102, v100, v13 :: v_dual_sub_f32 v99, v101, v99
	v_sub_f32_e32 v98, v102, v100
	s_delay_alu instid0(VALU_DEP_1) | instskip(NEXT) | instid1(VALU_DEP_1)
	v_dual_add_f32 v12, v12, v99 :: v_dual_sub_f32 v13, v13, v98
	v_add_f32_e32 v12, v12, v13
	s_delay_alu instid0(VALU_DEP_1) | instskip(NEXT) | instid1(VALU_DEP_1)
	v_add_f32_e32 v12, v102, v12
	v_cndmask_b32_e32 v98, v12, v17, vcc_lo
.LBB16_84:                              ;   in Loop: Header=BB16_12 Depth=1
	s_or_b32 exec_lo, exec_lo, s29
	v_and_b32_e32 v12, 0xffff0000, v14
	s_delay_alu instid0(VALU_DEP_1) | instskip(NEXT) | instid1(VALU_DEP_1)
	v_add_f32_e32 v99, s66, v12
	v_cmp_ge_f32_e32 vcc_lo, 0x41a00000, v99
	s_and_b32 s28, s79, vcc_lo
	s_delay_alu instid0(SALU_CYCLE_1)
	s_and_saveexec_b32 s29, s28
	s_cbranch_execz .LBB16_86
; %bb.85:                               ;   in Loop: Header=BB16_12 Depth=1
	v_mul_f32_e32 v12, 0x3fb8aa3b, v99
	v_cmp_ngt_f32_e32 vcc_lo, 0xc2ce8ed0, v99
	s_delay_alu instid0(VALU_DEP_2) | instskip(SKIP_1) | instid1(VALU_DEP_2)
	v_rndne_f32_e32 v13, v12
	v_fma_f32 v14, 0x3fb8aa3b, v99, -v12
	v_sub_f32_e32 v12, v12, v13
	s_delay_alu instid0(VALU_DEP_2) | instskip(SKIP_1) | instid1(VALU_DEP_2)
	v_fmac_f32_e32 v14, 0x32a5705f, v99
	v_cvt_i32_f32_e32 v13, v13
	v_add_f32_e32 v12, v12, v14
	s_delay_alu instid0(VALU_DEP_1) | instskip(SKIP_2) | instid1(VALU_DEP_1)
	v_exp_f32_e32 v12, v12
	s_waitcnt_depctr 0xfff
	v_ldexp_f32 v12, v12, v13
	v_cndmask_b32_e32 v12, 0, v12, vcc_lo
	v_cmp_nlt_f32_e32 vcc_lo, 0x42b17218, v99
	s_delay_alu instid0(VALU_DEP_2) | instskip(NEXT) | instid1(VALU_DEP_1)
	v_cndmask_b32_e32 v14, 0x7f800000, v12, vcc_lo
	v_add_f32_e32 v17, 1.0, v14
	s_delay_alu instid0(VALU_DEP_1) | instskip(NEXT) | instid1(VALU_DEP_1)
	v_cvt_f64_f32_e32 v[12:13], v17
	v_frexp_exp_i32_f64_e32 v12, v[12:13]
	v_frexp_mant_f32_e32 v13, v17
	s_delay_alu instid0(VALU_DEP_1) | instskip(SKIP_1) | instid1(VALU_DEP_1)
	v_cmp_gt_f32_e32 vcc_lo, 0x3f2aaaab, v13
	v_add_f32_e32 v13, -1.0, v17
	v_sub_f32_e32 v100, v13, v17
	v_sub_f32_e32 v13, v14, v13
	v_subrev_co_ci_u32_e32 v12, vcc_lo, 0, v12, vcc_lo
	s_delay_alu instid0(VALU_DEP_1) | instskip(SKIP_1) | instid1(VALU_DEP_2)
	v_sub_nc_u32_e32 v99, 0, v12
	v_cvt_f32_i32_e32 v12, v12
	v_ldexp_f32 v17, v17, v99
	s_delay_alu instid0(VALU_DEP_1) | instskip(NEXT) | instid1(VALU_DEP_1)
	v_dual_add_f32 v100, 1.0, v100 :: v_dual_add_f32 v101, 1.0, v17
	v_dual_add_f32 v13, v13, v100 :: v_dual_add_f32 v100, -1.0, v101
	s_delay_alu instid0(VALU_DEP_1) | instskip(SKIP_4) | instid1(VALU_DEP_4)
	v_ldexp_f32 v13, v13, v99
	v_add_f32_e32 v99, -1.0, v17
	v_cmp_eq_f32_e32 vcc_lo, 0x7f800000, v14
	v_cmp_gt_f32_e64 s28, 0x33800000, v14
	v_sub_f32_e32 v100, v17, v100
	v_add_f32_e32 v102, 1.0, v99
	s_delay_alu instid0(VALU_DEP_3) | instskip(NEXT) | instid1(VALU_DEP_2)
	s_or_b32 vcc_lo, s28, vcc_lo
	v_add_f32_e32 v100, v13, v100
	s_delay_alu instid0(VALU_DEP_2) | instskip(NEXT) | instid1(VALU_DEP_1)
	v_sub_f32_e32 v17, v17, v102
	v_add_f32_e32 v13, v13, v17
	s_delay_alu instid0(VALU_DEP_1) | instskip(NEXT) | instid1(VALU_DEP_1)
	v_dual_add_f32 v103, v99, v13 :: v_dual_add_f32 v102, v101, v100
	v_sub_f32_e32 v99, v99, v103
	s_delay_alu instid0(VALU_DEP_2) | instskip(SKIP_1) | instid1(VALU_DEP_1)
	v_rcp_f32_e32 v17, v102
	v_sub_f32_e32 v101, v101, v102
	v_dual_add_f32 v13, v13, v99 :: v_dual_add_f32 v100, v100, v101
	s_waitcnt_depctr 0xfff
	v_mul_f32_e32 v104, v103, v17
	s_delay_alu instid0(VALU_DEP_1) | instskip(NEXT) | instid1(VALU_DEP_1)
	v_mul_f32_e32 v105, v102, v104
	v_fma_f32 v101, v104, v102, -v105
	s_delay_alu instid0(VALU_DEP_1) | instskip(NEXT) | instid1(VALU_DEP_1)
	v_fmac_f32_e32 v101, v104, v100
	v_add_f32_e32 v106, v105, v101
	s_delay_alu instid0(VALU_DEP_1) | instskip(NEXT) | instid1(VALU_DEP_1)
	v_sub_f32_e32 v107, v103, v106
	v_sub_f32_e32 v103, v103, v107
	v_sub_f32_e32 v99, v106, v105
	s_delay_alu instid0(VALU_DEP_2) | instskip(NEXT) | instid1(VALU_DEP_2)
	v_sub_f32_e32 v103, v103, v106
	v_sub_f32_e32 v99, v99, v101
	s_delay_alu instid0(VALU_DEP_2) | instskip(NEXT) | instid1(VALU_DEP_1)
	v_add_f32_e32 v13, v13, v103
	v_add_f32_e32 v13, v99, v13
	s_delay_alu instid0(VALU_DEP_1) | instskip(NEXT) | instid1(VALU_DEP_1)
	v_add_f32_e32 v99, v107, v13
	v_mul_f32_e32 v101, v17, v99
	s_delay_alu instid0(VALU_DEP_1) | instskip(NEXT) | instid1(VALU_DEP_1)
	v_dual_sub_f32 v106, v107, v99 :: v_dual_mul_f32 v103, v102, v101
	v_add_f32_e32 v13, v13, v106
	s_delay_alu instid0(VALU_DEP_2) | instskip(NEXT) | instid1(VALU_DEP_1)
	v_fma_f32 v102, v101, v102, -v103
	v_fmac_f32_e32 v102, v101, v100
	s_delay_alu instid0(VALU_DEP_1) | instskip(NEXT) | instid1(VALU_DEP_1)
	v_add_f32_e32 v100, v103, v102
	v_sub_f32_e32 v105, v99, v100
	v_sub_f32_e32 v103, v100, v103
	s_delay_alu instid0(VALU_DEP_2) | instskip(NEXT) | instid1(VALU_DEP_1)
	v_sub_f32_e32 v99, v99, v105
	v_sub_f32_e32 v99, v99, v100
	s_delay_alu instid0(VALU_DEP_1) | instskip(SKIP_1) | instid1(VALU_DEP_1)
	v_dual_sub_f32 v100, v103, v102 :: v_dual_add_f32 v13, v13, v99
	v_add_f32_e32 v99, v104, v101
	v_dual_add_f32 v13, v100, v13 :: v_dual_sub_f32 v100, v99, v104
	s_delay_alu instid0(VALU_DEP_1) | instskip(NEXT) | instid1(VALU_DEP_2)
	v_add_f32_e32 v13, v105, v13
	v_sub_f32_e32 v100, v101, v100
	s_delay_alu instid0(VALU_DEP_2) | instskip(NEXT) | instid1(VALU_DEP_1)
	v_mul_f32_e32 v13, v17, v13
	v_add_f32_e32 v13, v100, v13
	s_delay_alu instid0(VALU_DEP_1) | instskip(NEXT) | instid1(VALU_DEP_1)
	v_add_f32_e32 v17, v99, v13
	v_mul_f32_e32 v100, v17, v17
	s_delay_alu instid0(VALU_DEP_1) | instskip(SKIP_1) | instid1(VALU_DEP_2)
	v_fmaak_f32 v101, s83, v100, 0x3ecc95a3
	v_mul_f32_e32 v102, v17, v100
	v_fmaak_f32 v100, v100, v101, 0x3f2aaada
	v_ldexp_f32 v101, v17, 1
	s_delay_alu instid0(VALU_DEP_2) | instskip(NEXT) | instid1(VALU_DEP_1)
	v_dual_sub_f32 v17, v17, v99 :: v_dual_mul_f32 v100, v102, v100
	v_dual_mul_f32 v102, 0x3f317218, v12 :: v_dual_sub_f32 v13, v13, v17
	s_delay_alu instid0(VALU_DEP_2) | instskip(NEXT) | instid1(VALU_DEP_2)
	v_add_f32_e32 v99, v101, v100
	v_ldexp_f32 v13, v13, 1
	s_delay_alu instid0(VALU_DEP_2) | instskip(NEXT) | instid1(VALU_DEP_4)
	v_sub_f32_e32 v17, v99, v101
	v_fma_f32 v101, 0x3f317218, v12, -v102
	s_delay_alu instid0(VALU_DEP_2) | instskip(NEXT) | instid1(VALU_DEP_1)
	v_sub_f32_e32 v17, v100, v17
	v_dual_fmac_f32 v101, 0xb102e308, v12 :: v_dual_add_f32 v12, v13, v17
	s_delay_alu instid0(VALU_DEP_1) | instskip(NEXT) | instid1(VALU_DEP_1)
	v_add_f32_e32 v13, v102, v101
	v_dual_add_f32 v17, v99, v12 :: v_dual_sub_f32 v102, v13, v102
	s_delay_alu instid0(VALU_DEP_1) | instskip(SKIP_1) | instid1(VALU_DEP_3)
	v_add_f32_e32 v100, v13, v17
	v_sub_f32_e32 v99, v17, v99
	v_sub_f32_e32 v101, v101, v102
	s_delay_alu instid0(VALU_DEP_3) | instskip(NEXT) | instid1(VALU_DEP_3)
	v_sub_f32_e32 v103, v100, v13
	v_sub_f32_e32 v12, v12, v99
	s_delay_alu instid0(VALU_DEP_2) | instskip(SKIP_1) | instid1(VALU_DEP_3)
	v_sub_f32_e32 v104, v100, v103
	v_sub_f32_e32 v17, v17, v103
	v_add_f32_e32 v99, v101, v12
	s_delay_alu instid0(VALU_DEP_3) | instskip(NEXT) | instid1(VALU_DEP_1)
	v_sub_f32_e32 v13, v13, v104
	v_add_f32_e32 v13, v17, v13
	s_delay_alu instid0(VALU_DEP_3) | instskip(NEXT) | instid1(VALU_DEP_2)
	v_sub_f32_e32 v17, v99, v101
	v_add_f32_e32 v13, v99, v13
	s_delay_alu instid0(VALU_DEP_2) | instskip(SKIP_1) | instid1(VALU_DEP_2)
	v_sub_f32_e32 v99, v99, v17
	v_sub_f32_e32 v12, v12, v17
	v_dual_add_f32 v102, v100, v13 :: v_dual_sub_f32 v99, v101, v99
	s_delay_alu instid0(VALU_DEP_1) | instskip(NEXT) | instid1(VALU_DEP_1)
	v_dual_sub_f32 v17, v102, v100 :: v_dual_add_f32 v12, v12, v99
	v_sub_f32_e32 v13, v13, v17
	s_delay_alu instid0(VALU_DEP_1) | instskip(NEXT) | instid1(VALU_DEP_1)
	v_add_f32_e32 v12, v12, v13
	v_add_f32_e32 v12, v102, v12
	s_delay_alu instid0(VALU_DEP_1)
	v_cndmask_b32_e32 v99, v12, v14, vcc_lo
.LBB16_86:                              ;   in Loop: Header=BB16_12 Depth=1
	s_or_b32 exec_lo, exec_lo, s29
	v_lshlrev_b32_e32 v12, 16, v15
	s_delay_alu instid0(VALU_DEP_1) | instskip(NEXT) | instid1(VALU_DEP_1)
	v_add_f32_e32 v100, s66, v12
	v_cmp_ge_f32_e32 vcc_lo, 0x41a00000, v100
	s_and_b32 s28, s79, vcc_lo
	s_delay_alu instid0(SALU_CYCLE_1)
	s_and_saveexec_b32 s29, s28
	s_cbranch_execz .LBB16_88
; %bb.87:                               ;   in Loop: Header=BB16_12 Depth=1
	v_mul_f32_e32 v12, 0x3fb8aa3b, v100
	v_cmp_ngt_f32_e32 vcc_lo, 0xc2ce8ed0, v100
	s_delay_alu instid0(VALU_DEP_2) | instskip(SKIP_1) | instid1(VALU_DEP_2)
	v_rndne_f32_e32 v13, v12
	v_fma_f32 v14, 0x3fb8aa3b, v100, -v12
	v_sub_f32_e32 v12, v12, v13
	s_delay_alu instid0(VALU_DEP_2) | instskip(SKIP_1) | instid1(VALU_DEP_2)
	v_fmac_f32_e32 v14, 0x32a5705f, v100
	v_cvt_i32_f32_e32 v13, v13
	v_add_f32_e32 v12, v12, v14
	s_delay_alu instid0(VALU_DEP_1) | instskip(SKIP_2) | instid1(VALU_DEP_1)
	v_exp_f32_e32 v12, v12
	s_waitcnt_depctr 0xfff
	v_ldexp_f32 v12, v12, v13
	v_cndmask_b32_e32 v12, 0, v12, vcc_lo
	v_cmp_nlt_f32_e32 vcc_lo, 0x42b17218, v100
	s_delay_alu instid0(VALU_DEP_2) | instskip(NEXT) | instid1(VALU_DEP_1)
	v_cndmask_b32_e32 v14, 0x7f800000, v12, vcc_lo
	v_add_f32_e32 v17, 1.0, v14
	s_delay_alu instid0(VALU_DEP_1) | instskip(NEXT) | instid1(VALU_DEP_1)
	v_cvt_f64_f32_e32 v[12:13], v17
	v_frexp_exp_i32_f64_e32 v12, v[12:13]
	v_frexp_mant_f32_e32 v13, v17
	s_delay_alu instid0(VALU_DEP_1) | instskip(SKIP_1) | instid1(VALU_DEP_1)
	v_cmp_gt_f32_e32 vcc_lo, 0x3f2aaaab, v13
	v_add_f32_e32 v13, -1.0, v17
	v_sub_f32_e32 v101, v13, v17
	s_delay_alu instid0(VALU_DEP_1) | instskip(SKIP_2) | instid1(VALU_DEP_2)
	v_add_f32_e32 v101, 1.0, v101
	v_sub_f32_e32 v13, v14, v13
	v_cmp_gt_f32_e64 s28, 0x33800000, v14
	v_add_f32_e32 v13, v13, v101
	v_subrev_co_ci_u32_e32 v12, vcc_lo, 0, v12, vcc_lo
	v_cmp_eq_f32_e32 vcc_lo, 0x7f800000, v14
	s_delay_alu instid0(VALU_DEP_2) | instskip(SKIP_2) | instid1(VALU_DEP_2)
	v_sub_nc_u32_e32 v100, 0, v12
	v_cvt_f32_i32_e32 v12, v12
	s_or_b32 vcc_lo, s28, vcc_lo
	v_ldexp_f32 v17, v17, v100
	v_ldexp_f32 v13, v13, v100
	s_delay_alu instid0(VALU_DEP_2) | instskip(NEXT) | instid1(VALU_DEP_1)
	v_add_f32_e32 v100, -1.0, v17
	v_dual_add_f32 v102, 1.0, v17 :: v_dual_add_f32 v103, 1.0, v100
	s_delay_alu instid0(VALU_DEP_1) | instskip(NEXT) | instid1(VALU_DEP_1)
	v_add_f32_e32 v101, -1.0, v102
	v_sub_f32_e32 v101, v17, v101
	s_delay_alu instid0(VALU_DEP_3) | instskip(NEXT) | instid1(VALU_DEP_2)
	v_sub_f32_e32 v17, v17, v103
	v_add_f32_e32 v101, v13, v101
	s_delay_alu instid0(VALU_DEP_2) | instskip(NEXT) | instid1(VALU_DEP_1)
	v_add_f32_e32 v13, v13, v17
	v_add_f32_e32 v104, v100, v13
	s_delay_alu instid0(VALU_DEP_1) | instskip(NEXT) | instid1(VALU_DEP_1)
	v_dual_sub_f32 v100, v100, v104 :: v_dual_add_f32 v103, v102, v101
	v_add_f32_e32 v13, v13, v100
	s_delay_alu instid0(VALU_DEP_2) | instskip(SKIP_1) | instid1(VALU_DEP_1)
	v_rcp_f32_e32 v17, v103
	v_sub_f32_e32 v102, v102, v103
	v_add_f32_e32 v101, v101, v102
	s_waitcnt_depctr 0xfff
	v_mul_f32_e32 v105, v104, v17
	s_delay_alu instid0(VALU_DEP_1) | instskip(NEXT) | instid1(VALU_DEP_1)
	v_mul_f32_e32 v106, v103, v105
	v_fma_f32 v102, v105, v103, -v106
	s_delay_alu instid0(VALU_DEP_1) | instskip(NEXT) | instid1(VALU_DEP_1)
	v_fmac_f32_e32 v102, v105, v101
	v_add_f32_e32 v107, v106, v102
	s_delay_alu instid0(VALU_DEP_1) | instskip(SKIP_1) | instid1(VALU_DEP_2)
	v_sub_f32_e32 v108, v104, v107
	v_sub_f32_e32 v100, v107, v106
	;; [unrolled: 1-line block ×3, first 2 shown]
	s_delay_alu instid0(VALU_DEP_1) | instskip(NEXT) | instid1(VALU_DEP_1)
	v_sub_f32_e32 v104, v104, v107
	v_dual_sub_f32 v100, v100, v102 :: v_dual_add_f32 v13, v13, v104
	s_delay_alu instid0(VALU_DEP_1) | instskip(NEXT) | instid1(VALU_DEP_1)
	v_add_f32_e32 v13, v100, v13
	v_add_f32_e32 v100, v108, v13
	s_delay_alu instid0(VALU_DEP_1) | instskip(NEXT) | instid1(VALU_DEP_1)
	v_mul_f32_e32 v102, v17, v100
	v_dual_sub_f32 v107, v108, v100 :: v_dual_mul_f32 v104, v103, v102
	s_delay_alu instid0(VALU_DEP_1) | instskip(NEXT) | instid1(VALU_DEP_2)
	v_add_f32_e32 v13, v13, v107
	v_fma_f32 v103, v102, v103, -v104
	s_delay_alu instid0(VALU_DEP_1) | instskip(NEXT) | instid1(VALU_DEP_1)
	v_fmac_f32_e32 v103, v102, v101
	v_add_f32_e32 v101, v104, v103
	s_delay_alu instid0(VALU_DEP_1) | instskip(NEXT) | instid1(VALU_DEP_1)
	v_sub_f32_e32 v106, v100, v101
	v_sub_f32_e32 v100, v100, v106
	s_delay_alu instid0(VALU_DEP_1) | instskip(NEXT) | instid1(VALU_DEP_1)
	v_sub_f32_e32 v100, v100, v101
	v_add_f32_e32 v13, v13, v100
	v_add_f32_e32 v100, v105, v102
	v_sub_f32_e32 v104, v101, v104
	s_delay_alu instid0(VALU_DEP_1) | instskip(NEXT) | instid1(VALU_DEP_1)
	v_sub_f32_e32 v101, v104, v103
	v_add_f32_e32 v13, v101, v13
	s_delay_alu instid0(VALU_DEP_4) | instskip(NEXT) | instid1(VALU_DEP_2)
	v_sub_f32_e32 v101, v100, v105
	v_add_f32_e32 v13, v106, v13
	s_delay_alu instid0(VALU_DEP_2) | instskip(NEXT) | instid1(VALU_DEP_2)
	v_sub_f32_e32 v101, v102, v101
	v_mul_f32_e32 v13, v17, v13
	s_delay_alu instid0(VALU_DEP_1) | instskip(NEXT) | instid1(VALU_DEP_1)
	v_add_f32_e32 v13, v101, v13
	v_add_f32_e32 v17, v100, v13
	s_delay_alu instid0(VALU_DEP_1) | instskip(NEXT) | instid1(VALU_DEP_1)
	v_mul_f32_e32 v101, v17, v17
	v_fmaak_f32 v102, s83, v101, 0x3ecc95a3
	v_mul_f32_e32 v103, v17, v101
	s_delay_alu instid0(VALU_DEP_2) | instskip(SKIP_1) | instid1(VALU_DEP_2)
	v_fmaak_f32 v101, v101, v102, 0x3f2aaada
	v_ldexp_f32 v102, v17, 1
	v_mul_f32_e32 v101, v103, v101
	s_delay_alu instid0(VALU_DEP_1) | instskip(NEXT) | instid1(VALU_DEP_1)
	v_dual_sub_f32 v17, v17, v100 :: v_dual_add_f32 v100, v102, v101
	v_sub_f32_e32 v13, v13, v17
	s_delay_alu instid0(VALU_DEP_2) | instskip(NEXT) | instid1(VALU_DEP_2)
	v_sub_f32_e32 v17, v100, v102
	v_ldexp_f32 v13, v13, 1
	s_delay_alu instid0(VALU_DEP_2) | instskip(SKIP_1) | instid1(VALU_DEP_1)
	v_sub_f32_e32 v17, v101, v17
	v_mul_f32_e32 v103, 0x3f317218, v12
	v_fma_f32 v102, 0x3f317218, v12, -v103
	s_delay_alu instid0(VALU_DEP_1) | instskip(NEXT) | instid1(VALU_DEP_1)
	v_fmac_f32_e32 v102, 0xb102e308, v12
	v_dual_add_f32 v12, v13, v17 :: v_dual_add_f32 v13, v103, v102
	s_delay_alu instid0(VALU_DEP_1) | instskip(NEXT) | instid1(VALU_DEP_1)
	v_add_f32_e32 v17, v100, v12
	v_add_f32_e32 v101, v13, v17
	v_sub_f32_e32 v100, v17, v100
	s_delay_alu instid0(VALU_DEP_2) | instskip(NEXT) | instid1(VALU_DEP_2)
	v_sub_f32_e32 v104, v101, v13
	v_dual_sub_f32 v12, v12, v100 :: v_dual_sub_f32 v103, v13, v103
	s_delay_alu instid0(VALU_DEP_2) | instskip(NEXT) | instid1(VALU_DEP_2)
	v_sub_f32_e32 v105, v101, v104
	v_dual_sub_f32 v17, v17, v104 :: v_dual_sub_f32 v102, v102, v103
	s_delay_alu instid0(VALU_DEP_1) | instskip(NEXT) | instid1(VALU_DEP_1)
	v_dual_sub_f32 v13, v13, v105 :: v_dual_add_f32 v100, v102, v12
	v_add_f32_e32 v13, v17, v13
	s_delay_alu instid0(VALU_DEP_2) | instskip(NEXT) | instid1(VALU_DEP_2)
	v_sub_f32_e32 v17, v100, v102
	v_add_f32_e32 v13, v100, v13
	s_delay_alu instid0(VALU_DEP_2) | instskip(SKIP_1) | instid1(VALU_DEP_2)
	v_sub_f32_e32 v100, v100, v17
	v_sub_f32_e32 v12, v12, v17
	v_dual_add_f32 v103, v101, v13 :: v_dual_sub_f32 v100, v102, v100
	s_delay_alu instid0(VALU_DEP_1) | instskip(NEXT) | instid1(VALU_DEP_1)
	v_dual_sub_f32 v17, v103, v101 :: v_dual_add_f32 v12, v12, v100
	v_sub_f32_e32 v13, v13, v17
	s_delay_alu instid0(VALU_DEP_1) | instskip(NEXT) | instid1(VALU_DEP_1)
	v_add_f32_e32 v12, v12, v13
	v_add_f32_e32 v12, v103, v12
	s_delay_alu instid0(VALU_DEP_1)
	v_cndmask_b32_e32 v100, v12, v14, vcc_lo
.LBB16_88:                              ;   in Loop: Header=BB16_12 Depth=1
	s_or_b32 exec_lo, exec_lo, s29
	v_and_b32_e32 v12, 0xffff0000, v15
	s_delay_alu instid0(VALU_DEP_1) | instskip(NEXT) | instid1(VALU_DEP_1)
	v_add_f32_e32 v105, s66, v12
	v_cmp_ge_f32_e32 vcc_lo, 0x41a00000, v105
	s_and_b32 s28, s79, vcc_lo
	s_delay_alu instid0(SALU_CYCLE_1)
	s_and_saveexec_b32 s29, s28
	s_cbranch_execz .LBB16_90
; %bb.89:                               ;   in Loop: Header=BB16_12 Depth=1
	v_mul_f32_e32 v12, 0x3fb8aa3b, v105
	v_cmp_ngt_f32_e32 vcc_lo, 0xc2ce8ed0, v105
	s_delay_alu instid0(VALU_DEP_2) | instskip(SKIP_1) | instid1(VALU_DEP_2)
	v_rndne_f32_e32 v13, v12
	v_fma_f32 v14, 0x3fb8aa3b, v105, -v12
	v_sub_f32_e32 v12, v12, v13
	s_delay_alu instid0(VALU_DEP_2) | instskip(SKIP_1) | instid1(VALU_DEP_2)
	v_fmac_f32_e32 v14, 0x32a5705f, v105
	v_cvt_i32_f32_e32 v13, v13
	v_add_f32_e32 v12, v12, v14
	s_delay_alu instid0(VALU_DEP_1) | instskip(SKIP_2) | instid1(VALU_DEP_1)
	v_exp_f32_e32 v12, v12
	s_waitcnt_depctr 0xfff
	v_ldexp_f32 v12, v12, v13
	v_cndmask_b32_e32 v12, 0, v12, vcc_lo
	v_cmp_nlt_f32_e32 vcc_lo, 0x42b17218, v105
	s_delay_alu instid0(VALU_DEP_2) | instskip(NEXT) | instid1(VALU_DEP_1)
	v_cndmask_b32_e32 v14, 0x7f800000, v12, vcc_lo
	v_add_f32_e32 v15, 1.0, v14
	s_delay_alu instid0(VALU_DEP_1) | instskip(NEXT) | instid1(VALU_DEP_1)
	v_cvt_f64_f32_e32 v[12:13], v15
	v_frexp_exp_i32_f64_e32 v12, v[12:13]
	v_frexp_mant_f32_e32 v13, v15
	s_delay_alu instid0(VALU_DEP_1) | instskip(SKIP_1) | instid1(VALU_DEP_1)
	v_cmp_gt_f32_e32 vcc_lo, 0x3f2aaaab, v13
	v_add_f32_e32 v13, -1.0, v15
	v_sub_f32_e32 v101, v13, v15
	v_sub_f32_e32 v13, v14, v13
	s_delay_alu instid0(VALU_DEP_2) | instskip(NEXT) | instid1(VALU_DEP_1)
	v_add_f32_e32 v101, 1.0, v101
	v_add_f32_e32 v13, v13, v101
	v_cmp_gt_f32_e64 s28, 0x33800000, v14
	v_subrev_co_ci_u32_e32 v12, vcc_lo, 0, v12, vcc_lo
	v_cmp_eq_f32_e32 vcc_lo, 0x7f800000, v14
	s_delay_alu instid0(VALU_DEP_2) | instskip(SKIP_2) | instid1(VALU_DEP_2)
	v_sub_nc_u32_e32 v17, 0, v12
	v_cvt_f32_i32_e32 v12, v12
	s_or_b32 vcc_lo, s28, vcc_lo
	v_ldexp_f32 v15, v15, v17
	v_ldexp_f32 v13, v13, v17
	s_delay_alu instid0(VALU_DEP_2) | instskip(SKIP_1) | instid1(VALU_DEP_2)
	v_add_f32_e32 v102, 1.0, v15
	v_add_f32_e32 v17, -1.0, v15
	v_add_f32_e32 v101, -1.0, v102
	s_delay_alu instid0(VALU_DEP_2) | instskip(NEXT) | instid1(VALU_DEP_2)
	v_add_f32_e32 v103, 1.0, v17
	v_sub_f32_e32 v101, v15, v101
	s_delay_alu instid0(VALU_DEP_2) | instskip(NEXT) | instid1(VALU_DEP_2)
	v_sub_f32_e32 v15, v15, v103
	v_add_f32_e32 v101, v13, v101
	s_delay_alu instid0(VALU_DEP_2) | instskip(NEXT) | instid1(VALU_DEP_1)
	v_add_f32_e32 v13, v13, v15
	v_add_f32_e32 v104, v17, v13
	s_delay_alu instid0(VALU_DEP_3) | instskip(NEXT) | instid1(VALU_DEP_1)
	v_add_f32_e32 v103, v102, v101
	v_rcp_f32_e32 v15, v103
	v_sub_f32_e32 v102, v102, v103
	s_delay_alu instid0(VALU_DEP_1) | instskip(SKIP_2) | instid1(VALU_DEP_1)
	v_add_f32_e32 v101, v101, v102
	s_waitcnt_depctr 0xfff
	v_mul_f32_e32 v105, v104, v15
	v_dual_mul_f32 v106, v103, v105 :: v_dual_sub_f32 v17, v17, v104
	s_delay_alu instid0(VALU_DEP_1) | instskip(NEXT) | instid1(VALU_DEP_2)
	v_fma_f32 v102, v105, v103, -v106
	v_add_f32_e32 v13, v13, v17
	s_delay_alu instid0(VALU_DEP_2) | instskip(NEXT) | instid1(VALU_DEP_1)
	v_fmac_f32_e32 v102, v105, v101
	v_add_f32_e32 v107, v106, v102
	s_delay_alu instid0(VALU_DEP_1) | instskip(NEXT) | instid1(VALU_DEP_1)
	v_dual_sub_f32 v108, v104, v107 :: v_dual_sub_f32 v17, v107, v106
	v_dual_sub_f32 v104, v104, v108 :: v_dual_sub_f32 v17, v17, v102
	s_delay_alu instid0(VALU_DEP_1) | instskip(NEXT) | instid1(VALU_DEP_1)
	v_sub_f32_e32 v104, v104, v107
	v_add_f32_e32 v13, v13, v104
	s_delay_alu instid0(VALU_DEP_1) | instskip(NEXT) | instid1(VALU_DEP_1)
	v_add_f32_e32 v13, v17, v13
	v_add_f32_e32 v17, v108, v13
	s_delay_alu instid0(VALU_DEP_1) | instskip(NEXT) | instid1(VALU_DEP_1)
	v_mul_f32_e32 v102, v15, v17
	v_dual_sub_f32 v107, v108, v17 :: v_dual_mul_f32 v104, v103, v102
	s_delay_alu instid0(VALU_DEP_1) | instskip(NEXT) | instid1(VALU_DEP_2)
	v_add_f32_e32 v13, v13, v107
	v_fma_f32 v103, v102, v103, -v104
	s_delay_alu instid0(VALU_DEP_1) | instskip(NEXT) | instid1(VALU_DEP_1)
	v_fmac_f32_e32 v103, v102, v101
	v_add_f32_e32 v101, v104, v103
	s_delay_alu instid0(VALU_DEP_1) | instskip(SKIP_1) | instid1(VALU_DEP_2)
	v_sub_f32_e32 v106, v17, v101
	v_sub_f32_e32 v104, v101, v104
	;; [unrolled: 1-line block ×3, first 2 shown]
	s_delay_alu instid0(VALU_DEP_1) | instskip(NEXT) | instid1(VALU_DEP_3)
	v_sub_f32_e32 v17, v17, v101
	v_sub_f32_e32 v101, v104, v103
	s_delay_alu instid0(VALU_DEP_2) | instskip(SKIP_1) | instid1(VALU_DEP_2)
	v_add_f32_e32 v13, v13, v17
	v_add_f32_e32 v17, v105, v102
	v_add_f32_e32 v13, v101, v13
	s_delay_alu instid0(VALU_DEP_2) | instskip(NEXT) | instid1(VALU_DEP_2)
	v_sub_f32_e32 v101, v17, v105
	v_add_f32_e32 v13, v106, v13
	s_delay_alu instid0(VALU_DEP_2) | instskip(NEXT) | instid1(VALU_DEP_2)
	v_sub_f32_e32 v101, v102, v101
	v_mul_f32_e32 v13, v15, v13
	s_delay_alu instid0(VALU_DEP_1) | instskip(NEXT) | instid1(VALU_DEP_1)
	v_add_f32_e32 v13, v101, v13
	v_add_f32_e32 v15, v17, v13
	s_delay_alu instid0(VALU_DEP_1) | instskip(NEXT) | instid1(VALU_DEP_1)
	v_mul_f32_e32 v101, v15, v15
	v_fmaak_f32 v102, s83, v101, 0x3ecc95a3
	v_mul_f32_e32 v103, v15, v101
	s_delay_alu instid0(VALU_DEP_2) | instskip(SKIP_2) | instid1(VALU_DEP_3)
	v_fmaak_f32 v101, v101, v102, 0x3f2aaada
	v_ldexp_f32 v102, v15, 1
	v_sub_f32_e32 v15, v15, v17
	v_mul_f32_e32 v101, v103, v101
	v_mul_f32_e32 v103, 0x3f317218, v12
	s_delay_alu instid0(VALU_DEP_3) | instskip(NEXT) | instid1(VALU_DEP_3)
	v_sub_f32_e32 v13, v13, v15
	v_add_f32_e32 v17, v102, v101
	s_delay_alu instid0(VALU_DEP_2) | instskip(NEXT) | instid1(VALU_DEP_2)
	v_ldexp_f32 v13, v13, 1
	v_sub_f32_e32 v15, v17, v102
	v_fma_f32 v102, 0x3f317218, v12, -v103
	s_delay_alu instid0(VALU_DEP_1) | instskip(NEXT) | instid1(VALU_DEP_1)
	v_dual_sub_f32 v15, v101, v15 :: v_dual_fmac_f32 v102, 0xb102e308, v12
	v_dual_add_f32 v12, v13, v15 :: v_dual_add_f32 v13, v103, v102
	s_delay_alu instid0(VALU_DEP_1) | instskip(NEXT) | instid1(VALU_DEP_1)
	v_add_f32_e32 v15, v17, v12
	v_add_f32_e32 v101, v13, v15
	v_sub_f32_e32 v17, v15, v17
	s_delay_alu instid0(VALU_DEP_2) | instskip(NEXT) | instid1(VALU_DEP_2)
	v_sub_f32_e32 v104, v101, v13
	v_dual_sub_f32 v103, v13, v103 :: v_dual_sub_f32 v12, v12, v17
	s_delay_alu instid0(VALU_DEP_1) | instskip(SKIP_1) | instid1(VALU_DEP_2)
	v_dual_sub_f32 v105, v101, v104 :: v_dual_sub_f32 v102, v102, v103
	v_sub_f32_e32 v15, v15, v104
	v_sub_f32_e32 v13, v13, v105
	s_delay_alu instid0(VALU_DEP_3) | instskip(NEXT) | instid1(VALU_DEP_2)
	v_add_f32_e32 v17, v102, v12
	v_add_f32_e32 v13, v15, v13
	s_delay_alu instid0(VALU_DEP_2) | instskip(NEXT) | instid1(VALU_DEP_2)
	v_sub_f32_e32 v15, v17, v102
	v_add_f32_e32 v13, v17, v13
	s_delay_alu instid0(VALU_DEP_2) | instskip(NEXT) | instid1(VALU_DEP_2)
	v_sub_f32_e32 v17, v17, v15
	v_dual_sub_f32 v12, v12, v15 :: v_dual_add_f32 v103, v101, v13
	s_delay_alu instid0(VALU_DEP_2) | instskip(NEXT) | instid1(VALU_DEP_2)
	v_sub_f32_e32 v17, v102, v17
	v_sub_f32_e32 v15, v103, v101
	s_delay_alu instid0(VALU_DEP_1) | instskip(NEXT) | instid1(VALU_DEP_1)
	v_dual_add_f32 v12, v12, v17 :: v_dual_sub_f32 v13, v13, v15
	v_add_f32_e32 v12, v12, v13
	s_delay_alu instid0(VALU_DEP_1) | instskip(NEXT) | instid1(VALU_DEP_1)
	v_add_f32_e32 v12, v103, v12
	v_cndmask_b32_e32 v105, v12, v14, vcc_lo
.LBB16_90:                              ;   in Loop: Header=BB16_12 Depth=1
	s_or_b32 exec_lo, exec_lo, s29
	s_waitcnt lgkmcnt(0)
	v_lshlrev_b32_e32 v12, 16, v8
	s_delay_alu instid0(VALU_DEP_1) | instskip(NEXT) | instid1(VALU_DEP_1)
	v_add_f32_e32 v108, s66, v12
	v_cmp_ge_f32_e32 vcc_lo, 0x41a00000, v108
	s_and_b32 s28, s79, vcc_lo
	s_delay_alu instid0(SALU_CYCLE_1)
	s_and_saveexec_b32 s29, s28
	s_cbranch_execz .LBB16_92
; %bb.91:                               ;   in Loop: Header=BB16_12 Depth=1
	v_mul_f32_e32 v12, 0x3fb8aa3b, v108
	v_cmp_ngt_f32_e32 vcc_lo, 0xc2ce8ed0, v108
	s_delay_alu instid0(VALU_DEP_2) | instskip(SKIP_1) | instid1(VALU_DEP_2)
	v_rndne_f32_e32 v13, v12
	v_fma_f32 v14, 0x3fb8aa3b, v108, -v12
	v_sub_f32_e32 v12, v12, v13
	s_delay_alu instid0(VALU_DEP_2) | instskip(SKIP_1) | instid1(VALU_DEP_2)
	v_fmac_f32_e32 v14, 0x32a5705f, v108
	v_cvt_i32_f32_e32 v13, v13
	v_add_f32_e32 v12, v12, v14
	s_delay_alu instid0(VALU_DEP_1) | instskip(SKIP_2) | instid1(VALU_DEP_1)
	v_exp_f32_e32 v12, v12
	s_waitcnt_depctr 0xfff
	v_ldexp_f32 v12, v12, v13
	v_cndmask_b32_e32 v12, 0, v12, vcc_lo
	v_cmp_nlt_f32_e32 vcc_lo, 0x42b17218, v108
	s_delay_alu instid0(VALU_DEP_2) | instskip(NEXT) | instid1(VALU_DEP_1)
	v_cndmask_b32_e32 v14, 0x7f800000, v12, vcc_lo
	v_add_f32_e32 v15, 1.0, v14
	s_delay_alu instid0(VALU_DEP_1) | instskip(NEXT) | instid1(VALU_DEP_1)
	v_cvt_f64_f32_e32 v[12:13], v15
	v_frexp_exp_i32_f64_e32 v12, v[12:13]
	v_frexp_mant_f32_e32 v13, v15
	s_delay_alu instid0(VALU_DEP_1) | instskip(SKIP_1) | instid1(VALU_DEP_1)
	v_cmp_gt_f32_e32 vcc_lo, 0x3f2aaaab, v13
	v_add_f32_e32 v13, -1.0, v15
	v_sub_f32_e32 v101, v13, v15
	v_sub_f32_e32 v13, v14, v13
	s_delay_alu instid0(VALU_DEP_2) | instskip(NEXT) | instid1(VALU_DEP_1)
	v_add_f32_e32 v101, 1.0, v101
	v_add_f32_e32 v13, v13, v101
	v_cmp_gt_f32_e64 s28, 0x33800000, v14
	v_subrev_co_ci_u32_e32 v12, vcc_lo, 0, v12, vcc_lo
	v_cmp_eq_f32_e32 vcc_lo, 0x7f800000, v14
	s_delay_alu instid0(VALU_DEP_2) | instskip(SKIP_2) | instid1(VALU_DEP_2)
	v_sub_nc_u32_e32 v17, 0, v12
	v_cvt_f32_i32_e32 v12, v12
	s_or_b32 vcc_lo, s28, vcc_lo
	v_ldexp_f32 v15, v15, v17
	v_ldexp_f32 v13, v13, v17
	s_delay_alu instid0(VALU_DEP_2) | instskip(SKIP_1) | instid1(VALU_DEP_2)
	v_add_f32_e32 v102, 1.0, v15
	v_add_f32_e32 v17, -1.0, v15
	v_add_f32_e32 v101, -1.0, v102
	s_delay_alu instid0(VALU_DEP_2) | instskip(NEXT) | instid1(VALU_DEP_2)
	v_add_f32_e32 v103, 1.0, v17
	v_sub_f32_e32 v101, v15, v101
	s_delay_alu instid0(VALU_DEP_2) | instskip(NEXT) | instid1(VALU_DEP_2)
	v_sub_f32_e32 v15, v15, v103
	v_add_f32_e32 v101, v13, v101
	s_delay_alu instid0(VALU_DEP_2) | instskip(NEXT) | instid1(VALU_DEP_2)
	v_add_f32_e32 v13, v13, v15
	v_add_f32_e32 v103, v102, v101
	s_delay_alu instid0(VALU_DEP_2) | instskip(NEXT) | instid1(VALU_DEP_2)
	v_add_f32_e32 v104, v17, v13
	v_rcp_f32_e32 v15, v103
	v_sub_f32_e32 v102, v102, v103
	s_waitcnt_depctr 0xfff
	v_dual_add_f32 v101, v101, v102 :: v_dual_mul_f32 v106, v104, v15
	s_delay_alu instid0(VALU_DEP_1) | instskip(NEXT) | instid1(VALU_DEP_1)
	v_mul_f32_e32 v107, v103, v106
	v_fma_f32 v102, v106, v103, -v107
	s_delay_alu instid0(VALU_DEP_1) | instskip(NEXT) | instid1(VALU_DEP_1)
	v_dual_fmac_f32 v102, v106, v101 :: v_dual_sub_f32 v17, v17, v104
	v_add_f32_e32 v108, v107, v102
	s_delay_alu instid0(VALU_DEP_1) | instskip(NEXT) | instid1(VALU_DEP_1)
	v_sub_f32_e32 v109, v104, v108
	v_sub_f32_e32 v104, v104, v109
	s_delay_alu instid0(VALU_DEP_1) | instskip(SKIP_1) | instid1(VALU_DEP_2)
	v_dual_sub_f32 v104, v104, v108 :: v_dual_add_f32 v13, v13, v17
	v_sub_f32_e32 v17, v108, v107
	v_add_f32_e32 v13, v13, v104
	s_delay_alu instid0(VALU_DEP_2) | instskip(NEXT) | instid1(VALU_DEP_1)
	v_sub_f32_e32 v17, v17, v102
	v_add_f32_e32 v13, v17, v13
	s_delay_alu instid0(VALU_DEP_1) | instskip(NEXT) | instid1(VALU_DEP_1)
	v_add_f32_e32 v17, v109, v13
	v_mul_f32_e32 v102, v15, v17
	s_delay_alu instid0(VALU_DEP_1) | instskip(SKIP_1) | instid1(VALU_DEP_2)
	v_mul_f32_e32 v104, v103, v102
	v_sub_f32_e32 v108, v109, v17
	v_fma_f32 v103, v102, v103, -v104
	s_delay_alu instid0(VALU_DEP_2) | instskip(NEXT) | instid1(VALU_DEP_2)
	v_add_f32_e32 v13, v13, v108
	v_fmac_f32_e32 v103, v102, v101
	s_delay_alu instid0(VALU_DEP_1) | instskip(NEXT) | instid1(VALU_DEP_1)
	v_add_f32_e32 v101, v104, v103
	v_sub_f32_e32 v107, v17, v101
	v_sub_f32_e32 v104, v101, v104
	s_delay_alu instid0(VALU_DEP_2) | instskip(NEXT) | instid1(VALU_DEP_1)
	v_sub_f32_e32 v17, v17, v107
	v_sub_f32_e32 v17, v17, v101
	s_delay_alu instid0(VALU_DEP_3) | instskip(NEXT) | instid1(VALU_DEP_2)
	v_sub_f32_e32 v101, v104, v103
	v_add_f32_e32 v13, v13, v17
	v_add_f32_e32 v17, v106, v102
	s_delay_alu instid0(VALU_DEP_2) | instskip(NEXT) | instid1(VALU_DEP_2)
	v_add_f32_e32 v13, v101, v13
	v_sub_f32_e32 v101, v17, v106
	s_delay_alu instid0(VALU_DEP_2) | instskip(NEXT) | instid1(VALU_DEP_2)
	v_add_f32_e32 v13, v107, v13
	v_sub_f32_e32 v101, v102, v101
	s_delay_alu instid0(VALU_DEP_2) | instskip(NEXT) | instid1(VALU_DEP_1)
	v_mul_f32_e32 v13, v15, v13
	v_add_f32_e32 v13, v101, v13
	s_delay_alu instid0(VALU_DEP_1) | instskip(NEXT) | instid1(VALU_DEP_1)
	v_add_f32_e32 v15, v17, v13
	v_mul_f32_e32 v101, v15, v15
	s_delay_alu instid0(VALU_DEP_1) | instskip(SKIP_1) | instid1(VALU_DEP_2)
	v_fmaak_f32 v102, s83, v101, 0x3ecc95a3
	v_mul_f32_e32 v103, v15, v101
	v_fmaak_f32 v101, v101, v102, 0x3f2aaada
	v_ldexp_f32 v102, v15, 1
	v_sub_f32_e32 v15, v15, v17
	s_delay_alu instid0(VALU_DEP_3) | instskip(SKIP_1) | instid1(VALU_DEP_3)
	v_mul_f32_e32 v101, v103, v101
	v_mul_f32_e32 v103, 0x3f317218, v12
	v_sub_f32_e32 v13, v13, v15
	s_delay_alu instid0(VALU_DEP_3) | instskip(NEXT) | instid1(VALU_DEP_2)
	v_add_f32_e32 v17, v102, v101
	v_ldexp_f32 v13, v13, 1
	s_delay_alu instid0(VALU_DEP_2) | instskip(SKIP_1) | instid1(VALU_DEP_1)
	v_sub_f32_e32 v15, v17, v102
	v_fma_f32 v102, 0x3f317218, v12, -v103
	v_dual_sub_f32 v15, v101, v15 :: v_dual_fmac_f32 v102, 0xb102e308, v12
	s_delay_alu instid0(VALU_DEP_1) | instskip(NEXT) | instid1(VALU_DEP_1)
	v_dual_add_f32 v12, v13, v15 :: v_dual_add_f32 v13, v103, v102
	v_add_f32_e32 v15, v17, v12
	s_delay_alu instid0(VALU_DEP_2) | instskip(NEXT) | instid1(VALU_DEP_2)
	v_sub_f32_e32 v103, v13, v103
	v_add_f32_e32 v101, v13, v15
	s_delay_alu instid0(VALU_DEP_2) | instskip(NEXT) | instid1(VALU_DEP_2)
	v_dual_sub_f32 v17, v15, v17 :: v_dual_sub_f32 v102, v102, v103
	v_sub_f32_e32 v104, v101, v13
	s_delay_alu instid0(VALU_DEP_2) | instskip(NEXT) | instid1(VALU_DEP_2)
	v_sub_f32_e32 v12, v12, v17
	v_sub_f32_e32 v106, v101, v104
	;; [unrolled: 1-line block ×3, first 2 shown]
	s_delay_alu instid0(VALU_DEP_3) | instskip(NEXT) | instid1(VALU_DEP_3)
	v_add_f32_e32 v17, v102, v12
	v_sub_f32_e32 v13, v13, v106
	s_delay_alu instid0(VALU_DEP_1) | instskip(NEXT) | instid1(VALU_DEP_3)
	v_add_f32_e32 v13, v15, v13
	v_sub_f32_e32 v15, v17, v102
	s_delay_alu instid0(VALU_DEP_2) | instskip(NEXT) | instid1(VALU_DEP_2)
	v_add_f32_e32 v13, v17, v13
	v_sub_f32_e32 v17, v17, v15
	s_delay_alu instid0(VALU_DEP_2) | instskip(NEXT) | instid1(VALU_DEP_2)
	v_dual_sub_f32 v12, v12, v15 :: v_dual_add_f32 v103, v101, v13
	v_sub_f32_e32 v17, v102, v17
	s_delay_alu instid0(VALU_DEP_2) | instskip(NEXT) | instid1(VALU_DEP_1)
	v_sub_f32_e32 v15, v103, v101
	v_dual_add_f32 v12, v12, v17 :: v_dual_sub_f32 v13, v13, v15
	s_delay_alu instid0(VALU_DEP_1) | instskip(NEXT) | instid1(VALU_DEP_1)
	v_add_f32_e32 v12, v12, v13
	v_add_f32_e32 v12, v103, v12
	s_delay_alu instid0(VALU_DEP_1)
	v_cndmask_b32_e32 v108, v12, v14, vcc_lo
.LBB16_92:                              ;   in Loop: Header=BB16_12 Depth=1
	s_or_b32 exec_lo, exec_lo, s29
	v_and_b32_e32 v8, 0xffff0000, v8
	s_delay_alu instid0(VALU_DEP_1) | instskip(NEXT) | instid1(VALU_DEP_1)
	v_add_f32_e32 v113, s66, v8
	v_cmp_ge_f32_e32 vcc_lo, 0x41a00000, v113
	s_and_b32 s28, s79, vcc_lo
	s_delay_alu instid0(SALU_CYCLE_1)
	s_and_saveexec_b32 s29, s28
	s_cbranch_execz .LBB16_94
; %bb.93:                               ;   in Loop: Header=BB16_12 Depth=1
	v_mul_f32_e32 v8, 0x3fb8aa3b, v113
	v_cmp_ngt_f32_e32 vcc_lo, 0xc2ce8ed0, v113
	s_delay_alu instid0(VALU_DEP_2) | instskip(SKIP_1) | instid1(VALU_DEP_1)
	v_rndne_f32_e32 v12, v8
	v_fma_f32 v13, 0x3fb8aa3b, v113, -v8
	v_dual_sub_f32 v8, v8, v12 :: v_dual_fmac_f32 v13, 0x32a5705f, v113
	v_cvt_i32_f32_e32 v12, v12
	s_delay_alu instid0(VALU_DEP_2) | instskip(NEXT) | instid1(VALU_DEP_1)
	v_add_f32_e32 v8, v8, v13
	v_exp_f32_e32 v8, v8
	s_waitcnt_depctr 0xfff
	v_ldexp_f32 v8, v8, v12
	s_delay_alu instid0(VALU_DEP_1) | instskip(SKIP_1) | instid1(VALU_DEP_2)
	v_cndmask_b32_e32 v8, 0, v8, vcc_lo
	v_cmp_nlt_f32_e32 vcc_lo, 0x42b17218, v113
	v_cndmask_b32_e32 v8, 0x7f800000, v8, vcc_lo
	s_delay_alu instid0(VALU_DEP_1) | instskip(NEXT) | instid1(VALU_DEP_1)
	v_add_f32_e32 v14, 1.0, v8
	v_cvt_f64_f32_e32 v[12:13], v14
	s_delay_alu instid0(VALU_DEP_1) | instskip(SKIP_1) | instid1(VALU_DEP_1)
	v_frexp_exp_i32_f64_e32 v12, v[12:13]
	v_frexp_mant_f32_e32 v13, v14
	v_cmp_gt_f32_e32 vcc_lo, 0x3f2aaaab, v13
	v_add_f32_e32 v13, -1.0, v14
	s_delay_alu instid0(VALU_DEP_1) | instskip(NEXT) | instid1(VALU_DEP_1)
	v_sub_f32_e32 v17, v13, v14
	v_add_f32_e32 v17, 1.0, v17
	v_subrev_co_ci_u32_e32 v12, vcc_lo, 0, v12, vcc_lo
	s_delay_alu instid0(VALU_DEP_1) | instskip(SKIP_1) | instid1(VALU_DEP_2)
	v_sub_nc_u32_e32 v15, 0, v12
	v_cvt_f32_i32_e32 v12, v12
	v_ldexp_f32 v14, v14, v15
	s_delay_alu instid0(VALU_DEP_1) | instskip(SKIP_3) | instid1(VALU_DEP_3)
	v_add_f32_e32 v101, 1.0, v14
	v_sub_f32_e32 v13, v8, v13
	v_cmp_eq_f32_e32 vcc_lo, 0x7f800000, v8
	v_cmp_gt_f32_e64 s28, 0x33800000, v8
	v_add_f32_e32 v13, v13, v17
	s_delay_alu instid0(VALU_DEP_2) | instskip(NEXT) | instid1(VALU_DEP_1)
	s_or_b32 vcc_lo, s28, vcc_lo
	v_ldexp_f32 v13, v13, v15
	v_add_f32_e32 v15, -1.0, v14
	s_delay_alu instid0(VALU_DEP_1) | instskip(NEXT) | instid1(VALU_DEP_1)
	v_dual_add_f32 v102, 1.0, v15 :: v_dual_add_f32 v17, -1.0, v101
	v_sub_f32_e32 v17, v14, v17
	s_delay_alu instid0(VALU_DEP_1) | instskip(NEXT) | instid1(VALU_DEP_1)
	v_dual_sub_f32 v14, v14, v102 :: v_dual_add_f32 v17, v13, v17
	v_add_f32_e32 v13, v13, v14
	s_delay_alu instid0(VALU_DEP_2) | instskip(NEXT) | instid1(VALU_DEP_2)
	v_add_f32_e32 v102, v101, v17
	v_add_f32_e32 v103, v15, v13
	s_delay_alu instid0(VALU_DEP_2) | instskip(SKIP_1) | instid1(VALU_DEP_2)
	v_rcp_f32_e32 v14, v102
	v_sub_f32_e32 v101, v101, v102
	v_sub_f32_e32 v15, v15, v103
	s_waitcnt_depctr 0xfff
	v_dual_add_f32 v13, v13, v15 :: v_dual_mul_f32 v104, v103, v14
	s_delay_alu instid0(VALU_DEP_1) | instskip(NEXT) | instid1(VALU_DEP_1)
	v_dual_mul_f32 v106, v102, v104 :: v_dual_add_f32 v17, v17, v101
	v_fma_f32 v101, v104, v102, -v106
	s_delay_alu instid0(VALU_DEP_1) | instskip(NEXT) | instid1(VALU_DEP_1)
	v_fmac_f32_e32 v101, v104, v17
	v_add_f32_e32 v107, v106, v101
	s_delay_alu instid0(VALU_DEP_1) | instskip(SKIP_1) | instid1(VALU_DEP_2)
	v_sub_f32_e32 v109, v103, v107
	v_sub_f32_e32 v15, v107, v106
	v_sub_f32_e32 v103, v103, v109
	s_delay_alu instid0(VALU_DEP_2) | instskip(NEXT) | instid1(VALU_DEP_2)
	v_sub_f32_e32 v15, v15, v101
	v_sub_f32_e32 v103, v103, v107
	s_delay_alu instid0(VALU_DEP_1) | instskip(NEXT) | instid1(VALU_DEP_1)
	v_add_f32_e32 v13, v13, v103
	v_add_f32_e32 v13, v15, v13
	s_delay_alu instid0(VALU_DEP_1) | instskip(NEXT) | instid1(VALU_DEP_1)
	v_add_f32_e32 v15, v109, v13
	v_mul_f32_e32 v101, v14, v15
	s_delay_alu instid0(VALU_DEP_1) | instskip(NEXT) | instid1(VALU_DEP_1)
	v_mul_f32_e32 v103, v102, v101
	v_fma_f32 v102, v101, v102, -v103
	s_delay_alu instid0(VALU_DEP_1) | instskip(SKIP_1) | instid1(VALU_DEP_2)
	v_fmac_f32_e32 v102, v101, v17
	v_sub_f32_e32 v107, v109, v15
	v_add_f32_e32 v17, v103, v102
	s_delay_alu instid0(VALU_DEP_1) | instskip(SKIP_1) | instid1(VALU_DEP_2)
	v_dual_add_f32 v13, v13, v107 :: v_dual_sub_f32 v106, v15, v17
	v_sub_f32_e32 v103, v17, v103
	v_sub_f32_e32 v15, v15, v106
	s_delay_alu instid0(VALU_DEP_1) | instskip(NEXT) | instid1(VALU_DEP_3)
	v_sub_f32_e32 v15, v15, v17
	v_sub_f32_e32 v17, v103, v102
	s_delay_alu instid0(VALU_DEP_2) | instskip(SKIP_1) | instid1(VALU_DEP_2)
	v_add_f32_e32 v13, v13, v15
	v_add_f32_e32 v15, v104, v101
	;; [unrolled: 1-line block ×3, first 2 shown]
	s_delay_alu instid0(VALU_DEP_2) | instskip(NEXT) | instid1(VALU_DEP_2)
	v_sub_f32_e32 v17, v15, v104
	v_add_f32_e32 v13, v106, v13
	s_delay_alu instid0(VALU_DEP_2) | instskip(NEXT) | instid1(VALU_DEP_2)
	v_sub_f32_e32 v17, v101, v17
	v_mul_f32_e32 v13, v14, v13
	s_delay_alu instid0(VALU_DEP_1) | instskip(NEXT) | instid1(VALU_DEP_1)
	v_add_f32_e32 v13, v17, v13
	v_add_f32_e32 v14, v15, v13
	s_delay_alu instid0(VALU_DEP_1) | instskip(NEXT) | instid1(VALU_DEP_1)
	v_mul_f32_e32 v17, v14, v14
	v_fmaak_f32 v101, s83, v17, 0x3ecc95a3
	v_mul_f32_e32 v102, v14, v17
	s_delay_alu instid0(VALU_DEP_2) | instskip(SKIP_2) | instid1(VALU_DEP_3)
	v_fmaak_f32 v17, v17, v101, 0x3f2aaada
	v_ldexp_f32 v101, v14, 1
	v_sub_f32_e32 v14, v14, v15
	v_dual_mul_f32 v17, v102, v17 :: v_dual_mul_f32 v102, 0x3f317218, v12
	s_delay_alu instid0(VALU_DEP_2) | instskip(NEXT) | instid1(VALU_DEP_2)
	v_sub_f32_e32 v13, v13, v14
	v_add_f32_e32 v15, v101, v17
	s_delay_alu instid0(VALU_DEP_2) | instskip(NEXT) | instid1(VALU_DEP_2)
	v_ldexp_f32 v13, v13, 1
	v_sub_f32_e32 v14, v15, v101
	v_fma_f32 v101, 0x3f317218, v12, -v102
	s_delay_alu instid0(VALU_DEP_1) | instskip(NEXT) | instid1(VALU_DEP_1)
	v_dual_sub_f32 v14, v17, v14 :: v_dual_fmac_f32 v101, 0xb102e308, v12
	v_dual_add_f32 v12, v13, v14 :: v_dual_add_f32 v13, v102, v101
	s_delay_alu instid0(VALU_DEP_1) | instskip(NEXT) | instid1(VALU_DEP_2)
	v_add_f32_e32 v14, v15, v12
	v_sub_f32_e32 v102, v13, v102
	s_delay_alu instid0(VALU_DEP_2) | instskip(SKIP_1) | instid1(VALU_DEP_3)
	v_add_f32_e32 v17, v13, v14
	v_sub_f32_e32 v15, v14, v15
	v_sub_f32_e32 v101, v101, v102
	s_delay_alu instid0(VALU_DEP_2) | instskip(NEXT) | instid1(VALU_DEP_1)
	v_dual_sub_f32 v103, v17, v13 :: v_dual_sub_f32 v12, v12, v15
	v_sub_f32_e32 v104, v17, v103
	s_delay_alu instid0(VALU_DEP_2) | instskip(NEXT) | instid1(VALU_DEP_2)
	v_dual_sub_f32 v14, v14, v103 :: v_dual_add_f32 v15, v101, v12
	v_sub_f32_e32 v13, v13, v104
	s_delay_alu instid0(VALU_DEP_1) | instskip(NEXT) | instid1(VALU_DEP_3)
	v_add_f32_e32 v13, v14, v13
	v_sub_f32_e32 v14, v15, v101
	s_delay_alu instid0(VALU_DEP_2) | instskip(NEXT) | instid1(VALU_DEP_2)
	v_add_f32_e32 v13, v15, v13
	v_sub_f32_e32 v15, v15, v14
	v_sub_f32_e32 v12, v12, v14
	s_delay_alu instid0(VALU_DEP_3) | instskip(NEXT) | instid1(VALU_DEP_1)
	v_add_f32_e32 v102, v17, v13
	v_dual_sub_f32 v15, v101, v15 :: v_dual_sub_f32 v14, v102, v17
	s_delay_alu instid0(VALU_DEP_1) | instskip(NEXT) | instid1(VALU_DEP_1)
	v_dual_add_f32 v12, v12, v15 :: v_dual_sub_f32 v13, v13, v14
	v_add_f32_e32 v12, v12, v13
	s_delay_alu instid0(VALU_DEP_1) | instskip(NEXT) | instid1(VALU_DEP_1)
	v_add_f32_e32 v12, v102, v12
	v_cndmask_b32_e32 v113, v12, v8, vcc_lo
.LBB16_94:                              ;   in Loop: Header=BB16_12 Depth=1
	s_or_b32 exec_lo, exec_lo, s29
	v_lshlrev_b32_e32 v8, 16, v9
	s_delay_alu instid0(VALU_DEP_1) | instskip(NEXT) | instid1(VALU_DEP_1)
	v_add_f32_e32 v116, s66, v8
	v_cmp_ge_f32_e32 vcc_lo, 0x41a00000, v116
	s_and_b32 s28, s79, vcc_lo
	s_delay_alu instid0(SALU_CYCLE_1)
	s_and_saveexec_b32 s29, s28
	s_cbranch_execz .LBB16_96
; %bb.95:                               ;   in Loop: Header=BB16_12 Depth=1
	v_mul_f32_e32 v8, 0x3fb8aa3b, v116
	v_cmp_ngt_f32_e32 vcc_lo, 0xc2ce8ed0, v116
	s_delay_alu instid0(VALU_DEP_2) | instskip(SKIP_1) | instid1(VALU_DEP_2)
	v_rndne_f32_e32 v12, v8
	v_fma_f32 v13, 0x3fb8aa3b, v116, -v8
	v_sub_f32_e32 v8, v8, v12
	s_delay_alu instid0(VALU_DEP_2) | instskip(SKIP_1) | instid1(VALU_DEP_2)
	v_fmac_f32_e32 v13, 0x32a5705f, v116
	v_cvt_i32_f32_e32 v12, v12
	v_add_f32_e32 v8, v8, v13
	s_delay_alu instid0(VALU_DEP_1) | instskip(SKIP_2) | instid1(VALU_DEP_1)
	v_exp_f32_e32 v8, v8
	s_waitcnt_depctr 0xfff
	v_ldexp_f32 v8, v8, v12
	v_cndmask_b32_e32 v8, 0, v8, vcc_lo
	v_cmp_nlt_f32_e32 vcc_lo, 0x42b17218, v116
	s_delay_alu instid0(VALU_DEP_2) | instskip(NEXT) | instid1(VALU_DEP_1)
	v_cndmask_b32_e32 v8, 0x7f800000, v8, vcc_lo
	v_add_f32_e32 v14, 1.0, v8
	s_delay_alu instid0(VALU_DEP_1) | instskip(NEXT) | instid1(VALU_DEP_1)
	v_cvt_f64_f32_e32 v[12:13], v14
	v_frexp_exp_i32_f64_e32 v12, v[12:13]
	v_frexp_mant_f32_e32 v13, v14
	s_delay_alu instid0(VALU_DEP_1) | instskip(SKIP_1) | instid1(VALU_DEP_1)
	v_cmp_gt_f32_e32 vcc_lo, 0x3f2aaaab, v13
	v_add_f32_e32 v13, -1.0, v14
	v_sub_f32_e32 v17, v13, v14
	v_sub_f32_e32 v13, v8, v13
	s_delay_alu instid0(VALU_DEP_2) | instskip(NEXT) | instid1(VALU_DEP_1)
	v_add_f32_e32 v17, 1.0, v17
	v_add_f32_e32 v13, v13, v17
	v_cmp_gt_f32_e64 s28, 0x33800000, v8
	v_subrev_co_ci_u32_e32 v12, vcc_lo, 0, v12, vcc_lo
	v_cmp_eq_f32_e32 vcc_lo, 0x7f800000, v8
	s_delay_alu instid0(VALU_DEP_2) | instskip(SKIP_2) | instid1(VALU_DEP_2)
	v_sub_nc_u32_e32 v15, 0, v12
	v_cvt_f32_i32_e32 v12, v12
	s_or_b32 vcc_lo, s28, vcc_lo
	v_ldexp_f32 v14, v14, v15
	v_ldexp_f32 v13, v13, v15
	s_delay_alu instid0(VALU_DEP_2) | instskip(SKIP_1) | instid1(VALU_DEP_1)
	v_add_f32_e32 v101, 1.0, v14
	v_add_f32_e32 v15, -1.0, v14
	v_dual_add_f32 v102, 1.0, v15 :: v_dual_add_f32 v17, -1.0, v101
	s_delay_alu instid0(VALU_DEP_1) | instskip(NEXT) | instid1(VALU_DEP_1)
	v_sub_f32_e32 v17, v14, v17
	v_dual_sub_f32 v14, v14, v102 :: v_dual_add_f32 v17, v13, v17
	s_delay_alu instid0(VALU_DEP_1) | instskip(NEXT) | instid1(VALU_DEP_2)
	v_add_f32_e32 v13, v13, v14
	v_add_f32_e32 v102, v101, v17
	s_delay_alu instid0(VALU_DEP_2) | instskip(NEXT) | instid1(VALU_DEP_2)
	v_add_f32_e32 v103, v15, v13
	v_rcp_f32_e32 v14, v102
	v_sub_f32_e32 v101, v101, v102
	s_delay_alu instid0(VALU_DEP_2) | instskip(SKIP_2) | instid1(VALU_DEP_1)
	v_sub_f32_e32 v15, v15, v103
	s_waitcnt_depctr 0xfff
	v_dual_add_f32 v13, v13, v15 :: v_dual_mul_f32 v104, v103, v14
	v_dual_mul_f32 v106, v102, v104 :: v_dual_add_f32 v17, v17, v101
	s_delay_alu instid0(VALU_DEP_1) | instskip(NEXT) | instid1(VALU_DEP_1)
	v_fma_f32 v101, v104, v102, -v106
	v_fmac_f32_e32 v101, v104, v17
	s_delay_alu instid0(VALU_DEP_1) | instskip(NEXT) | instid1(VALU_DEP_1)
	v_add_f32_e32 v107, v106, v101
	v_sub_f32_e32 v109, v103, v107
	v_sub_f32_e32 v15, v107, v106
	s_delay_alu instid0(VALU_DEP_2) | instskip(NEXT) | instid1(VALU_DEP_2)
	v_sub_f32_e32 v103, v103, v109
	v_sub_f32_e32 v15, v15, v101
	s_delay_alu instid0(VALU_DEP_2) | instskip(NEXT) | instid1(VALU_DEP_1)
	v_sub_f32_e32 v103, v103, v107
	v_add_f32_e32 v13, v13, v103
	s_delay_alu instid0(VALU_DEP_1) | instskip(NEXT) | instid1(VALU_DEP_1)
	v_add_f32_e32 v13, v15, v13
	v_add_f32_e32 v15, v109, v13
	s_delay_alu instid0(VALU_DEP_1) | instskip(NEXT) | instid1(VALU_DEP_1)
	v_mul_f32_e32 v101, v14, v15
	v_mul_f32_e32 v103, v102, v101
	s_delay_alu instid0(VALU_DEP_1) | instskip(NEXT) | instid1(VALU_DEP_1)
	v_fma_f32 v102, v101, v102, -v103
	v_fmac_f32_e32 v102, v101, v17
	v_sub_f32_e32 v107, v109, v15
	s_delay_alu instid0(VALU_DEP_2) | instskip(NEXT) | instid1(VALU_DEP_1)
	v_add_f32_e32 v17, v103, v102
	v_dual_add_f32 v13, v13, v107 :: v_dual_sub_f32 v106, v15, v17
	v_sub_f32_e32 v103, v17, v103
	s_delay_alu instid0(VALU_DEP_2) | instskip(NEXT) | instid1(VALU_DEP_1)
	v_sub_f32_e32 v15, v15, v106
	v_sub_f32_e32 v15, v15, v17
	s_delay_alu instid0(VALU_DEP_3) | instskip(NEXT) | instid1(VALU_DEP_2)
	v_sub_f32_e32 v17, v103, v102
	v_add_f32_e32 v13, v13, v15
	v_add_f32_e32 v15, v104, v101
	s_delay_alu instid0(VALU_DEP_2) | instskip(NEXT) | instid1(VALU_DEP_2)
	v_add_f32_e32 v13, v17, v13
	v_sub_f32_e32 v17, v15, v104
	s_delay_alu instid0(VALU_DEP_2) | instskip(NEXT) | instid1(VALU_DEP_2)
	v_add_f32_e32 v13, v106, v13
	v_sub_f32_e32 v17, v101, v17
	s_delay_alu instid0(VALU_DEP_2) | instskip(NEXT) | instid1(VALU_DEP_1)
	v_mul_f32_e32 v13, v14, v13
	v_add_f32_e32 v13, v17, v13
	s_delay_alu instid0(VALU_DEP_1) | instskip(NEXT) | instid1(VALU_DEP_1)
	v_add_f32_e32 v14, v15, v13
	v_mul_f32_e32 v17, v14, v14
	s_delay_alu instid0(VALU_DEP_1) | instskip(SKIP_1) | instid1(VALU_DEP_2)
	v_fmaak_f32 v101, s83, v17, 0x3ecc95a3
	v_mul_f32_e32 v102, v14, v17
	v_fmaak_f32 v17, v17, v101, 0x3f2aaada
	v_ldexp_f32 v101, v14, 1
	v_sub_f32_e32 v14, v14, v15
	s_delay_alu instid0(VALU_DEP_3) | instskip(NEXT) | instid1(VALU_DEP_2)
	v_dual_mul_f32 v17, v102, v17 :: v_dual_mul_f32 v102, 0x3f317218, v12
	v_sub_f32_e32 v13, v13, v14
	s_delay_alu instid0(VALU_DEP_2) | instskip(NEXT) | instid1(VALU_DEP_2)
	v_add_f32_e32 v15, v101, v17
	v_ldexp_f32 v13, v13, 1
	s_delay_alu instid0(VALU_DEP_2) | instskip(SKIP_1) | instid1(VALU_DEP_1)
	v_sub_f32_e32 v14, v15, v101
	v_fma_f32 v101, 0x3f317218, v12, -v102
	v_dual_sub_f32 v14, v17, v14 :: v_dual_fmac_f32 v101, 0xb102e308, v12
	s_delay_alu instid0(VALU_DEP_1) | instskip(NEXT) | instid1(VALU_DEP_1)
	v_dual_add_f32 v12, v13, v14 :: v_dual_add_f32 v13, v102, v101
	v_add_f32_e32 v14, v15, v12
	s_delay_alu instid0(VALU_DEP_2) | instskip(NEXT) | instid1(VALU_DEP_2)
	v_sub_f32_e32 v102, v13, v102
	v_add_f32_e32 v17, v13, v14
	v_sub_f32_e32 v15, v14, v15
	s_delay_alu instid0(VALU_DEP_3) | instskip(NEXT) | instid1(VALU_DEP_2)
	v_sub_f32_e32 v101, v101, v102
	v_dual_sub_f32 v103, v17, v13 :: v_dual_sub_f32 v12, v12, v15
	s_delay_alu instid0(VALU_DEP_1) | instskip(NEXT) | instid1(VALU_DEP_2)
	v_sub_f32_e32 v104, v17, v103
	v_dual_sub_f32 v14, v14, v103 :: v_dual_add_f32 v15, v101, v12
	s_delay_alu instid0(VALU_DEP_2) | instskip(NEXT) | instid1(VALU_DEP_1)
	v_sub_f32_e32 v13, v13, v104
	v_add_f32_e32 v13, v14, v13
	s_delay_alu instid0(VALU_DEP_3) | instskip(NEXT) | instid1(VALU_DEP_2)
	v_sub_f32_e32 v14, v15, v101
	v_add_f32_e32 v13, v15, v13
	s_delay_alu instid0(VALU_DEP_2) | instskip(SKIP_1) | instid1(VALU_DEP_3)
	v_sub_f32_e32 v15, v15, v14
	v_sub_f32_e32 v12, v12, v14
	v_add_f32_e32 v102, v17, v13
	s_delay_alu instid0(VALU_DEP_1) | instskip(NEXT) | instid1(VALU_DEP_1)
	v_dual_sub_f32 v15, v101, v15 :: v_dual_sub_f32 v14, v102, v17
	v_dual_add_f32 v12, v12, v15 :: v_dual_sub_f32 v13, v13, v14
	s_delay_alu instid0(VALU_DEP_1) | instskip(NEXT) | instid1(VALU_DEP_1)
	v_add_f32_e32 v12, v12, v13
	v_add_f32_e32 v12, v102, v12
	s_delay_alu instid0(VALU_DEP_1)
	v_cndmask_b32_e32 v116, v12, v8, vcc_lo
.LBB16_96:                              ;   in Loop: Header=BB16_12 Depth=1
	s_or_b32 exec_lo, exec_lo, s29
	v_and_b32_e32 v8, 0xffff0000, v9
	s_delay_alu instid0(VALU_DEP_1) | instskip(NEXT) | instid1(VALU_DEP_1)
	v_add_f32_e32 v121, s66, v8
	v_cmp_ge_f32_e32 vcc_lo, 0x41a00000, v121
	s_and_b32 s28, s79, vcc_lo
	s_delay_alu instid0(SALU_CYCLE_1)
	s_and_saveexec_b32 s29, s28
	s_cbranch_execz .LBB16_98
; %bb.97:                               ;   in Loop: Header=BB16_12 Depth=1
	v_mul_f32_e32 v8, 0x3fb8aa3b, v121
	v_cmp_ngt_f32_e32 vcc_lo, 0xc2ce8ed0, v121
	s_delay_alu instid0(VALU_DEP_2) | instskip(SKIP_1) | instid1(VALU_DEP_2)
	v_rndne_f32_e32 v9, v8
	v_fma_f32 v12, 0x3fb8aa3b, v121, -v8
	v_sub_f32_e32 v8, v8, v9
	s_delay_alu instid0(VALU_DEP_2) | instskip(SKIP_1) | instid1(VALU_DEP_2)
	v_fmac_f32_e32 v12, 0x32a5705f, v121
	v_cvt_i32_f32_e32 v9, v9
	v_add_f32_e32 v8, v8, v12
	s_delay_alu instid0(VALU_DEP_1) | instskip(SKIP_2) | instid1(VALU_DEP_1)
	v_exp_f32_e32 v8, v8
	s_waitcnt_depctr 0xfff
	v_ldexp_f32 v8, v8, v9
	v_cndmask_b32_e32 v8, 0, v8, vcc_lo
	v_cmp_nlt_f32_e32 vcc_lo, 0x42b17218, v121
	s_delay_alu instid0(VALU_DEP_2) | instskip(NEXT) | instid1(VALU_DEP_1)
	v_cndmask_b32_e32 v12, 0x7f800000, v8, vcc_lo
	v_add_f32_e32 v13, 1.0, v12
	s_delay_alu instid0(VALU_DEP_1) | instskip(NEXT) | instid1(VALU_DEP_1)
	v_cvt_f64_f32_e32 v[8:9], v13
	v_frexp_exp_i32_f64_e32 v8, v[8:9]
	v_frexp_mant_f32_e32 v9, v13
	s_delay_alu instid0(VALU_DEP_1) | instskip(SKIP_1) | instid1(VALU_DEP_1)
	v_cmp_gt_f32_e32 vcc_lo, 0x3f2aaaab, v9
	v_add_f32_e32 v9, -1.0, v13
	v_sub_f32_e32 v15, v9, v13
	s_delay_alu instid0(VALU_DEP_1) | instskip(SKIP_1) | instid1(VALU_DEP_1)
	v_add_f32_e32 v15, 1.0, v15
	v_subrev_co_ci_u32_e32 v8, vcc_lo, 0, v8, vcc_lo
	v_sub_nc_u32_e32 v14, 0, v8
	v_cvt_f32_i32_e32 v8, v8
	s_delay_alu instid0(VALU_DEP_2) | instskip(NEXT) | instid1(VALU_DEP_1)
	v_ldexp_f32 v13, v13, v14
	v_add_f32_e32 v17, 1.0, v13
	v_sub_f32_e32 v9, v12, v9
	v_cmp_eq_f32_e32 vcc_lo, 0x7f800000, v12
	v_cmp_gt_f32_e64 s28, 0x33800000, v12
	s_delay_alu instid0(VALU_DEP_3) | instskip(NEXT) | instid1(VALU_DEP_2)
	v_add_f32_e32 v9, v9, v15
	s_or_b32 vcc_lo, s28, vcc_lo
	s_delay_alu instid0(VALU_DEP_1) | instskip(SKIP_2) | instid1(VALU_DEP_1)
	v_ldexp_f32 v9, v9, v14
	v_add_f32_e32 v14, -1.0, v13
	v_add_f32_e32 v15, -1.0, v17
	v_sub_f32_e32 v15, v13, v15
	s_delay_alu instid0(VALU_DEP_3) | instskip(NEXT) | instid1(VALU_DEP_2)
	v_add_f32_e32 v101, 1.0, v14
	v_add_f32_e32 v15, v9, v15
	s_delay_alu instid0(VALU_DEP_2) | instskip(NEXT) | instid1(VALU_DEP_2)
	v_sub_f32_e32 v13, v13, v101
	v_add_f32_e32 v101, v17, v15
	s_delay_alu instid0(VALU_DEP_2) | instskip(NEXT) | instid1(VALU_DEP_2)
	v_add_f32_e32 v9, v9, v13
	v_rcp_f32_e32 v13, v101
	s_delay_alu instid0(VALU_DEP_1) | instskip(NEXT) | instid1(VALU_DEP_1)
	v_add_f32_e32 v102, v14, v9
	v_dual_sub_f32 v17, v17, v101 :: v_dual_sub_f32 v14, v14, v102
	s_delay_alu instid0(VALU_DEP_1) | instskip(SKIP_2) | instid1(VALU_DEP_1)
	v_add_f32_e32 v15, v15, v17
	s_waitcnt_depctr 0xfff
	v_mul_f32_e32 v103, v102, v13
	v_mul_f32_e32 v104, v101, v103
	s_delay_alu instid0(VALU_DEP_1) | instskip(NEXT) | instid1(VALU_DEP_1)
	v_fma_f32 v17, v103, v101, -v104
	v_fmac_f32_e32 v17, v103, v15
	s_delay_alu instid0(VALU_DEP_1) | instskip(NEXT) | instid1(VALU_DEP_1)
	v_add_f32_e32 v106, v104, v17
	v_sub_f32_e32 v107, v102, v106
	s_delay_alu instid0(VALU_DEP_1) | instskip(NEXT) | instid1(VALU_DEP_1)
	v_sub_f32_e32 v102, v102, v107
	v_sub_f32_e32 v102, v102, v106
	v_dual_add_f32 v9, v9, v14 :: v_dual_sub_f32 v14, v106, v104
	s_delay_alu instid0(VALU_DEP_1) | instskip(NEXT) | instid1(VALU_DEP_1)
	v_dual_sub_f32 v14, v14, v17 :: v_dual_add_f32 v9, v9, v102
	v_add_f32_e32 v9, v14, v9
	s_delay_alu instid0(VALU_DEP_1) | instskip(NEXT) | instid1(VALU_DEP_1)
	v_add_f32_e32 v14, v107, v9
	v_mul_f32_e32 v17, v13, v14
	s_delay_alu instid0(VALU_DEP_1) | instskip(NEXT) | instid1(VALU_DEP_1)
	v_mul_f32_e32 v102, v101, v17
	v_fma_f32 v101, v17, v101, -v102
	s_delay_alu instid0(VALU_DEP_1) | instskip(NEXT) | instid1(VALU_DEP_1)
	v_dual_fmac_f32 v101, v17, v15 :: v_dual_sub_f32 v106, v107, v14
	v_add_f32_e32 v15, v102, v101
	s_delay_alu instid0(VALU_DEP_1) | instskip(SKIP_1) | instid1(VALU_DEP_2)
	v_sub_f32_e32 v104, v14, v15
	v_sub_f32_e32 v102, v15, v102
	v_dual_add_f32 v9, v9, v106 :: v_dual_sub_f32 v14, v14, v104
	s_delay_alu instid0(VALU_DEP_1) | instskip(NEXT) | instid1(VALU_DEP_3)
	v_sub_f32_e32 v14, v14, v15
	v_sub_f32_e32 v15, v102, v101
	s_delay_alu instid0(VALU_DEP_2) | instskip(NEXT) | instid1(VALU_DEP_1)
	v_dual_add_f32 v9, v9, v14 :: v_dual_add_f32 v14, v103, v17
	v_add_f32_e32 v9, v15, v9
	s_delay_alu instid0(VALU_DEP_2) | instskip(NEXT) | instid1(VALU_DEP_2)
	v_sub_f32_e32 v15, v14, v103
	v_add_f32_e32 v9, v104, v9
	s_delay_alu instid0(VALU_DEP_2) | instskip(NEXT) | instid1(VALU_DEP_2)
	v_sub_f32_e32 v15, v17, v15
	v_mul_f32_e32 v9, v13, v9
	s_delay_alu instid0(VALU_DEP_1) | instskip(NEXT) | instid1(VALU_DEP_1)
	v_add_f32_e32 v9, v15, v9
	v_add_f32_e32 v13, v14, v9
	s_delay_alu instid0(VALU_DEP_1) | instskip(NEXT) | instid1(VALU_DEP_1)
	v_mul_f32_e32 v15, v13, v13
	v_fmaak_f32 v17, s83, v15, 0x3ecc95a3
	v_mul_f32_e32 v101, v13, v15
	s_delay_alu instid0(VALU_DEP_2) | instskip(SKIP_2) | instid1(VALU_DEP_3)
	v_fmaak_f32 v15, v15, v17, 0x3f2aaada
	v_ldexp_f32 v17, v13, 1
	v_sub_f32_e32 v13, v13, v14
	v_mul_f32_e32 v15, v101, v15
	v_mul_f32_e32 v101, 0x3f317218, v8
	s_delay_alu instid0(VALU_DEP_3) | instskip(NEXT) | instid1(VALU_DEP_3)
	v_sub_f32_e32 v9, v9, v13
	v_add_f32_e32 v14, v17, v15
	s_delay_alu instid0(VALU_DEP_2) | instskip(NEXT) | instid1(VALU_DEP_2)
	v_ldexp_f32 v9, v9, 1
	v_sub_f32_e32 v13, v14, v17
	v_fma_f32 v17, 0x3f317218, v8, -v101
	s_delay_alu instid0(VALU_DEP_2) | instskip(NEXT) | instid1(VALU_DEP_1)
	v_sub_f32_e32 v13, v15, v13
	v_dual_fmac_f32 v17, 0xb102e308, v8 :: v_dual_add_f32 v8, v9, v13
	s_delay_alu instid0(VALU_DEP_1) | instskip(NEXT) | instid1(VALU_DEP_2)
	v_add_f32_e32 v9, v101, v17
	v_add_f32_e32 v13, v14, v8
	s_delay_alu instid0(VALU_DEP_2) | instskip(NEXT) | instid1(VALU_DEP_2)
	v_sub_f32_e32 v101, v9, v101
	v_add_f32_e32 v15, v9, v13
	v_sub_f32_e32 v14, v13, v14
	s_delay_alu instid0(VALU_DEP_3) | instskip(NEXT) | instid1(VALU_DEP_3)
	v_sub_f32_e32 v17, v17, v101
	v_sub_f32_e32 v102, v15, v9
	s_delay_alu instid0(VALU_DEP_3) | instskip(NEXT) | instid1(VALU_DEP_2)
	v_sub_f32_e32 v8, v8, v14
	v_sub_f32_e32 v103, v15, v102
	;; [unrolled: 1-line block ×3, first 2 shown]
	s_delay_alu instid0(VALU_DEP_3) | instskip(NEXT) | instid1(VALU_DEP_3)
	v_add_f32_e32 v14, v17, v8
	v_sub_f32_e32 v9, v9, v103
	s_delay_alu instid0(VALU_DEP_1) | instskip(NEXT) | instid1(VALU_DEP_3)
	v_add_f32_e32 v9, v13, v9
	v_sub_f32_e32 v13, v14, v17
	s_delay_alu instid0(VALU_DEP_2) | instskip(NEXT) | instid1(VALU_DEP_2)
	v_add_f32_e32 v9, v14, v9
	v_sub_f32_e32 v14, v14, v13
	v_sub_f32_e32 v8, v8, v13
	s_delay_alu instid0(VALU_DEP_2) | instskip(NEXT) | instid1(VALU_DEP_1)
	v_dual_add_f32 v101, v15, v9 :: v_dual_sub_f32 v14, v17, v14
	v_dual_sub_f32 v13, v101, v15 :: v_dual_add_f32 v8, v8, v14
	s_delay_alu instid0(VALU_DEP_1) | instskip(NEXT) | instid1(VALU_DEP_1)
	v_sub_f32_e32 v9, v9, v13
	v_add_f32_e32 v8, v8, v9
	s_delay_alu instid0(VALU_DEP_1) | instskip(NEXT) | instid1(VALU_DEP_1)
	v_add_f32_e32 v8, v101, v8
	v_cndmask_b32_e32 v121, v8, v12, vcc_lo
.LBB16_98:                              ;   in Loop: Header=BB16_12 Depth=1
	s_or_b32 exec_lo, exec_lo, s29
	v_lshlrev_b32_e32 v8, 16, v10
	s_delay_alu instid0(VALU_DEP_1) | instskip(NEXT) | instid1(VALU_DEP_1)
	v_add_f32_e32 v122, s66, v8
	v_cmp_ge_f32_e32 vcc_lo, 0x41a00000, v122
	s_and_b32 s28, s79, vcc_lo
	s_delay_alu instid0(SALU_CYCLE_1)
	s_and_saveexec_b32 s29, s28
	s_cbranch_execz .LBB16_100
; %bb.99:                               ;   in Loop: Header=BB16_12 Depth=1
	v_mul_f32_e32 v8, 0x3fb8aa3b, v122
	v_cmp_ngt_f32_e32 vcc_lo, 0xc2ce8ed0, v122
	s_delay_alu instid0(VALU_DEP_2) | instskip(SKIP_1) | instid1(VALU_DEP_2)
	v_rndne_f32_e32 v9, v8
	v_fma_f32 v12, 0x3fb8aa3b, v122, -v8
	v_sub_f32_e32 v8, v8, v9
	s_delay_alu instid0(VALU_DEP_2) | instskip(SKIP_1) | instid1(VALU_DEP_2)
	v_fmac_f32_e32 v12, 0x32a5705f, v122
	v_cvt_i32_f32_e32 v9, v9
	v_add_f32_e32 v8, v8, v12
	s_delay_alu instid0(VALU_DEP_1) | instskip(SKIP_2) | instid1(VALU_DEP_1)
	v_exp_f32_e32 v8, v8
	s_waitcnt_depctr 0xfff
	v_ldexp_f32 v8, v8, v9
	v_cndmask_b32_e32 v8, 0, v8, vcc_lo
	v_cmp_nlt_f32_e32 vcc_lo, 0x42b17218, v122
	s_delay_alu instid0(VALU_DEP_2) | instskip(NEXT) | instid1(VALU_DEP_1)
	v_cndmask_b32_e32 v12, 0x7f800000, v8, vcc_lo
	v_add_f32_e32 v13, 1.0, v12
	s_delay_alu instid0(VALU_DEP_1) | instskip(NEXT) | instid1(VALU_DEP_1)
	v_cvt_f64_f32_e32 v[8:9], v13
	v_frexp_exp_i32_f64_e32 v8, v[8:9]
	v_frexp_mant_f32_e32 v9, v13
	s_delay_alu instid0(VALU_DEP_1) | instskip(SKIP_1) | instid1(VALU_DEP_1)
	v_cmp_gt_f32_e32 vcc_lo, 0x3f2aaaab, v9
	v_add_f32_e32 v9, -1.0, v13
	v_sub_f32_e32 v15, v9, v13
	s_delay_alu instid0(VALU_DEP_1) | instskip(SKIP_1) | instid1(VALU_DEP_1)
	v_add_f32_e32 v15, 1.0, v15
	v_subrev_co_ci_u32_e32 v8, vcc_lo, 0, v8, vcc_lo
	v_sub_nc_u32_e32 v14, 0, v8
	v_cvt_f32_i32_e32 v8, v8
	s_delay_alu instid0(VALU_DEP_2) | instskip(NEXT) | instid1(VALU_DEP_1)
	v_ldexp_f32 v13, v13, v14
	v_add_f32_e32 v17, 1.0, v13
	v_sub_f32_e32 v9, v12, v9
	v_cmp_eq_f32_e32 vcc_lo, 0x7f800000, v12
	v_cmp_gt_f32_e64 s28, 0x33800000, v12
	s_delay_alu instid0(VALU_DEP_3) | instskip(SKIP_1) | instid1(VALU_DEP_3)
	v_add_f32_e32 v9, v9, v15
	v_add_f32_e32 v15, -1.0, v17
	s_or_b32 vcc_lo, s28, vcc_lo
	s_delay_alu instid0(VALU_DEP_2) | instskip(NEXT) | instid1(VALU_DEP_2)
	v_ldexp_f32 v9, v9, v14
	v_dual_add_f32 v14, -1.0, v13 :: v_dual_sub_f32 v15, v13, v15
	s_delay_alu instid0(VALU_DEP_1) | instskip(NEXT) | instid1(VALU_DEP_2)
	v_add_f32_e32 v101, 1.0, v14
	v_add_f32_e32 v15, v9, v15
	s_delay_alu instid0(VALU_DEP_2) | instskip(NEXT) | instid1(VALU_DEP_1)
	v_sub_f32_e32 v13, v13, v101
	v_add_f32_e32 v9, v9, v13
	s_delay_alu instid0(VALU_DEP_1) | instskip(NEXT) | instid1(VALU_DEP_1)
	v_add_f32_e32 v102, v14, v9
	v_dual_sub_f32 v14, v14, v102 :: v_dual_add_f32 v101, v17, v15
	s_delay_alu instid0(VALU_DEP_1) | instskip(SKIP_1) | instid1(VALU_DEP_1)
	v_rcp_f32_e32 v13, v101
	v_sub_f32_e32 v17, v17, v101
	v_add_f32_e32 v15, v15, v17
	s_waitcnt_depctr 0xfff
	v_mul_f32_e32 v103, v102, v13
	s_delay_alu instid0(VALU_DEP_1) | instskip(NEXT) | instid1(VALU_DEP_1)
	v_mul_f32_e32 v104, v101, v103
	v_fma_f32 v17, v103, v101, -v104
	s_delay_alu instid0(VALU_DEP_1) | instskip(NEXT) | instid1(VALU_DEP_1)
	v_fmac_f32_e32 v17, v103, v15
	v_add_f32_e32 v106, v104, v17
	s_delay_alu instid0(VALU_DEP_1) | instskip(NEXT) | instid1(VALU_DEP_1)
	v_sub_f32_e32 v107, v102, v106
	v_sub_f32_e32 v102, v102, v107
	s_delay_alu instid0(VALU_DEP_1) | instskip(SKIP_1) | instid1(VALU_DEP_1)
	v_sub_f32_e32 v102, v102, v106
	v_dual_add_f32 v9, v9, v14 :: v_dual_sub_f32 v14, v106, v104
	v_dual_sub_f32 v14, v14, v17 :: v_dual_add_f32 v9, v9, v102
	s_delay_alu instid0(VALU_DEP_1) | instskip(NEXT) | instid1(VALU_DEP_1)
	v_add_f32_e32 v9, v14, v9
	v_add_f32_e32 v14, v107, v9
	s_delay_alu instid0(VALU_DEP_1) | instskip(NEXT) | instid1(VALU_DEP_1)
	v_mul_f32_e32 v17, v13, v14
	v_mul_f32_e32 v102, v101, v17
	s_delay_alu instid0(VALU_DEP_1) | instskip(NEXT) | instid1(VALU_DEP_1)
	v_fma_f32 v101, v17, v101, -v102
	v_dual_fmac_f32 v101, v17, v15 :: v_dual_sub_f32 v106, v107, v14
	s_delay_alu instid0(VALU_DEP_1) | instskip(NEXT) | instid1(VALU_DEP_1)
	v_add_f32_e32 v15, v102, v101
	v_sub_f32_e32 v104, v14, v15
	v_sub_f32_e32 v102, v15, v102
	s_delay_alu instid0(VALU_DEP_2) | instskip(NEXT) | instid1(VALU_DEP_1)
	v_dual_add_f32 v9, v9, v106 :: v_dual_sub_f32 v14, v14, v104
	v_sub_f32_e32 v14, v14, v15
	s_delay_alu instid0(VALU_DEP_3) | instskip(NEXT) | instid1(VALU_DEP_2)
	v_sub_f32_e32 v15, v102, v101
	v_dual_add_f32 v9, v9, v14 :: v_dual_add_f32 v14, v103, v17
	s_delay_alu instid0(VALU_DEP_1) | instskip(NEXT) | instid1(VALU_DEP_2)
	v_add_f32_e32 v9, v15, v9
	v_sub_f32_e32 v15, v14, v103
	s_delay_alu instid0(VALU_DEP_2) | instskip(NEXT) | instid1(VALU_DEP_2)
	v_add_f32_e32 v9, v104, v9
	v_sub_f32_e32 v15, v17, v15
	s_delay_alu instid0(VALU_DEP_2) | instskip(NEXT) | instid1(VALU_DEP_1)
	v_mul_f32_e32 v9, v13, v9
	v_add_f32_e32 v9, v15, v9
	s_delay_alu instid0(VALU_DEP_1) | instskip(NEXT) | instid1(VALU_DEP_1)
	v_add_f32_e32 v13, v14, v9
	v_mul_f32_e32 v15, v13, v13
	s_delay_alu instid0(VALU_DEP_1) | instskip(SKIP_1) | instid1(VALU_DEP_2)
	v_fmaak_f32 v17, s83, v15, 0x3ecc95a3
	v_mul_f32_e32 v101, v13, v15
	v_fmaak_f32 v15, v15, v17, 0x3f2aaada
	v_ldexp_f32 v17, v13, 1
	v_sub_f32_e32 v13, v13, v14
	s_delay_alu instid0(VALU_DEP_3) | instskip(SKIP_1) | instid1(VALU_DEP_3)
	v_mul_f32_e32 v15, v101, v15
	v_mul_f32_e32 v101, 0x3f317218, v8
	v_sub_f32_e32 v9, v9, v13
	s_delay_alu instid0(VALU_DEP_3) | instskip(NEXT) | instid1(VALU_DEP_2)
	v_add_f32_e32 v14, v17, v15
	v_ldexp_f32 v9, v9, 1
	s_delay_alu instid0(VALU_DEP_2) | instskip(SKIP_1) | instid1(VALU_DEP_2)
	v_sub_f32_e32 v13, v14, v17
	v_fma_f32 v17, 0x3f317218, v8, -v101
	v_sub_f32_e32 v13, v15, v13
	s_delay_alu instid0(VALU_DEP_1) | instskip(NEXT) | instid1(VALU_DEP_1)
	v_dual_fmac_f32 v17, 0xb102e308, v8 :: v_dual_add_f32 v8, v9, v13
	v_add_f32_e32 v9, v101, v17
	s_delay_alu instid0(VALU_DEP_2) | instskip(NEXT) | instid1(VALU_DEP_2)
	v_add_f32_e32 v13, v14, v8
	v_sub_f32_e32 v101, v9, v101
	s_delay_alu instid0(VALU_DEP_2) | instskip(SKIP_1) | instid1(VALU_DEP_3)
	v_add_f32_e32 v15, v9, v13
	v_sub_f32_e32 v14, v13, v14
	v_sub_f32_e32 v17, v17, v101
	s_delay_alu instid0(VALU_DEP_3) | instskip(NEXT) | instid1(VALU_DEP_3)
	v_sub_f32_e32 v102, v15, v9
	v_sub_f32_e32 v8, v8, v14
	s_delay_alu instid0(VALU_DEP_2) | instskip(SKIP_1) | instid1(VALU_DEP_3)
	v_sub_f32_e32 v103, v15, v102
	v_sub_f32_e32 v13, v13, v102
	v_add_f32_e32 v14, v17, v8
	s_delay_alu instid0(VALU_DEP_3) | instskip(NEXT) | instid1(VALU_DEP_1)
	v_sub_f32_e32 v9, v9, v103
	v_add_f32_e32 v9, v13, v9
	s_delay_alu instid0(VALU_DEP_3) | instskip(NEXT) | instid1(VALU_DEP_2)
	v_sub_f32_e32 v13, v14, v17
	v_add_f32_e32 v9, v14, v9
	s_delay_alu instid0(VALU_DEP_2) | instskip(SKIP_1) | instid1(VALU_DEP_2)
	v_sub_f32_e32 v14, v14, v13
	v_sub_f32_e32 v8, v8, v13
	v_dual_add_f32 v101, v15, v9 :: v_dual_sub_f32 v14, v17, v14
	s_delay_alu instid0(VALU_DEP_1) | instskip(NEXT) | instid1(VALU_DEP_1)
	v_dual_sub_f32 v13, v101, v15 :: v_dual_add_f32 v8, v8, v14
	v_sub_f32_e32 v9, v9, v13
	s_delay_alu instid0(VALU_DEP_1) | instskip(NEXT) | instid1(VALU_DEP_1)
	v_add_f32_e32 v8, v8, v9
	v_add_f32_e32 v8, v101, v8
	s_delay_alu instid0(VALU_DEP_1)
	v_cndmask_b32_e32 v122, v8, v12, vcc_lo
.LBB16_100:                             ;   in Loop: Header=BB16_12 Depth=1
	s_or_b32 exec_lo, exec_lo, s29
	v_and_b32_e32 v8, 0xffff0000, v10
	s_delay_alu instid0(VALU_DEP_1) | instskip(NEXT) | instid1(VALU_DEP_1)
	v_add_f32_e32 v123, s66, v8
	v_cmp_ge_f32_e32 vcc_lo, 0x41a00000, v123
	s_and_b32 s28, s79, vcc_lo
	s_delay_alu instid0(SALU_CYCLE_1)
	s_and_saveexec_b32 s29, s28
	s_cbranch_execz .LBB16_102
; %bb.101:                              ;   in Loop: Header=BB16_12 Depth=1
	v_mul_f32_e32 v8, 0x3fb8aa3b, v123
	v_cmp_ngt_f32_e32 vcc_lo, 0xc2ce8ed0, v123
	s_delay_alu instid0(VALU_DEP_2) | instskip(SKIP_1) | instid1(VALU_DEP_2)
	v_rndne_f32_e32 v9, v8
	v_fma_f32 v10, 0x3fb8aa3b, v123, -v8
	v_sub_f32_e32 v8, v8, v9
	s_delay_alu instid0(VALU_DEP_2) | instskip(SKIP_1) | instid1(VALU_DEP_2)
	v_fmac_f32_e32 v10, 0x32a5705f, v123
	v_cvt_i32_f32_e32 v9, v9
	v_add_f32_e32 v8, v8, v10
	s_delay_alu instid0(VALU_DEP_1) | instskip(SKIP_2) | instid1(VALU_DEP_1)
	v_exp_f32_e32 v8, v8
	s_waitcnt_depctr 0xfff
	v_ldexp_f32 v8, v8, v9
	v_cndmask_b32_e32 v8, 0, v8, vcc_lo
	v_cmp_nlt_f32_e32 vcc_lo, 0x42b17218, v123
	s_delay_alu instid0(VALU_DEP_2) | instskip(NEXT) | instid1(VALU_DEP_1)
	v_cndmask_b32_e32 v10, 0x7f800000, v8, vcc_lo
	v_add_f32_e32 v12, 1.0, v10
	s_delay_alu instid0(VALU_DEP_1) | instskip(NEXT) | instid1(VALU_DEP_1)
	v_cvt_f64_f32_e32 v[8:9], v12
	v_frexp_exp_i32_f64_e32 v8, v[8:9]
	v_frexp_mant_f32_e32 v9, v12
	s_delay_alu instid0(VALU_DEP_1) | instskip(SKIP_1) | instid1(VALU_DEP_1)
	v_cmp_gt_f32_e32 vcc_lo, 0x3f2aaaab, v9
	v_add_f32_e32 v9, -1.0, v12
	v_dual_sub_f32 v14, v9, v12 :: v_dual_sub_f32 v9, v10, v9
	v_subrev_co_ci_u32_e32 v8, vcc_lo, 0, v8, vcc_lo
	s_delay_alu instid0(VALU_DEP_1) | instskip(SKIP_1) | instid1(VALU_DEP_2)
	v_sub_nc_u32_e32 v13, 0, v8
	v_cvt_f32_i32_e32 v8, v8
	v_ldexp_f32 v12, v12, v13
	s_delay_alu instid0(VALU_DEP_1) | instskip(NEXT) | instid1(VALU_DEP_1)
	v_dual_add_f32 v14, 1.0, v14 :: v_dual_add_f32 v15, 1.0, v12
	v_add_f32_e32 v9, v9, v14
	s_delay_alu instid0(VALU_DEP_1) | instskip(NEXT) | instid1(VALU_DEP_3)
	v_ldexp_f32 v9, v9, v13
	v_dual_add_f32 v13, -1.0, v12 :: v_dual_add_f32 v14, -1.0, v15
	s_delay_alu instid0(VALU_DEP_1) | instskip(NEXT) | instid1(VALU_DEP_1)
	v_dual_add_f32 v17, 1.0, v13 :: v_dual_sub_f32 v14, v12, v14
	v_sub_f32_e32 v12, v12, v17
	s_delay_alu instid0(VALU_DEP_2) | instskip(NEXT) | instid1(VALU_DEP_2)
	v_add_f32_e32 v14, v9, v14
	v_add_f32_e32 v9, v9, v12
	s_delay_alu instid0(VALU_DEP_2) | instskip(SKIP_2) | instid1(VALU_DEP_4)
	v_add_f32_e32 v17, v15, v14
	v_cmp_eq_f32_e32 vcc_lo, 0x7f800000, v10
	v_cmp_gt_f32_e64 s28, 0x33800000, v10
	v_add_f32_e32 v101, v13, v9
	s_delay_alu instid0(VALU_DEP_4) | instskip(SKIP_1) | instid1(VALU_DEP_3)
	v_rcp_f32_e32 v12, v17
	v_sub_f32_e32 v15, v15, v17
	s_or_b32 vcc_lo, s28, vcc_lo
	s_delay_alu instid0(VALU_DEP_1) | instskip(NEXT) | instid1(VALU_DEP_1)
	v_dual_sub_f32 v13, v13, v101 :: v_dual_add_f32 v14, v14, v15
	v_add_f32_e32 v9, v9, v13
	s_waitcnt_depctr 0xfff
	v_mul_f32_e32 v102, v101, v12
	s_delay_alu instid0(VALU_DEP_1) | instskip(NEXT) | instid1(VALU_DEP_1)
	v_mul_f32_e32 v103, v17, v102
	v_fma_f32 v15, v102, v17, -v103
	s_delay_alu instid0(VALU_DEP_1) | instskip(NEXT) | instid1(VALU_DEP_1)
	v_fmac_f32_e32 v15, v102, v14
	v_add_f32_e32 v104, v103, v15
	s_delay_alu instid0(VALU_DEP_1) | instskip(NEXT) | instid1(VALU_DEP_1)
	v_dual_sub_f32 v106, v101, v104 :: v_dual_sub_f32 v13, v104, v103
	v_sub_f32_e32 v101, v101, v106
	s_delay_alu instid0(VALU_DEP_2) | instskip(NEXT) | instid1(VALU_DEP_2)
	v_sub_f32_e32 v13, v13, v15
	v_sub_f32_e32 v101, v101, v104
	s_delay_alu instid0(VALU_DEP_1) | instskip(NEXT) | instid1(VALU_DEP_1)
	v_add_f32_e32 v9, v9, v101
	v_add_f32_e32 v9, v13, v9
	s_delay_alu instid0(VALU_DEP_1) | instskip(NEXT) | instid1(VALU_DEP_1)
	v_add_f32_e32 v13, v106, v9
	v_mul_f32_e32 v15, v12, v13
	s_delay_alu instid0(VALU_DEP_1) | instskip(NEXT) | instid1(VALU_DEP_1)
	v_dual_sub_f32 v104, v106, v13 :: v_dual_mul_f32 v101, v17, v15
	v_add_f32_e32 v9, v9, v104
	s_delay_alu instid0(VALU_DEP_2) | instskip(NEXT) | instid1(VALU_DEP_1)
	v_fma_f32 v17, v15, v17, -v101
	v_fmac_f32_e32 v17, v15, v14
	s_delay_alu instid0(VALU_DEP_1) | instskip(NEXT) | instid1(VALU_DEP_1)
	v_add_f32_e32 v14, v101, v17
	v_sub_f32_e32 v103, v13, v14
	s_delay_alu instid0(VALU_DEP_1) | instskip(NEXT) | instid1(VALU_DEP_1)
	v_sub_f32_e32 v13, v13, v103
	v_sub_f32_e32 v13, v13, v14
	s_delay_alu instid0(VALU_DEP_1) | instskip(SKIP_2) | instid1(VALU_DEP_1)
	v_add_f32_e32 v9, v9, v13
	v_add_f32_e32 v13, v102, v15
	v_sub_f32_e32 v101, v14, v101
	v_sub_f32_e32 v14, v101, v17
	s_delay_alu instid0(VALU_DEP_1) | instskip(NEXT) | instid1(VALU_DEP_1)
	v_dual_add_f32 v9, v14, v9 :: v_dual_sub_f32 v14, v13, v102
	v_add_f32_e32 v9, v103, v9
	s_delay_alu instid0(VALU_DEP_1) | instskip(NEXT) | instid1(VALU_DEP_1)
	v_dual_sub_f32 v14, v15, v14 :: v_dual_mul_f32 v9, v12, v9
	v_add_f32_e32 v9, v14, v9
	s_delay_alu instid0(VALU_DEP_1) | instskip(NEXT) | instid1(VALU_DEP_1)
	v_add_f32_e32 v12, v13, v9
	v_mul_f32_e32 v14, v12, v12
	s_delay_alu instid0(VALU_DEP_1) | instskip(NEXT) | instid1(VALU_DEP_1)
	v_fmaak_f32 v15, s83, v14, 0x3ecc95a3
	v_dual_mul_f32 v17, v12, v14 :: v_dual_fmaak_f32 v14, v14, v15, 0x3f2aaada
	v_ldexp_f32 v15, v12, 1
	v_sub_f32_e32 v12, v12, v13
	s_delay_alu instid0(VALU_DEP_3) | instskip(NEXT) | instid1(VALU_DEP_2)
	v_dual_mul_f32 v14, v17, v14 :: v_dual_mul_f32 v17, 0x3f317218, v8
	v_sub_f32_e32 v9, v9, v12
	s_delay_alu instid0(VALU_DEP_2) | instskip(NEXT) | instid1(VALU_DEP_2)
	v_add_f32_e32 v13, v15, v14
	v_ldexp_f32 v9, v9, 1
	s_delay_alu instid0(VALU_DEP_2) | instskip(SKIP_1) | instid1(VALU_DEP_2)
	v_sub_f32_e32 v12, v13, v15
	v_fma_f32 v15, 0x3f317218, v8, -v17
	v_sub_f32_e32 v12, v14, v12
	s_delay_alu instid0(VALU_DEP_2) | instskip(NEXT) | instid1(VALU_DEP_2)
	v_fmac_f32_e32 v15, 0xb102e308, v8
	v_add_f32_e32 v8, v9, v12
	s_delay_alu instid0(VALU_DEP_2) | instskip(NEXT) | instid1(VALU_DEP_2)
	v_add_f32_e32 v9, v17, v15
	v_add_f32_e32 v12, v13, v8
	s_delay_alu instid0(VALU_DEP_2) | instskip(NEXT) | instid1(VALU_DEP_2)
	v_sub_f32_e32 v17, v9, v17
	v_dual_add_f32 v14, v9, v12 :: v_dual_sub_f32 v13, v12, v13
	s_delay_alu instid0(VALU_DEP_2) | instskip(NEXT) | instid1(VALU_DEP_2)
	v_sub_f32_e32 v15, v15, v17
	v_sub_f32_e32 v101, v14, v9
	s_delay_alu instid0(VALU_DEP_3) | instskip(NEXT) | instid1(VALU_DEP_2)
	v_sub_f32_e32 v8, v8, v13
	v_sub_f32_e32 v102, v14, v101
	s_delay_alu instid0(VALU_DEP_2) | instskip(NEXT) | instid1(VALU_DEP_2)
	v_dual_sub_f32 v12, v12, v101 :: v_dual_add_f32 v13, v15, v8
	v_sub_f32_e32 v9, v9, v102
	s_delay_alu instid0(VALU_DEP_1) | instskip(NEXT) | instid1(VALU_DEP_1)
	v_dual_add_f32 v9, v12, v9 :: v_dual_sub_f32 v12, v13, v15
	v_add_f32_e32 v9, v13, v9
	s_delay_alu instid0(VALU_DEP_2) | instskip(NEXT) | instid1(VALU_DEP_2)
	v_sub_f32_e32 v13, v13, v12
	v_dual_sub_f32 v8, v8, v12 :: v_dual_add_f32 v17, v14, v9
	s_delay_alu instid0(VALU_DEP_1) | instskip(NEXT) | instid1(VALU_DEP_1)
	v_dual_sub_f32 v13, v15, v13 :: v_dual_sub_f32 v12, v17, v14
	v_dual_add_f32 v8, v8, v13 :: v_dual_sub_f32 v9, v9, v12
	s_delay_alu instid0(VALU_DEP_1) | instskip(NEXT) | instid1(VALU_DEP_1)
	v_add_f32_e32 v8, v8, v9
	v_add_f32_e32 v8, v17, v8
	s_delay_alu instid0(VALU_DEP_1)
	v_cndmask_b32_e32 v123, v8, v10, vcc_lo
.LBB16_102:                             ;   in Loop: Header=BB16_12 Depth=1
	s_or_b32 exec_lo, exec_lo, s29
	v_lshlrev_b32_e32 v8, 16, v11
	s_delay_alu instid0(VALU_DEP_1) | instskip(NEXT) | instid1(VALU_DEP_1)
	v_add_f32_e32 v124, s66, v8
	v_cmp_ge_f32_e32 vcc_lo, 0x41a00000, v124
	s_and_b32 s28, s79, vcc_lo
	s_delay_alu instid0(SALU_CYCLE_1)
	s_and_saveexec_b32 s29, s28
	s_cbranch_execz .LBB16_104
; %bb.103:                              ;   in Loop: Header=BB16_12 Depth=1
	v_mul_f32_e32 v8, 0x3fb8aa3b, v124
	v_cmp_ngt_f32_e32 vcc_lo, 0xc2ce8ed0, v124
	s_delay_alu instid0(VALU_DEP_2) | instskip(SKIP_1) | instid1(VALU_DEP_2)
	v_rndne_f32_e32 v9, v8
	v_fma_f32 v10, 0x3fb8aa3b, v124, -v8
	v_sub_f32_e32 v8, v8, v9
	s_delay_alu instid0(VALU_DEP_2) | instskip(SKIP_1) | instid1(VALU_DEP_2)
	v_fmac_f32_e32 v10, 0x32a5705f, v124
	v_cvt_i32_f32_e32 v9, v9
	v_add_f32_e32 v8, v8, v10
	s_delay_alu instid0(VALU_DEP_1) | instskip(SKIP_2) | instid1(VALU_DEP_1)
	v_exp_f32_e32 v8, v8
	s_waitcnt_depctr 0xfff
	v_ldexp_f32 v8, v8, v9
	v_cndmask_b32_e32 v8, 0, v8, vcc_lo
	v_cmp_nlt_f32_e32 vcc_lo, 0x42b17218, v124
	s_delay_alu instid0(VALU_DEP_2) | instskip(NEXT) | instid1(VALU_DEP_1)
	v_cndmask_b32_e32 v10, 0x7f800000, v8, vcc_lo
	v_add_f32_e32 v12, 1.0, v10
	s_delay_alu instid0(VALU_DEP_1) | instskip(NEXT) | instid1(VALU_DEP_1)
	v_cvt_f64_f32_e32 v[8:9], v12
	v_frexp_exp_i32_f64_e32 v8, v[8:9]
	v_frexp_mant_f32_e32 v9, v12
	s_delay_alu instid0(VALU_DEP_1) | instskip(SKIP_1) | instid1(VALU_DEP_1)
	v_cmp_gt_f32_e32 vcc_lo, 0x3f2aaaab, v9
	v_add_f32_e32 v9, -1.0, v12
	v_dual_sub_f32 v14, v9, v12 :: v_dual_sub_f32 v9, v10, v9
	v_subrev_co_ci_u32_e32 v8, vcc_lo, 0, v8, vcc_lo
	s_delay_alu instid0(VALU_DEP_1) | instskip(SKIP_1) | instid1(VALU_DEP_2)
	v_sub_nc_u32_e32 v13, 0, v8
	v_cvt_f32_i32_e32 v8, v8
	v_ldexp_f32 v12, v12, v13
	s_delay_alu instid0(VALU_DEP_1) | instskip(NEXT) | instid1(VALU_DEP_1)
	v_dual_add_f32 v14, 1.0, v14 :: v_dual_add_f32 v15, 1.0, v12
	v_add_f32_e32 v9, v9, v14
	s_delay_alu instid0(VALU_DEP_1) | instskip(NEXT) | instid1(VALU_DEP_3)
	v_ldexp_f32 v9, v9, v13
	v_dual_add_f32 v13, -1.0, v12 :: v_dual_add_f32 v14, -1.0, v15
	s_delay_alu instid0(VALU_DEP_1) | instskip(NEXT) | instid1(VALU_DEP_1)
	v_dual_add_f32 v17, 1.0, v13 :: v_dual_sub_f32 v14, v12, v14
	v_sub_f32_e32 v12, v12, v17
	s_delay_alu instid0(VALU_DEP_2) | instskip(NEXT) | instid1(VALU_DEP_2)
	v_add_f32_e32 v14, v9, v14
	v_add_f32_e32 v9, v9, v12
	s_delay_alu instid0(VALU_DEP_2) | instskip(SKIP_2) | instid1(VALU_DEP_4)
	v_add_f32_e32 v17, v15, v14
	v_cmp_eq_f32_e32 vcc_lo, 0x7f800000, v10
	v_cmp_gt_f32_e64 s28, 0x33800000, v10
	v_add_f32_e32 v101, v13, v9
	s_delay_alu instid0(VALU_DEP_4) | instskip(SKIP_1) | instid1(VALU_DEP_3)
	v_rcp_f32_e32 v12, v17
	v_sub_f32_e32 v15, v15, v17
	s_or_b32 vcc_lo, s28, vcc_lo
	s_delay_alu instid0(VALU_DEP_1) | instskip(NEXT) | instid1(VALU_DEP_1)
	v_dual_sub_f32 v13, v13, v101 :: v_dual_add_f32 v14, v14, v15
	v_add_f32_e32 v9, v9, v13
	s_waitcnt_depctr 0xfff
	v_mul_f32_e32 v102, v101, v12
	s_delay_alu instid0(VALU_DEP_1) | instskip(NEXT) | instid1(VALU_DEP_1)
	v_mul_f32_e32 v103, v17, v102
	v_fma_f32 v15, v102, v17, -v103
	s_delay_alu instid0(VALU_DEP_1) | instskip(NEXT) | instid1(VALU_DEP_1)
	v_fmac_f32_e32 v15, v102, v14
	v_add_f32_e32 v104, v103, v15
	s_delay_alu instid0(VALU_DEP_1) | instskip(NEXT) | instid1(VALU_DEP_1)
	v_dual_sub_f32 v106, v101, v104 :: v_dual_sub_f32 v13, v104, v103
	v_sub_f32_e32 v101, v101, v106
	s_delay_alu instid0(VALU_DEP_2) | instskip(NEXT) | instid1(VALU_DEP_2)
	v_sub_f32_e32 v13, v13, v15
	v_sub_f32_e32 v101, v101, v104
	s_delay_alu instid0(VALU_DEP_1) | instskip(NEXT) | instid1(VALU_DEP_1)
	v_add_f32_e32 v9, v9, v101
	v_add_f32_e32 v9, v13, v9
	s_delay_alu instid0(VALU_DEP_1) | instskip(NEXT) | instid1(VALU_DEP_1)
	v_add_f32_e32 v13, v106, v9
	v_mul_f32_e32 v15, v12, v13
	s_delay_alu instid0(VALU_DEP_1) | instskip(NEXT) | instid1(VALU_DEP_1)
	v_dual_sub_f32 v104, v106, v13 :: v_dual_mul_f32 v101, v17, v15
	v_add_f32_e32 v9, v9, v104
	s_delay_alu instid0(VALU_DEP_2) | instskip(NEXT) | instid1(VALU_DEP_1)
	v_fma_f32 v17, v15, v17, -v101
	v_fmac_f32_e32 v17, v15, v14
	s_delay_alu instid0(VALU_DEP_1) | instskip(NEXT) | instid1(VALU_DEP_1)
	v_add_f32_e32 v14, v101, v17
	v_sub_f32_e32 v103, v13, v14
	s_delay_alu instid0(VALU_DEP_1) | instskip(NEXT) | instid1(VALU_DEP_1)
	v_sub_f32_e32 v13, v13, v103
	v_sub_f32_e32 v13, v13, v14
	s_delay_alu instid0(VALU_DEP_1) | instskip(SKIP_2) | instid1(VALU_DEP_1)
	v_add_f32_e32 v9, v9, v13
	v_add_f32_e32 v13, v102, v15
	v_sub_f32_e32 v101, v14, v101
	v_sub_f32_e32 v14, v101, v17
	s_delay_alu instid0(VALU_DEP_1) | instskip(NEXT) | instid1(VALU_DEP_1)
	v_dual_add_f32 v9, v14, v9 :: v_dual_sub_f32 v14, v13, v102
	v_add_f32_e32 v9, v103, v9
	s_delay_alu instid0(VALU_DEP_1) | instskip(NEXT) | instid1(VALU_DEP_1)
	v_dual_sub_f32 v14, v15, v14 :: v_dual_mul_f32 v9, v12, v9
	v_add_f32_e32 v9, v14, v9
	s_delay_alu instid0(VALU_DEP_1) | instskip(NEXT) | instid1(VALU_DEP_1)
	v_add_f32_e32 v12, v13, v9
	v_mul_f32_e32 v14, v12, v12
	s_delay_alu instid0(VALU_DEP_1) | instskip(NEXT) | instid1(VALU_DEP_1)
	v_fmaak_f32 v15, s83, v14, 0x3ecc95a3
	v_dual_mul_f32 v17, v12, v14 :: v_dual_fmaak_f32 v14, v14, v15, 0x3f2aaada
	v_ldexp_f32 v15, v12, 1
	v_sub_f32_e32 v12, v12, v13
	s_delay_alu instid0(VALU_DEP_3) | instskip(NEXT) | instid1(VALU_DEP_2)
	v_dual_mul_f32 v14, v17, v14 :: v_dual_mul_f32 v17, 0x3f317218, v8
	v_sub_f32_e32 v9, v9, v12
	s_delay_alu instid0(VALU_DEP_2) | instskip(NEXT) | instid1(VALU_DEP_2)
	v_add_f32_e32 v13, v15, v14
	v_ldexp_f32 v9, v9, 1
	s_delay_alu instid0(VALU_DEP_2) | instskip(SKIP_1) | instid1(VALU_DEP_2)
	v_sub_f32_e32 v12, v13, v15
	v_fma_f32 v15, 0x3f317218, v8, -v17
	v_sub_f32_e32 v12, v14, v12
	s_delay_alu instid0(VALU_DEP_2) | instskip(NEXT) | instid1(VALU_DEP_2)
	v_fmac_f32_e32 v15, 0xb102e308, v8
	v_add_f32_e32 v8, v9, v12
	s_delay_alu instid0(VALU_DEP_2) | instskip(NEXT) | instid1(VALU_DEP_2)
	v_add_f32_e32 v9, v17, v15
	v_add_f32_e32 v12, v13, v8
	s_delay_alu instid0(VALU_DEP_2) | instskip(NEXT) | instid1(VALU_DEP_2)
	v_sub_f32_e32 v17, v9, v17
	v_dual_add_f32 v14, v9, v12 :: v_dual_sub_f32 v13, v12, v13
	s_delay_alu instid0(VALU_DEP_2) | instskip(NEXT) | instid1(VALU_DEP_2)
	v_sub_f32_e32 v15, v15, v17
	v_sub_f32_e32 v101, v14, v9
	s_delay_alu instid0(VALU_DEP_3) | instskip(NEXT) | instid1(VALU_DEP_2)
	v_sub_f32_e32 v8, v8, v13
	v_sub_f32_e32 v102, v14, v101
	s_delay_alu instid0(VALU_DEP_2) | instskip(NEXT) | instid1(VALU_DEP_2)
	v_dual_sub_f32 v12, v12, v101 :: v_dual_add_f32 v13, v15, v8
	v_sub_f32_e32 v9, v9, v102
	s_delay_alu instid0(VALU_DEP_1) | instskip(NEXT) | instid1(VALU_DEP_1)
	v_dual_add_f32 v9, v12, v9 :: v_dual_sub_f32 v12, v13, v15
	v_add_f32_e32 v9, v13, v9
	s_delay_alu instid0(VALU_DEP_2) | instskip(NEXT) | instid1(VALU_DEP_2)
	v_sub_f32_e32 v13, v13, v12
	v_dual_sub_f32 v8, v8, v12 :: v_dual_add_f32 v17, v14, v9
	s_delay_alu instid0(VALU_DEP_1) | instskip(NEXT) | instid1(VALU_DEP_1)
	v_dual_sub_f32 v13, v15, v13 :: v_dual_sub_f32 v12, v17, v14
	v_dual_add_f32 v8, v8, v13 :: v_dual_sub_f32 v9, v9, v12
	s_delay_alu instid0(VALU_DEP_1) | instskip(NEXT) | instid1(VALU_DEP_1)
	v_add_f32_e32 v8, v8, v9
	v_add_f32_e32 v8, v17, v8
	s_delay_alu instid0(VALU_DEP_1)
	v_cndmask_b32_e32 v124, v8, v10, vcc_lo
.LBB16_104:                             ;   in Loop: Header=BB16_12 Depth=1
	s_or_b32 exec_lo, exec_lo, s29
	v_and_b32_e32 v8, 0xffff0000, v11
	s_delay_alu instid0(VALU_DEP_1) | instskip(NEXT) | instid1(VALU_DEP_1)
	v_add_f32_e32 v125, s66, v8
	v_cmp_ge_f32_e32 vcc_lo, 0x41a00000, v125
	s_and_b32 s28, s79, vcc_lo
	s_delay_alu instid0(SALU_CYCLE_1)
	s_and_saveexec_b32 s29, s28
	s_cbranch_execz .LBB16_106
; %bb.105:                              ;   in Loop: Header=BB16_12 Depth=1
	v_mul_f32_e32 v8, 0x3fb8aa3b, v125
	v_cmp_ngt_f32_e32 vcc_lo, 0xc2ce8ed0, v125
	s_delay_alu instid0(VALU_DEP_2) | instskip(SKIP_1) | instid1(VALU_DEP_2)
	v_rndne_f32_e32 v9, v8
	v_fma_f32 v10, 0x3fb8aa3b, v125, -v8
	v_sub_f32_e32 v8, v8, v9
	s_delay_alu instid0(VALU_DEP_2) | instskip(SKIP_1) | instid1(VALU_DEP_2)
	v_fmac_f32_e32 v10, 0x32a5705f, v125
	v_cvt_i32_f32_e32 v9, v9
	v_add_f32_e32 v8, v8, v10
	s_delay_alu instid0(VALU_DEP_1) | instskip(SKIP_2) | instid1(VALU_DEP_1)
	v_exp_f32_e32 v8, v8
	s_waitcnt_depctr 0xfff
	v_ldexp_f32 v8, v8, v9
	v_cndmask_b32_e32 v8, 0, v8, vcc_lo
	v_cmp_nlt_f32_e32 vcc_lo, 0x42b17218, v125
	s_delay_alu instid0(VALU_DEP_2) | instskip(NEXT) | instid1(VALU_DEP_1)
	v_cndmask_b32_e32 v10, 0x7f800000, v8, vcc_lo
	v_add_f32_e32 v11, 1.0, v10
	s_delay_alu instid0(VALU_DEP_1) | instskip(NEXT) | instid1(VALU_DEP_1)
	v_cvt_f64_f32_e32 v[8:9], v11
	v_frexp_exp_i32_f64_e32 v8, v[8:9]
	v_frexp_mant_f32_e32 v9, v11
	s_delay_alu instid0(VALU_DEP_1) | instskip(SKIP_1) | instid1(VALU_DEP_1)
	v_cmp_gt_f32_e32 vcc_lo, 0x3f2aaaab, v9
	v_add_f32_e32 v9, -1.0, v11
	v_sub_f32_e32 v13, v9, v11
	v_sub_f32_e32 v9, v10, v9
	s_delay_alu instid0(VALU_DEP_2) | instskip(NEXT) | instid1(VALU_DEP_1)
	v_add_f32_e32 v13, 1.0, v13
	v_add_f32_e32 v9, v9, v13
	v_cmp_gt_f32_e64 s28, 0x33800000, v10
	v_subrev_co_ci_u32_e32 v8, vcc_lo, 0, v8, vcc_lo
	v_cmp_eq_f32_e32 vcc_lo, 0x7f800000, v10
	s_delay_alu instid0(VALU_DEP_2) | instskip(SKIP_2) | instid1(VALU_DEP_2)
	v_sub_nc_u32_e32 v12, 0, v8
	v_cvt_f32_i32_e32 v8, v8
	s_or_b32 vcc_lo, s28, vcc_lo
	v_ldexp_f32 v11, v11, v12
	v_ldexp_f32 v9, v9, v12
	s_delay_alu instid0(VALU_DEP_2) | instskip(NEXT) | instid1(VALU_DEP_1)
	v_add_f32_e32 v14, 1.0, v11
	v_dual_add_f32 v12, -1.0, v11 :: v_dual_add_f32 v13, -1.0, v14
	s_delay_alu instid0(VALU_DEP_1) | instskip(NEXT) | instid1(VALU_DEP_2)
	v_add_f32_e32 v15, 1.0, v12
	v_sub_f32_e32 v13, v11, v13
	s_delay_alu instid0(VALU_DEP_2) | instskip(NEXT) | instid1(VALU_DEP_2)
	v_sub_f32_e32 v11, v11, v15
	v_add_f32_e32 v13, v9, v13
	s_delay_alu instid0(VALU_DEP_2) | instskip(NEXT) | instid1(VALU_DEP_1)
	v_add_f32_e32 v9, v9, v11
	v_add_f32_e32 v17, v12, v9
	s_delay_alu instid0(VALU_DEP_3) | instskip(NEXT) | instid1(VALU_DEP_2)
	v_add_f32_e32 v15, v14, v13
	v_sub_f32_e32 v12, v12, v17
	s_delay_alu instid0(VALU_DEP_2) | instskip(SKIP_1) | instid1(VALU_DEP_1)
	v_rcp_f32_e32 v11, v15
	v_sub_f32_e32 v14, v14, v15
	v_add_f32_e32 v13, v13, v14
	s_waitcnt_depctr 0xfff
	v_mul_f32_e32 v101, v17, v11
	s_delay_alu instid0(VALU_DEP_1) | instskip(NEXT) | instid1(VALU_DEP_1)
	v_dual_mul_f32 v102, v15, v101 :: v_dual_add_f32 v9, v9, v12
	v_fma_f32 v14, v101, v15, -v102
	s_delay_alu instid0(VALU_DEP_1) | instskip(NEXT) | instid1(VALU_DEP_1)
	v_fmac_f32_e32 v14, v101, v13
	v_add_f32_e32 v103, v102, v14
	s_delay_alu instid0(VALU_DEP_1) | instskip(SKIP_1) | instid1(VALU_DEP_1)
	v_sub_f32_e32 v12, v103, v102
	v_sub_f32_e32 v104, v17, v103
	v_dual_sub_f32 v12, v12, v14 :: v_dual_sub_f32 v17, v17, v104
	s_delay_alu instid0(VALU_DEP_1) | instskip(NEXT) | instid1(VALU_DEP_1)
	v_sub_f32_e32 v17, v17, v103
	v_add_f32_e32 v9, v9, v17
	s_delay_alu instid0(VALU_DEP_1) | instskip(NEXT) | instid1(VALU_DEP_1)
	v_add_f32_e32 v9, v12, v9
	v_add_f32_e32 v12, v104, v9
	s_delay_alu instid0(VALU_DEP_1) | instskip(SKIP_1) | instid1(VALU_DEP_2)
	v_mul_f32_e32 v14, v11, v12
	v_sub_f32_e32 v103, v104, v12
	v_mul_f32_e32 v17, v15, v14
	s_delay_alu instid0(VALU_DEP_2) | instskip(NEXT) | instid1(VALU_DEP_2)
	v_add_f32_e32 v9, v9, v103
	v_fma_f32 v15, v14, v15, -v17
	s_delay_alu instid0(VALU_DEP_1) | instskip(NEXT) | instid1(VALU_DEP_1)
	v_fmac_f32_e32 v15, v14, v13
	v_add_f32_e32 v13, v17, v15
	s_delay_alu instid0(VALU_DEP_1) | instskip(NEXT) | instid1(VALU_DEP_1)
	v_sub_f32_e32 v102, v12, v13
	v_dual_sub_f32 v17, v13, v17 :: v_dual_sub_f32 v12, v12, v102
	s_delay_alu instid0(VALU_DEP_1) | instskip(NEXT) | instid1(VALU_DEP_1)
	v_dual_sub_f32 v12, v12, v13 :: v_dual_sub_f32 v13, v17, v15
	v_add_f32_e32 v9, v9, v12
	v_add_f32_e32 v12, v101, v14
	s_delay_alu instid0(VALU_DEP_2) | instskip(NEXT) | instid1(VALU_DEP_2)
	v_add_f32_e32 v9, v13, v9
	v_sub_f32_e32 v13, v12, v101
	s_delay_alu instid0(VALU_DEP_2) | instskip(NEXT) | instid1(VALU_DEP_2)
	v_add_f32_e32 v9, v102, v9
	v_sub_f32_e32 v13, v14, v13
	s_delay_alu instid0(VALU_DEP_2) | instskip(NEXT) | instid1(VALU_DEP_1)
	v_mul_f32_e32 v9, v11, v9
	v_add_f32_e32 v9, v13, v9
	s_delay_alu instid0(VALU_DEP_1) | instskip(NEXT) | instid1(VALU_DEP_1)
	v_add_f32_e32 v11, v12, v9
	v_mul_f32_e32 v13, v11, v11
	s_delay_alu instid0(VALU_DEP_1) | instskip(SKIP_1) | instid1(VALU_DEP_2)
	v_fmaak_f32 v14, s83, v13, 0x3ecc95a3
	v_mul_f32_e32 v15, v11, v13
	v_fmaak_f32 v13, v13, v14, 0x3f2aaada
	v_ldexp_f32 v14, v11, 1
	v_sub_f32_e32 v11, v11, v12
	s_delay_alu instid0(VALU_DEP_3) | instskip(SKIP_1) | instid1(VALU_DEP_2)
	v_mul_f32_e32 v13, v15, v13
	v_mul_f32_e32 v15, 0x3f317218, v8
	v_dual_sub_f32 v9, v9, v11 :: v_dual_add_f32 v12, v14, v13
	s_delay_alu instid0(VALU_DEP_1) | instskip(NEXT) | instid1(VALU_DEP_2)
	v_ldexp_f32 v9, v9, 1
	v_sub_f32_e32 v11, v12, v14
	s_delay_alu instid0(VALU_DEP_4) | instskip(NEXT) | instid1(VALU_DEP_1)
	v_fma_f32 v14, 0x3f317218, v8, -v15
	v_dual_sub_f32 v11, v13, v11 :: v_dual_fmac_f32 v14, 0xb102e308, v8
	s_delay_alu instid0(VALU_DEP_1) | instskip(NEXT) | instid1(VALU_DEP_1)
	v_dual_add_f32 v8, v9, v11 :: v_dual_add_f32 v9, v15, v14
	v_add_f32_e32 v11, v12, v8
	s_delay_alu instid0(VALU_DEP_2) | instskip(NEXT) | instid1(VALU_DEP_2)
	v_sub_f32_e32 v15, v9, v15
	v_dual_add_f32 v13, v9, v11 :: v_dual_sub_f32 v12, v11, v12
	s_delay_alu instid0(VALU_DEP_1) | instskip(NEXT) | instid1(VALU_DEP_1)
	v_dual_sub_f32 v14, v14, v15 :: v_dual_sub_f32 v17, v13, v9
	v_dual_sub_f32 v8, v8, v12 :: v_dual_sub_f32 v101, v13, v17
	s_delay_alu instid0(VALU_DEP_1) | instskip(NEXT) | instid1(VALU_DEP_2)
	v_dual_sub_f32 v11, v11, v17 :: v_dual_add_f32 v12, v14, v8
	v_sub_f32_e32 v9, v9, v101
	s_delay_alu instid0(VALU_DEP_1) | instskip(NEXT) | instid1(VALU_DEP_3)
	v_add_f32_e32 v9, v11, v9
	v_sub_f32_e32 v11, v12, v14
	s_delay_alu instid0(VALU_DEP_2) | instskip(NEXT) | instid1(VALU_DEP_2)
	v_add_f32_e32 v9, v12, v9
	v_sub_f32_e32 v12, v12, v11
	s_delay_alu instid0(VALU_DEP_2) | instskip(NEXT) | instid1(VALU_DEP_1)
	v_dual_sub_f32 v8, v8, v11 :: v_dual_add_f32 v15, v13, v9
	v_dual_sub_f32 v12, v14, v12 :: v_dual_sub_f32 v11, v15, v13
	s_delay_alu instid0(VALU_DEP_1) | instskip(NEXT) | instid1(VALU_DEP_1)
	v_dual_add_f32 v8, v8, v12 :: v_dual_sub_f32 v9, v9, v11
	v_add_f32_e32 v8, v8, v9
	s_delay_alu instid0(VALU_DEP_1) | instskip(NEXT) | instid1(VALU_DEP_1)
	v_add_f32_e32 v8, v15, v8
	v_cndmask_b32_e32 v125, v8, v10, vcc_lo
.LBB16_106:                             ;   in Loop: Header=BB16_12 Depth=1
	s_or_b32 exec_lo, exec_lo, s29
	v_and_b32_e32 v10, 0xffff0000, v5
	v_lshlrev_b32_e32 v5, 16, v5
	v_and_b32_e32 v9, 0xffff0000, v6
	v_and_b32_e32 v14, 0xffff0000, v7
	;; [unrolled: 1-line block ×4, first 2 shown]
	v_lshlrev_b32_e32 v1, 16, v1
	v_and_b32_e32 v12, 0xffff0000, v2
	v_lshlrev_b32_e32 v0, 16, v0
	v_lshlrev_b32_e32 v2, 16, v2
	v_mul_f32_e32 v106, s67, v5
	v_dual_mul_f32 v103, s67, v9 :: v_dual_lshlrev_b32 v8, 16, v7
	v_lshlrev_b32_e32 v6, 16, v6
	v_mul_f32_e32 v120, s67, v15
	s_delay_alu instid0(VALU_DEP_3)
	v_dual_mul_f32 v118, s67, v13 :: v_dual_mul_f32 v101, s67, v8
	v_mul_f32_e32 v119, s67, v0
	v_dual_mul_f32 v114, s67, v2 :: v_dual_and_b32 v11, 0xffff0000, v3
	v_and_b32_e32 v7, 0xffff0000, v4
	v_lshlrev_b32_e32 v3, 16, v3
	v_lshlrev_b32_e32 v4, 16, v4
	v_mul_f32_e32 v102, s67, v6
	v_mul_f32_e32 v112, s67, v11
	s_and_b32 vcc_lo, exec_lo, s80
	v_mul_f32_e32 v111, s67, v3
	v_mul_f32_e32 v109, s67, v4
	;; [unrolled: 1-line block ×3, first 2 shown]
	v_dual_mul_f32 v104, s67, v14 :: v_dual_mul_f32 v117, s67, v1
	v_dual_mul_f32 v110, s67, v7 :: v_dual_mul_f32 v115, s67, v12
	s_barrier
	buffer_gl0_inv
	s_cbranch_vccz .LBB16_202
; %bb.107:                              ;   in Loop: Header=BB16_12 Depth=1
	v_dual_mul_f32 v126, v125, v14 :: v_dual_mul_f32 v131, v124, v8
	v_add_co_u32 v14, s28, s61, v16
	s_delay_alu instid0(VALU_DEP_1) | instskip(SKIP_1) | instid1(VALU_DEP_1)
	v_add_co_ci_u32_e64 v17, null, s62, 0, s28
	v_add_co_u32 v16, s28, s49, v16
	v_add_co_ci_u32_e64 v130, null, s73, 0, s28
	s_delay_alu instid0(VALU_DEP_4) | instskip(NEXT) | instid1(VALU_DEP_4)
	v_add_co_u32 v127, vcc_lo, v14, v93
	v_add_co_ci_u32_e32 v128, vcc_lo, 0, v17, vcc_lo
	s_delay_alu instid0(VALU_DEP_4) | instskip(NEXT) | instid1(VALU_DEP_4)
	v_add_co_u32 v129, vcc_lo, v16, v93
	v_add_co_ci_u32_e32 v130, vcc_lo, 0, v130, vcc_lo
	v_cmp_gt_u32_e32 vcc_lo, s40, v18
	s_cmp_lg_u32 s85, 0
	v_cmp_gt_u32_e64 s30, s40, v79
	s_cselect_b32 s51, -1, 0
	s_cmp_eq_u32 s85, s82
	v_cmp_gt_u32_e64 s31, s40, v80
	s_cselect_b32 s86, -1, 0
	s_or_b32 s28, s81, vcc_lo
	v_cmp_gt_u32_e32 vcc_lo, s40, v78
	v_cmp_gt_u32_e64 s33, s40, v81
	v_cmp_gt_u32_e64 s34, s40, v82
	;; [unrolled: 1-line block ×4, first 2 shown]
	s_or_b32 s29, s81, vcc_lo
	v_cmp_gt_u32_e32 vcc_lo, s40, v83
	v_cmp_gt_u32_e64 s38, s40, v86
	v_cmp_gt_u32_e64 s39, s40, v87
	;; [unrolled: 1-line block ×4, first 2 shown]
	s_or_b32 s35, s81, vcc_lo
	v_cmp_gt_u32_e32 vcc_lo, s40, v88
	v_cmp_gt_u32_e64 s43, s40, v91
	v_cmp_gt_u32_e64 s44, s40, v92
	v_dual_mul_f32 v132, v123, v9 :: v_dual_mul_f32 v133, v122, v6
	v_dual_mul_f32 v134, v121, v10 :: v_dual_mul_f32 v135, v116, v5
	;; [unrolled: 1-line block ×7, first 2 shown]
	s_mov_b32 s64, 0
	s_or_b32 s30, s81, s30
	s_or_b32 s31, s81, s31
	;; [unrolled: 1-line block ×8, first 2 shown]
	s_or_b32 s40, s81, vcc_lo
	s_or_b32 s41, s81, s41
	s_or_b32 s42, s81, s42
	;; [unrolled: 1-line block ×4, first 2 shown]
	s_mov_b32 s52, s64
	s_mov_b32 s54, s64
	;; [unrolled: 1-line block ×5, first 2 shown]
	s_branch .LBB16_109
.LBB16_108:                             ;   in Loop: Header=BB16_109 Depth=2
	s_or_b32 exec_lo, exec_lo, s45
	v_cndmask_b32_e64 v9, v175, v11, s11
	v_cndmask_b32_e64 v10, v174, v10, s11
	s_add_i32 s87, s87, -1
	s_add_i32 s88, s88, 8
	s_add_i32 s58, s58, s74
	v_fma_f32 v9, v9, v149, v148
	v_mul_f32_e32 v10, v10, v149
	s_add_i32 s54, s54, s48
	s_add_i32 s52, s52, s60
	;; [unrolled: 1-line block ×3, first 2 shown]
	v_cndmask_b32_e64 v9, v9, v148, s10
	v_cndmask_b32_e64 v10, v10, v149, s10
	s_cmp_eq_u32 s87, 0
	s_waitcnt lgkmcnt(0)
	s_delay_alu instid0(VALU_DEP_1) | instskip(NEXT) | instid1(VALU_DEP_1)
	v_dual_fmac_f32 v9, v8, v10 :: v_dual_and_b32 v10, 0xffff0000, v5
	v_dual_fmac_f32 v12, v9, v151 :: v_dual_lshlrev_b32 v5, 16, v5
	s_delay_alu instid0(VALU_DEP_1) | instskip(NEXT) | instid1(VALU_DEP_1)
	v_fmac_f32_e32 v13, v12, v152
	v_fmac_f32_e32 v14, v13, v154
	s_delay_alu instid0(VALU_DEP_3) | instskip(NEXT) | instid1(VALU_DEP_2)
	v_fmac_f32_e32 v117, v13, v5
	v_fmac_f32_e32 v15, v14, v157
	s_delay_alu instid0(VALU_DEP_1) | instskip(NEXT) | instid1(VALU_DEP_1)
	v_fmac_f32_e32 v146, v15, v158
	v_fmac_f32_e32 v147, v146, v159
	s_delay_alu instid0(VALU_DEP_1) | instskip(NEXT) | instid1(VALU_DEP_1)
	v_fmac_f32_e32 v150, v147, v160
	v_dual_fmac_f32 v153, v150, v162 :: v_dual_and_b32 v8, 0xffff0000, v4
	v_lshlrev_b32_e32 v4, 16, v4
	s_delay_alu instid0(VALU_DEP_2) | instskip(SKIP_1) | instid1(VALU_DEP_3)
	v_dual_fmac_f32 v120, v12, v8 :: v_dual_fmac_f32 v155, v153, v163
	v_and_b32_e32 v11, 0xffff0000, v6
	v_dual_fmac_f32 v119, v9, v4 :: v_dual_and_b32 v16, 0xffff0000, v7
	s_delay_alu instid0(VALU_DEP_3) | instskip(NEXT) | instid1(VALU_DEP_3)
	v_dual_fmac_f32 v156, v155, v164 :: v_dual_lshlrev_b32 v7, 16, v7
	v_dual_fmac_f32 v115, v146, v11 :: v_dual_and_b32 v148, 0xffff0000, v1
	s_delay_alu instid0(VALU_DEP_2) | instskip(NEXT) | instid1(VALU_DEP_3)
	v_dual_fmac_f32 v112, v150, v16 :: v_dual_fmac_f32 v111, v147, v7
	v_dual_fmac_f32 v161, v156, v172 :: v_dual_lshlrev_b32 v6, 16, v6
	v_dual_fmac_f32 v118, v14, v10 :: v_dual_lshlrev_b32 v1, 16, v1
	s_delay_alu instid0(VALU_DEP_2) | instskip(SKIP_3) | instid1(VALU_DEP_4)
	v_fmac_f32_e32 v165, v161, v167
	v_and_b32_e32 v17, 0xffff0000, v0
	v_lshlrev_b32_e32 v0, 16, v0
	v_dual_fmac_f32 v114, v15, v6 :: v_dual_and_b32 v151, 0xffff0000, v3
	v_dual_fmac_f32 v166, v165, v169 :: v_dual_and_b32 v149, 0xffff0000, v2
	v_lshlrev_b32_e32 v2, 16, v2
	v_lshlrev_b32_e32 v3, 16, v3
	v_dual_fmac_f32 v109, v153, v0 :: v_dual_fmac_f32 v110, v155, v17
	s_delay_alu instid0(VALU_DEP_4) | instskip(SKIP_2) | instid1(VALU_DEP_3)
	v_fmac_f32_e32 v168, v166, v171
	v_dual_fmac_f32 v106, v156, v1 :: v_dual_fmac_f32 v107, v161, v148
	v_dual_fmac_f32 v102, v165, v2 :: v_dual_fmac_f32 v103, v166, v149
	v_fmac_f32_e32 v170, v168, v173
	v_fmac_f32_e32 v101, v168, v3
	s_delay_alu instid0(VALU_DEP_2)
	v_fmac_f32_e32 v104, v170, v151
	s_cbranch_scc1 .LBB16_202
.LBB16_109:                             ;   Parent Loop BB16_12 Depth=1
                                        ; =>  This Inner Loop Header: Depth=2
	s_lshl_b64 s[90:91], s[64:65], 2
	s_mov_b32 s53, s65
	s_add_u32 s90, s71, s90
	s_addc_u32 s91, s72, s91
	v_dual_mov_b32 v2, 0 :: v_dual_mov_b32 v3, 0
	global_load_b32 v146, v21, s[90:91]
	s_lshl_b64 s[90:91], s[52:53], 1
	s_delay_alu instid0(SALU_CYCLE_1)
	v_add_co_u32 v0, vcc_lo, v127, s90
	v_add_co_ci_u32_e32 v1, vcc_lo, s91, v128, vcc_lo
	s_and_saveexec_b32 s45, s12
	s_cbranch_execz .LBB16_111
; %bb.110:                              ;   in Loop: Header=BB16_109 Depth=2
	global_load_u16 v3, v[0:1], off
.LBB16_111:                             ;   in Loop: Header=BB16_109 Depth=2
	s_or_b32 exec_lo, exec_lo, s45
	s_and_saveexec_b32 s45, s13
	s_cbranch_execz .LBB16_113
; %bb.112:                              ;   in Loop: Header=BB16_109 Depth=2
	global_load_u16 v2, v[0:1], off offset:64
.LBB16_113:                             ;   in Loop: Header=BB16_109 Depth=2
	s_or_b32 exec_lo, exec_lo, s45
	v_dual_mov_b32 v4, 0 :: v_dual_mov_b32 v5, 0
	s_and_saveexec_b32 s45, s14
	s_cbranch_execz .LBB16_115
; %bb.114:                              ;   in Loop: Header=BB16_109 Depth=2
	global_load_u16 v5, v[0:1], off offset:128
.LBB16_115:                             ;   in Loop: Header=BB16_109 Depth=2
	s_or_b32 exec_lo, exec_lo, s45
	s_and_saveexec_b32 s45, s15
	s_cbranch_execz .LBB16_117
; %bb.116:                              ;   in Loop: Header=BB16_109 Depth=2
	global_load_u16 v4, v[0:1], off offset:192
.LBB16_117:                             ;   in Loop: Header=BB16_109 Depth=2
	s_or_b32 exec_lo, exec_lo, s45
	v_dual_mov_b32 v6, 0 :: v_dual_mov_b32 v7, 0
	s_and_saveexec_b32 s45, s16
	s_cbranch_execz .LBB16_119
; %bb.118:                              ;   in Loop: Header=BB16_109 Depth=2
	global_load_u16 v7, v[0:1], off offset:256
.LBB16_119:                             ;   in Loop: Header=BB16_109 Depth=2
	;; [unrolled: 13-line block ×7, first 2 shown]
	s_or_b32 exec_lo, exec_lo, s45
	s_and_saveexec_b32 s45, s27
	s_cbranch_execz .LBB16_141
; %bb.140:                              ;   in Loop: Header=BB16_109 Depth=2
	global_load_u16 v16, v[0:1], off offset:960
.LBB16_141:                             ;   in Loop: Header=BB16_109 Depth=2
	s_or_b32 exec_lo, exec_lo, s45
	s_waitcnt vmcnt(0)
	ds_store_b16 v37, v3
	ds_store_b16 v37, v2 offset:64
	ds_store_b16 v38, v5 offset:128
	;; [unrolled: 1-line block ×15, first 2 shown]
	; wave barrier
	ds_load_b128 v[12:15], v52
	ds_load_b128 v[8:11], v52 offset:16
	s_mov_b32 s55, s65
	v_dual_mov_b32 v2, 0 :: v_dual_mov_b32 v3, 0
	s_lshl_b64 s[90:91], s[54:55], 1
	s_delay_alu instid0(SALU_CYCLE_1)
	v_add_co_u32 v0, vcc_lo, v129, s90
	v_add_co_ci_u32_e32 v1, vcc_lo, s91, v130, vcc_lo
	s_and_saveexec_b32 s45, s12
	s_cbranch_execz .LBB16_143
; %bb.142:                              ;   in Loop: Header=BB16_109 Depth=2
	global_load_u16 v3, v[0:1], off
.LBB16_143:                             ;   in Loop: Header=BB16_109 Depth=2
	s_or_b32 exec_lo, exec_lo, s45
	s_and_saveexec_b32 s45, s13
	s_cbranch_execz .LBB16_145
; %bb.144:                              ;   in Loop: Header=BB16_109 Depth=2
	global_load_u16 v2, v[0:1], off offset:64
.LBB16_145:                             ;   in Loop: Header=BB16_109 Depth=2
	s_or_b32 exec_lo, exec_lo, s45
	v_dual_mov_b32 v4, 0 :: v_dual_mov_b32 v5, 0
	s_and_saveexec_b32 s45, s14
	s_cbranch_execz .LBB16_147
; %bb.146:                              ;   in Loop: Header=BB16_109 Depth=2
	global_load_u16 v5, v[0:1], off offset:128
.LBB16_147:                             ;   in Loop: Header=BB16_109 Depth=2
	s_or_b32 exec_lo, exec_lo, s45
	s_and_saveexec_b32 s45, s15
	s_cbranch_execz .LBB16_149
; %bb.148:                              ;   in Loop: Header=BB16_109 Depth=2
	global_load_u16 v4, v[0:1], off offset:192
.LBB16_149:                             ;   in Loop: Header=BB16_109 Depth=2
	s_or_b32 exec_lo, exec_lo, s45
	v_dual_mov_b32 v6, 0 :: v_dual_mov_b32 v7, 0
	s_and_saveexec_b32 s45, s16
	s_cbranch_execz .LBB16_151
; %bb.150:                              ;   in Loop: Header=BB16_109 Depth=2
	global_load_u16 v7, v[0:1], off offset:256
.LBB16_151:                             ;   in Loop: Header=BB16_109 Depth=2
	;; [unrolled: 13-line block ×7, first 2 shown]
	s_or_b32 exec_lo, exec_lo, s45
	s_and_saveexec_b32 s45, s27
	s_cbranch_execz .LBB16_173
; %bb.172:                              ;   in Loop: Header=BB16_109 Depth=2
	global_load_u16 v153, v[0:1], off offset:960
.LBB16_173:                             ;   in Loop: Header=BB16_109 Depth=2
	s_or_b32 exec_lo, exec_lo, s45
	s_waitcnt vmcnt(0)
	ds_store_b16 v37, v3 offset:2112
	ds_store_b16 v53, v2 offset:64
	;; [unrolled: 1-line block ×16, first 2 shown]
	; wave barrier
	ds_load_b128 v[4:7], v52 offset:2112
	ds_load_b128 v[0:3], v68 offset:16
	s_and_not1_b32 vcc_lo, exec_lo, s51
	s_cbranch_vccnz .LBB16_175
; %bb.174:                              ;   in Loop: Header=BB16_109 Depth=2
	v_mov_b32_e32 v16, s88
	ds_load_b64 v[16:17], v16
	s_cbranch_execz .LBB16_176
	s_branch .LBB16_179
.LBB16_175:                             ;   in Loop: Header=BB16_109 Depth=2
                                        ; implicit-def: $vgpr16
.LBB16_176:                             ;   in Loop: Header=BB16_109 Depth=2
	s_waitcnt lgkmcnt(0)
	v_mov_b32_e32 v17, 0
	s_and_not1_b32 vcc_lo, exec_lo, s47
	s_cbranch_vccnz .LBB16_178
; %bb.177:                              ;   in Loop: Header=BB16_109 Depth=2
	s_mov_b32 s59, s65
	s_delay_alu instid0(SALU_CYCLE_1) | instskip(NEXT) | instid1(SALU_CYCLE_1)
	s_lshl_b64 s[90:91], s[58:59], 1
	s_add_u32 s90, s75, s90
	s_addc_u32 s91, s76, s91
	global_load_u16 v16, v21, s[90:91]
	s_waitcnt vmcnt(0)
	v_lshlrev_b32_e32 v17, 16, v16
.LBB16_178:                             ;   in Loop: Header=BB16_109 Depth=2
	v_mov_b32_e32 v16, 1.0
.LBB16_179:                             ;   in Loop: Header=BB16_109 Depth=2
	s_waitcnt lgkmcnt(19)
	v_dual_mul_f32 v168, 0x3fb8aa3b, v146 :: v_dual_lshlrev_b32 v147, 16, v12
	v_and_b32_e32 v12, 0xffff0000, v12
	v_lshlrev_b32_e32 v146, 16, v13
	v_and_b32_e32 v150, 0xffff0000, v13
	v_lshlrev_b32_e32 v153, 16, v14
	v_mul_f32_e32 v13, v168, v94
	v_dual_mul_f32 v14, v168, v95 :: v_dual_and_b32 v155, 0xffff0000, v14
	v_dual_mul_f32 v149, v168, v97 :: v_dual_lshlrev_b32 v156, 16, v15
	s_delay_alu instid0(VALU_DEP_3) | instskip(SKIP_1) | instid1(VALU_DEP_4)
	v_cmp_gt_f32_e32 vcc_lo, 0xc2fc0000, v13
	v_dual_mul_f32 v12, v144, v12 :: v_dual_and_b32 v159, 0xffff0000, v15
	v_cmp_gt_f32_e64 s45, 0xc2fc0000, v14
	v_mul_f32_e32 v15, v168, v96
	v_cndmask_b32_e64 v13, 0, 0x42800000, vcc_lo
	v_cndmask_b32_e64 v148, 1.0, 0x1f800000, vcc_lo
	s_waitcnt lgkmcnt(18)
	v_lshlrev_b32_e32 v165, 16, v10
	v_cndmask_b32_e64 v14, 0, 0x42800000, s45
	v_mul_f32_e32 v147, v145, v147
	v_fmac_f32_e32 v13, v168, v94
	v_dual_mul_f32 v146, v143, v146 :: v_dual_lshlrev_b32 v161, 16, v8
	v_and_b32_e32 v8, 0xffff0000, v8
	v_fmac_f32_e32 v14, v168, v95
	s_delay_alu instid0(VALU_DEP_4) | instskip(SKIP_2) | instid1(VALU_DEP_3)
	v_exp_f32_e32 v13, v13
	v_cmp_gt_f32_e32 vcc_lo, 0xc2fc0000, v15
	v_dual_mul_f32 v155, v140, v155 :: v_dual_and_b32 v10, 0xffff0000, v10
	v_exp_f32_e32 v14, v14
	v_dual_mul_f32 v161, v137, v161 :: v_dual_mul_f32 v8, v136, v8
	v_cndmask_b32_e64 v15, 0, 0x42800000, vcc_lo
	v_lshlrev_b32_e32 v170, 16, v11
	v_and_b32_e32 v11, 0xffff0000, v11
	s_delay_alu instid0(TRANS32_DEP_2)
	v_mul_f32_e32 v13, v13, v148
	v_cndmask_b32_e64 v148, 0, v147, s28
	v_cndmask_b32_e64 v147, 1.0, 0x1f800000, s45
	v_cmp_gt_f32_e64 s45, 0xc2fc0000, v149
	v_fmac_f32_e32 v15, v168, v96
	v_cndmask_b32_e64 v149, 1.0, v13, s28
	v_cndmask_b32_e64 v12, 0, v12, s29
	v_mul_f32_e32 v13, v14, v147
	v_cndmask_b32_e64 v151, 0, 0x42800000, s45
	v_exp_f32_e32 v14, v15
	v_cndmask_b32_e64 v147, 1.0, 0x1f800000, vcc_lo
	v_lshlrev_b32_e32 v163, 16, v9
	v_mul_f32_e32 v15, v168, v98
	v_fmac_f32_e32 v151, v168, v97
	v_and_b32_e32 v9, 0xffff0000, v9
	v_mul_f32_e32 v171, v168, v123
	v_mul_f32_e32 v173, v168, v125
	v_cmp_gt_f32_e32 vcc_lo, 0xc2fc0000, v15
	v_exp_f32_e32 v154, v151
	v_mul_f32_e32 v14, v14, v147
	v_cndmask_b32_e64 v147, 1.0, 0x1f800000, s45
	v_mul_f32_e32 v157, v168, v105
	v_cndmask_b32_e64 v15, 0, 0x42800000, vcc_lo
	v_mul_f32_e32 v160, v168, v108
	v_cndmask_b32_e64 v152, 1.0, v14, s30
	v_mul_f32_e32 v14, v142, v150
	v_mul_f32_e32 v150, v168, v100
	v_fmac_f32_e32 v15, v168, v98
	v_mul_f32_e32 v147, v154, v147
	v_cmp_gt_f32_e64 s46, 0xc2fc0000, v157
	v_cndmask_b32_e64 v14, 0, v14, s31
	v_mul_f32_e32 v162, v168, v116
	v_exp_f32_e32 v15, v15
	v_cndmask_b32_e64 v154, 1.0, v147, s31
	v_cndmask_b32_e64 v147, 1.0, 0x1f800000, vcc_lo
	v_cmp_gt_f32_e32 vcc_lo, 0xc2fc0000, v150
	v_mul_f32_e32 v170, v131, v170
	v_dual_mul_f32 v10, v132, v10 :: v_dual_mul_f32 v11, v126, v11
	v_cndmask_b32_e64 v150, 0, 0x42800000, vcc_lo
	s_delay_alu instid0(TRANS32_DEP_1) | instskip(SKIP_2) | instid1(VALU_DEP_4)
	v_mul_f32_e32 v147, v15, v147
	v_mul_f32_e32 v15, v141, v153
	v_cndmask_b32_e64 v153, 0, 0x42800000, s46
	v_fmac_f32_e32 v150, v168, v100
	v_cndmask_b32_e64 v151, 1.0, v13, s29
	v_cndmask_b32_e64 v13, 0, v146, s30
	v_mul_f32_e32 v146, v168, v99
	v_cndmask_b32_e64 v157, 1.0, v147, s33
	v_exp_f32_e32 v150, v150
	v_fma_f32 v169, v151, v148, v12
	v_cndmask_b32_e64 v15, 0, v15, s33
	v_cmp_gt_f32_e64 s45, 0xc2fc0000, v146
	s_delay_alu instid0(VALU_DEP_1) | instskip(SKIP_1) | instid1(VALU_DEP_2)
	v_cndmask_b32_e64 v146, 0, 0x42800000, s45
	v_cndmask_b32_e64 v158, 1.0, 0x1f800000, s45
	v_fmac_f32_e32 v146, v168, v99
	s_delay_alu instid0(VALU_DEP_1)
	v_exp_f32_e32 v146, v146
	s_waitcnt_depctr 0xfff
	v_mul_f32_e32 v147, v146, v158
	v_cndmask_b32_e64 v146, 0, v155, s34
	v_cndmask_b32_e64 v155, 1.0, 0x1f800000, vcc_lo
	v_cmp_gt_f32_e32 vcc_lo, 0xc2fc0000, v160
	v_mul_f32_e32 v160, v138, v159
	v_cndmask_b32_e64 v158, 1.0, v147, s34
	s_delay_alu instid0(VALU_DEP_4)
	v_dual_mul_f32 v147, v139, v156 :: v_dual_mul_f32 v150, v150, v155
	v_cndmask_b32_e64 v155, 1.0, 0x1f800000, s46
	v_cmp_gt_f32_e64 s46, 0xc2fc0000, v162
	v_mul_f32_e32 v162, v168, v121
	v_cndmask_b32_e64 v156, 0, 0x42800000, vcc_lo
	v_cndmask_b32_e64 v164, 1.0, 0x1f800000, vcc_lo
	v_cndmask_b32_e64 v159, 1.0, v150, s35
	v_cndmask_b32_e64 v150, 0, v160, s36
	v_cmp_gt_f32_e32 vcc_lo, 0xc2fc0000, v162
	v_fmac_f32_e32 v156, v168, v108
	v_cndmask_b32_e64 v147, 0, v147, s35
	v_cndmask_b32_e64 v166, 0, 0x42800000, vcc_lo
	v_cndmask_b32_e64 v167, 1.0, 0x1f800000, vcc_lo
	s_delay_alu instid0(VALU_DEP_2) | instskip(NEXT) | instid1(VALU_DEP_1)
	v_fmac_f32_e32 v166, v168, v121
	v_exp_f32_e32 v166, v166
	v_fmac_f32_e32 v153, v168, v105
	s_delay_alu instid0(VALU_DEP_1) | instskip(SKIP_3) | instid1(VALU_DEP_2)
	v_exp_f32_e32 v153, v153
	s_waitcnt_depctr 0xfff
	v_mul_f32_e32 v153, v153, v155
	v_mul_f32_e32 v155, v168, v113
	v_cndmask_b32_e64 v160, 1.0, v153, s36
	s_delay_alu instid0(VALU_DEP_2) | instskip(SKIP_2) | instid1(VALU_DEP_2)
	v_cmp_gt_f32_e64 s45, 0xc2fc0000, v155
	v_exp_f32_e32 v153, v156
	v_cndmask_b32_e64 v156, 0, 0x42800000, s46
	v_cndmask_b32_e64 v155, 0, 0x42800000, s45
	s_delay_alu instid0(VALU_DEP_2)
	v_fmac_f32_e32 v156, v168, v116
	s_waitcnt_depctr 0xfff
	v_dual_fmac_f32 v155, v168, v113 :: v_dual_mul_f32 v162, v153, v164
	v_cndmask_b32_e64 v153, 0, v161, s37
	v_exp_f32_e32 v156, v156
	v_cndmask_b32_e64 v161, 1.0, 0x1f800000, s45
	s_delay_alu instid0(VALU_DEP_3) | instskip(SKIP_3) | instid1(VALU_DEP_2)
	v_exp_f32_e32 v155, v155
	v_cndmask_b32_e64 v164, 1.0, 0x1f800000, s46
	v_cmp_gt_f32_e64 s45, 0xc2fc0000, v171
	v_cndmask_b32_e64 v162, 1.0, v162, s37
	v_cndmask_b32_e64 v171, 1.0, 0x1f800000, s45
	s_waitcnt_depctr 0xfff
	v_dual_mul_f32 v164, v156, v164 :: v_dual_mul_f32 v161, v155, v161
	v_cndmask_b32_e64 v155, 0, v8, s38
	v_mul_f32_e32 v8, v135, v163
	s_delay_alu instid0(VALU_DEP_3) | instskip(NEXT) | instid1(VALU_DEP_4)
	v_cndmask_b32_e64 v164, 1.0, v164, s39
	v_cndmask_b32_e64 v163, 1.0, v161, s38
	v_mul_f32_e32 v161, v168, v122
	s_delay_alu instid0(VALU_DEP_4) | instskip(SKIP_1) | instid1(VALU_DEP_3)
	v_cndmask_b32_e64 v156, 0, v8, s39
	v_dual_mul_f32 v8, v166, v167 :: v_dual_mul_f32 v167, v151, v149
	v_cmp_gt_f32_e32 vcc_lo, 0xc2fc0000, v161
	s_delay_alu instid0(VALU_DEP_2) | instskip(SKIP_3) | instid1(VALU_DEP_3)
	v_cndmask_b32_e64 v172, 1.0, v8, s40
	v_cndmask_b32_e64 v166, 0, 0x42800000, vcc_lo
	v_mul_f32_e32 v9, v134, v9
	v_cndmask_b32_e64 v8, 1.0, 0x1f800000, vcc_lo
	v_fmac_f32_e32 v166, v168, v122
	s_delay_alu instid0(VALU_DEP_3)
	v_cndmask_b32_e64 v161, 0, v9, s40
	v_mul_f32_e32 v9, v167, v152
	v_fma_f32 v167, v169, v152, v13
	v_cndmask_b32_e64 v169, 0, 0x42800000, s45
	v_exp_f32_e32 v166, v166
	v_cmp_gt_f32_e64 s45, 0xc2fc0000, v173
	v_mul_f32_e32 v9, v9, v154
	v_fma_f32 v167, v167, v154, v14
	v_fmac_f32_e32 v169, v168, v123
	s_delay_alu instid0(VALU_DEP_3) | instskip(NEXT) | instid1(VALU_DEP_3)
	v_mul_f32_e32 v9, v9, v157
	v_fma_f32 v167, v167, v157, v15
	s_delay_alu instid0(VALU_DEP_3)
	v_exp_f32_e32 v169, v169
	s_delay_alu instid0(TRANS32_DEP_2) | instid1(VALU_DEP_2)
	v_dual_mul_f32 v8, v166, v8 :: v_dual_mul_f32 v9, v9, v158
	s_delay_alu instid0(VALU_DEP_2) | instskip(NEXT) | instid1(VALU_DEP_2)
	v_fma_f32 v166, v167, v158, v146
	v_cndmask_b32_e64 v167, 1.0, v8, s41
	s_delay_alu instid0(VALU_DEP_3) | instskip(NEXT) | instid1(VALU_DEP_3)
	v_mul_f32_e32 v8, v9, v159
	v_fma_f32 v9, v166, v159, v147
	v_mul_f32_e32 v166, v168, v124
	s_delay_alu instid0(VALU_DEP_3) | instskip(NEXT) | instid1(VALU_DEP_3)
	v_mul_f32_e32 v8, v8, v160
	v_fma_f32 v9, v9, v160, v150
	s_delay_alu instid0(VALU_DEP_3)
	v_cmp_gt_f32_e32 vcc_lo, 0xc2fc0000, v166
	v_mul_f32_e32 v165, v133, v165
	v_cndmask_b32_e64 v166, 0, v10, s42
	v_mul_f32_e32 v8, v8, v162
	v_fma_f32 v9, v9, v162, v153
	v_cndmask_b32_e64 v10, 0, 0x42800000, s45
	v_mul_f32_e32 v169, v169, v171
	v_cndmask_b32_e64 v171, 0, 0x42800000, vcc_lo
	v_mul_f32_e32 v8, v8, v163
	v_fma_f32 v9, v9, v163, v155
	v_fmac_f32_e32 v10, v168, v125
	v_cndmask_b32_e64 v165, 0, v165, s41
	v_fmac_f32_e32 v171, v168, v124
	v_mul_f32_e32 v8, v8, v164
	v_fma_f32 v9, v9, v164, v156
	v_cndmask_b32_e64 v168, 1.0, 0x1f800000, vcc_lo
	v_exp_f32_e32 v10, v10
	v_exp_f32_e32 v171, v171
	v_mul_f32_e32 v8, v8, v172
	v_fma_f32 v9, v9, v172, v161
	v_cndmask_b32_e64 v169, 1.0, v169, s42
	s_delay_alu instid0(VALU_DEP_3) | instskip(NEXT) | instid1(VALU_DEP_3)
	v_mul_f32_e32 v8, v8, v167
	v_fma_f32 v9, v9, v167, v165
	s_waitcnt_depctr 0xfff
	v_mul_f32_e32 v171, v171, v168
	v_cndmask_b32_e64 v168, 0, v170, s43
	v_cndmask_b32_e64 v170, 1.0, 0x1f800000, s45
	v_mul_f32_e32 v8, v8, v169
	v_fma_f32 v9, v9, v169, v166
	v_cndmask_b32_e64 v171, 1.0, v171, s43
	s_delay_alu instid0(VALU_DEP_4) | instskip(SKIP_1) | instid1(VALU_DEP_3)
	v_mul_f32_e32 v10, v10, v170
	v_cndmask_b32_e64 v170, 0, v11, s44
	v_mul_f32_e32 v8, v8, v171
	v_fma_f32 v9, v9, v171, v168
	s_delay_alu instid0(VALU_DEP_4) | instskip(NEXT) | instid1(VALU_DEP_1)
	v_cndmask_b32_e64 v173, 1.0, v10, s44
	v_mul_f32_e32 v8, v8, v173
	s_delay_alu instid0(VALU_DEP_3) | instskip(NEXT) | instid1(VALU_DEP_2)
	v_fma_f32 v9, v9, v173, v170
	v_mov_b32_dpp v11, v8 row_shr:1 row_mask:0xf bank_mask:0xf
	s_delay_alu instid0(VALU_DEP_2)
	v_mov_b32_dpp v10, v9 row_shr:1 row_mask:0xf bank_mask:0xf
	s_and_saveexec_b32 s45, s0
; %bb.180:                              ;   in Loop: Header=BB16_109 Depth=2
	s_delay_alu instid0(VALU_DEP_2) | instskip(NEXT) | instid1(VALU_DEP_1)
	v_mul_f32_e32 v11, v8, v11
	v_dual_fmac_f32 v9, v8, v10 :: v_dual_mov_b32 v8, v11
; %bb.181:                              ;   in Loop: Header=BB16_109 Depth=2
	s_or_b32 exec_lo, exec_lo, s45
	s_delay_alu instid0(VALU_DEP_1) | instskip(NEXT) | instid1(VALU_DEP_2)
	v_mov_b32_dpp v10, v8 row_shr:2 row_mask:0xf bank_mask:0xf
	v_mov_b32_dpp v11, v9 row_shr:2 row_mask:0xf bank_mask:0xf
	s_and_saveexec_b32 s45, s1
; %bb.182:                              ;   in Loop: Header=BB16_109 Depth=2
	s_delay_alu instid0(VALU_DEP_1) | instskip(NEXT) | instid1(VALU_DEP_3)
	v_fmac_f32_e32 v9, v8, v11
	v_mul_f32_e32 v8, v8, v10
; %bb.183:                              ;   in Loop: Header=BB16_109 Depth=2
	s_or_b32 exec_lo, exec_lo, s45
	s_delay_alu instid0(VALU_DEP_1) | instskip(NEXT) | instid1(VALU_DEP_3)
	v_mov_b32_dpp v10, v8 row_shr:4 row_mask:0xf bank_mask:0xf
	v_mov_b32_dpp v11, v9 row_shr:4 row_mask:0xf bank_mask:0xf
	s_and_saveexec_b32 s45, s2
; %bb.184:                              ;   in Loop: Header=BB16_109 Depth=2
	s_delay_alu instid0(VALU_DEP_1) | instskip(NEXT) | instid1(VALU_DEP_3)
	v_fmac_f32_e32 v9, v8, v11
	v_mul_f32_e32 v8, v8, v10
; %bb.185:                              ;   in Loop: Header=BB16_109 Depth=2
	s_or_b32 exec_lo, exec_lo, s45
	s_delay_alu instid0(VALU_DEP_1) | instskip(NEXT) | instid1(VALU_DEP_3)
	v_mov_b32_dpp v10, v8 row_shr:8 row_mask:0xf bank_mask:0xf
	v_mov_b32_dpp v11, v9 row_shr:8 row_mask:0xf bank_mask:0xf
	s_and_saveexec_b32 s45, s3
; %bb.186:                              ;   in Loop: Header=BB16_109 Depth=2
	s_delay_alu instid0(VALU_DEP_1) | instskip(NEXT) | instid1(VALU_DEP_3)
	v_fmac_f32_e32 v9, v8, v11
	v_mul_f32_e32 v8, v8, v10
; %bb.187:                              ;   in Loop: Header=BB16_109 Depth=2
	s_or_b32 exec_lo, exec_lo, s45
	ds_swizzle_b32 v11, v8 offset:swizzle(BROADCAST,32,15)
	ds_swizzle_b32 v10, v9 offset:swizzle(BROADCAST,32,15)
	s_and_saveexec_b32 s45, s4
	s_cbranch_execz .LBB16_189
; %bb.188:                              ;   in Loop: Header=BB16_109 Depth=2
	s_waitcnt lgkmcnt(1)
	v_mul_f32_e32 v11, v8, v11
	s_waitcnt lgkmcnt(0)
	s_delay_alu instid0(VALU_DEP_1)
	v_dual_fmac_f32 v9, v8, v10 :: v_dual_mov_b32 v8, v11
.LBB16_189:                             ;   in Loop: Header=BB16_109 Depth=2
	s_or_b32 exec_lo, exec_lo, s45
	s_and_saveexec_b32 s45, s5
	s_cbranch_execz .LBB16_191
; %bb.190:                              ;   in Loop: Header=BB16_109 Depth=2
	ds_store_b64 v69, v[8:9] offset:4224
.LBB16_191:                             ;   in Loop: Header=BB16_109 Depth=2
	s_or_b32 exec_lo, exec_lo, s45
	s_waitcnt lgkmcnt(0)
	s_waitcnt_vscnt null, 0x0
	s_barrier
	buffer_gl0_inv
	s_and_saveexec_b32 s45, s6
	s_cbranch_execz .LBB16_193
; %bb.192:                              ;   in Loop: Header=BB16_109 Depth=2
	ds_load_b64 v[10:11], v70 offset:4224
	s_waitcnt lgkmcnt(0)
	v_mov_b32_dpp v174, v10 row_shr:1 row_mask:0xf bank_mask:0xf
	v_mov_b32_dpp v175, v11 row_shr:1 row_mask:0xf bank_mask:0xf
	s_delay_alu instid0(VALU_DEP_2) | instskip(NEXT) | instid1(VALU_DEP_2)
	v_mul_f32_e32 v174, v10, v174
	v_fma_f32 v175, v10, v175, v11
	s_delay_alu instid0(VALU_DEP_2) | instskip(NEXT) | instid1(VALU_DEP_2)
	v_cndmask_b32_e64 v10, v174, v10, s7
	v_cndmask_b32_e64 v11, v175, v11, s7
	ds_store_b64 v70, v[10:11] offset:4224
.LBB16_193:                             ;   in Loop: Header=BB16_109 Depth=2
	s_or_b32 exec_lo, exec_lo, s45
	s_waitcnt lgkmcnt(0)
	s_barrier
	buffer_gl0_inv
                                        ; implicit-def: $vgpr11
	s_and_saveexec_b32 s45, s9
	s_cbranch_execz .LBB16_195
; %bb.194:                              ;   in Loop: Header=BB16_109 Depth=2
	ds_load_b64 v[10:11], v69 offset:4216
	s_waitcnt lgkmcnt(0)
	v_mul_f32_e32 v174, v8, v10
	s_delay_alu instid0(VALU_DEP_1)
	v_dual_fmac_f32 v9, v8, v11 :: v_dual_mov_b32 v8, v174
.LBB16_195:                             ;   in Loop: Header=BB16_109 Depth=2
	s_or_b32 exec_lo, exec_lo, s45
	ds_bpermute_b32 v174, v71, v8
	ds_bpermute_b32 v175, v71, v9
	s_and_saveexec_b32 s45, s8
	s_cbranch_execz .LBB16_199
; %bb.196:                              ;   in Loop: Header=BB16_109 Depth=2
	ds_load_b64 v[8:9], v21 offset:4232
	s_and_saveexec_b32 s46, s10
	s_cbranch_execz .LBB16_198
; %bb.197:                              ;   in Loop: Header=BB16_109 Depth=2
	ds_store_b64 v21, v[16:17] offset:4232
.LBB16_198:                             ;   in Loop: Header=BB16_109 Depth=2
	s_or_b32 exec_lo, exec_lo, s46
	s_waitcnt lgkmcnt(0)
	v_fmac_f32_e32 v9, v8, v17
	s_delay_alu instid0(VALU_DEP_1)
	v_dual_mul_f32 v16, v16, v8 :: v_dual_mov_b32 v17, v9
.LBB16_199:                             ;   in Loop: Header=BB16_109 Depth=2
	s_or_b32 exec_lo, exec_lo, s45
	s_waitcnt lgkmcnt(0)
	s_barrier
	buffer_gl0_inv
	ds_load_b32 v8, v21 offset:4236
	s_and_saveexec_b32 s45, s10
	s_cbranch_execz .LBB16_108
; %bb.200:                              ;   in Loop: Header=BB16_109 Depth=2
	v_mov_b32_e32 v9, s88
	s_and_not1_b32 vcc_lo, exec_lo, s86
	ds_store_b64 v9, v[16:17]
	s_cbranch_vccnz .LBB16_108
; %bb.201:                              ;   in Loop: Header=BB16_109 Depth=2
	v_bfe_u32 v9, v17, 16, 1
	v_cmp_o_f32_e32 vcc_lo, v17, v17
	s_mov_b32 s59, s65
	s_delay_alu instid0(SALU_CYCLE_1) | instskip(NEXT) | instid1(VALU_DEP_2)
	s_lshl_b64 s[90:91], s[58:59], 1
	v_add3_u32 v9, v17, v9, 0x7fff
	s_add_u32 s90, s75, s90
	s_addc_u32 s91, s76, s91
	s_delay_alu instid0(VALU_DEP_1) | instskip(NEXT) | instid1(VALU_DEP_1)
	v_lshrrev_b32_e32 v9, 16, v9
	v_cndmask_b32_e32 v9, 0x7fc0, v9, vcc_lo
	global_store_b16 v21, v9, s[90:91]
	s_branch .LBB16_108
.LBB16_202:                             ;   in Loop: Header=BB16_12 Depth=1
	v_bfe_u32 v0, v119, 16, 1
	v_bfe_u32 v1, v120, 16, 1
	v_cmp_o_f32_e32 vcc_lo, v119, v119
	v_bfe_u32 v2, v117, 16, 1
	v_bfe_u32 v4, v115, 16, 1
	v_add3_u32 v0, v119, v0, 0x7fff
	v_add3_u32 v1, v120, v1, 0x7fff
	v_bfe_u32 v7, v111, 16, 1
	v_add3_u32 v2, v117, v2, 0x7fff
	v_bfe_u32 v6, v112, 16, 1
	v_lshrrev_b32_e32 v0, 16, v0
	v_lshrrev_b32_e32 v1, 16, v1
	v_add3_u32 v4, v115, v4, 0x7fff
	v_lshrrev_b32_e32 v2, 16, v2
	v_add3_u32 v7, v111, v7, 0x7fff
	v_cndmask_b32_e32 v0, 0x7fc0, v0, vcc_lo
	v_cmp_o_f32_e32 vcc_lo, v120, v120
	v_add3_u32 v6, v112, v6, 0x7fff
	v_bfe_u32 v3, v118, 16, 1
	v_bfe_u32 v10, v107, 16, 1
	;; [unrolled: 1-line block ×3, first 2 shown]
	v_cndmask_b32_e32 v5, 0x7fc0, v1, vcc_lo
	v_bfe_u32 v1, v114, 16, 1
	v_cmp_o_f32_e32 vcc_lo, v117, v117
	v_lshrrev_b32_e32 v6, 16, v6
	v_add3_u32 v3, v118, v3, 0x7fff
	v_bfe_u32 v12, v104, 16, 1
	v_add3_u32 v1, v114, v1, 0x7fff
	v_cndmask_b32_e32 v8, 0x7fc0, v2, vcc_lo
	v_cmp_o_f32_e32 vcc_lo, v114, v114
	v_lshrrev_b32_e32 v2, 16, v4
	v_lshrrev_b32_e32 v4, 16, v7
	;; [unrolled: 1-line block ×4, first 2 shown]
	v_bfe_u32 v7, v109, 16, 1
	v_add3_u32 v11, v101, v11, 0x7fff
	v_perm_b32 v0, v5, v0, 0x5040100
	v_cndmask_b32_e32 v1, 0x7fc0, v1, vcc_lo
	v_cmp_o_f32_e32 vcc_lo, v111, v111
	s_waitcnt_vscnt null, 0x0
	s_barrier
	buffer_gl0_inv
	s_mov_b32 s51, s65
	v_cndmask_b32_e32 v4, 0x7fc0, v4, vcc_lo
	v_cmp_o_f32_e32 vcc_lo, v112, v112
	s_lshl_b64 s[34:35], s[50:51], 1
	v_cndmask_b32_e32 v6, 0x7fc0, v6, vcc_lo
	v_cmp_o_f32_e32 vcc_lo, v115, v115
	v_cndmask_b32_e32 v2, 0x7fc0, v2, vcc_lo
	v_cmp_o_f32_e32 vcc_lo, v118, v118
	s_delay_alu instid0(VALU_DEP_2)
	v_perm_b32 v2, v2, v1, 0x5040100
	v_cndmask_b32_e32 v9, 0x7fc0, v3, vcc_lo
	v_perm_b32 v3, v6, v4, 0x5040100
	v_add3_u32 v6, v109, v7, 0x7fff
	v_bfe_u32 v7, v106, 16, 1
	v_cmp_o_f32_e32 vcc_lo, v109, v109
	v_perm_b32 v1, v9, v8, 0x5040100
	v_add3_u32 v8, v107, v10, 0x7fff
	v_lshrrev_b32_e32 v6, 16, v6
	v_add3_u32 v7, v106, v7, 0x7fff
	v_bfe_u32 v10, v103, 16, 1
	v_bfe_u32 v4, v110, 16, 1
	s_delay_alu instid0(VALU_DEP_4) | instskip(NEXT) | instid1(VALU_DEP_4)
	v_cndmask_b32_e32 v9, 0x7fc0, v6, vcc_lo
	v_lshrrev_b32_e32 v6, 16, v7
	v_lshrrev_b32_e32 v7, 16, v8
	v_bfe_u32 v8, v102, 16, 1
	v_cmp_o_f32_e32 vcc_lo, v106, v106
	v_add3_u32 v4, v110, v4, 0x7fff
	s_delay_alu instid0(VALU_DEP_3)
	v_add3_u32 v8, v102, v8, 0x7fff
	v_cndmask_b32_e32 v13, 0x7fc0, v6, vcc_lo
	v_cmp_o_f32_e32 vcc_lo, v107, v107
	v_add3_u32 v6, v103, v10, 0x7fff
	v_add3_u32 v10, v104, v12, 0x7fff
	v_lshrrev_b32_e32 v4, 16, v4
	v_cndmask_b32_e32 v12, 0x7fc0, v7, vcc_lo
	v_lshrrev_b32_e32 v7, 16, v8
	v_cmp_o_f32_e32 vcc_lo, v102, v102
	v_lshrrev_b32_e32 v8, 16, v11
	v_lshrrev_b32_e32 v10, 16, v10
	;; [unrolled: 1-line block ×3, first 2 shown]
	v_perm_b32 v5, v12, v13, 0x5040100
	v_cndmask_b32_e32 v11, 0x7fc0, v7, vcc_lo
	v_cmp_o_f32_e32 vcc_lo, v101, v101
	v_cndmask_b32_e32 v7, 0x7fc0, v8, vcc_lo
	v_cmp_o_f32_e32 vcc_lo, v104, v104
	;; [unrolled: 2-line block ×3, first 2 shown]
	s_delay_alu instid0(VALU_DEP_2) | instskip(SKIP_2) | instid1(VALU_DEP_2)
	v_perm_b32 v7, v8, v7, 0x5040100
	v_cndmask_b32_e32 v6, 0x7fc0, v6, vcc_lo
	v_cmp_o_f32_e32 vcc_lo, v110, v110
	v_perm_b32 v6, v6, v11, 0x5040100
	v_cndmask_b32_e32 v4, 0x7fc0, v4, vcc_lo
	s_delay_alu instid0(VALU_DEP_1)
	v_perm_b32 v4, v4, v9, 0x5040100
	ds_store_b128 v52, v[0:3]
	ds_store_b128 v52, v[4:7] offset:16
	; wave barrier
	ds_load_u16 v16, v37 offset:64
	ds_load_u16 v15, v38 offset:128
	;; [unrolled: 1-line block ×15, first 2 shown]
	v_add_co_u32 v0, vcc_lo, v72, s34
	v_add_co_ci_u32_e32 v1, vcc_lo, s35, v73, vcc_lo
	s_and_saveexec_b32 s28, s12
	s_cbranch_execnz .LBB16_269
; %bb.203:                              ;   in Loop: Header=BB16_12 Depth=1
	s_or_b32 exec_lo, exec_lo, s28
	s_and_saveexec_b32 s28, s13
	s_cbranch_execnz .LBB16_270
.LBB16_204:                             ;   in Loop: Header=BB16_12 Depth=1
	s_or_b32 exec_lo, exec_lo, s28
	s_and_saveexec_b32 s28, s14
	s_cbranch_execnz .LBB16_271
.LBB16_205:                             ;   in Loop: Header=BB16_12 Depth=1
	s_or_b32 exec_lo, exec_lo, s28
	s_and_saveexec_b32 s28, s15
	s_cbranch_execnz .LBB16_272
.LBB16_206:                             ;   in Loop: Header=BB16_12 Depth=1
	s_or_b32 exec_lo, exec_lo, s28
	s_and_saveexec_b32 s28, s16
	s_cbranch_execnz .LBB16_273
.LBB16_207:                             ;   in Loop: Header=BB16_12 Depth=1
	s_or_b32 exec_lo, exec_lo, s28
	s_and_saveexec_b32 s28, s17
	s_cbranch_execnz .LBB16_274
.LBB16_208:                             ;   in Loop: Header=BB16_12 Depth=1
	s_or_b32 exec_lo, exec_lo, s28
	s_and_saveexec_b32 s28, s18
	s_cbranch_execnz .LBB16_275
.LBB16_209:                             ;   in Loop: Header=BB16_12 Depth=1
	s_or_b32 exec_lo, exec_lo, s28
	s_and_saveexec_b32 s28, s19
	s_cbranch_execnz .LBB16_276
.LBB16_210:                             ;   in Loop: Header=BB16_12 Depth=1
	s_or_b32 exec_lo, exec_lo, s28
	s_and_saveexec_b32 s28, s20
	s_cbranch_execnz .LBB16_277
.LBB16_211:                             ;   in Loop: Header=BB16_12 Depth=1
	s_or_b32 exec_lo, exec_lo, s28
	s_and_saveexec_b32 s28, s21
	s_cbranch_execnz .LBB16_278
.LBB16_212:                             ;   in Loop: Header=BB16_12 Depth=1
	s_or_b32 exec_lo, exec_lo, s28
	s_and_saveexec_b32 s28, s22
	s_cbranch_execnz .LBB16_279
.LBB16_213:                             ;   in Loop: Header=BB16_12 Depth=1
	s_or_b32 exec_lo, exec_lo, s28
	s_and_saveexec_b32 s28, s23
	s_cbranch_execnz .LBB16_280
.LBB16_214:                             ;   in Loop: Header=BB16_12 Depth=1
	s_or_b32 exec_lo, exec_lo, s28
	s_and_saveexec_b32 s28, s24
	s_cbranch_execnz .LBB16_281
.LBB16_215:                             ;   in Loop: Header=BB16_12 Depth=1
	s_or_b32 exec_lo, exec_lo, s28
	s_and_saveexec_b32 s28, s25
	s_cbranch_execnz .LBB16_282
.LBB16_216:                             ;   in Loop: Header=BB16_12 Depth=1
	s_or_b32 exec_lo, exec_lo, s28
	s_and_saveexec_b32 s28, s26
	s_cbranch_execnz .LBB16_283
.LBB16_217:                             ;   in Loop: Header=BB16_12 Depth=1
	s_or_b32 exec_lo, exec_lo, s28
	s_and_saveexec_b32 s28, s27
	s_cbranch_execz .LBB16_219
.LBB16_218:                             ;   in Loop: Header=BB16_12 Depth=1
	s_waitcnt lgkmcnt(0)
	global_store_b16 v[0:1], v2, off offset:960
.LBB16_219:                             ;   in Loop: Header=BB16_12 Depth=1
	s_or_b32 exec_lo, exec_lo, s28
	v_add_co_u32 v0, vcc_lo, v74, s34
	v_add_co_ci_u32_e32 v1, vcc_lo, s35, v75, vcc_lo
	s_waitcnt lgkmcnt(0)
	v_dual_mov_b32 v2, 0 :: v_dual_mov_b32 v3, 0
	s_waitcnt_vscnt null, 0x0
	s_barrier
	buffer_gl0_inv
	s_and_saveexec_b32 s28, s12
	s_cbranch_execz .LBB16_221
; %bb.220:                              ;   in Loop: Header=BB16_12 Depth=1
	global_load_u16 v3, v[0:1], off
.LBB16_221:                             ;   in Loop: Header=BB16_12 Depth=1
	s_or_b32 exec_lo, exec_lo, s28
	s_and_saveexec_b32 s28, s13
	s_cbranch_execz .LBB16_223
; %bb.222:                              ;   in Loop: Header=BB16_12 Depth=1
	global_load_u16 v2, v[0:1], off offset:64
.LBB16_223:                             ;   in Loop: Header=BB16_12 Depth=1
	s_or_b32 exec_lo, exec_lo, s28
	v_dual_mov_b32 v4, 0 :: v_dual_mov_b32 v5, 0
	s_and_saveexec_b32 s28, s14
	s_cbranch_execz .LBB16_225
; %bb.224:                              ;   in Loop: Header=BB16_12 Depth=1
	global_load_u16 v5, v[0:1], off offset:128
.LBB16_225:                             ;   in Loop: Header=BB16_12 Depth=1
	s_or_b32 exec_lo, exec_lo, s28
	s_and_saveexec_b32 s28, s15
	s_cbranch_execz .LBB16_227
; %bb.226:                              ;   in Loop: Header=BB16_12 Depth=1
	global_load_u16 v4, v[0:1], off offset:192
.LBB16_227:                             ;   in Loop: Header=BB16_12 Depth=1
	s_or_b32 exec_lo, exec_lo, s28
	v_dual_mov_b32 v6, 0 :: v_dual_mov_b32 v7, 0
	s_and_saveexec_b32 s28, s16
	s_cbranch_execz .LBB16_229
; %bb.228:                              ;   in Loop: Header=BB16_12 Depth=1
	global_load_u16 v7, v[0:1], off offset:256
.LBB16_229:                             ;   in Loop: Header=BB16_12 Depth=1
	;; [unrolled: 13-line block ×7, first 2 shown]
	s_or_b32 exec_lo, exec_lo, s28
	s_and_saveexec_b32 s28, s27
	s_cbranch_execz .LBB16_251
; %bb.250:                              ;   in Loop: Header=BB16_12 Depth=1
	global_load_u16 v16, v[0:1], off offset:960
.LBB16_251:                             ;   in Loop: Header=BB16_12 Depth=1
	s_or_b32 exec_lo, exec_lo, s28
	s_waitcnt vmcnt(0)
	ds_store_b16 v37, v3
	ds_store_b16 v37, v2 offset:64
	ds_store_b16 v38, v5 offset:128
	;; [unrolled: 1-line block ×15, first 2 shown]
	; wave barrier
	ds_load_b128 v[4:7], v52
	ds_load_b128 v[0:3], v52 offset:16
	s_waitcnt lgkmcnt(0)
	s_barrier
	buffer_gl0_inv
	v_and_b32_e32 v8, 0xffff0000, v4
	v_and_b32_e32 v15, 0xffff0000, v5
	;; [unrolled: 1-line block ×3, first 2 shown]
	v_lshlrev_b32_e32 v5, 16, v5
	s_delay_alu instid0(VALU_DEP_4) | instskip(NEXT) | instid1(VALU_DEP_3)
	v_mul_f32_e32 v9, 0xbfb8aa3b, v8
	v_mul_f32_e32 v17, 0xbfb8aa3b, v16
	s_delay_alu instid0(VALU_DEP_3) | instskip(NEXT) | instid1(VALU_DEP_3)
	v_cmp_nlt_f32_e64 s29, 0x42ce8ed0, v5
	v_fma_f32 v11, 0xbfb8aa3b, v8, -v9
	v_rndne_f32_e32 v12, v9
	s_delay_alu instid0(VALU_DEP_4) | instskip(NEXT) | instid1(VALU_DEP_3)
	v_rndne_f32_e32 v100, v17
	v_fmac_f32_e32 v11, 0xb2a5705f, v8
	s_delay_alu instid0(VALU_DEP_3) | instskip(SKIP_1) | instid1(VALU_DEP_2)
	v_sub_f32_e32 v9, v9, v12
	v_cvt_i32_f32_e32 v12, v12
	v_add_f32_e32 v9, v9, v11
	v_cmp_nlt_f32_e32 vcc_lo, 0x42ce8ed0, v8
	v_lshlrev_b32_e32 v11, 16, v6
	s_delay_alu instid0(VALU_DEP_3) | instskip(SKIP_2) | instid1(VALU_DEP_1)
	v_exp_f32_e32 v9, v9
	s_waitcnt_depctr 0xfff
	v_ldexp_f32 v9, v9, v12
	v_dual_cndmask_b32 v9, 0, v9 :: v_dual_lshlrev_b32 v4, 16, v4
	s_delay_alu instid0(VALU_DEP_1) | instskip(SKIP_1) | instid1(VALU_DEP_2)
	v_mul_f32_e32 v10, 0xbfb8aa3b, v4
	v_cmp_nlt_f32_e32 vcc_lo, 0x42ce8ed0, v4
	v_rndne_f32_e32 v13, v10
	v_fma_f32 v14, 0xbfb8aa3b, v4, -v10
	s_delay_alu instid0(VALU_DEP_2) | instskip(NEXT) | instid1(VALU_DEP_2)
	v_sub_f32_e32 v10, v10, v13
	v_fmac_f32_e32 v14, 0xb2a5705f, v4
	v_cvt_i32_f32_e32 v13, v13
	s_delay_alu instid0(VALU_DEP_2) | instskip(SKIP_2) | instid1(VALU_DEP_3)
	v_add_f32_e32 v6, v10, v14
	v_mul_f32_e32 v14, 0xbfb8aa3b, v5
	v_mul_f32_e32 v10, 0xbfb8aa3b, v15
	v_exp_f32_e32 v6, v6
	s_delay_alu instid0(VALU_DEP_1) | instskip(SKIP_1) | instid1(VALU_DEP_2)
	v_fma_f32 v94, 0xbfb8aa3b, v15, -v10
	v_rndne_f32_e32 v95, v10
	v_fmac_f32_e32 v94, 0xb2a5705f, v15
	s_waitcnt_depctr 0xfff
	v_ldexp_f32 v6, v6, v13
	v_mul_f32_e32 v13, 0xbfb8aa3b, v11
	v_rndne_f32_e32 v96, v14
	v_fma_f32 v97, 0xbfb8aa3b, v5, -v14
	v_sub_f32_e32 v10, v10, v95
	v_cndmask_b32_e32 v6, 0, v6, vcc_lo
	v_cmp_ngt_f32_e32 vcc_lo, 0xc2b17218, v8
	s_delay_alu instid0(VALU_DEP_4) | instskip(SKIP_4) | instid1(VALU_DEP_2)
	v_dual_sub_f32 v12, v14, v96 :: v_dual_fmac_f32 v97, 0xb2a5705f, v5
	v_cvt_i32_f32_e32 v95, v95
	v_cvt_i32_f32_e32 v96, v96
	v_cndmask_b32_e32 v9, 0x7f800000, v9, vcc_lo
	v_cmp_ngt_f32_e32 vcc_lo, 0xc2b17218, v4
	v_dual_add_f32 v9, 1.0, v9 :: v_dual_cndmask_b32 v6, 0x7f800000, v6
	v_cmp_nlt_f32_e32 vcc_lo, 0x42ce8ed0, v15
	s_delay_alu instid0(VALU_DEP_2) | instskip(NEXT) | instid1(VALU_DEP_3)
	v_div_scale_f32 v14, null, v9, v9, v8
	v_add_f32_e32 v6, 1.0, v6
	s_delay_alu instid0(VALU_DEP_2) | instskip(NEXT) | instid1(VALU_DEP_1)
	v_rcp_f32_e32 v98, v14
	v_div_scale_f32 v113, s28, v4, v6, v4
	v_add_f32_e32 v12, v12, v97
	v_fma_f32 v97, 0xbfb8aa3b, v16, -v17
	v_dual_add_f32 v10, v10, v94 :: v_dual_sub_f32 v17, v17, v100
	v_div_scale_f32 v94, null, v6, v6, v4
	s_delay_alu instid0(VALU_DEP_3) | instskip(NEXT) | instid1(VALU_DEP_3)
	v_fmac_f32_e32 v97, 0xb2a5705f, v16
	v_exp_f32_e32 v10, v10
	v_cvt_i32_f32_e32 v100, v100
	s_delay_alu instid0(VALU_DEP_3) | instskip(NEXT) | instid1(VALU_DEP_2)
	v_rcp_f32_e32 v99, v94
	v_add_f32_e32 v17, v17, v97
	s_waitcnt_depctr 0xfff
	v_ldexp_f32 v10, v10, v95
	v_rndne_f32_e32 v95, v13
	v_fma_f32 v105, -v94, v99, 1.0
	s_delay_alu instid0(VALU_DEP_1) | instskip(NEXT) | instid1(VALU_DEP_1)
	v_fmac_f32_e32 v99, v105, v99
	v_mul_f32_e32 v105, v113, v99
	v_exp_f32_e32 v12, v12
	s_delay_alu instid0(VALU_DEP_1) | instskip(SKIP_2) | instid1(VALU_DEP_3)
	v_fma_f32 v121, -v94, v105, v113
	v_cndmask_b32_e32 v10, 0, v10, vcc_lo
	v_div_scale_f32 v108, vcc_lo, v8, v9, v8
	v_fmac_f32_e32 v105, v121, v99
	s_waitcnt_depctr 0xfff
	v_ldexp_f32 v12, v12, v96
	v_fma_f32 v96, -v14, v98, 1.0
	v_fma_f32 v94, -v94, v105, v113
	s_delay_alu instid0(VALU_DEP_3) | instskip(SKIP_1) | instid1(VALU_DEP_4)
	v_cndmask_b32_e64 v12, 0, v12, s29
	v_cmp_ngt_f32_e64 s29, 0xc2b17218, v15
	v_fmac_f32_e32 v98, v96, v98
	s_delay_alu instid0(VALU_DEP_2) | instskip(SKIP_1) | instid1(VALU_DEP_2)
	v_cndmask_b32_e64 v10, 0x7f800000, v10, s29
	v_cmp_ngt_f32_e64 s29, 0xc2b17218, v5
	v_add_f32_e32 v10, 1.0, v10
	s_delay_alu instid0(VALU_DEP_2) | instskip(SKIP_1) | instid1(VALU_DEP_3)
	v_cndmask_b32_e64 v12, 0x7f800000, v12, s29
	v_cmp_nlt_f32_e64 s29, 0x42ce8ed0, v16
	v_div_scale_f32 v122, null, v10, v10, v15
	s_delay_alu instid0(VALU_DEP_1) | instskip(SKIP_1) | instid1(VALU_DEP_1)
	v_rcp_f32_e32 v121, v122
	v_mul_f32_e32 v96, v108, v98
	v_fma_f32 v116, -v14, v96, v108
	s_delay_alu instid0(VALU_DEP_1) | instskip(NEXT) | instid1(VALU_DEP_1)
	v_fmac_f32_e32 v96, v116, v98
	v_fma_f32 v14, -v14, v96, v108
	v_sub_f32_e32 v108, v13, v95
	v_fma_f32 v13, 0xbfb8aa3b, v11, -v13
	v_add_f32_e32 v12, 1.0, v12
	v_cvt_i32_f32_e32 v95, v95
	v_div_fmas_f32 v14, v14, v98, v96
	s_mov_b32 vcc_lo, s28
	v_fmac_f32_e32 v13, 0xb2a5705f, v11
	v_div_scale_f32 v116, null, v12, v12, v5
	v_div_fmas_f32 v94, v94, v99, v105
	v_div_fixup_f32 v8, v14, v9, v8
	v_fma_f32 v9, -v122, v121, 1.0
	s_delay_alu instid0(VALU_DEP_4) | instskip(SKIP_2) | instid1(VALU_DEP_3)
	v_rcp_f32_e32 v96, v116
	v_div_scale_f32 v98, s28, v5, v12, v5
	v_div_fixup_f32 v4, v94, v6, v4
	v_fmac_f32_e32 v121, v9, v121
	s_delay_alu instid0(VALU_DEP_2)
	v_mul_f32_e32 v9, v119, v4
	v_div_scale_f32 v6, vcc_lo, v15, v10, v15
	s_waitcnt_depctr 0xfff
	v_fma_f32 v14, -v116, v96, 1.0
	v_exp_f32_e32 v4, v17
	v_bfe_u32 v97, v9, 16, 1
	s_delay_alu instid0(VALU_DEP_2) | instskip(NEXT) | instid1(VALU_DEP_2)
	v_fmac_f32_e32 v96, v14, v96
	v_add3_u32 v14, v9, v97, 0x7fff
	s_delay_alu instid0(VALU_DEP_2) | instskip(SKIP_2) | instid1(VALU_DEP_4)
	v_mul_f32_e32 v97, v98, v96
	v_add_f32_e32 v13, v108, v13
	v_mul_f32_e32 v94, v6, v121
	v_lshrrev_b32_e32 v14, 16, v14
	s_delay_alu instid0(TRANS32_DEP_1) | instskip(NEXT) | instid1(VALU_DEP_4)
	v_ldexp_f32 v4, v4, v100
	v_exp_f32_e32 v13, v13
	s_delay_alu instid0(VALU_DEP_3) | instskip(NEXT) | instid1(VALU_DEP_2)
	v_fma_f32 v99, -v122, v94, v6
	v_cndmask_b32_e64 v4, 0, v4, s29
	s_delay_alu instid0(VALU_DEP_2) | instskip(SKIP_1) | instid1(VALU_DEP_2)
	v_fmac_f32_e32 v94, v99, v121
	v_fma_f32 v99, -v116, v97, v98
	v_fma_f32 v6, -v122, v94, v6
	s_delay_alu instid0(VALU_DEP_2) | instskip(SKIP_1) | instid1(VALU_DEP_3)
	v_fmac_f32_e32 v97, v99, v96
	v_lshlrev_b32_e32 v99, 16, v7
	v_div_fmas_f32 v6, v6, v121, v94
	v_cmp_ngt_f32_e32 vcc_lo, 0xc2b17218, v16
	s_delay_alu instid0(VALU_DEP_3) | instskip(NEXT) | instid1(VALU_DEP_3)
	v_mul_f32_e32 v100, 0xbfb8aa3b, v99
	v_div_fixup_f32 v6, v6, v10, v15
	v_cndmask_b32_e32 v94, 0x7f800000, v4, vcc_lo
	v_mul_f32_e32 v8, v120, v8
	v_ldexp_f32 v10, v13, v95
	v_fma_f32 v113, 0xbfb8aa3b, v99, -v100
	s_delay_alu instid0(VALU_DEP_4) | instskip(NEXT) | instid1(VALU_DEP_4)
	v_add_f32_e32 v13, 1.0, v94
	v_bfe_u32 v17, v8, 16, 1
	v_cmp_o_f32_e32 vcc_lo, v8, v8
	s_delay_alu instid0(VALU_DEP_4) | instskip(NEXT) | instid1(VALU_DEP_4)
	v_fmac_f32_e32 v113, 0xb2a5705f, v99
	v_div_scale_f32 v15, null, v13, v13, v16
	s_delay_alu instid0(VALU_DEP_4) | instskip(SKIP_1) | instid1(VALU_DEP_2)
	v_add3_u32 v17, v8, v17, 0x7fff
	v_fma_f32 v8, -v116, v97, v98
	v_lshrrev_b32_e32 v17, 16, v17
	s_delay_alu instid0(VALU_DEP_1) | instskip(SKIP_1) | instid1(VALU_DEP_3)
	v_cndmask_b32_e32 v4, 0x7fc0, v17, vcc_lo
	s_mov_b32 vcc_lo, s28
	v_div_fmas_f32 v8, v8, v96, v97
	v_cmp_nlt_f32_e32 vcc_lo, 0x42ce8ed0, v11
	s_delay_alu instid0(VALU_DEP_2) | instskip(SKIP_3) | instid1(VALU_DEP_3)
	v_div_fixup_f32 v5, v8, v12, v5
	v_cndmask_b32_e32 v10, 0, v10, vcc_lo
	v_cmp_ngt_f32_e32 vcc_lo, 0xc2b17218, v11
	v_rcp_f32_e32 v8, v15
	v_mul_f32_e32 v12, v117, v5
	s_delay_alu instid0(VALU_DEP_3)
	v_cndmask_b32_e32 v10, 0x7f800000, v10, vcc_lo
	v_cmp_o_f32_e32 vcc_lo, v9, v9
	v_cndmask_b32_e32 v5, 0x7fc0, v14, vcc_lo
	v_and_b32_e32 v14, 0xffff0000, v7
	s_waitcnt_depctr 0xfff
	v_fma_f32 v94, -v15, v8, 1.0
	v_div_scale_f32 v7, vcc_lo, v16, v13, v16
	v_mul_f32_e32 v96, 0xbfb8aa3b, v14
	s_delay_alu instid0(VALU_DEP_3) | instskip(NEXT) | instid1(VALU_DEP_2)
	v_fmac_f32_e32 v8, v94, v8
	v_fma_f32 v97, 0xbfb8aa3b, v14, -v96
	v_rndne_f32_e32 v98, v96
	s_delay_alu instid0(VALU_DEP_3) | instskip(NEXT) | instid1(VALU_DEP_3)
	v_mul_f32_e32 v105, v7, v8
	v_fmac_f32_e32 v97, 0xb2a5705f, v14
	v_bfe_u32 v17, v12, 16, 1
	s_delay_alu instid0(VALU_DEP_3) | instskip(SKIP_1) | instid1(VALU_DEP_3)
	v_fma_f32 v116, -v15, v105, v7
	v_mul_f32_e32 v6, v118, v6
	v_add3_u32 v17, v12, v17, 0x7fff
	s_delay_alu instid0(VALU_DEP_3) | instskip(NEXT) | instid1(VALU_DEP_3)
	v_fmac_f32_e32 v105, v116, v8
	v_bfe_u32 v9, v6, 16, 1
	v_cmp_o_f32_e64 s29, v6, v6
	s_delay_alu instid0(VALU_DEP_4) | instskip(SKIP_1) | instid1(VALU_DEP_4)
	v_lshrrev_b32_e32 v17, 16, v17
	v_sub_f32_e32 v96, v96, v98
	v_add3_u32 v9, v6, v9, 0x7fff
	v_cvt_i32_f32_e32 v98, v98
	v_fma_f32 v7, -v15, v105, v7
	s_delay_alu instid0(VALU_DEP_4) | instskip(NEXT) | instid1(VALU_DEP_4)
	v_add_f32_e32 v96, v96, v97
	v_lshrrev_b32_e32 v9, 16, v9
	v_rndne_f32_e32 v97, v100
	s_delay_alu instid0(VALU_DEP_4)
	v_div_fmas_f32 v7, v7, v8, v105
	v_cmp_ngt_f32_e32 vcc_lo, 0xc2b17218, v14
	v_exp_f32_e32 v96, v96
	v_cndmask_b32_e64 v6, 0x7fc0, v9, s29
	v_cmp_nlt_f32_e64 s29, 0x42ce8ed0, v14
	v_sub_f32_e32 v100, v100, v97
	v_cvt_i32_f32_e32 v97, v97
	v_div_fixup_f32 v13, v7, v13, v16
	s_delay_alu instid0(VALU_DEP_3) | instskip(NEXT) | instid1(TRANS32_DEP_1)
	v_add_f32_e32 v100, v100, v113
	v_ldexp_f32 v9, v96, v98
	s_delay_alu instid0(VALU_DEP_2) | instskip(NEXT) | instid1(VALU_DEP_1)
	v_exp_f32_e32 v96, v100
	v_cndmask_b32_e64 v9, 0, v9, s29
	s_delay_alu instid0(VALU_DEP_1) | instskip(NEXT) | instid1(VALU_DEP_1)
	v_dual_add_f32 v10, 1.0, v10 :: v_dual_cndmask_b32 v9, 0x7f800000, v9
	v_div_scale_f32 v95, null, v10, v10, v11
	s_waitcnt_depctr 0xfff
	v_ldexp_f32 v8, v96, v97
	v_cmp_nlt_f32_e32 vcc_lo, 0x42ce8ed0, v99
	v_add_f32_e32 v9, 1.0, v9
	v_rcp_f32_e32 v94, v95
	s_delay_alu instid0(VALU_DEP_3) | instskip(SKIP_2) | instid1(VALU_DEP_1)
	v_cndmask_b32_e32 v8, 0, v8, vcc_lo
	s_waitcnt_depctr 0xfff
	v_fma_f32 v108, -v95, v94, 1.0
	v_fmac_f32_e32 v94, v108, v94
	v_div_scale_f32 v108, s28, v11, v10, v11
	s_delay_alu instid0(VALU_DEP_1) | instskip(NEXT) | instid1(VALU_DEP_1)
	s_mov_b32 vcc_lo, s28
	v_mul_f32_e32 v113, v108, v94
	v_div_scale_f32 v16, null, v9, v9, v14
	s_delay_alu instid0(VALU_DEP_2) | instskip(NEXT) | instid1(VALU_DEP_1)
	v_fma_f32 v15, -v95, v113, v108
	v_fmac_f32_e32 v113, v15, v94
	s_delay_alu instid0(VALU_DEP_1) | instskip(NEXT) | instid1(VALU_DEP_1)
	v_fma_f32 v7, -v95, v113, v108
	v_div_fmas_f32 v15, v7, v94, v113
	v_cmp_ngt_f32_e32 vcc_lo, 0xc2b17218, v99
	s_delay_alu instid0(VALU_DEP_2)
	v_div_fixup_f32 v10, v15, v10, v11
	v_cndmask_b32_e32 v8, 0x7f800000, v8, vcc_lo
	v_cmp_o_f32_e32 vcc_lo, v12, v12
	v_mul_f32_e32 v11, v115, v13
	v_rcp_f32_e32 v12, v16
	v_and_b32_e32 v13, 0xffff0000, v0
	v_dual_cndmask_b32 v7, 0x7fc0, v17 :: v_dual_lshlrev_b32 v0, 16, v0
	v_div_scale_f32 v105, vcc_lo, v14, v9, v14
	s_delay_alu instid0(VALU_DEP_3) | instskip(SKIP_3) | instid1(TRANS32_DEP_1)
	v_mul_f32_e32 v94, 0xbfb8aa3b, v13
	v_mul_f32_e32 v10, v114, v10
	v_cmp_nlt_f32_e64 s29, 0x42ce8ed0, v13
	v_bfe_u32 v15, v11, 16, 1
	v_fma_f32 v96, -v16, v12, 1.0
	v_fma_f32 v98, 0xbfb8aa3b, v13, -v94
	v_rndne_f32_e32 v100, v94
	s_delay_alu instid0(VALU_DEP_4) | instskip(NEXT) | instid1(VALU_DEP_4)
	v_add3_u32 v15, v11, v15, 0x7fff
	v_fmac_f32_e32 v12, v96, v12
	s_delay_alu instid0(VALU_DEP_4) | instskip(NEXT) | instid1(VALU_DEP_4)
	v_fmac_f32_e32 v98, 0xb2a5705f, v13
	v_sub_f32_e32 v94, v94, v100
	v_mul_f32_e32 v96, 0xbfb8aa3b, v0
	v_cvt_i32_f32_e32 v100, v100
	v_lshrrev_b32_e32 v15, 16, v15
	s_delay_alu instid0(VALU_DEP_4) | instskip(NEXT) | instid1(VALU_DEP_4)
	v_add_f32_e32 v94, v94, v98
	v_rndne_f32_e32 v98, v96
	v_fma_f32 v113, 0xbfb8aa3b, v0, -v96
	s_delay_alu instid0(VALU_DEP_1) | instskip(SKIP_1) | instid1(VALU_DEP_2)
	v_dual_sub_f32 v96, v96, v98 :: v_dual_fmac_f32 v113, 0xb2a5705f, v0
	v_cvt_i32_f32_e32 v98, v98
	v_add_f32_e32 v96, v96, v113
	s_delay_alu instid0(VALU_DEP_1) | instskip(SKIP_4) | instid1(VALU_DEP_1)
	v_exp_f32_e32 v96, v96
	s_waitcnt_depctr 0xfff
	v_ldexp_f32 v96, v96, v98
	v_and_b32_e32 v98, 0xffff0000, v1
	v_dual_mul_f32 v114, v105, v12 :: v_dual_lshlrev_b32 v1, 16, v1
	v_fma_f32 v113, -v16, v114, v105
	s_delay_alu instid0(VALU_DEP_1) | instskip(NEXT) | instid1(VALU_DEP_1)
	v_fmac_f32_e32 v114, v113, v12
	v_fma_f32 v16, -v16, v114, v105
	s_delay_alu instid0(VALU_DEP_1) | instskip(SKIP_1) | instid1(VALU_DEP_2)
	v_div_fmas_f32 v12, v16, v12, v114
	v_cmp_nlt_f32_e32 vcc_lo, 0x42ce8ed0, v0
	v_div_fixup_f32 v9, v12, v9, v14
	s_delay_alu instid0(VALU_DEP_1) | instskip(NEXT) | instid1(VALU_DEP_1)
	v_dual_add_f32 v8, 1.0, v8 :: v_dual_mul_f32 v9, v112, v9
	v_div_scale_f32 v17, null, v8, v8, v99
	v_mul_f32_e32 v112, 0xbfb8aa3b, v1
	s_delay_alu instid0(VALU_DEP_2) | instskip(NEXT) | instid1(VALU_DEP_1)
	v_rcp_f32_e32 v97, v17
	v_fma_f32 v113, 0xbfb8aa3b, v1, -v112
	s_delay_alu instid0(VALU_DEP_1) | instskip(SKIP_3) | instid1(VALU_DEP_1)
	v_fmac_f32_e32 v113, 0xb2a5705f, v1
	v_exp_f32_e32 v94, v94
	s_waitcnt_depctr 0xfff
	v_fma_f32 v108, -v17, v97, 1.0
	v_fmac_f32_e32 v97, v108, v97
	v_div_scale_f32 v108, s28, v99, v8, v99
	v_ldexp_f32 v94, v94, v100
	s_delay_alu instid0(VALU_DEP_2) | instskip(NEXT) | instid1(VALU_DEP_2)
	v_mul_f32_e32 v115, v108, v97
	v_cndmask_b32_e64 v94, 0, v94, s29
	v_cmp_ngt_f32_e64 s29, 0xc2b17218, v13
	s_delay_alu instid0(VALU_DEP_3) | instskip(NEXT) | instid1(VALU_DEP_2)
	v_fma_f32 v100, -v17, v115, v108
	v_cndmask_b32_e64 v94, 0x7f800000, v94, s29
	v_cmp_nlt_f32_e64 s29, 0x42ce8ed0, v98
	s_delay_alu instid0(VALU_DEP_3) | instskip(NEXT) | instid1(VALU_DEP_3)
	v_dual_fmac_f32 v115, v100, v97 :: v_dual_mul_f32 v100, 0xbfb8aa3b, v98
	v_add_f32_e32 v16, 1.0, v94
	v_cndmask_b32_e32 v94, 0, v96, vcc_lo
	s_delay_alu instid0(VALU_DEP_3) | instskip(SKIP_3) | instid1(VALU_DEP_3)
	v_fma_f32 v17, -v17, v115, v108
	s_mov_b32 vcc_lo, s28
	v_fma_f32 v14, 0xbfb8aa3b, v98, -v100
	v_div_scale_f32 v96, null, v16, v16, v13
	v_div_fmas_f32 v17, v17, v97, v115
	v_cmp_ngt_f32_e32 vcc_lo, 0xc2b17218, v0
	s_delay_alu instid0(VALU_DEP_4) | instskip(NEXT) | instid1(VALU_DEP_4)
	v_fmac_f32_e32 v14, 0xb2a5705f, v98
	v_rcp_f32_e32 v97, v96
	s_delay_alu instid0(VALU_DEP_3) | instskip(SKIP_2) | instid1(VALU_DEP_3)
	v_div_fixup_f32 v8, v17, v8, v99
	v_cndmask_b32_e32 v94, 0x7f800000, v94, vcc_lo
	v_cmp_o_f32_e32 vcc_lo, v11, v11
	v_mul_f32_e32 v8, v111, v8
	s_delay_alu instid0(VALU_DEP_3) | instskip(SKIP_1) | instid1(TRANS32_DEP_1)
	v_dual_add_f32 v12, 1.0, v94 :: v_dual_cndmask_b32 v11, 0x7fc0, v15
	v_rndne_f32_e32 v15, v100
	v_fma_f32 v17, -v96, v97, 1.0
	s_delay_alu instid0(VALU_DEP_2) | instskip(NEXT) | instid1(VALU_DEP_2)
	v_sub_f32_e32 v99, v100, v15
	v_fmac_f32_e32 v97, v17, v97
	v_bfe_u32 v95, v10, 16, 1
	v_cmp_o_f32_e64 s28, v10, v10
	v_cvt_i32_f32_e32 v15, v15
	v_add_f32_e32 v14, v99, v14
	v_div_scale_f32 v99, vcc_lo, v13, v16, v13
	v_add3_u32 v95, v10, v95, 0x7fff
	v_bfe_u32 v100, v8, 16, 1
	s_delay_alu instid0(VALU_DEP_4) | instskip(NEXT) | instid1(VALU_DEP_3)
	v_exp_f32_e32 v14, v14
	v_mul_f32_e32 v105, v99, v97
	v_div_scale_f32 v94, null, v12, v12, v0
	v_lshrrev_b32_e32 v95, 16, v95
	v_add3_u32 v100, v8, v100, 0x7fff
	s_delay_alu instid0(VALU_DEP_4) | instskip(NEXT) | instid1(VALU_DEP_4)
	v_fma_f32 v111, -v96, v105, v99
	v_rcp_f32_e32 v17, v94
	s_delay_alu instid0(VALU_DEP_3) | instskip(NEXT) | instid1(TRANS32_DEP_2)
	v_cndmask_b32_e64 v10, 0x7fc0, v95, s28
	v_ldexp_f32 v14, v14, v15
	v_div_scale_f32 v15, s28, v0, v12, v0
	v_fmac_f32_e32 v105, v111, v97
	v_bfe_u32 v95, v9, 16, 1
	s_delay_alu instid0(VALU_DEP_4) | instskip(SKIP_1) | instid1(TRANS32_DEP_1)
	v_cndmask_b32_e64 v14, 0, v14, s29
	v_cmp_ngt_f32_e64 s29, 0xc2b17218, v98
	v_fma_f32 v108, -v94, v17, 1.0
	v_fma_f32 v96, -v96, v105, v99
	v_add3_u32 v95, v9, v95, 0x7fff
	s_delay_alu instid0(VALU_DEP_4) | instskip(NEXT) | instid1(VALU_DEP_4)
	v_cndmask_b32_e64 v14, 0x7f800000, v14, s29
	v_fmac_f32_e32 v17, v108, v17
	v_rndne_f32_e32 v108, v112
	v_div_fmas_f32 v96, v96, v97, v105
	s_mov_b32 vcc_lo, s28
	v_add_f32_e32 v14, 1.0, v14
	v_mul_f32_e32 v114, v15, v17
	v_sub_f32_e32 v112, v112, v108
	v_div_fixup_f32 v13, v96, v16, v13
	v_lshrrev_b32_e32 v16, 16, v95
	v_cmp_o_f32_e64 s28, v9, v9
	v_fma_f32 v111, -v94, v114, v15
	v_add_f32_e32 v112, v112, v113
	s_delay_alu instid0(VALU_DEP_3) | instskip(NEXT) | instid1(VALU_DEP_3)
	v_cndmask_b32_e64 v9, 0x7fc0, v16, s28
	v_fmac_f32_e32 v114, v111, v17
	s_delay_alu instid0(VALU_DEP_3) | instskip(SKIP_2) | instid1(VALU_DEP_3)
	v_exp_f32_e32 v99, v112
	v_div_scale_f32 v111, null, v14, v14, v98
	v_cmp_o_f32_e64 s28, v8, v8
	v_fma_f32 v15, -v94, v114, v15
	v_cvt_i32_f32_e32 v94, v108
	s_delay_alu instid0(VALU_DEP_4) | instskip(NEXT) | instid1(VALU_DEP_2)
	v_rcp_f32_e32 v97, v111
	v_div_fmas_f32 v15, v15, v17, v114
	s_delay_alu instid0(TRANS32_DEP_2) | instid1(VALU_DEP_2)
	v_ldexp_f32 v17, v99, v94
	v_cmp_nlt_f32_e32 vcc_lo, 0x42ce8ed0, v1
	v_lshrrev_b32_e32 v94, 16, v100
	v_and_b32_e32 v100, 0xffff0000, v2
	v_div_fixup_f32 v0, v15, v12, v0
	v_mul_f32_e32 v12, v110, v13
	v_cndmask_b32_e32 v13, 0, v17, vcc_lo
	v_cmp_ngt_f32_e32 vcc_lo, 0xc2b17218, v1
	v_fma_f32 v15, -v111, v97, 1.0
	v_mul_f32_e32 v0, v109, v0
	v_bfe_u32 v17, v12, 16, 1
	v_cndmask_b32_e64 v8, 0x7fc0, v94, s28
	v_cndmask_b32_e32 v13, 0x7f800000, v13, vcc_lo
	v_fmac_f32_e32 v97, v15, v97
	v_div_scale_f32 v15, vcc_lo, v98, v14, v98
	v_add3_u32 v17, v12, v17, 0x7fff
	s_delay_alu instid0(VALU_DEP_4) | instskip(SKIP_1) | instid1(VALU_DEP_4)
	v_add_f32_e32 v13, 1.0, v13
	v_bfe_u32 v16, v0, 16, 1
	v_mul_f32_e32 v95, v15, v97
	v_cmp_o_f32_e64 s28, v12, v12
	v_lshrrev_b32_e32 v17, 16, v17
	v_div_scale_f32 v96, null, v13, v13, v1
	s_delay_alu instid0(VALU_DEP_4) | instskip(SKIP_1) | instid1(VALU_DEP_4)
	v_fma_f32 v94, -v111, v95, v15
	v_add3_u32 v16, v0, v16, 0x7fff
	v_cndmask_b32_e64 v12, 0x7fc0, v17, s28
	s_delay_alu instid0(VALU_DEP_4) | instskip(SKIP_4) | instid1(VALU_DEP_3)
	v_rcp_f32_e32 v99, v96
	v_cmp_o_f32_e64 s28, v0, v0
	v_fmac_f32_e32 v95, v94, v97
	v_mul_f32_e32 v17, 0xbfb8aa3b, v100
	v_lshrrev_b32_e32 v16, 16, v16
	v_fma_f32 v0, -v111, v95, v15
	s_delay_alu instid0(VALU_DEP_3) | instskip(SKIP_1) | instid1(TRANS32_DEP_1)
	v_fma_f32 v94, 0xbfb8aa3b, v100, -v17
	v_rndne_f32_e32 v105, v17
	v_fma_f32 v15, -v96, v99, 1.0
	v_cndmask_b32_e64 v16, 0x7fc0, v16, s28
	v_div_fmas_f32 v0, v0, v97, v95
	v_div_scale_f32 v95, vcc_lo, v1, v13, v1
	s_delay_alu instid0(VALU_DEP_4) | instskip(SKIP_3) | instid1(VALU_DEP_4)
	v_dual_fmac_f32 v99, v15, v99 :: v_dual_fmac_f32 v94, 0xb2a5705f, v100
	v_sub_f32_e32 v17, v17, v105
	v_cvt_i32_f32_e32 v105, v105
	v_cmp_nlt_f32_e64 s28, 0x42ce8ed0, v100
	v_mul_f32_e32 v97, v95, v99
	v_div_fixup_f32 v0, v0, v14, v98
	v_dual_add_f32 v17, v17, v94 :: v_dual_and_b32 v98, 0xffff0000, v3
	v_lshlrev_b32_e32 v3, 16, v3
	s_delay_alu instid0(VALU_DEP_4) | instskip(NEXT) | instid1(VALU_DEP_4)
	v_fma_f32 v108, -v96, v97, v95
	v_mul_f32_e32 v0, v107, v0
	s_delay_alu instid0(VALU_DEP_4) | instskip(SKIP_1) | instid1(VALU_DEP_3)
	v_exp_f32_e32 v17, v17
	v_mul_f32_e32 v109, 0xbfb8aa3b, v98
	v_fmac_f32_e32 v97, v108, v99
	s_delay_alu instid0(VALU_DEP_2) | instskip(NEXT) | instid1(VALU_DEP_2)
	v_rndne_f32_e32 v108, v109
	v_fma_f32 v95, -v96, v97, v95
	s_waitcnt_depctr 0xfff
	v_ldexp_f32 v17, v17, v105
	v_mul_f32_e32 v105, 0xbfb8aa3b, v3
	v_div_fmas_f32 v95, v95, v99, v97
	s_delay_alu instid0(VALU_DEP_3) | instskip(SKIP_1) | instid1(VALU_DEP_4)
	v_cndmask_b32_e64 v17, 0, v17, s28
	v_cmp_ngt_f32_e64 s28, 0xc2b17218, v100
	v_rndne_f32_e32 v110, v105
	s_delay_alu instid0(VALU_DEP_4)
	v_div_fixup_f32 v1, v95, v13, v1
	v_lshlrev_b32_e32 v2, 16, v2
	v_fma_f32 v111, 0xbfb8aa3b, v3, -v105
	v_cndmask_b32_e64 v17, 0x7f800000, v17, s28
	v_sub_f32_e32 v105, v105, v110
	v_mul_f32_e32 v1, v106, v1
	v_mul_f32_e32 v15, 0xbfb8aa3b, v2
	v_fmac_f32_e32 v111, 0xb2a5705f, v3
	v_add_f32_e32 v17, 1.0, v17
	v_cmp_nlt_f32_e64 s28, 0x42ce8ed0, v2
	v_bfe_u32 v116, v1, 16, 1
	v_rndne_f32_e32 v14, v15
	v_fma_f32 v94, 0xbfb8aa3b, v2, -v15
	v_div_scale_f32 v99, vcc_lo, v100, v17, v100
	s_delay_alu instid0(VALU_DEP_3) | instskip(NEXT) | instid1(VALU_DEP_3)
	v_sub_f32_e32 v15, v15, v14
	v_fmac_f32_e32 v94, 0xb2a5705f, v2
	v_cvt_i32_f32_e32 v14, v14
	s_delay_alu instid0(VALU_DEP_2) | instskip(SKIP_2) | instid1(VALU_DEP_3)
	v_add_f32_e32 v15, v15, v94
	v_fma_f32 v94, 0xbfb8aa3b, v98, -v109
	v_sub_f32_e32 v109, v109, v108
	v_exp_f32_e32 v15, v15
	s_delay_alu instid0(VALU_DEP_2)
	v_fmac_f32_e32 v94, 0xb2a5705f, v98
	s_waitcnt_depctr 0xfff
	v_ldexp_f32 v14, v15, v14
	v_add_f32_e32 v15, v109, v94
	v_add_f32_e32 v94, v105, v111
	v_cvt_i32_f32_e32 v105, v108
	v_div_scale_f32 v108, null, v17, v17, v100
	v_cvt_i32_f32_e32 v109, v110
	s_delay_alu instid0(VALU_DEP_4) | instskip(SKIP_1) | instid1(VALU_DEP_2)
	v_exp_f32_e32 v94, v94
	v_exp_f32_e32 v15, v15
	v_rcp_f32_e32 v96, v108
	v_cndmask_b32_e64 v14, 0, v14, s28
	v_cmp_ngt_f32_e64 s28, 0xc2b17218, v2
	s_delay_alu instid0(VALU_DEP_1) | instskip(NEXT) | instid1(TRANS32_DEP_3)
	v_cndmask_b32_e64 v14, 0x7f800000, v14, s28
	v_ldexp_f32 v94, v94, v109
	s_waitcnt_depctr 0xfff
	v_ldexp_f32 v15, v15, v105
	v_fma_f32 v109, -v108, v96, 1.0
	s_delay_alu instid0(VALU_DEP_1) | instskip(NEXT) | instid1(VALU_DEP_1)
	v_fmac_f32_e32 v96, v109, v96
	v_mul_f32_e32 v13, v99, v96
	s_delay_alu instid0(VALU_DEP_1) | instskip(NEXT) | instid1(VALU_DEP_1)
	v_fma_f32 v113, -v108, v13, v99
	v_fmac_f32_e32 v13, v113, v96
	v_cmp_nlt_f32_e64 s28, 0x42ce8ed0, v98
	s_delay_alu instid0(VALU_DEP_2) | instskip(NEXT) | instid1(VALU_DEP_2)
	v_fma_f32 v99, -v108, v13, v99
	v_cndmask_b32_e64 v15, 0, v15, s28
	v_cmp_nlt_f32_e64 s28, 0x42ce8ed0, v3
	s_delay_alu instid0(VALU_DEP_1) | instskip(SKIP_1) | instid1(VALU_DEP_1)
	v_cndmask_b32_e64 v94, 0, v94, s28
	v_cmp_ngt_f32_e64 s28, 0xc2b17218, v98
	v_cndmask_b32_e64 v15, 0x7f800000, v15, s28
	v_cmp_ngt_f32_e64 s28, 0xc2b17218, v3
	s_delay_alu instid0(VALU_DEP_2) | instskip(NEXT) | instid1(VALU_DEP_2)
	v_add_f32_e32 v15, 1.0, v15
	v_cndmask_b32_e64 v94, 0x7f800000, v94, s28
	s_delay_alu instid0(VALU_DEP_2) | instskip(NEXT) | instid1(VALU_DEP_2)
	v_div_scale_f32 v97, null, v15, v15, v98
	v_add_f32_e32 v94, 1.0, v94
	s_delay_alu instid0(VALU_DEP_2) | instskip(NEXT) | instid1(VALU_DEP_1)
	v_rcp_f32_e32 v111, v97
	v_div_scale_f32 v112, null, v94, v94, v3
	s_delay_alu instid0(VALU_DEP_1) | instskip(SKIP_2) | instid1(VALU_DEP_1)
	v_rcp_f32_e32 v95, v112
	s_waitcnt_depctr 0xfff
	v_fma_f32 v115, -v112, v95, 1.0
	v_fmac_f32_e32 v95, v115, v95
	v_div_scale_f32 v115, s30, v3, v94, v3
	v_add_f32_e32 v14, 1.0, v14
	s_delay_alu instid0(VALU_DEP_1) | instskip(SKIP_1) | instid1(VALU_DEP_2)
	v_div_scale_f32 v105, null, v14, v14, v2
	v_div_scale_f32 v107, s28, v2, v14, v2
	v_rcp_f32_e32 v110, v105
	s_waitcnt_depctr 0xfff
	v_fma_f32 v109, -v105, v110, 1.0
	s_delay_alu instid0(VALU_DEP_1) | instskip(SKIP_1) | instid1(VALU_DEP_1)
	v_fmac_f32_e32 v110, v109, v110
	v_fma_f32 v109, -v97, v111, 1.0
	v_dual_mul_f32 v114, v107, v110 :: v_dual_fmac_f32 v111, v109, v111
	v_div_scale_f32 v109, s29, v98, v15, v98
	s_delay_alu instid0(VALU_DEP_2) | instskip(NEXT) | instid1(VALU_DEP_2)
	v_fma_f32 v113, -v105, v114, v107
	v_mul_f32_e32 v117, v109, v111
	s_delay_alu instid0(VALU_DEP_2) | instskip(NEXT) | instid1(VALU_DEP_2)
	v_dual_fmac_f32 v114, v113, v110 :: v_dual_mul_f32 v113, v115, v95
	v_fma_f32 v108, -v97, v117, v109
	s_delay_alu instid0(VALU_DEP_1) | instskip(SKIP_1) | instid1(VALU_DEP_4)
	v_fmac_f32_e32 v117, v108, v111
	v_div_fmas_f32 v13, v99, v96, v13
	v_fma_f32 v96, -v105, v114, v107
	s_mov_b32 vcc_lo, s28
	v_fma_f32 v99, -v112, v113, v115
	s_delay_alu instid0(VALU_DEP_3)
	v_div_fixup_f32 v13, v13, v17, v100
	v_fma_f32 v17, -v97, v117, v109
	v_div_fmas_f32 v96, v96, v110, v114
	s_mov_b32 vcc_lo, s29
	v_fmac_f32_e32 v113, v99, v95
	v_mul_f32_e32 v13, v103, v13
	v_div_fmas_f32 v17, v17, v111, v117
	v_div_fixup_f32 v2, v96, v14, v2
	s_mov_b32 vcc_lo, s30
	v_fma_f32 v14, -v112, v113, v115
	v_add3_u32 v99, v1, v116, 0x7fff
	v_div_fixup_f32 v15, v17, v15, v98
	v_mul_f32_e32 v2, v102, v2
	v_bfe_u32 v17, v13, 16, 1
	v_div_fmas_f32 v14, v14, v95, v113
	s_delay_alu instid0(VALU_DEP_4) | instskip(SKIP_2) | instid1(VALU_DEP_4)
	v_mul_f32_e32 v15, v104, v15
	v_bfe_u32 v106, v0, 16, 1
	v_cmp_o_f32_e32 vcc_lo, v0, v0
	v_div_fixup_f32 v3, v14, v94, v3
	v_lshrrev_b32_e32 v14, 16, v99
	v_bfe_u32 v94, v2, 16, 1
	v_add3_u32 v106, v0, v106, 0x7fff
	v_add3_u32 v0, v13, v17, 0x7fff
	v_mul_f32_e32 v3, v101, v3
	s_delay_alu instid0(VALU_DEP_4) | instskip(NEXT) | instid1(VALU_DEP_4)
	v_add3_u32 v17, v2, v94, 0x7fff
	v_lshrrev_b32_e32 v95, 16, v106
	v_bfe_u32 v94, v15, 16, 1
	v_lshrrev_b32_e32 v0, 16, v0
	v_bfe_u32 v96, v3, 16, 1
	v_lshrrev_b32_e32 v17, 16, v17
	v_cndmask_b32_e32 v95, 0x7fc0, v95, vcc_lo
	v_cmp_o_f32_e32 vcc_lo, v1, v1
	v_add3_u32 v1, v15, v94, 0x7fff
	v_add3_u32 v94, v3, v96, 0x7fff
	v_cndmask_b32_e32 v14, 0x7fc0, v14, vcc_lo
	v_cmp_o_f32_e32 vcc_lo, v13, v13
	v_cndmask_b32_e32 v13, 0x7fc0, v0, vcc_lo
	v_cmp_o_f32_e32 vcc_lo, v2, v2
	v_lshrrev_b32_e32 v0, 16, v1
	v_lshrrev_b32_e32 v1, 16, v94
	v_perm_b32 v2, v11, v10, 0x5040100
	v_cndmask_b32_e32 v17, 0x7fc0, v17, vcc_lo
	v_cmp_o_f32_e32 vcc_lo, v15, v15
	v_cndmask_b32_e32 v15, 0x7fc0, v0, vcc_lo
	v_cmp_o_f32_e32 vcc_lo, v3, v3
	v_perm_b32 v3, v9, v8, 0x5040100
	v_perm_b32 v0, v4, v5, 0x5040100
	;; [unrolled: 1-line block ×4, first 2 shown]
	v_cndmask_b32_e32 v94, 0x7fc0, v1, vcc_lo
	v_perm_b32 v1, v6, v7, 0x5040100
	v_perm_b32 v6, v13, v17, 0x5040100
	s_delay_alu instid0(VALU_DEP_3)
	v_perm_b32 v7, v15, v94, 0x5040100
	ds_store_b128 v52, v[0:3]
	ds_store_b128 v52, v[4:7] offset:16
	; wave barrier
	ds_load_u16 v16, v37 offset:64
	ds_load_u16 v15, v38 offset:128
	;; [unrolled: 1-line block ×15, first 2 shown]
	v_add_co_u32 v0, vcc_lo, v76, s34
	v_add_co_ci_u32_e32 v1, vcc_lo, s35, v77, vcc_lo
	s_and_saveexec_b32 s28, s12
	s_cbranch_execnz .LBB16_284
; %bb.252:                              ;   in Loop: Header=BB16_12 Depth=1
	s_or_b32 exec_lo, exec_lo, s28
	s_and_saveexec_b32 s12, s13
	s_cbranch_execnz .LBB16_285
.LBB16_253:                             ;   in Loop: Header=BB16_12 Depth=1
	s_or_b32 exec_lo, exec_lo, s12
	s_and_saveexec_b32 s12, s14
	s_cbranch_execnz .LBB16_286
.LBB16_254:                             ;   in Loop: Header=BB16_12 Depth=1
	s_or_b32 exec_lo, exec_lo, s12
	s_and_saveexec_b32 s12, s15
	s_cbranch_execnz .LBB16_287
.LBB16_255:                             ;   in Loop: Header=BB16_12 Depth=1
	s_or_b32 exec_lo, exec_lo, s12
	s_and_saveexec_b32 s12, s16
	s_cbranch_execnz .LBB16_288
.LBB16_256:                             ;   in Loop: Header=BB16_12 Depth=1
	s_or_b32 exec_lo, exec_lo, s12
	s_and_saveexec_b32 s12, s17
	s_cbranch_execnz .LBB16_289
.LBB16_257:                             ;   in Loop: Header=BB16_12 Depth=1
	s_or_b32 exec_lo, exec_lo, s12
	s_and_saveexec_b32 s12, s18
	s_cbranch_execnz .LBB16_290
.LBB16_258:                             ;   in Loop: Header=BB16_12 Depth=1
	s_or_b32 exec_lo, exec_lo, s12
	s_and_saveexec_b32 s12, s19
	s_cbranch_execnz .LBB16_291
.LBB16_259:                             ;   in Loop: Header=BB16_12 Depth=1
	s_or_b32 exec_lo, exec_lo, s12
	s_and_saveexec_b32 s12, s20
	s_cbranch_execnz .LBB16_292
.LBB16_260:                             ;   in Loop: Header=BB16_12 Depth=1
	s_or_b32 exec_lo, exec_lo, s12
	s_and_saveexec_b32 s12, s21
	s_cbranch_execnz .LBB16_293
.LBB16_261:                             ;   in Loop: Header=BB16_12 Depth=1
	s_or_b32 exec_lo, exec_lo, s12
	s_and_saveexec_b32 s12, s22
	s_cbranch_execnz .LBB16_294
.LBB16_262:                             ;   in Loop: Header=BB16_12 Depth=1
	s_or_b32 exec_lo, exec_lo, s12
	s_and_saveexec_b32 s12, s23
	s_cbranch_execnz .LBB16_295
.LBB16_263:                             ;   in Loop: Header=BB16_12 Depth=1
	s_or_b32 exec_lo, exec_lo, s12
	s_and_saveexec_b32 s12, s24
	s_cbranch_execnz .LBB16_296
.LBB16_264:                             ;   in Loop: Header=BB16_12 Depth=1
	s_or_b32 exec_lo, exec_lo, s12
	s_and_saveexec_b32 s12, s25
	s_cbranch_execnz .LBB16_297
.LBB16_265:                             ;   in Loop: Header=BB16_12 Depth=1
	s_or_b32 exec_lo, exec_lo, s12
	s_and_saveexec_b32 s12, s26
	s_cbranch_execnz .LBB16_298
.LBB16_266:                             ;   in Loop: Header=BB16_12 Depth=1
	s_or_b32 exec_lo, exec_lo, s12
	s_and_saveexec_b32 s12, s27
	s_cbranch_execz .LBB16_11
	s_branch .LBB16_299
.LBB16_267:                             ;   in Loop: Header=BB16_12 Depth=1
	global_load_u16 v101, v[8:9], off offset:832
	s_or_b32 exec_lo, exec_lo, s28
	s_and_saveexec_b32 s28, s26
	s_cbranch_execz .LBB16_72
.LBB16_268:                             ;   in Loop: Header=BB16_12 Depth=1
	global_load_u16 v100, v[8:9], off offset:896
	s_or_b32 exec_lo, exec_lo, s28
	v_mov_b32_e32 v102, 0
	s_and_saveexec_b32 s28, s27
	s_cbranch_execnz .LBB16_73
	s_branch .LBB16_74
.LBB16_269:                             ;   in Loop: Header=BB16_12 Depth=1
	ds_load_u16 v17, v37
	s_waitcnt lgkmcnt(0)
	global_store_b16 v[0:1], v17, off
	s_or_b32 exec_lo, exec_lo, s28
	s_and_saveexec_b32 s28, s13
	s_cbranch_execz .LBB16_204
.LBB16_270:                             ;   in Loop: Header=BB16_12 Depth=1
	s_waitcnt lgkmcnt(14)
	global_store_b16 v[0:1], v16, off offset:64
	s_or_b32 exec_lo, exec_lo, s28
	s_and_saveexec_b32 s28, s14
	s_cbranch_execz .LBB16_205
.LBB16_271:                             ;   in Loop: Header=BB16_12 Depth=1
	s_waitcnt lgkmcnt(13)
	global_store_b16 v[0:1], v15, off offset:128
	s_or_b32 exec_lo, exec_lo, s28
	s_and_saveexec_b32 s28, s15
	s_cbranch_execz .LBB16_206
.LBB16_272:                             ;   in Loop: Header=BB16_12 Depth=1
	s_waitcnt lgkmcnt(12)
	global_store_b16 v[0:1], v14, off offset:192
	s_or_b32 exec_lo, exec_lo, s28
	s_and_saveexec_b32 s28, s16
	s_cbranch_execz .LBB16_207
.LBB16_273:                             ;   in Loop: Header=BB16_12 Depth=1
	s_waitcnt lgkmcnt(11)
	global_store_b16 v[0:1], v13, off offset:256
	s_or_b32 exec_lo, exec_lo, s28
	s_and_saveexec_b32 s28, s17
	s_cbranch_execz .LBB16_208
.LBB16_274:                             ;   in Loop: Header=BB16_12 Depth=1
	s_waitcnt lgkmcnt(10)
	global_store_b16 v[0:1], v12, off offset:320
	s_or_b32 exec_lo, exec_lo, s28
	s_and_saveexec_b32 s28, s18
	s_cbranch_execz .LBB16_209
.LBB16_275:                             ;   in Loop: Header=BB16_12 Depth=1
	s_waitcnt lgkmcnt(9)
	global_store_b16 v[0:1], v11, off offset:384
	s_or_b32 exec_lo, exec_lo, s28
	s_and_saveexec_b32 s28, s19
	s_cbranch_execz .LBB16_210
.LBB16_276:                             ;   in Loop: Header=BB16_12 Depth=1
	s_waitcnt lgkmcnt(8)
	global_store_b16 v[0:1], v10, off offset:448
	s_or_b32 exec_lo, exec_lo, s28
	s_and_saveexec_b32 s28, s20
	s_cbranch_execz .LBB16_211
.LBB16_277:                             ;   in Loop: Header=BB16_12 Depth=1
	s_waitcnt lgkmcnt(7)
	global_store_b16 v[0:1], v9, off offset:512
	s_or_b32 exec_lo, exec_lo, s28
	s_and_saveexec_b32 s28, s21
	s_cbranch_execz .LBB16_212
.LBB16_278:                             ;   in Loop: Header=BB16_12 Depth=1
	s_waitcnt lgkmcnt(6)
	global_store_b16 v[0:1], v8, off offset:576
	s_or_b32 exec_lo, exec_lo, s28
	s_and_saveexec_b32 s28, s22
	s_cbranch_execz .LBB16_213
.LBB16_279:                             ;   in Loop: Header=BB16_12 Depth=1
	s_waitcnt lgkmcnt(5)
	global_store_b16 v[0:1], v7, off offset:640
	s_or_b32 exec_lo, exec_lo, s28
	s_and_saveexec_b32 s28, s23
	s_cbranch_execz .LBB16_214
.LBB16_280:                             ;   in Loop: Header=BB16_12 Depth=1
	s_waitcnt lgkmcnt(4)
	global_store_b16 v[0:1], v6, off offset:704
	s_or_b32 exec_lo, exec_lo, s28
	s_and_saveexec_b32 s28, s24
	s_cbranch_execz .LBB16_215
.LBB16_281:                             ;   in Loop: Header=BB16_12 Depth=1
	s_waitcnt lgkmcnt(3)
	global_store_b16 v[0:1], v5, off offset:768
	s_or_b32 exec_lo, exec_lo, s28
	s_and_saveexec_b32 s28, s25
	s_cbranch_execz .LBB16_216
.LBB16_282:                             ;   in Loop: Header=BB16_12 Depth=1
	s_waitcnt lgkmcnt(2)
	global_store_b16 v[0:1], v4, off offset:832
	s_or_b32 exec_lo, exec_lo, s28
	s_and_saveexec_b32 s28, s26
	s_cbranch_execz .LBB16_217
.LBB16_283:                             ;   in Loop: Header=BB16_12 Depth=1
	s_waitcnt lgkmcnt(1)
	global_store_b16 v[0:1], v3, off offset:896
	s_or_b32 exec_lo, exec_lo, s28
	s_and_saveexec_b32 s28, s27
	s_cbranch_execnz .LBB16_218
	s_branch .LBB16_219
.LBB16_284:                             ;   in Loop: Header=BB16_12 Depth=1
	ds_load_u16 v17, v37
	s_waitcnt lgkmcnt(0)
	global_store_b16 v[0:1], v17, off
	s_or_b32 exec_lo, exec_lo, s28
	s_and_saveexec_b32 s12, s13
	s_cbranch_execz .LBB16_253
.LBB16_285:                             ;   in Loop: Header=BB16_12 Depth=1
	s_waitcnt lgkmcnt(14)
	global_store_b16 v[0:1], v16, off offset:64
	s_or_b32 exec_lo, exec_lo, s12
	s_and_saveexec_b32 s12, s14
	s_cbranch_execz .LBB16_254
.LBB16_286:                             ;   in Loop: Header=BB16_12 Depth=1
	s_waitcnt lgkmcnt(13)
	global_store_b16 v[0:1], v15, off offset:128
	s_or_b32 exec_lo, exec_lo, s12
	s_and_saveexec_b32 s12, s15
	s_cbranch_execz .LBB16_255
.LBB16_287:                             ;   in Loop: Header=BB16_12 Depth=1
	s_waitcnt lgkmcnt(12)
	global_store_b16 v[0:1], v14, off offset:192
	s_or_b32 exec_lo, exec_lo, s12
	s_and_saveexec_b32 s12, s16
	s_cbranch_execz .LBB16_256
.LBB16_288:                             ;   in Loop: Header=BB16_12 Depth=1
	s_waitcnt lgkmcnt(11)
	global_store_b16 v[0:1], v13, off offset:256
	s_or_b32 exec_lo, exec_lo, s12
	s_and_saveexec_b32 s12, s17
	s_cbranch_execz .LBB16_257
.LBB16_289:                             ;   in Loop: Header=BB16_12 Depth=1
	s_waitcnt lgkmcnt(10)
	global_store_b16 v[0:1], v12, off offset:320
	s_or_b32 exec_lo, exec_lo, s12
	s_and_saveexec_b32 s12, s18
	s_cbranch_execz .LBB16_258
.LBB16_290:                             ;   in Loop: Header=BB16_12 Depth=1
	s_waitcnt lgkmcnt(9)
	global_store_b16 v[0:1], v11, off offset:384
	s_or_b32 exec_lo, exec_lo, s12
	s_and_saveexec_b32 s12, s19
	s_cbranch_execz .LBB16_259
.LBB16_291:                             ;   in Loop: Header=BB16_12 Depth=1
	s_waitcnt lgkmcnt(8)
	global_store_b16 v[0:1], v10, off offset:448
	s_or_b32 exec_lo, exec_lo, s12
	s_and_saveexec_b32 s12, s20
	s_cbranch_execz .LBB16_260
.LBB16_292:                             ;   in Loop: Header=BB16_12 Depth=1
	s_waitcnt lgkmcnt(7)
	global_store_b16 v[0:1], v9, off offset:512
	s_or_b32 exec_lo, exec_lo, s12
	s_and_saveexec_b32 s12, s21
	s_cbranch_execz .LBB16_261
.LBB16_293:                             ;   in Loop: Header=BB16_12 Depth=1
	s_waitcnt lgkmcnt(6)
	global_store_b16 v[0:1], v8, off offset:576
	s_or_b32 exec_lo, exec_lo, s12
	s_and_saveexec_b32 s12, s22
	s_cbranch_execz .LBB16_262
.LBB16_294:                             ;   in Loop: Header=BB16_12 Depth=1
	s_waitcnt lgkmcnt(5)
	global_store_b16 v[0:1], v7, off offset:640
	s_or_b32 exec_lo, exec_lo, s12
	s_and_saveexec_b32 s12, s23
	s_cbranch_execz .LBB16_263
.LBB16_295:                             ;   in Loop: Header=BB16_12 Depth=1
	s_waitcnt lgkmcnt(4)
	global_store_b16 v[0:1], v6, off offset:704
	s_or_b32 exec_lo, exec_lo, s12
	s_and_saveexec_b32 s12, s24
	s_cbranch_execz .LBB16_264
.LBB16_296:                             ;   in Loop: Header=BB16_12 Depth=1
	s_waitcnt lgkmcnt(3)
	global_store_b16 v[0:1], v5, off offset:768
	s_or_b32 exec_lo, exec_lo, s12
	s_and_saveexec_b32 s12, s25
	s_cbranch_execz .LBB16_265
.LBB16_297:                             ;   in Loop: Header=BB16_12 Depth=1
	s_waitcnt lgkmcnt(2)
	global_store_b16 v[0:1], v4, off offset:832
	s_or_b32 exec_lo, exec_lo, s12
	s_and_saveexec_b32 s12, s26
	s_cbranch_execz .LBB16_266
.LBB16_298:                             ;   in Loop: Header=BB16_12 Depth=1
	s_waitcnt lgkmcnt(1)
	global_store_b16 v[0:1], v3, off offset:896
	s_or_b32 exec_lo, exec_lo, s12
	s_and_saveexec_b32 s12, s27
	s_cbranch_execz .LBB16_11
.LBB16_299:                             ;   in Loop: Header=BB16_12 Depth=1
	s_waitcnt lgkmcnt(0)
	global_store_b16 v[0:1], v2, off offset:960
	s_branch .LBB16_11
.LBB16_300:
	s_nop 0
	s_sendmsg sendmsg(MSG_DEALLOC_VGPRS)
	s_endpgm
	.section	.rodata,"a",@progbits
	.p2align	6, 0x0
	.amdhsa_kernel _Z25selective_scan_fwd_kernelI32Selective_Scan_fwd_kernel_traitsILi64ELi16ELi1ELb1ELb1ELb1ELb1ELb1EN3c108BFloat16EfS2_EEv13SSMParamsBase
		.amdhsa_group_segment_fixed_size 0
		.amdhsa_private_segment_fixed_size 0
		.amdhsa_kernarg_size 248
		.amdhsa_user_sgpr_count 14
		.amdhsa_user_sgpr_dispatch_ptr 0
		.amdhsa_user_sgpr_queue_ptr 0
		.amdhsa_user_sgpr_kernarg_segment_ptr 1
		.amdhsa_user_sgpr_dispatch_id 0
		.amdhsa_user_sgpr_private_segment_size 0
		.amdhsa_wavefront_size32 1
		.amdhsa_uses_dynamic_stack 0
		.amdhsa_enable_private_segment 0
		.amdhsa_system_sgpr_workgroup_id_x 1
		.amdhsa_system_sgpr_workgroup_id_y 1
		.amdhsa_system_sgpr_workgroup_id_z 0
		.amdhsa_system_sgpr_workgroup_info 0
		.amdhsa_system_vgpr_workitem_id 0
		.amdhsa_next_free_vgpr 176
		.amdhsa_next_free_sgpr 92
		.amdhsa_reserve_vcc 1
		.amdhsa_float_round_mode_32 0
		.amdhsa_float_round_mode_16_64 0
		.amdhsa_float_denorm_mode_32 3
		.amdhsa_float_denorm_mode_16_64 3
		.amdhsa_dx10_clamp 1
		.amdhsa_ieee_mode 1
		.amdhsa_fp16_overflow 0
		.amdhsa_workgroup_processor_mode 1
		.amdhsa_memory_ordered 1
		.amdhsa_forward_progress 0
		.amdhsa_shared_vgpr_count 0
		.amdhsa_exception_fp_ieee_invalid_op 0
		.amdhsa_exception_fp_denorm_src 0
		.amdhsa_exception_fp_ieee_div_zero 0
		.amdhsa_exception_fp_ieee_overflow 0
		.amdhsa_exception_fp_ieee_underflow 0
		.amdhsa_exception_fp_ieee_inexact 0
		.amdhsa_exception_int_div_zero 0
	.end_amdhsa_kernel
	.section	.text._Z25selective_scan_fwd_kernelI32Selective_Scan_fwd_kernel_traitsILi64ELi16ELi1ELb1ELb1ELb1ELb1ELb1EN3c108BFloat16EfS2_EEv13SSMParamsBase,"axG",@progbits,_Z25selective_scan_fwd_kernelI32Selective_Scan_fwd_kernel_traitsILi64ELi16ELi1ELb1ELb1ELb1ELb1ELb1EN3c108BFloat16EfS2_EEv13SSMParamsBase,comdat
.Lfunc_end16:
	.size	_Z25selective_scan_fwd_kernelI32Selective_Scan_fwd_kernel_traitsILi64ELi16ELi1ELb1ELb1ELb1ELb1ELb1EN3c108BFloat16EfS2_EEv13SSMParamsBase, .Lfunc_end16-_Z25selective_scan_fwd_kernelI32Selective_Scan_fwd_kernel_traitsILi64ELi16ELi1ELb1ELb1ELb1ELb1ELb1EN3c108BFloat16EfS2_EEv13SSMParamsBase
                                        ; -- End function
	.section	.AMDGPU.csdata,"",@progbits
; Kernel info:
; codeLenInByte = 27012
; NumSgprs: 94
; NumVgprs: 176
; ScratchSize: 0
; MemoryBound: 0
; FloatMode: 240
; IeeeMode: 1
; LDSByteSize: 0 bytes/workgroup (compile time only)
; SGPRBlocks: 11
; VGPRBlocks: 21
; NumSGPRsForWavesPerEU: 94
; NumVGPRsForWavesPerEU: 176
; Occupancy: 8
; WaveLimiterHint : 1
; COMPUTE_PGM_RSRC2:SCRATCH_EN: 0
; COMPUTE_PGM_RSRC2:USER_SGPR: 14
; COMPUTE_PGM_RSRC2:TRAP_HANDLER: 0
; COMPUTE_PGM_RSRC2:TGID_X_EN: 1
; COMPUTE_PGM_RSRC2:TGID_Y_EN: 1
; COMPUTE_PGM_RSRC2:TGID_Z_EN: 0
; COMPUTE_PGM_RSRC2:TIDIG_COMP_CNT: 0
	.section	.text._Z25selective_scan_fwd_kernelI32Selective_Scan_fwd_kernel_traitsILi64ELi16ELi1ELb1ELb1ELb1ELb1ELb0EN3c108BFloat16EfS2_EEv13SSMParamsBase,"axG",@progbits,_Z25selective_scan_fwd_kernelI32Selective_Scan_fwd_kernel_traitsILi64ELi16ELi1ELb1ELb1ELb1ELb1ELb0EN3c108BFloat16EfS2_EEv13SSMParamsBase,comdat
	.protected	_Z25selective_scan_fwd_kernelI32Selective_Scan_fwd_kernel_traitsILi64ELi16ELi1ELb1ELb1ELb1ELb1ELb0EN3c108BFloat16EfS2_EEv13SSMParamsBase ; -- Begin function _Z25selective_scan_fwd_kernelI32Selective_Scan_fwd_kernel_traitsILi64ELi16ELi1ELb1ELb1ELb1ELb1ELb0EN3c108BFloat16EfS2_EEv13SSMParamsBase
	.globl	_Z25selective_scan_fwd_kernelI32Selective_Scan_fwd_kernel_traitsILi64ELi16ELi1ELb1ELb1ELb1ELb1ELb0EN3c108BFloat16EfS2_EEv13SSMParamsBase
	.p2align	8
	.type	_Z25selective_scan_fwd_kernelI32Selective_Scan_fwd_kernel_traitsILi64ELi16ELi1ELb1ELb1ELb1ELb1ELb0EN3c108BFloat16EfS2_EEv13SSMParamsBase,@function
_Z25selective_scan_fwd_kernelI32Selective_Scan_fwd_kernel_traitsILi64ELi16ELi1ELb1ELb1ELb1ELb1ELb0EN3c108BFloat16EfS2_EEv13SSMParamsBase: ; @_Z25selective_scan_fwd_kernelI32Selective_Scan_fwd_kernel_traitsILi64ELi16ELi1ELb1ELb1ELb1ELb1ELb0EN3c108BFloat16EfS2_EEv13SSMParamsBase
; %bb.0:
	s_clause 0x1
	s_load_b32 s9, s[0:1], 0x18
	s_load_b128 s[4:7], s[0:1], 0xe8
	s_mov_b32 s54, s15
	s_mov_b32 s33, 0
	s_waitcnt lgkmcnt(0)
	s_abs_i32 s8, s9
	s_cmp_eq_u64 s[6:7], 0
	v_cvt_f32_u32_e32 v1, s8
	s_delay_alu instid0(VALU_DEP_1) | instskip(SKIP_2) | instid1(VALU_DEP_1)
	v_rcp_iflag_f32_e32 v1, v1
	s_waitcnt_depctr 0xfff
	v_mul_f32_e32 v1, 0x4f7ffffe, v1
	v_cvt_u32_f32_e32 v1, v1
	s_delay_alu instid0(VALU_DEP_1)
	v_readfirstlane_b32 s10, v1
	s_cbranch_scc1 .LBB17_2
; %bb.1:
	v_mov_b32_e32 v1, 0
	s_ashr_i32 s3, s14, 31
	s_add_u32 s2, s6, s14
	s_addc_u32 s3, s7, s3
	global_load_u8 v1, v1, s[2:3]
	s_waitcnt vmcnt(0)
	v_and_b32_e32 v1, 1, v1
	s_delay_alu instid0(VALU_DEP_1)
	v_cmp_eq_u32_e64 s33, 1, v1
.LBB17_2:
	s_load_b64 s[6:7], s[0:1], 0x20
	s_cmp_eq_u64 s[4:5], 0
	s_cbranch_scc1 .LBB17_4
; %bb.3:
	s_ashr_i32 s15, s14, 31
	s_delay_alu instid0(SALU_CYCLE_1) | instskip(NEXT) | instid1(SALU_CYCLE_1)
	s_lshl_b64 s[2:3], s[14:15], 2
	s_add_u32 s2, s4, s2
	s_addc_u32 s3, s5, s3
	s_load_b32 s2, s[2:3], 0x0
	s_waitcnt lgkmcnt(0)
	s_ashr_i32 s3, s2, 31
	s_delay_alu instid0(SALU_CYCLE_1)
	s_cmp_eq_u64 s[6:7], s[2:3]
	s_cbranch_scc0 .LBB17_5
	s_branch .LBB17_88
.LBB17_4:
	s_mov_b32 s2, s14
	s_delay_alu instid0(SALU_CYCLE_1)
	s_ashr_i32 s3, s2, 31
	s_waitcnt lgkmcnt(0)
	s_cmp_eq_u64 s[6:7], s[2:3]
	s_cbranch_scc1 .LBB17_88
.LBB17_5:
	s_clause 0x1
	s_load_b512 s[16:31], s[0:1], 0x88
	s_load_b64 s[34:35], s[0:1], 0x8
	s_mov_b32 s56, 0
	s_mov_b32 s57, 0
	s_waitcnt lgkmcnt(0)
	s_cmp_eq_u64 s[22:23], 0
	s_cbranch_scc1 .LBB17_7
; %bb.6:
	s_ashr_i32 s55, s54, 31
	s_delay_alu instid0(SALU_CYCLE_1) | instskip(NEXT) | instid1(SALU_CYCLE_1)
	s_lshl_b64 s[4:5], s[54:55], 2
	s_add_u32 s4, s22, s4
	s_addc_u32 s5, s23, s5
	s_load_b32 s57, s[4:5], 0x0
.LBB17_7:
	s_cmp_eq_u64 s[28:29], 0
	s_cbranch_scc1 .LBB17_9
; %bb.8:
	s_ashr_i32 s55, s54, 31
	s_delay_alu instid0(SALU_CYCLE_1) | instskip(NEXT) | instid1(SALU_CYCLE_1)
	s_lshl_b64 s[4:5], s[54:55], 2
	s_add_u32 s4, s28, s4
	s_addc_u32 s5, s29, s5
	s_load_b32 s56, s[4:5], 0x0
.LBB17_9:
	s_cmp_lt_i32 s34, 1
	s_cbranch_scc1 .LBB17_88
; %bb.10:
	s_sub_i32 s3, 0, s8
	s_load_b256 s[36:43], s[0:1], 0x4c
	s_mul_i32 s3, s3, s10
	s_abs_i32 s4, s54
	s_mul_hi_u32 s3, s10, s3
	s_ashr_i32 s6, s9, 31
	s_add_i32 s10, s10, s3
	s_ashr_i32 s3, s54, 31
	s_mul_hi_u32 s5, s4, s10
	s_xor_b32 s3, s3, s6
	s_mul_i32 s7, s5, s8
	s_add_i32 s6, s5, 1
	s_sub_i32 s4, s4, s7
	s_load_b256 s[44:51], s[0:1], 0x2c
	s_sub_i32 s7, s4, s8
	s_cmp_ge_u32 s4, s8
	s_mov_b32 s53, 0
	s_cselect_b32 s5, s6, s5
	s_cselect_b32 s4, s7, s4
	s_add_i32 s6, s5, 1
	s_cmp_ge_u32 s4, s8
	s_waitcnt lgkmcnt(0)
	s_mul_i32 s52, s38, s14
	s_cselect_b32 s6, s6, s5
	s_lshl_b64 s[4:5], s[52:53], 1
	s_xor_b32 s6, s6, s3
	s_mul_i32 s52, s39, s54
	s_sub_i32 s3, s6, s3
	s_add_u32 s6, s24, s4
	s_addc_u32 s7, s25, s5
	s_lshl_b64 s[4:5], s[52:53], 1
	s_mul_i32 s52, s40, s14
	s_add_u32 s51, s6, s4
	s_addc_u32 s55, s7, s5
	s_lshl_b64 s[4:5], s[52:53], 1
	s_mul_i32 s52, s41, s54
	;; [unrolled: 4-line block ×3, first 2 shown]
	s_add_u32 s58, s6, s4
	s_addc_u32 s44, s7, s5
	s_clause 0x1
	s_load_b64 s[6:7], s[0:1], 0x7c
	s_load_b32 s62, s[0:1], 0x84
	s_lshl_b64 s[4:5], s[52:53], 2
	s_mul_i32 s52, s46, s14
	s_add_u32 s59, s16, s4
	s_addc_u32 s60, s17, s5
	s_lshl_b64 s[4:5], s[52:53], 1
	s_mul_i32 s52, s3, s49
	s_load_b128 s[24:27], s[0:1], 0xc8
	s_add_u32 s8, s18, s4
	s_addc_u32 s9, s19, s5
	s_lshl_b64 s[4:5], s[52:53], 1
	s_mul_i32 s52, s50, s14
	s_add_u32 s49, s8, s4
	v_dual_mov_b32 v42, 0 :: v_dual_lshlrev_b32 v1, 1, v0
	s_addc_u32 s50, s9, s5
	s_lshl_b64 s[4:5], s[52:53], 1
	s_mul_i32 s52, s3, s37
	s_add_u32 s8, s20, s4
	s_addc_u32 s3, s21, s5
	s_lshl_b64 s[4:5], s[52:53], 1
	s_load_b128 s[16:19], s[0:1], 0x6c
	s_waitcnt lgkmcnt(0)
	s_mul_i32 s52, s2, s6
	s_load_b32 s6, s[0:1], 0x28
	v_mbcnt_lo_u32_b32 v2, -1, 0
	v_and_b32_e32 v1, 64, v1
	s_add_u32 s37, s8, s4
	s_addc_u32 s61, s3, s5
	s_lshl_b64 s[2:3], s[52:53], 1
	v_and_b32_e32 v4, 32, v0
	v_or_b32_e32 v3, v2, v1
	s_mul_i32 s52, s7, s54
	s_load_b64 s[20:21], s[0:1], 0xd8
	s_add_u32 s4, s24, s2
	s_addc_u32 s5, s25, s3
	v_or_b32_e32 v6, 32, v3
	s_lshl_b64 s[2:3], s[52:53], 1
	v_lshrrev_b32_e32 v5, 5, v1
	s_add_u32 s63, s4, s2
	v_or_b32_e32 v7, v2, v4
	v_lshrrev_b32_e32 v8, 5, v6
	s_addc_u32 s64, s5, s3
	s_add_i32 s2, s34, 0x7ff
	v_cmp_gt_u32_e64 s0, 0x80, v3
	s_lshr_b32 s65, s2, 11
	s_waitcnt lgkmcnt(0)
	s_bitcmp1_b32 s6, 0
	v_add_nc_u32_e32 v5, v5, v3
	v_lshlrev_b32_e32 v9, 1, v7
	v_bfe_u32 v7, v7, 4, 27
	v_add_lshl_u32 v3, v8, v3, 4
	s_cselect_b32 s66, -1, 0
	s_cmp_gt_i32 s35, 0
	v_lshl_add_u32 v43, v5, 4, 0
	s_cselect_b32 s67, -1, 0
	s_add_i32 s2, 0, 0x840
	v_add_lshl_u32 v5, v7, v9, 4
	v_add_nc_u32_e32 v44, 0, v3
	v_add_nc_u32_e32 v46, s2, v3
	v_and_b32_e32 v3, 15, v2
	s_and_b32 s3, s34, 0x3ff
	v_add_nc_u32_e32 v47, s2, v5
	s_cmp_eq_u32 s3, 0
	s_mul_i32 s52, s16, s14
	v_cmp_ne_u32_e64 s2, 0, v3
	v_cmp_lt_u32_e64 s3, 1, v3
	v_cmp_lt_u32_e64 s4, 3, v3
	;; [unrolled: 1-line block ×3, first 2 shown]
	v_add_nc_u32_e32 v3, -1, v2
	s_cselect_b32 s68, -1, 0
	s_lshl_b64 s[22:23], s[52:53], 1
	v_add_nc_u32_e32 v45, 0, v5
	v_lshrrev_b32_e32 v5, 2, v0
	v_cmp_gt_i32_e32 vcc_lo, 0, v3
	s_add_i32 s69, s65, -1
	s_mul_i32 s52, s17, s54
	s_add_u32 s15, s30, s22
	s_addc_u32 s22, s31, s23
	v_cndmask_b32_e32 v3, v3, v2, vcc_lo
	v_or_b32_e32 v4, 31, v4
	s_lshl_b64 s[16:17], s[52:53], 1
	s_mul_i32 s52, s42, s14
	v_lshlrev_b32_e32 v48, 4, v0
	v_cmp_gt_u32_e64 s8, 2, v0
	v_cmp_eq_u32_e64 s7, v4, v0
	v_lshl_add_u32 v50, v0, 3, 0
	v_cmp_gt_u32_e64 s10, 32, v0
	v_cmp_lt_u32_e64 s11, 31, v0
	v_cmp_eq_u32_e64 s12, 0, v0
	s_add_u32 s15, s15, s16
	v_lshlrev_b32_e32 v0, 4, v2
	v_and_b32_e32 v5, 8, v5
	s_addc_u32 s22, s22, s17
	s_lshl_b64 s[16:17], s[52:53], 1
	v_and_b32_e32 v4, 1, v2
	s_mul_i32 s52, s43, s54
	s_add_u32 s23, s26, s16
	s_addc_u32 s24, s27, s17
	s_lshl_b64 s[16:17], s[52:53], 1
	v_lshlrev_b32_e32 v51, 2, v3
	v_add_co_u32 v3, s15, s15, v0
	s_mul_i32 s52, s18, s14
	v_add_nc_u32_e32 v49, 0, v5
	s_add_u32 s16, s23, s16
	v_lshlrev_b32_e32 v5, 4, v1
	v_cmp_eq_u32_e64 s9, 0, v4
	v_add_co_ci_u32_e64 v4, null, s22, 0, s15
	s_addc_u32 s17, s24, s17
	s_lshl_b64 s[14:15], s[52:53], 1
	s_mul_i32 s52, s19, s54
	s_add_u32 s18, s20, s14
	s_addc_u32 s19, s21, s15
	s_lshl_b64 s[14:15], s[52:53], 1
	v_cmp_gt_u32_e64 s1, 0x80, v6
	v_and_b32_e32 v6, 16, v2
	v_add_co_u32 v52, vcc_lo, v3, v5
	v_add_co_u32 v3, s16, s16, v0
	s_add_u32 s14, s18, s14
	v_add_co_ci_u32_e32 v53, vcc_lo, 0, v4, vcc_lo
	v_add_co_ci_u32_e64 v4, null, s17, 0, s16
	s_addc_u32 s15, s19, s15
	v_add_co_u32 v0, s14, s14, v0
	v_cmp_ne_u32_e64 s6, 0, v6
	v_add_co_ci_u32_e64 v6, null, s15, 0, s14
	v_add_co_u32 v54, vcc_lo, v3, v5
	v_add_co_ci_u32_e32 v55, vcc_lo, 0, v4, vcc_lo
	v_add_co_u32 v56, vcc_lo, v0, v5
	v_cmp_eq_u32_e64 s13, 0, v2
	v_add_co_ci_u32_e32 v57, vcc_lo, 0, v6, vcc_lo
	v_or_b32_e32 v58, 1, v48
	v_or_b32_e32 v59, 2, v48
	;; [unrolled: 1-line block ×15, first 2 shown]
	v_lshlrev_b32_e32 v73, 4, v2
	v_lshlrev_b32_e32 v74, 4, v1
	s_mov_b32 s54, 0x3e9b6dac
	s_add_i32 s70, 0, 0x1090
	s_mov_b32 s71, 0
                                        ; implicit-def: $vgpr4
                                        ; implicit-def: $vgpr0
                                        ; implicit-def: $vgpr12
                                        ; implicit-def: $vgpr8
                                        ; implicit-def: $vgpr20
                                        ; implicit-def: $vgpr16
	s_branch .LBB17_12
.LBB17_11:                              ;   in Loop: Header=BB17_12 Depth=1
	s_or_b32 exec_lo, exec_lo, s14
	s_waitcnt vmcnt(0)
	ds_store_b128 v43, v[4:7]
	ds_store_b128 v44, v[0:3] offset:512
	; wave barrier
	ds_load_b128 v[4:7], v45
	ds_load_b128 v[0:3], v45 offset:16
	s_waitcnt lgkmcnt(0)
	s_barrier
	buffer_gl0_inv
	s_add_u32 s58, s58, 0x800
	s_addc_u32 s44, s44, 0
	s_add_u32 s51, s51, 0x800
	s_addc_u32 s55, s55, 0
	;; [unrolled: 2-line block ×4, first 2 shown]
	s_add_i32 s71, s71, 1
	s_delay_alu instid0(SALU_CYCLE_1) | instskip(SKIP_1) | instid1(VALU_DEP_1)
	s_cmp_eq_u32 s71, s65
	v_and_b32_e32 v26, 0xffff0000, v5
	v_dual_mul_f32 v32, 0xbfb8aa3b, v26 :: v_dual_lshlrev_b32 v25, 16, v4
	s_delay_alu instid0(VALU_DEP_1) | instskip(NEXT) | instid1(VALU_DEP_2)
	v_mul_f32_e32 v31, 0xbfb8aa3b, v25
	v_rndne_f32_e32 v41, v32
	s_delay_alu instid0(VALU_DEP_2) | instskip(SKIP_2) | instid1(VALU_DEP_3)
	v_rndne_f32_e32 v38, v31
	v_and_b32_e32 v24, 0xffff0000, v4
	v_fma_f32 v39, 0xbfb8aa3b, v25, -v31
	v_sub_f32_e32 v31, v31, v38
	s_delay_alu instid0(VALU_DEP_3) | instskip(SKIP_1) | instid1(VALU_DEP_4)
	v_dual_mul_f32 v30, 0xbfb8aa3b, v24 :: v_dual_lshlrev_b32 v27, 16, v5
	v_cmp_nlt_f32_e32 vcc_lo, 0x42ce8ed0, v24
	v_fmac_f32_e32 v39, 0xb2a5705f, v25
	s_delay_alu instid0(VALU_DEP_3) | instskip(SKIP_2) | instid1(VALU_DEP_4)
	v_fma_f32 v36, 0xbfb8aa3b, v24, -v30
	v_rndne_f32_e32 v37, v30
	v_mul_f32_e32 v33, 0xbfb8aa3b, v27
	v_add_f32_e32 v31, v31, v39
	v_fma_f32 v40, 0xbfb8aa3b, v26, -v32
	v_fmac_f32_e32 v36, 0xb2a5705f, v24
	v_sub_f32_e32 v30, v30, v37
	v_rndne_f32_e32 v75, v33
	v_and_b32_e32 v28, 0xffff0000, v6
	v_fma_f32 v76, 0xbfb8aa3b, v27, -v33
	v_exp_f32_e32 v31, v31
	s_delay_alu instid0(VALU_DEP_3) | instskip(NEXT) | instid1(VALU_DEP_3)
	v_dual_add_f32 v30, v30, v36 :: v_dual_sub_f32 v33, v33, v75
	v_dual_mul_f32 v34, 0xbfb8aa3b, v28 :: v_dual_lshlrev_b32 v29, 16, v6
	v_cvt_i32_f32_e32 v36, v37
	s_delay_alu instid0(VALU_DEP_3)
	v_exp_f32_e32 v30, v30
	v_cvt_i32_f32_e32 v37, v38
	v_fmac_f32_e32 v76, 0xb2a5705f, v27
	v_fma_f32 v77, 0xbfb8aa3b, v28, -v34
	v_fmac_f32_e32 v40, 0xb2a5705f, v26
	v_sub_f32_e32 v32, v32, v41
	v_rndne_f32_e32 v78, v34
	v_add_f32_e32 v33, v33, v76
	v_fmac_f32_e32 v77, 0xb2a5705f, v28
	s_delay_alu instid0(VALU_DEP_4) | instskip(SKIP_3) | instid1(VALU_DEP_4)
	v_dual_mul_f32 v35, 0xbfb8aa3b, v29 :: v_dual_add_f32 v32, v32, v40
	v_ldexp_f32 v30, v30, v36
	v_ldexp_f32 v31, v31, v37
	v_cvt_i32_f32_e32 v38, v41
	v_rndne_f32_e32 v79, v35
	v_exp_f32_e32 v32, v32
	v_cndmask_b32_e32 v30, 0, v30, vcc_lo
	v_cmp_nlt_f32_e32 vcc_lo, 0x42ce8ed0, v25
	v_sub_f32_e32 v34, v34, v78
	v_exp_f32_e32 v33, v33
	v_cvt_i32_f32_e32 v39, v75
	v_fma_f32 v80, 0xbfb8aa3b, v29, -v35
	v_cndmask_b32_e32 v31, 0, v31, vcc_lo
	v_cmp_ngt_f32_e32 vcc_lo, 0xc2b17218, v24
	v_add_f32_e32 v34, v34, v77
	v_ldexp_f32 v32, v32, v38
	v_sub_f32_e32 v35, v35, v79
	v_cvt_i32_f32_e32 v36, v78
	v_cndmask_b32_e32 v30, 0x7f800000, v30, vcc_lo
	v_cmp_ngt_f32_e32 vcc_lo, 0xc2b17218, v25
	v_ldexp_f32 v33, v33, v39
	v_cvt_i32_f32_e32 v79, v79
	v_exp_f32_e32 v34, v34
	v_cndmask_b32_e32 v31, 0x7f800000, v31, vcc_lo
	v_cmp_nlt_f32_e32 vcc_lo, 0x42ce8ed0, v26
	s_delay_alu instid0(VALU_DEP_2)
	v_dual_add_f32 v31, 1.0, v31 :: v_dual_cndmask_b32 v32, 0, v32
	v_cmp_nlt_f32_e32 vcc_lo, 0x42ce8ed0, v27
	s_waitcnt_depctr 0xfff
	v_ldexp_f32 v34, v34, v36
	v_div_scale_f32 v38, null, v31, v31, v25
	v_cndmask_b32_e32 v33, 0, v33, vcc_lo
	v_cmp_ngt_f32_e32 vcc_lo, 0xc2b17218, v26
	v_div_scale_f32 v77, s14, v25, v31, v25
	s_delay_alu instid0(VALU_DEP_4) | instskip(SKIP_3) | instid1(VALU_DEP_1)
	v_rcp_f32_e32 v40, v38
	v_cndmask_b32_e32 v32, 0x7f800000, v32, vcc_lo
	v_cmp_ngt_f32_e32 vcc_lo, 0xc2b17218, v27
	v_dual_add_f32 v30, 1.0, v30 :: v_dual_cndmask_b32 v33, 0x7f800000, v33
	v_div_scale_f32 v37, null, v30, v30, v24
	s_waitcnt_depctr 0xfff
	v_fma_f32 v75, -v38, v40, 1.0
	v_div_scale_f32 v76, vcc_lo, v24, v30, v24
	v_rcp_f32_e32 v39, v37
	s_delay_alu instid0(VALU_DEP_2) | instskip(SKIP_1) | instid1(VALU_DEP_2)
	v_dual_add_f32 v33, 1.0, v33 :: v_dual_fmac_f32 v40, v75, v40
	v_fmac_f32_e32 v80, 0xb2a5705f, v29
	v_div_scale_f32 v75, null, v33, v33, v27
	s_delay_alu instid0(VALU_DEP_3) | instskip(NEXT) | instid1(VALU_DEP_3)
	v_mul_f32_e32 v81, v77, v40
	v_add_f32_e32 v35, v35, v80
	s_waitcnt_depctr 0xfff
	v_fma_f32 v41, -v37, v39, 1.0
	v_rcp_f32_e32 v82, v75
	v_fma_f32 v90, -v38, v81, v77
	v_exp_f32_e32 v35, v35
	s_delay_alu instid0(VALU_DEP_2) | instskip(NEXT) | instid1(VALU_DEP_1)
	v_fmac_f32_e32 v39, v41, v39
	v_dual_fmac_f32 v81, v90, v40 :: v_dual_mul_f32 v78, v76, v39
	s_delay_alu instid0(VALU_DEP_1) | instskip(NEXT) | instid1(VALU_DEP_2)
	v_fma_f32 v38, -v38, v81, v77
	v_fma_f32 v83, -v37, v78, v76
	s_delay_alu instid0(VALU_DEP_1) | instskip(NEXT) | instid1(VALU_DEP_1)
	v_fmac_f32_e32 v78, v83, v39
	v_fma_f32 v37, -v37, v78, v76
	s_delay_alu instid0(TRANS32_DEP_2) | instskip(NEXT) | instid1(VALU_DEP_2)
	v_fma_f32 v76, -v75, v82, 1.0
	v_div_fmas_f32 v37, v37, v39, v78
	s_mov_b32 vcc_lo, s14
	s_delay_alu instid0(VALU_DEP_2)
	v_fmac_f32_e32 v82, v76, v82
	v_div_fmas_f32 v38, v38, v40, v81
	v_cmp_nlt_f32_e32 vcc_lo, 0x42ce8ed0, v28
	v_div_fixup_f32 v24, v37, v30, v24
	v_div_scale_f32 v30, s14, v27, v33, v27
	v_add_f32_e32 v32, 1.0, v32
	v_div_fixup_f32 v25, v38, v31, v25
	v_ldexp_f32 v31, v35, v79
	s_delay_alu instid0(VALU_DEP_4) | instskip(SKIP_3) | instid1(VALU_DEP_4)
	v_mul_f32_e32 v35, v30, v82
	v_cndmask_b32_e32 v34, 0, v34, vcc_lo
	v_div_scale_f32 v41, null, v32, v32, v26
	v_div_scale_f32 v36, s15, v26, v32, v26
	v_fma_f32 v40, -v75, v35, v30
	s_delay_alu instid0(VALU_DEP_3) | instskip(SKIP_2) | instid1(VALU_DEP_3)
	v_rcp_f32_e32 v80, v41
	v_cmp_ngt_f32_e32 vcc_lo, 0xc2b17218, v28
	v_mul_f32_e32 v25, v102, v25
	v_fmac_f32_e32 v35, v40, v82
	v_cndmask_b32_e32 v34, 0x7f800000, v34, vcc_lo
	v_cmp_nlt_f32_e32 vcc_lo, 0x42ce8ed0, v29
	v_mul_f32_e32 v24, v103, v24
	s_delay_alu instid0(VALU_DEP_4) | instskip(NEXT) | instid1(TRANS32_DEP_1)
	v_fma_f32 v30, -v75, v35, v30
	v_fma_f32 v83, -v41, v80, 1.0
	v_cndmask_b32_e32 v31, 0, v31, vcc_lo
	s_mov_b32 vcc_lo, s15
	v_bfe_u32 v39, v24, 16, 1
	s_delay_alu instid0(VALU_DEP_3) | instskip(NEXT) | instid1(VALU_DEP_2)
	v_fmac_f32_e32 v80, v83, v80
	v_add3_u32 v39, v24, v39, 0x7fff
	s_delay_alu instid0(VALU_DEP_2) | instskip(NEXT) | instid1(VALU_DEP_2)
	v_mul_f32_e32 v37, v36, v80
	v_lshrrev_b32_e32 v39, 16, v39
	s_delay_alu instid0(VALU_DEP_2) | instskip(NEXT) | instid1(VALU_DEP_1)
	v_fma_f32 v38, -v41, v37, v36
	v_fmac_f32_e32 v37, v38, v80
	v_bfe_u32 v38, v25, 16, 1
	s_delay_alu instid0(VALU_DEP_2) | instskip(NEXT) | instid1(VALU_DEP_2)
	v_fma_f32 v36, -v41, v37, v36
	v_add3_u32 v38, v25, v38, 0x7fff
	s_delay_alu instid0(VALU_DEP_2) | instskip(SKIP_1) | instid1(VALU_DEP_2)
	v_div_fmas_f32 v36, v36, v80, v37
	v_cmp_ngt_f32_e32 vcc_lo, 0xc2b17218, v29
	v_div_fixup_f32 v26, v36, v32, v26
	v_cndmask_b32_e32 v31, 0x7f800000, v31, vcc_lo
	s_mov_b32 vcc_lo, s14
	v_div_fmas_f32 v30, v30, v82, v35
	s_delay_alu instid0(VALU_DEP_2) | instskip(SKIP_2) | instid1(VALU_DEP_4)
	v_dual_mul_f32 v26, v100, v26 :: v_dual_add_f32 v31, 1.0, v31
	v_lshrrev_b32_e32 v35, 16, v38
	v_cmp_o_f32_e32 vcc_lo, v24, v24
	v_div_fixup_f32 v27, v30, v33, v27
	v_add_f32_e32 v34, 1.0, v34
	v_div_scale_f32 v30, null, v31, v31, v29
	v_div_scale_f32 v78, s14, v29, v31, v29
	s_delay_alu instid0(VALU_DEP_4) | instskip(NEXT) | instid1(VALU_DEP_4)
	v_mul_f32_e32 v27, v99, v27
	v_div_scale_f32 v37, null, v34, v34, v28
	s_delay_alu instid0(VALU_DEP_4) | instskip(NEXT) | instid1(VALU_DEP_2)
	v_rcp_f32_e32 v32, v30
	v_bfe_u32 v36, v27, 16, 1
	s_delay_alu instid0(VALU_DEP_2) | instskip(NEXT) | instid1(VALU_DEP_1)
	v_rcp_f32_e32 v38, v37
	v_add3_u32 v36, v27, v36, 0x7fff
	s_waitcnt_depctr 0xfff
	v_fma_f32 v40, -v30, v32, 1.0
	v_lshrrev_b32_e32 v36, 16, v36
	v_fma_f32 v33, -v37, v38, 1.0
	s_delay_alu instid0(VALU_DEP_3) | instskip(SKIP_1) | instid1(VALU_DEP_3)
	v_fmac_f32_e32 v32, v40, v32
	v_lshlrev_b32_e32 v40, 16, v7
	v_dual_fmac_f32 v38, v33, v38 :: v_dual_and_b32 v33, 0xffff0000, v7
	v_cndmask_b32_e32 v24, 0x7fc0, v39, vcc_lo
	v_cmp_o_f32_e32 vcc_lo, v25, v25
	v_mul_f32_e32 v81, v78, v32
	s_delay_alu instid0(VALU_DEP_4) | instskip(SKIP_2) | instid1(VALU_DEP_3)
	v_mul_f32_e32 v41, 0xbfb8aa3b, v33
	v_cndmask_b32_e32 v25, 0x7fc0, v35, vcc_lo
	v_div_scale_f32 v39, vcc_lo, v28, v34, v28
	v_fma_f32 v76, 0xbfb8aa3b, v33, -v41
	v_rndne_f32_e32 v77, v41
	v_bfe_u32 v35, v26, 16, 1
	s_delay_alu instid0(VALU_DEP_4)
	v_mul_f32_e32 v75, v39, v38
	v_perm_b32 v25, v24, v25, 0x5040100
	v_fmac_f32_e32 v76, 0xb2a5705f, v33
	v_sub_f32_e32 v41, v41, v77
	v_add3_u32 v35, v26, v35, 0x7fff
	v_fma_f32 v80, -v37, v75, v39
	s_delay_alu instid0(VALU_DEP_3) | instskip(SKIP_1) | instid1(VALU_DEP_3)
	v_add_f32_e32 v41, v41, v76
	v_fma_f32 v76, -v30, v81, v78
	v_fmac_f32_e32 v75, v80, v38
	v_lshrrev_b32_e32 v35, 16, v35
	s_delay_alu instid0(VALU_DEP_4) | instskip(NEXT) | instid1(VALU_DEP_3)
	v_exp_f32_e32 v41, v41
	v_fmac_f32_e32 v81, v76, v32
	s_delay_alu instid0(VALU_DEP_3) | instskip(SKIP_1) | instid1(VALU_DEP_3)
	v_fma_f32 v37, -v37, v75, v39
	v_cvt_i32_f32_e32 v76, v77
	v_fma_f32 v30, -v30, v81, v78
	s_delay_alu instid0(VALU_DEP_3) | instskip(SKIP_1) | instid1(VALU_DEP_2)
	v_div_fmas_f32 v37, v37, v38, v75
	s_mov_b32 vcc_lo, s14
	v_div_fmas_f32 v30, v30, v32, v81
	v_cmp_nlt_f32_e32 vcc_lo, 0x42ce8ed0, v33
	v_mul_f32_e32 v79, 0xbfb8aa3b, v40
	v_div_fixup_f32 v28, v37, v34, v28
	s_delay_alu instid0(VALU_DEP_4) | instskip(NEXT) | instid1(VALU_DEP_3)
	v_div_fixup_f32 v29, v30, v31, v29
	v_rndne_f32_e32 v82, v79
	v_fma_f32 v83, 0xbfb8aa3b, v40, -v79
	s_delay_alu instid0(VALU_DEP_2) | instskip(NEXT) | instid1(VALU_DEP_2)
	v_dual_mul_f32 v28, v97, v28 :: v_dual_sub_f32 v79, v79, v82
	v_fmac_f32_e32 v83, 0xb2a5705f, v40
	s_delay_alu instid0(VALU_DEP_1) | instskip(NEXT) | instid1(VALU_DEP_1)
	v_add_f32_e32 v39, v79, v83
	v_exp_f32_e32 v38, v39
	v_ldexp_f32 v39, v41, v76
	v_cvt_i32_f32_e32 v41, v82
	s_delay_alu instid0(VALU_DEP_2)
	v_cndmask_b32_e32 v32, 0, v39, vcc_lo
	v_cmp_ngt_f32_e32 vcc_lo, 0xc2b17218, v33
	s_waitcnt_depctr 0xfff
	v_ldexp_f32 v34, v38, v41
	v_cndmask_b32_e32 v30, 0x7f800000, v32, vcc_lo
	v_cmp_nlt_f32_e32 vcc_lo, 0x42ce8ed0, v40
	v_bfe_u32 v32, v28, 16, 1
	s_delay_alu instid0(VALU_DEP_3) | instskip(SKIP_2) | instid1(VALU_DEP_4)
	v_add_f32_e32 v30, 1.0, v30
	v_cndmask_b32_e32 v31, 0, v34, vcc_lo
	v_cmp_ngt_f32_e32 vcc_lo, 0xc2b17218, v40
	v_add3_u32 v32, v28, v32, 0x7fff
	s_delay_alu instid0(VALU_DEP_4) | instskip(NEXT) | instid1(VALU_DEP_4)
	v_div_scale_f32 v34, null, v30, v30, v33
	v_cndmask_b32_e32 v31, 0x7f800000, v31, vcc_lo
	v_cmp_o_f32_e32 vcc_lo, v26, v26
	s_delay_alu instid0(VALU_DEP_4) | instskip(NEXT) | instid1(VALU_DEP_4)
	v_lshrrev_b32_e32 v32, 16, v32
	v_rcp_f32_e32 v38, v34
	v_cndmask_b32_e32 v26, 0x7fc0, v35, vcc_lo
	v_cmp_o_f32_e32 vcc_lo, v27, v27
	v_cndmask_b32_e32 v36, 0x7fc0, v36, vcc_lo
	v_cmp_o_f32_e32 vcc_lo, v28, v28
	v_dual_mul_f32 v29, v98, v29 :: v_dual_and_b32 v28, 0xffff0000, v0
	s_waitcnt_depctr 0xfff
	v_fma_f32 v27, -v34, v38, 1.0
	v_perm_b32 v26, v26, v36, 0x5040100
	v_cndmask_b32_e32 v32, 0x7fc0, v32, vcc_lo
	v_mul_f32_e32 v75, 0xbfb8aa3b, v28
	v_bfe_u32 v37, v29, 16, 1
	v_fmac_f32_e32 v38, v27, v38
	v_div_scale_f32 v27, vcc_lo, v33, v30, v33
	s_delay_alu instid0(VALU_DEP_4)
	v_fma_f32 v76, 0xbfb8aa3b, v28, -v75
	v_add_f32_e32 v31, 1.0, v31
	v_add3_u32 v35, v29, v37, 0x7fff
	v_cmp_o_f32_e64 s14, v29, v29
	v_rndne_f32_e32 v77, v75
	v_fmac_f32_e32 v76, 0xb2a5705f, v28
	v_div_scale_f32 v39, null, v31, v31, v40
	v_lshrrev_b32_e32 v35, 16, v35
	s_delay_alu instid0(VALU_DEP_4) | instskip(NEXT) | instid1(VALU_DEP_3)
	v_sub_f32_e32 v75, v75, v77
	v_rcp_f32_e32 v37, v39
	s_delay_alu instid0(VALU_DEP_2) | instskip(SKIP_3) | instid1(VALU_DEP_3)
	v_cndmask_b32_e64 v29, 0x7fc0, v35, s14
	v_mul_f32_e32 v35, v27, v38
	v_div_scale_f32 v78, s14, v40, v31, v40
	v_add_f32_e32 v75, v75, v76
	v_fma_f32 v80, -v34, v35, v27
	s_waitcnt_depctr 0xfff
	v_fma_f32 v41, -v39, v37, 1.0
	v_fmac_f32_e32 v35, v80, v38
	s_delay_alu instid0(VALU_DEP_2) | instskip(NEXT) | instid1(VALU_DEP_2)
	v_fmac_f32_e32 v37, v41, v37
	v_fma_f32 v27, -v34, v35, v27
	v_cvt_i32_f32_e32 v34, v77
	s_delay_alu instid0(VALU_DEP_3) | instskip(NEXT) | instid1(VALU_DEP_3)
	v_mul_f32_e32 v81, v78, v37
	v_div_fmas_f32 v27, v27, v38, v35
	s_mov_b32 vcc_lo, s14
	s_delay_alu instid0(VALU_DEP_2) | instskip(NEXT) | instid1(VALU_DEP_2)
	v_fma_f32 v76, -v39, v81, v78
	v_div_fixup_f32 v27, v27, v30, v33
	s_delay_alu instid0(VALU_DEP_2) | instskip(NEXT) | instid1(VALU_DEP_1)
	v_fmac_f32_e32 v81, v76, v37
	v_fma_f32 v35, -v39, v81, v78
	v_lshlrev_b32_e32 v78, 16, v1
	v_exp_f32_e32 v75, v75
	s_delay_alu instid0(VALU_DEP_1) | instskip(NEXT) | instid1(VALU_DEP_3)
	v_mul_f32_e32 v80, 0xbfb8aa3b, v78
	v_div_fmas_f32 v35, v35, v37, v81
	v_cmp_nlt_f32_e32 vcc_lo, 0x42ce8ed0, v28
	s_delay_alu instid0(VALU_DEP_3) | instskip(SKIP_4) | instid1(VALU_DEP_3)
	v_rndne_f32_e32 v81, v80
	s_waitcnt_depctr 0xfff
	v_ldexp_f32 v34, v75, v34
	v_lshlrev_b32_e32 v41, 16, v0
	v_div_fixup_f32 v30, v35, v31, v40
	v_cndmask_b32_e32 v34, 0, v34, vcc_lo
	v_cmp_ngt_f32_e32 vcc_lo, 0xc2b17218, v28
	s_delay_alu instid0(VALU_DEP_3) | instskip(NEXT) | instid1(VALU_DEP_3)
	v_mul_f32_e32 v30, v94, v30
	v_cndmask_b32_e32 v33, 0x7f800000, v34, vcc_lo
	v_and_b32_e32 v34, 0xffff0000, v1
	s_delay_alu instid0(VALU_DEP_3) | instskip(NEXT) | instid1(VALU_DEP_3)
	v_bfe_u32 v39, v30, 16, 1
	v_add_f32_e32 v33, 1.0, v33
	s_delay_alu instid0(VALU_DEP_3) | instskip(NEXT) | instid1(VALU_DEP_3)
	v_cmp_nlt_f32_e64 s15, 0x42ce8ed0, v34
	v_add3_u32 v39, v30, v39, 0x7fff
	s_delay_alu instid0(VALU_DEP_3) | instskip(NEXT) | instid1(VALU_DEP_2)
	v_div_scale_f32 v35, null, v33, v33, v28
	v_lshrrev_b32_e32 v39, 16, v39
	s_delay_alu instid0(VALU_DEP_2) | instskip(SKIP_1) | instid1(VALU_DEP_1)
	v_rcp_f32_e32 v40, v35
	v_mul_f32_e32 v79, 0xbfb8aa3b, v41
	v_rndne_f32_e32 v82, v79
	v_fma_f32 v83, 0xbfb8aa3b, v41, -v79
	s_delay_alu instid0(VALU_DEP_2)
	v_sub_f32_e32 v79, v79, v82
	v_cvt_i32_f32_e32 v37, v82
	v_fma_f32 v82, 0xbfb8aa3b, v78, -v80
	v_sub_f32_e32 v80, v80, v81
	v_fmac_f32_e32 v83, 0xb2a5705f, v41
	v_cmp_nlt_f32_e32 vcc_lo, 0x42ce8ed0, v41
	v_cvt_i32_f32_e32 v81, v81
	v_fmac_f32_e32 v82, 0xb2a5705f, v78
	s_delay_alu instid0(VALU_DEP_4) | instskip(NEXT) | instid1(VALU_DEP_1)
	v_add_f32_e32 v76, v79, v83
	v_exp_f32_e32 v38, v76
	s_waitcnt_depctr 0xfff
	v_ldexp_f32 v31, v38, v37
	v_mul_f32_e32 v37, 0xbfb8aa3b, v34
	s_delay_alu instid0(VALU_DEP_2) | instskip(SKIP_1) | instid1(VALU_DEP_3)
	v_cndmask_b32_e32 v31, 0, v31, vcc_lo
	v_cmp_ngt_f32_e32 vcc_lo, 0xc2b17218, v41
	v_fma_f32 v75, 0xbfb8aa3b, v34, -v37
	v_rndne_f32_e32 v76, v37
	s_delay_alu instid0(VALU_DEP_4) | instskip(NEXT) | instid1(VALU_DEP_3)
	v_cndmask_b32_e32 v31, 0x7f800000, v31, vcc_lo
	v_fmac_f32_e32 v75, 0xb2a5705f, v34
	s_delay_alu instid0(VALU_DEP_3) | instskip(SKIP_3) | instid1(VALU_DEP_4)
	v_sub_f32_e32 v37, v37, v76
	v_cvt_i32_f32_e32 v76, v76
	v_div_scale_f32 v83, vcc_lo, v28, v33, v28
	v_add_f32_e32 v31, 1.0, v31
	v_add_f32_e32 v37, v37, v75
	v_fma_f32 v75, -v35, v40, 1.0
	s_delay_alu instid0(VALU_DEP_3) | instskip(NEXT) | instid1(VALU_DEP_3)
	v_div_scale_f32 v77, null, v31, v31, v41
	v_exp_f32_e32 v37, v37
	s_delay_alu instid0(VALU_DEP_2) | instskip(NEXT) | instid1(VALU_DEP_2)
	v_fmac_f32_e32 v40, v75, v40
	v_rcp_f32_e32 v79, v77
	s_waitcnt_depctr 0xfff
	v_ldexp_f32 v37, v37, v76
	v_div_scale_f32 v76, s14, v41, v31, v41
	v_fma_f32 v75, -v77, v79, 1.0
	s_delay_alu instid0(VALU_DEP_3) | instskip(SKIP_1) | instid1(VALU_DEP_3)
	v_cndmask_b32_e64 v37, 0, v37, s15
	v_cmp_ngt_f32_e64 s15, 0xc2b17218, v34
	v_fmac_f32_e32 v79, v75, v79
	v_dual_add_f32 v75, v80, v82 :: v_dual_mul_f32 v80, v83, v40
	s_delay_alu instid0(VALU_DEP_3) | instskip(SKIP_1) | instid1(VALU_DEP_4)
	v_cndmask_b32_e64 v37, 0x7f800000, v37, s15
	v_cmp_nlt_f32_e64 s15, 0x42ce8ed0, v78
	v_mul_f32_e32 v82, v76, v79
	s_delay_alu instid0(VALU_DEP_4) | instskip(SKIP_2) | instid1(VALU_DEP_3)
	v_exp_f32_e32 v75, v75
	v_fma_f32 v90, -v35, v80, v83
	v_add_f32_e32 v37, 1.0, v37
	v_fma_f32 v93, -v77, v82, v76
	s_delay_alu instid0(VALU_DEP_3) | instskip(NEXT) | instid1(VALU_DEP_2)
	v_fmac_f32_e32 v80, v90, v40
	v_fmac_f32_e32 v82, v93, v79
	s_waitcnt_depctr 0xfff
	v_ldexp_f32 v75, v75, v81
	v_fma_f32 v35, -v35, v80, v83
	v_div_scale_f32 v81, null, v37, v37, v34
	v_fma_f32 v76, -v77, v82, v76
	s_delay_alu instid0(VALU_DEP_4)
	v_cndmask_b32_e64 v75, 0, v75, s15
	v_cmp_ngt_f32_e64 s15, 0xc2b17218, v78
	v_div_fmas_f32 v35, v35, v40, v80
	s_mov_b32 vcc_lo, s14
	v_cmp_o_f32_e64 s14, v30, v30
	v_rcp_f32_e32 v77, v81
	v_cndmask_b32_e64 v75, 0x7f800000, v75, s15
	v_div_fixup_f32 v28, v35, v33, v28
	s_delay_alu instid0(VALU_DEP_3) | instskip(NEXT) | instid1(VALU_DEP_3)
	v_cndmask_b32_e64 v30, 0x7fc0, v39, s14
	v_add_f32_e32 v40, 1.0, v75
	v_div_fmas_f32 v75, v76, v79, v82
	s_waitcnt_depctr 0xfff
	v_fma_f32 v79, -v81, v77, 1.0
	v_div_scale_f32 v76, null, v40, v40, v78
	v_div_fixup_f32 v31, v75, v31, v41
	s_delay_alu instid0(VALU_DEP_3) | instskip(NEXT) | instid1(VALU_DEP_3)
	v_fmac_f32_e32 v77, v79, v77
	v_rcp_f32_e32 v33, v76
	s_delay_alu instid0(VALU_DEP_2) | instskip(NEXT) | instid1(VALU_DEP_1)
	v_mul_f32_e32 v31, v91, v31
	v_bfe_u32 v75, v31, 16, 1
	s_waitcnt_depctr 0xfff
	v_fma_f32 v41, -v76, v33, 1.0
	s_delay_alu instid0(VALU_DEP_1) | instskip(SKIP_2) | instid1(VALU_DEP_1)
	v_fmac_f32_e32 v33, v41, v33
	v_div_scale_f32 v41, s14, v78, v40, v78
	v_mul_f32_e32 v27, v95, v27
	v_bfe_u32 v38, v27, 16, 1
	v_cmp_o_f32_e32 vcc_lo, v27, v27
	s_delay_alu instid0(VALU_DEP_2) | instskip(NEXT) | instid1(VALU_DEP_1)
	v_add3_u32 v38, v27, v38, 0x7fff
	v_lshrrev_b32_e32 v38, 16, v38
	s_delay_alu instid0(VALU_DEP_1) | instskip(SKIP_2) | instid1(VALU_DEP_3)
	v_cndmask_b32_e32 v27, 0x7fc0, v38, vcc_lo
	v_div_scale_f32 v35, vcc_lo, v34, v37, v34
	v_mul_f32_e32 v38, v92, v28
	v_perm_b32 v28, v27, v30, 0x5040100
	s_delay_alu instid0(VALU_DEP_3) | instskip(SKIP_1) | instid1(VALU_DEP_4)
	v_mul_f32_e32 v39, v35, v77
	v_perm_b32 v27, v32, v29, 0x5040100
	v_bfe_u32 v30, v38, 16, 1
	v_mul_f32_e32 v32, v41, v33
	s_delay_alu instid0(VALU_DEP_4) | instskip(NEXT) | instid1(VALU_DEP_3)
	v_fma_f32 v79, -v81, v39, v35
	v_add3_u32 v29, v38, v30, 0x7fff
	v_add3_u32 v30, v31, v75, 0x7fff
	s_delay_alu instid0(VALU_DEP_4) | instskip(NEXT) | instid1(VALU_DEP_4)
	v_fma_f32 v36, -v76, v32, v41
	v_fmac_f32_e32 v39, v79, v77
	v_and_b32_e32 v75, 0xffff0000, v2
	v_lshrrev_b32_e32 v29, 16, v29
	s_delay_alu instid0(VALU_DEP_4) | instskip(NEXT) | instid1(VALU_DEP_4)
	v_dual_fmac_f32 v32, v36, v33 :: v_dual_and_b32 v79, 0xffff0000, v3
	v_fma_f32 v35, -v81, v39, v35
	s_delay_alu instid0(VALU_DEP_4) | instskip(SKIP_1) | instid1(VALU_DEP_4)
	v_mul_f32_e32 v36, 0xbfb8aa3b, v75
	v_lshrrev_b32_e32 v30, 16, v30
	v_mul_f32_e32 v80, 0xbfb8aa3b, v79
	s_delay_alu instid0(VALU_DEP_4) | instskip(SKIP_2) | instid1(VALU_DEP_3)
	v_div_fmas_f32 v35, v35, v77, v39
	v_lshlrev_b32_e32 v39, 16, v2
	v_cmp_o_f32_e32 vcc_lo, v38, v38
	v_div_fixup_f32 v34, v35, v37, v34
	s_delay_alu instid0(VALU_DEP_3)
	v_mul_f32_e32 v38, 0xbfb8aa3b, v39
	v_fma_f32 v35, -v76, v32, v41
	v_fma_f32 v37, 0xbfb8aa3b, v75, -v36
	v_rndne_f32_e32 v41, v36
	v_cndmask_b32_e32 v29, 0x7fc0, v29, vcc_lo
	v_rndne_f32_e32 v76, v38
	v_fma_f32 v77, 0xbfb8aa3b, v39, -v38
	s_delay_alu instid0(VALU_DEP_4) | instskip(SKIP_1) | instid1(VALU_DEP_2)
	v_dual_fmac_f32 v37, 0xb2a5705f, v75 :: v_dual_sub_f32 v36, v36, v41
	s_mov_b32 vcc_lo, s14
	v_dual_sub_f32 v38, v38, v76 :: v_dual_fmac_f32 v77, 0xb2a5705f, v39
	v_div_fmas_f32 v32, v35, v33, v32
	s_delay_alu instid0(VALU_DEP_3) | instskip(SKIP_1) | instid1(VALU_DEP_4)
	v_dual_add_f32 v33, v36, v37 :: v_dual_lshlrev_b32 v36, 16, v3
	v_fma_f32 v37, 0xbfb8aa3b, v79, -v80
	v_add_f32_e32 v35, v38, v77
	v_rndne_f32_e32 v38, v80
	s_delay_alu instid0(VALU_DEP_4)
	v_exp_f32_e32 v33, v33
	v_cvt_i32_f32_e32 v41, v41
	v_mul_f32_e32 v77, 0xbfb8aa3b, v36
	v_exp_f32_e32 v35, v35
	v_dual_fmac_f32 v37, 0xb2a5705f, v79 :: v_dual_sub_f32 v80, v80, v38
	v_cvt_i32_f32_e32 v76, v76
	v_cmp_nlt_f32_e32 vcc_lo, 0x42ce8ed0, v75
	v_rndne_f32_e32 v81, v77
	v_fma_f32 v82, 0xbfb8aa3b, v36, -v77
	s_delay_alu instid0(TRANS32_DEP_2) | instskip(SKIP_2) | instid1(TRANS32_DEP_1)
	v_ldexp_f32 v33, v33, v41
	v_add_f32_e32 v37, v80, v37
	v_cvt_i32_f32_e32 v38, v38
	v_ldexp_f32 v35, v35, v76
	v_sub_f32_e32 v41, v77, v81
	v_cndmask_b32_e32 v33, 0, v33, vcc_lo
	v_cmp_nlt_f32_e32 vcc_lo, 0x42ce8ed0, v39
	v_fmac_f32_e32 v82, 0xb2a5705f, v36
	v_exp_f32_e32 v37, v37
	v_div_fixup_f32 v32, v32, v40, v78
	v_dual_mul_f32 v34, v89, v34 :: v_dual_cndmask_b32 v35, 0, v35
	v_cmp_ngt_f32_e32 vcc_lo, 0xc2b17218, v75
	s_delay_alu instid0(VALU_DEP_3) | instskip(NEXT) | instid1(VALU_DEP_3)
	v_dual_add_f32 v41, v41, v82 :: v_dual_mul_f32 v32, v88, v32
	v_bfe_u32 v92, v34, 16, 1
	v_cndmask_b32_e32 v33, 0x7f800000, v33, vcc_lo
	v_cmp_ngt_f32_e32 vcc_lo, 0xc2b17218, v39
	s_delay_alu instid0(VALU_DEP_4) | instskip(NEXT) | instid1(TRANS32_DEP_2)
	v_exp_f32_e32 v41, v41
	v_ldexp_f32 v37, v37, v38
	v_cvt_i32_f32_e32 v38, v81
	v_add_f32_e32 v33, 1.0, v33
	v_cndmask_b32_e32 v35, 0x7f800000, v35, vcc_lo
	v_cmp_nlt_f32_e32 vcc_lo, 0x42ce8ed0, v79
	v_bfe_u32 v96, v32, 16, 1
	v_add3_u32 v92, v34, v92, 0x7fff
	s_delay_alu instid0(VALU_DEP_4) | instskip(SKIP_3) | instid1(VALU_DEP_4)
	v_add_f32_e32 v35, 1.0, v35
	v_cndmask_b32_e32 v37, 0, v37, vcc_lo
	v_cmp_ngt_f32_e32 vcc_lo, 0xc2b17218, v79
	v_ldexp_f32 v38, v41, v38
	v_div_scale_f32 v77, null, v35, v35, v39
	s_delay_alu instid0(VALU_DEP_4) | instskip(SKIP_1) | instid1(VALU_DEP_3)
	v_cndmask_b32_e32 v37, 0x7f800000, v37, vcc_lo
	v_cmp_nlt_f32_e32 vcc_lo, 0x42ce8ed0, v36
	v_rcp_f32_e32 v40, v77
	s_delay_alu instid0(VALU_DEP_2) | instskip(SKIP_1) | instid1(VALU_DEP_2)
	v_dual_add_f32 v37, 1.0, v37 :: v_dual_cndmask_b32 v38, 0, v38
	v_cmp_ngt_f32_e32 vcc_lo, 0xc2b17218, v36
	v_cndmask_b32_e32 v38, 0x7f800000, v38, vcc_lo
	s_waitcnt_depctr 0xfff
	v_fma_f32 v83, -v77, v40, 1.0
	v_add_f32_e32 v38, 1.0, v38
	s_delay_alu instid0(VALU_DEP_2) | instskip(SKIP_1) | instid1(VALU_DEP_3)
	v_fmac_f32_e32 v40, v83, v40
	v_div_scale_f32 v83, s14, v39, v35, v39
	v_div_scale_f32 v82, null, v38, v38, v36
	s_delay_alu instid0(VALU_DEP_2) | instskip(SKIP_1) | instid1(VALU_DEP_3)
	v_mul_f32_e32 v94, v83, v40
	v_div_scale_f32 v76, null, v33, v33, v75
	v_rcp_f32_e32 v89, v82
	s_delay_alu instid0(VALU_DEP_1) | instskip(SKIP_3) | instid1(VALU_DEP_2)
	v_rcp_f32_e32 v41, v76
	s_waitcnt_depctr 0xfff
	v_fma_f32 v91, -v82, v89, 1.0
	v_fma_f32 v78, -v76, v41, 1.0
	v_fmac_f32_e32 v89, v91, v89
	v_div_scale_f32 v91, s16, v36, v38, v36
	s_delay_alu instid0(VALU_DEP_3) | instskip(SKIP_1) | instid1(VALU_DEP_3)
	v_fmac_f32_e32 v41, v78, v41
	v_div_scale_f32 v78, vcc_lo, v75, v33, v75
	v_mul_f32_e32 v98, v91, v89
	v_div_scale_f32 v80, null, v37, v37, v79
	s_delay_alu instid0(VALU_DEP_3) | instskip(NEXT) | instid1(VALU_DEP_2)
	v_mul_f32_e32 v90, v78, v41
	v_rcp_f32_e32 v81, v80
	s_delay_alu instid0(VALU_DEP_1) | instskip(NEXT) | instid1(VALU_DEP_1)
	v_fma_f32 v93, -v76, v90, v78
	v_fmac_f32_e32 v90, v93, v41
	v_fma_f32 v93, -v77, v94, v83
	s_waitcnt_depctr 0xfff
	v_fma_f32 v88, -v80, v81, 1.0
	v_fma_f32 v76, -v76, v90, v78
	v_fmac_f32_e32 v94, v93, v40
	v_fma_f32 v78, -v82, v98, v91
	s_delay_alu instid0(VALU_DEP_4) | instskip(SKIP_4) | instid1(VALU_DEP_4)
	v_fmac_f32_e32 v81, v88, v81
	v_div_scale_f32 v88, s15, v79, v37, v79
	v_div_fmas_f32 v41, v76, v41, v90
	v_fma_f32 v76, -v77, v94, v83
	v_fmac_f32_e32 v98, v78, v89
	v_mul_f32_e32 v95, v88, v81
	s_mov_b32 vcc_lo, s14
	v_div_fixup_f32 v33, v41, v33, v75
	v_div_fmas_f32 v40, v76, v40, v94
	s_mov_b32 vcc_lo, s15
	v_fma_f32 v97, -v80, v95, v88
	v_fma_f32 v76, -v82, v98, v91
	v_mul_f32_e32 v33, v86, v33
	v_div_fixup_f32 v35, v40, v35, v39
	v_add3_u32 v78, v32, v96, 0x7fff
	v_fmac_f32_e32 v95, v97, v81
	s_delay_alu instid0(VALU_DEP_4) | instskip(NEXT) | instid1(VALU_DEP_4)
	v_bfe_u32 v40, v33, 16, 1
	v_mul_f32_e32 v35, v85, v35
	s_delay_alu instid0(VALU_DEP_4) | instskip(NEXT) | instid1(VALU_DEP_4)
	v_lshrrev_b32_e32 v39, 16, v78
	v_fma_f32 v77, -v80, v95, v88
	s_delay_alu instid0(VALU_DEP_3) | instskip(NEXT) | instid1(VALU_DEP_2)
	v_bfe_u32 v41, v35, 16, 1
	v_div_fmas_f32 v77, v77, v81, v95
	s_mov_b32 vcc_lo, s16
	v_div_fmas_f32 v76, v76, v89, v98
	v_cmp_o_f32_e32 vcc_lo, v34, v34
	s_delay_alu instid0(VALU_DEP_3) | instskip(NEXT) | instid1(VALU_DEP_3)
	v_div_fixup_f32 v37, v77, v37, v79
	v_div_fixup_f32 v36, v76, v38, v36
	v_lshrrev_b32_e32 v38, 16, v92
	s_delay_alu instid0(VALU_DEP_2) | instskip(NEXT) | instid1(VALU_DEP_2)
	v_dual_mul_f32 v37, v87, v37 :: v_dual_mul_f32 v36, v84, v36
	v_cndmask_b32_e32 v34, 0x7fc0, v38, vcc_lo
	s_delay_alu instid0(VALU_DEP_2)
	v_bfe_u32 v75, v37, 16, 1
	v_add3_u32 v38, v33, v40, 0x7fff
	v_cmp_o_f32_e32 vcc_lo, v32, v32
	v_bfe_u32 v76, v36, 16, 1
	v_add3_u32 v40, v35, v41, 0x7fff
	v_add3_u32 v41, v37, v75, 0x7fff
	v_lshrrev_b32_e32 v32, 16, v38
	v_cndmask_b32_e32 v39, 0x7fc0, v39, vcc_lo
	v_cmp_o_f32_e32 vcc_lo, v33, v33
	v_add3_u32 v75, v36, v76, 0x7fff
	v_lshrrev_b32_e32 v38, 16, v40
	v_lshrrev_b32_e32 v40, 16, v41
	v_cndmask_b32_e32 v33, 0x7fc0, v32, vcc_lo
	v_cmp_o_f32_e32 vcc_lo, v37, v37
	v_lshrrev_b32_e32 v41, 16, v75
	s_delay_alu instid0(VALU_DEP_4) | instskip(SKIP_1) | instid1(VALU_DEP_3)
	v_cndmask_b32_e32 v32, 0x7fc0, v40, vcc_lo
	v_cmp_o_f32_e32 vcc_lo, v36, v36
	v_cndmask_b32_e32 v36, 0x7fc0, v41, vcc_lo
	v_cmp_o_f32_e32 vcc_lo, v35, v35
	s_delay_alu instid0(VALU_DEP_2) | instskip(SKIP_2) | instid1(VALU_DEP_2)
	v_perm_b32 v32, v32, v36, 0x5040100
	v_cndmask_b32_e32 v35, 0x7fc0, v38, vcc_lo
	v_cmp_o_f32_e32 vcc_lo, v31, v31
	v_perm_b32 v31, v33, v35, 0x5040100
	v_cndmask_b32_e32 v37, 0x7fc0, v30, vcc_lo
	v_perm_b32 v30, v34, v39, 0x5040100
	s_delay_alu instid0(VALU_DEP_2)
	v_perm_b32 v29, v29, v37, 0x5040100
	ds_store_b128 v45, v[25:28]
	ds_store_b128 v45, v[29:32] offset:16
	; wave barrier
	ds_load_b128 v[24:27], v43
	ds_load_b128 v[28:31], v44 offset:512
	v_add_co_u32 v32, vcc_lo, v56, s18
	v_add_co_ci_u32_e32 v33, vcc_lo, s19, v57, vcc_lo
	s_waitcnt lgkmcnt(1)
	v_alignbit_b32 v35, v26, v25, 16
	v_alignbit_b32 v34, v25, v24, 16
	;; [unrolled: 1-line block ×3, first 2 shown]
	s_clause 0x3
	global_store_b16 v[32:33], v24, off
	global_store_d16_hi_b16 v[32:33], v27, off offset:14
	global_store_b32 v[32:33], v25, off offset:10
	global_store_b64 v[32:33], v[34:35], off offset:2
	s_waitcnt lgkmcnt(0)
	global_store_b128 v[32:33], v[28:31], off offset:512
	s_cbranch_scc1 .LBB17_88
.LBB17_12:                              ; =>This Loop Header: Depth=1
                                        ;     Child Loop BB17_55 Depth 2
	v_add_co_u32 v24, s14, s51, v73
	s_delay_alu instid0(VALU_DEP_1) | instskip(NEXT) | instid1(VALU_DEP_2)
	v_add_co_ci_u32_e64 v25, null, s55, 0, s14
	v_add_co_u32 v24, vcc_lo, v24, v74
	s_delay_alu instid0(VALU_DEP_2)
	v_add_co_ci_u32_e32 v25, vcc_lo, 0, v25, vcc_lo
	s_waitcnt_vscnt null, 0x0
	s_barrier
	buffer_gl0_inv
	s_and_saveexec_b32 s14, s0
	s_cbranch_execz .LBB17_14
; %bb.13:                               ;   in Loop: Header=BB17_12 Depth=1
	global_load_b128 v[20:23], v[24:25], off
.LBB17_14:                              ;   in Loop: Header=BB17_12 Depth=1
	s_or_b32 exec_lo, exec_lo, s14
	s_and_saveexec_b32 s14, s1
	s_cbranch_execz .LBB17_16
; %bb.15:                               ;   in Loop: Header=BB17_12 Depth=1
	global_load_b128 v[16:19], v[24:25], off offset:512
.LBB17_16:                              ;   in Loop: Header=BB17_12 Depth=1
	s_or_b32 exec_lo, exec_lo, s14
	s_waitcnt vmcnt(0)
	ds_store_b128 v43, v[20:23]
	ds_store_b128 v44, v[16:19] offset:512
	; wave barrier
	ds_load_b128 v[20:23], v45
	ds_load_b128 v[16:19], v45 offset:16
	v_add_co_u32 v24, s14, s58, v73
	s_delay_alu instid0(VALU_DEP_1) | instskip(SKIP_1) | instid1(VALU_DEP_2)
	v_add_co_ci_u32_e64 v25, null, s44, 0, s14
	s_waitcnt lgkmcnt(0)
	v_add_co_u32 v24, vcc_lo, v24, v74
	s_delay_alu instid0(VALU_DEP_2)
	v_add_co_ci_u32_e32 v25, vcc_lo, 0, v25, vcc_lo
	s_barrier
	buffer_gl0_inv
	s_and_saveexec_b32 s14, s0
	s_cbranch_execz .LBB17_18
; %bb.17:                               ;   in Loop: Header=BB17_12 Depth=1
	global_load_b128 v[12:15], v[24:25], off
.LBB17_18:                              ;   in Loop: Header=BB17_12 Depth=1
	s_or_b32 exec_lo, exec_lo, s14
	s_and_saveexec_b32 s14, s1
	s_cbranch_execz .LBB17_20
; %bb.19:                               ;   in Loop: Header=BB17_12 Depth=1
	global_load_b128 v[8:11], v[24:25], off offset:512
.LBB17_20:                              ;   in Loop: Header=BB17_12 Depth=1
	s_or_b32 exec_lo, exec_lo, s14
	s_waitcnt vmcnt(0)
	ds_store_b128 v43, v[12:15]
	ds_store_b128 v44, v[8:11] offset:512
	; wave barrier
	ds_load_b128 v[12:15], v45
	ds_load_b128 v[8:11], v45 offset:16
	s_waitcnt lgkmcnt(1)
	v_lshlrev_b32_e32 v24, 16, v12
	s_delay_alu instid0(VALU_DEP_1) | instskip(NEXT) | instid1(VALU_DEP_1)
	v_add_f32_e32 v75, s56, v24
	v_cmp_ge_f32_e32 vcc_lo, 0x41a00000, v75
	s_and_b32 s14, s66, vcc_lo
	s_delay_alu instid0(SALU_CYCLE_1)
	s_and_saveexec_b32 s15, s14
	s_cbranch_execz .LBB17_22
; %bb.21:                               ;   in Loop: Header=BB17_12 Depth=1
	v_mul_f32_e32 v24, 0x3fb8aa3b, v75
	v_cmp_ngt_f32_e32 vcc_lo, 0xc2ce8ed0, v75
	s_delay_alu instid0(VALU_DEP_2) | instskip(SKIP_1) | instid1(VALU_DEP_2)
	v_rndne_f32_e32 v25, v24
	v_fma_f32 v26, 0x3fb8aa3b, v75, -v24
	v_sub_f32_e32 v24, v24, v25
	s_delay_alu instid0(VALU_DEP_2) | instskip(SKIP_1) | instid1(VALU_DEP_2)
	v_fmac_f32_e32 v26, 0x32a5705f, v75
	v_cvt_i32_f32_e32 v25, v25
	v_add_f32_e32 v24, v24, v26
	s_delay_alu instid0(VALU_DEP_1) | instskip(SKIP_2) | instid1(VALU_DEP_1)
	v_exp_f32_e32 v24, v24
	s_waitcnt_depctr 0xfff
	v_ldexp_f32 v24, v24, v25
	v_cndmask_b32_e32 v24, 0, v24, vcc_lo
	v_cmp_nlt_f32_e32 vcc_lo, 0x42b17218, v75
	s_delay_alu instid0(VALU_DEP_2) | instskip(NEXT) | instid1(VALU_DEP_1)
	v_cndmask_b32_e32 v26, 0x7f800000, v24, vcc_lo
	v_add_f32_e32 v27, 1.0, v26
	s_delay_alu instid0(VALU_DEP_1) | instskip(NEXT) | instid1(VALU_DEP_1)
	v_cvt_f64_f32_e32 v[24:25], v27
	v_frexp_exp_i32_f64_e32 v24, v[24:25]
	v_frexp_mant_f32_e32 v25, v27
	s_delay_alu instid0(VALU_DEP_1) | instskip(SKIP_1) | instid1(VALU_DEP_1)
	v_cmp_gt_f32_e32 vcc_lo, 0x3f2aaaab, v25
	v_add_f32_e32 v25, -1.0, v27
	v_sub_f32_e32 v29, v25, v27
	v_sub_f32_e32 v25, v26, v25
	s_delay_alu instid0(VALU_DEP_2) | instskip(NEXT) | instid1(VALU_DEP_1)
	v_add_f32_e32 v29, 1.0, v29
	v_add_f32_e32 v25, v25, v29
	v_cmp_gt_f32_e64 s14, 0x33800000, v26
	v_subrev_co_ci_u32_e32 v24, vcc_lo, 0, v24, vcc_lo
	v_cmp_eq_f32_e32 vcc_lo, 0x7f800000, v26
	s_delay_alu instid0(VALU_DEP_2) | instskip(SKIP_2) | instid1(VALU_DEP_2)
	v_sub_nc_u32_e32 v28, 0, v24
	v_cvt_f32_i32_e32 v24, v24
	s_or_b32 vcc_lo, s14, vcc_lo
	v_ldexp_f32 v27, v27, v28
	v_ldexp_f32 v25, v25, v28
	s_delay_alu instid0(VALU_DEP_2) | instskip(NEXT) | instid1(VALU_DEP_1)
	v_add_f32_e32 v30, 1.0, v27
	v_dual_add_f32 v28, -1.0, v27 :: v_dual_add_f32 v29, -1.0, v30
	s_delay_alu instid0(VALU_DEP_1) | instskip(NEXT) | instid1(VALU_DEP_2)
	v_add_f32_e32 v31, 1.0, v28
	v_sub_f32_e32 v29, v27, v29
	s_delay_alu instid0(VALU_DEP_2) | instskip(NEXT) | instid1(VALU_DEP_2)
	v_sub_f32_e32 v27, v27, v31
	v_add_f32_e32 v29, v25, v29
	s_delay_alu instid0(VALU_DEP_2) | instskip(NEXT) | instid1(VALU_DEP_1)
	v_add_f32_e32 v25, v25, v27
	v_add_f32_e32 v32, v28, v25
	s_delay_alu instid0(VALU_DEP_1) | instskip(NEXT) | instid1(VALU_DEP_1)
	v_dual_add_f32 v31, v30, v29 :: v_dual_sub_f32 v28, v28, v32
	v_rcp_f32_e32 v27, v31
	v_sub_f32_e32 v30, v30, v31
	s_delay_alu instid0(VALU_DEP_1) | instskip(SKIP_2) | instid1(VALU_DEP_1)
	v_add_f32_e32 v29, v29, v30
	s_waitcnt_depctr 0xfff
	v_mul_f32_e32 v33, v32, v27
	v_mul_f32_e32 v34, v31, v33
	s_delay_alu instid0(VALU_DEP_1) | instskip(NEXT) | instid1(VALU_DEP_1)
	v_fma_f32 v30, v33, v31, -v34
	v_fmac_f32_e32 v30, v33, v29
	s_delay_alu instid0(VALU_DEP_1) | instskip(NEXT) | instid1(VALU_DEP_1)
	v_add_f32_e32 v35, v34, v30
	v_sub_f32_e32 v36, v32, v35
	s_delay_alu instid0(VALU_DEP_1) | instskip(SKIP_1) | instid1(VALU_DEP_2)
	v_sub_f32_e32 v32, v32, v36
	v_dual_add_f32 v25, v25, v28 :: v_dual_sub_f32 v28, v35, v34
	v_sub_f32_e32 v32, v32, v35
	s_delay_alu instid0(VALU_DEP_1) | instskip(NEXT) | instid1(VALU_DEP_1)
	v_dual_sub_f32 v28, v28, v30 :: v_dual_add_f32 v25, v25, v32
	v_add_f32_e32 v25, v28, v25
	s_delay_alu instid0(VALU_DEP_1) | instskip(NEXT) | instid1(VALU_DEP_1)
	v_add_f32_e32 v28, v36, v25
	v_mul_f32_e32 v30, v27, v28
	s_delay_alu instid0(VALU_DEP_1) | instskip(NEXT) | instid1(VALU_DEP_1)
	v_dual_sub_f32 v35, v36, v28 :: v_dual_mul_f32 v32, v31, v30
	v_add_f32_e32 v25, v25, v35
	s_delay_alu instid0(VALU_DEP_2) | instskip(NEXT) | instid1(VALU_DEP_1)
	v_fma_f32 v31, v30, v31, -v32
	v_fmac_f32_e32 v31, v30, v29
	s_delay_alu instid0(VALU_DEP_1) | instskip(NEXT) | instid1(VALU_DEP_1)
	v_add_f32_e32 v29, v32, v31
	v_sub_f32_e32 v34, v28, v29
	s_delay_alu instid0(VALU_DEP_1) | instskip(NEXT) | instid1(VALU_DEP_1)
	v_sub_f32_e32 v28, v28, v34
	v_sub_f32_e32 v28, v28, v29
	s_delay_alu instid0(VALU_DEP_1) | instskip(SKIP_2) | instid1(VALU_DEP_1)
	v_add_f32_e32 v25, v25, v28
	v_add_f32_e32 v28, v33, v30
	v_sub_f32_e32 v32, v29, v32
	v_sub_f32_e32 v29, v32, v31
	s_delay_alu instid0(VALU_DEP_1) | instskip(NEXT) | instid1(VALU_DEP_4)
	v_add_f32_e32 v25, v29, v25
	v_sub_f32_e32 v29, v28, v33
	s_delay_alu instid0(VALU_DEP_2) | instskip(NEXT) | instid1(VALU_DEP_2)
	v_add_f32_e32 v25, v34, v25
	v_sub_f32_e32 v29, v30, v29
	s_delay_alu instid0(VALU_DEP_2) | instskip(NEXT) | instid1(VALU_DEP_1)
	v_mul_f32_e32 v25, v27, v25
	v_add_f32_e32 v25, v29, v25
	s_delay_alu instid0(VALU_DEP_1) | instskip(NEXT) | instid1(VALU_DEP_1)
	v_add_f32_e32 v27, v28, v25
	v_mul_f32_e32 v29, v27, v27
	s_delay_alu instid0(VALU_DEP_1) | instskip(SKIP_1) | instid1(VALU_DEP_2)
	v_fmaak_f32 v30, s54, v29, 0x3ecc95a3
	v_mul_f32_e32 v31, v27, v29
	v_fmaak_f32 v29, v29, v30, 0x3f2aaada
	v_ldexp_f32 v30, v27, 1
	s_delay_alu instid0(VALU_DEP_2) | instskip(SKIP_1) | instid1(VALU_DEP_2)
	v_mul_f32_e32 v29, v31, v29
	v_sub_f32_e32 v27, v27, v28
	v_dual_mul_f32 v31, 0x3f317218, v24 :: v_dual_add_f32 v28, v30, v29
	s_delay_alu instid0(VALU_DEP_2) | instskip(NEXT) | instid1(VALU_DEP_2)
	v_sub_f32_e32 v25, v25, v27
	v_sub_f32_e32 v27, v28, v30
	s_delay_alu instid0(VALU_DEP_3) | instskip(NEXT) | instid1(VALU_DEP_3)
	v_fma_f32 v30, 0x3f317218, v24, -v31
	v_ldexp_f32 v25, v25, 1
	s_delay_alu instid0(VALU_DEP_2) | instskip(NEXT) | instid1(VALU_DEP_1)
	v_dual_sub_f32 v27, v29, v27 :: v_dual_fmac_f32 v30, 0xb102e308, v24
	v_dual_add_f32 v24, v25, v27 :: v_dual_add_f32 v25, v31, v30
	s_delay_alu instid0(VALU_DEP_1) | instskip(NEXT) | instid1(VALU_DEP_1)
	v_add_f32_e32 v27, v28, v24
	v_dual_add_f32 v29, v25, v27 :: v_dual_sub_f32 v28, v27, v28
	s_delay_alu instid0(VALU_DEP_1) | instskip(NEXT) | instid1(VALU_DEP_2)
	v_sub_f32_e32 v32, v29, v25
	v_dual_sub_f32 v31, v25, v31 :: v_dual_sub_f32 v24, v24, v28
	s_delay_alu instid0(VALU_DEP_1) | instskip(SKIP_1) | instid1(VALU_DEP_2)
	v_dual_sub_f32 v33, v29, v32 :: v_dual_sub_f32 v30, v30, v31
	v_sub_f32_e32 v27, v27, v32
	v_dual_sub_f32 v25, v25, v33 :: v_dual_add_f32 v28, v30, v24
	s_delay_alu instid0(VALU_DEP_1) | instskip(NEXT) | instid1(VALU_DEP_2)
	v_add_f32_e32 v25, v27, v25
	v_sub_f32_e32 v27, v28, v30
	s_delay_alu instid0(VALU_DEP_2) | instskip(NEXT) | instid1(VALU_DEP_2)
	v_add_f32_e32 v25, v28, v25
	v_sub_f32_e32 v28, v28, v27
	s_delay_alu instid0(VALU_DEP_2) | instskip(NEXT) | instid1(VALU_DEP_1)
	v_dual_sub_f32 v24, v24, v27 :: v_dual_add_f32 v31, v29, v25
	v_dual_sub_f32 v28, v30, v28 :: v_dual_sub_f32 v27, v31, v29
	s_delay_alu instid0(VALU_DEP_1) | instskip(NEXT) | instid1(VALU_DEP_1)
	v_dual_add_f32 v24, v24, v28 :: v_dual_sub_f32 v25, v25, v27
	v_add_f32_e32 v24, v24, v25
	s_delay_alu instid0(VALU_DEP_1) | instskip(NEXT) | instid1(VALU_DEP_1)
	v_add_f32_e32 v24, v31, v24
	v_cndmask_b32_e32 v75, v24, v26, vcc_lo
.LBB17_22:                              ;   in Loop: Header=BB17_12 Depth=1
	s_or_b32 exec_lo, exec_lo, s15
	v_and_b32_e32 v24, 0xffff0000, v12
	s_delay_alu instid0(VALU_DEP_1) | instskip(NEXT) | instid1(VALU_DEP_1)
	v_add_f32_e32 v76, s56, v24
	v_cmp_ge_f32_e32 vcc_lo, 0x41a00000, v76
	s_and_b32 s14, s66, vcc_lo
	s_delay_alu instid0(SALU_CYCLE_1)
	s_and_saveexec_b32 s15, s14
	s_cbranch_execz .LBB17_24
; %bb.23:                               ;   in Loop: Header=BB17_12 Depth=1
	v_mul_f32_e32 v24, 0x3fb8aa3b, v76
	v_cmp_ngt_f32_e32 vcc_lo, 0xc2ce8ed0, v76
	s_delay_alu instid0(VALU_DEP_2) | instskip(SKIP_1) | instid1(VALU_DEP_2)
	v_rndne_f32_e32 v25, v24
	v_fma_f32 v26, 0x3fb8aa3b, v76, -v24
	v_sub_f32_e32 v24, v24, v25
	s_delay_alu instid0(VALU_DEP_2) | instskip(SKIP_1) | instid1(VALU_DEP_2)
	v_fmac_f32_e32 v26, 0x32a5705f, v76
	v_cvt_i32_f32_e32 v25, v25
	v_add_f32_e32 v24, v24, v26
	s_delay_alu instid0(VALU_DEP_1) | instskip(SKIP_2) | instid1(VALU_DEP_1)
	v_exp_f32_e32 v24, v24
	s_waitcnt_depctr 0xfff
	v_ldexp_f32 v24, v24, v25
	v_cndmask_b32_e32 v24, 0, v24, vcc_lo
	v_cmp_nlt_f32_e32 vcc_lo, 0x42b17218, v76
	s_delay_alu instid0(VALU_DEP_2) | instskip(NEXT) | instid1(VALU_DEP_1)
	v_cndmask_b32_e32 v26, 0x7f800000, v24, vcc_lo
	v_add_f32_e32 v27, 1.0, v26
	s_delay_alu instid0(VALU_DEP_1) | instskip(NEXT) | instid1(VALU_DEP_1)
	v_cvt_f64_f32_e32 v[24:25], v27
	v_frexp_exp_i32_f64_e32 v24, v[24:25]
	v_frexp_mant_f32_e32 v25, v27
	s_delay_alu instid0(VALU_DEP_1) | instskip(SKIP_1) | instid1(VALU_DEP_1)
	v_cmp_gt_f32_e32 vcc_lo, 0x3f2aaaab, v25
	v_add_f32_e32 v25, -1.0, v27
	v_sub_f32_e32 v29, v25, v27
	v_sub_f32_e32 v25, v26, v25
	s_delay_alu instid0(VALU_DEP_2) | instskip(NEXT) | instid1(VALU_DEP_1)
	v_add_f32_e32 v29, 1.0, v29
	v_add_f32_e32 v25, v25, v29
	v_cmp_gt_f32_e64 s14, 0x33800000, v26
	v_subrev_co_ci_u32_e32 v24, vcc_lo, 0, v24, vcc_lo
	v_cmp_eq_f32_e32 vcc_lo, 0x7f800000, v26
	s_delay_alu instid0(VALU_DEP_2) | instskip(SKIP_2) | instid1(VALU_DEP_2)
	v_sub_nc_u32_e32 v28, 0, v24
	v_cvt_f32_i32_e32 v24, v24
	s_or_b32 vcc_lo, s14, vcc_lo
	v_ldexp_f32 v27, v27, v28
	v_ldexp_f32 v25, v25, v28
	s_delay_alu instid0(VALU_DEP_2) | instskip(NEXT) | instid1(VALU_DEP_1)
	v_add_f32_e32 v30, 1.0, v27
	v_dual_add_f32 v28, -1.0, v27 :: v_dual_add_f32 v29, -1.0, v30
	s_delay_alu instid0(VALU_DEP_1) | instskip(NEXT) | instid1(VALU_DEP_2)
	v_add_f32_e32 v31, 1.0, v28
	v_sub_f32_e32 v29, v27, v29
	s_delay_alu instid0(VALU_DEP_2) | instskip(NEXT) | instid1(VALU_DEP_2)
	v_sub_f32_e32 v27, v27, v31
	v_add_f32_e32 v29, v25, v29
	s_delay_alu instid0(VALU_DEP_2) | instskip(NEXT) | instid1(VALU_DEP_1)
	v_add_f32_e32 v25, v25, v27
	v_add_f32_e32 v32, v28, v25
	s_delay_alu instid0(VALU_DEP_1) | instskip(NEXT) | instid1(VALU_DEP_1)
	v_dual_add_f32 v31, v30, v29 :: v_dual_sub_f32 v28, v28, v32
	v_rcp_f32_e32 v27, v31
	v_sub_f32_e32 v30, v30, v31
	s_delay_alu instid0(VALU_DEP_1) | instskip(SKIP_2) | instid1(VALU_DEP_1)
	v_add_f32_e32 v29, v29, v30
	s_waitcnt_depctr 0xfff
	v_mul_f32_e32 v33, v32, v27
	v_mul_f32_e32 v34, v31, v33
	s_delay_alu instid0(VALU_DEP_1) | instskip(NEXT) | instid1(VALU_DEP_1)
	v_fma_f32 v30, v33, v31, -v34
	v_fmac_f32_e32 v30, v33, v29
	s_delay_alu instid0(VALU_DEP_1) | instskip(NEXT) | instid1(VALU_DEP_1)
	v_add_f32_e32 v35, v34, v30
	v_sub_f32_e32 v36, v32, v35
	s_delay_alu instid0(VALU_DEP_1) | instskip(SKIP_1) | instid1(VALU_DEP_2)
	v_sub_f32_e32 v32, v32, v36
	v_dual_add_f32 v25, v25, v28 :: v_dual_sub_f32 v28, v35, v34
	v_sub_f32_e32 v32, v32, v35
	s_delay_alu instid0(VALU_DEP_1) | instskip(NEXT) | instid1(VALU_DEP_1)
	v_dual_sub_f32 v28, v28, v30 :: v_dual_add_f32 v25, v25, v32
	v_add_f32_e32 v25, v28, v25
	s_delay_alu instid0(VALU_DEP_1) | instskip(NEXT) | instid1(VALU_DEP_1)
	v_add_f32_e32 v28, v36, v25
	v_mul_f32_e32 v30, v27, v28
	s_delay_alu instid0(VALU_DEP_1) | instskip(NEXT) | instid1(VALU_DEP_1)
	v_dual_sub_f32 v35, v36, v28 :: v_dual_mul_f32 v32, v31, v30
	v_add_f32_e32 v25, v25, v35
	s_delay_alu instid0(VALU_DEP_2) | instskip(NEXT) | instid1(VALU_DEP_1)
	v_fma_f32 v31, v30, v31, -v32
	v_fmac_f32_e32 v31, v30, v29
	s_delay_alu instid0(VALU_DEP_1) | instskip(NEXT) | instid1(VALU_DEP_1)
	v_add_f32_e32 v29, v32, v31
	v_sub_f32_e32 v34, v28, v29
	s_delay_alu instid0(VALU_DEP_1) | instskip(NEXT) | instid1(VALU_DEP_1)
	v_sub_f32_e32 v28, v28, v34
	v_sub_f32_e32 v28, v28, v29
	s_delay_alu instid0(VALU_DEP_1) | instskip(SKIP_2) | instid1(VALU_DEP_1)
	v_add_f32_e32 v25, v25, v28
	v_add_f32_e32 v28, v33, v30
	v_sub_f32_e32 v32, v29, v32
	v_sub_f32_e32 v29, v32, v31
	s_delay_alu instid0(VALU_DEP_1) | instskip(NEXT) | instid1(VALU_DEP_4)
	v_add_f32_e32 v25, v29, v25
	v_sub_f32_e32 v29, v28, v33
	s_delay_alu instid0(VALU_DEP_2) | instskip(NEXT) | instid1(VALU_DEP_2)
	v_add_f32_e32 v25, v34, v25
	v_sub_f32_e32 v29, v30, v29
	s_delay_alu instid0(VALU_DEP_2) | instskip(NEXT) | instid1(VALU_DEP_1)
	v_mul_f32_e32 v25, v27, v25
	v_add_f32_e32 v25, v29, v25
	s_delay_alu instid0(VALU_DEP_1) | instskip(NEXT) | instid1(VALU_DEP_1)
	v_add_f32_e32 v27, v28, v25
	v_mul_f32_e32 v29, v27, v27
	s_delay_alu instid0(VALU_DEP_1) | instskip(SKIP_1) | instid1(VALU_DEP_2)
	v_fmaak_f32 v30, s54, v29, 0x3ecc95a3
	v_mul_f32_e32 v31, v27, v29
	v_fmaak_f32 v29, v29, v30, 0x3f2aaada
	v_ldexp_f32 v30, v27, 1
	s_delay_alu instid0(VALU_DEP_2) | instskip(SKIP_1) | instid1(VALU_DEP_2)
	v_mul_f32_e32 v29, v31, v29
	v_sub_f32_e32 v27, v27, v28
	v_dual_mul_f32 v31, 0x3f317218, v24 :: v_dual_add_f32 v28, v30, v29
	s_delay_alu instid0(VALU_DEP_2) | instskip(NEXT) | instid1(VALU_DEP_2)
	v_sub_f32_e32 v25, v25, v27
	v_sub_f32_e32 v27, v28, v30
	s_delay_alu instid0(VALU_DEP_3) | instskip(NEXT) | instid1(VALU_DEP_3)
	v_fma_f32 v30, 0x3f317218, v24, -v31
	v_ldexp_f32 v25, v25, 1
	s_delay_alu instid0(VALU_DEP_2) | instskip(NEXT) | instid1(VALU_DEP_1)
	v_dual_sub_f32 v27, v29, v27 :: v_dual_fmac_f32 v30, 0xb102e308, v24
	v_dual_add_f32 v24, v25, v27 :: v_dual_add_f32 v25, v31, v30
	s_delay_alu instid0(VALU_DEP_1) | instskip(NEXT) | instid1(VALU_DEP_1)
	v_add_f32_e32 v27, v28, v24
	v_dual_add_f32 v29, v25, v27 :: v_dual_sub_f32 v28, v27, v28
	s_delay_alu instid0(VALU_DEP_1) | instskip(NEXT) | instid1(VALU_DEP_2)
	v_sub_f32_e32 v32, v29, v25
	v_dual_sub_f32 v31, v25, v31 :: v_dual_sub_f32 v24, v24, v28
	s_delay_alu instid0(VALU_DEP_1) | instskip(SKIP_1) | instid1(VALU_DEP_2)
	v_dual_sub_f32 v33, v29, v32 :: v_dual_sub_f32 v30, v30, v31
	v_sub_f32_e32 v27, v27, v32
	v_dual_sub_f32 v25, v25, v33 :: v_dual_add_f32 v28, v30, v24
	s_delay_alu instid0(VALU_DEP_1) | instskip(NEXT) | instid1(VALU_DEP_2)
	v_add_f32_e32 v25, v27, v25
	v_sub_f32_e32 v27, v28, v30
	s_delay_alu instid0(VALU_DEP_2) | instskip(NEXT) | instid1(VALU_DEP_2)
	v_add_f32_e32 v25, v28, v25
	v_sub_f32_e32 v28, v28, v27
	s_delay_alu instid0(VALU_DEP_2) | instskip(NEXT) | instid1(VALU_DEP_1)
	v_dual_sub_f32 v24, v24, v27 :: v_dual_add_f32 v31, v29, v25
	v_dual_sub_f32 v28, v30, v28 :: v_dual_sub_f32 v27, v31, v29
	s_delay_alu instid0(VALU_DEP_1) | instskip(NEXT) | instid1(VALU_DEP_1)
	v_dual_add_f32 v24, v24, v28 :: v_dual_sub_f32 v25, v25, v27
	v_add_f32_e32 v24, v24, v25
	s_delay_alu instid0(VALU_DEP_1) | instskip(NEXT) | instid1(VALU_DEP_1)
	v_add_f32_e32 v24, v31, v24
	v_cndmask_b32_e32 v76, v24, v26, vcc_lo
.LBB17_24:                              ;   in Loop: Header=BB17_12 Depth=1
	s_or_b32 exec_lo, exec_lo, s15
	v_lshlrev_b32_e32 v24, 16, v13
	s_delay_alu instid0(VALU_DEP_1) | instskip(NEXT) | instid1(VALU_DEP_1)
	v_add_f32_e32 v77, s56, v24
	v_cmp_ge_f32_e32 vcc_lo, 0x41a00000, v77
	s_and_b32 s14, s66, vcc_lo
	s_delay_alu instid0(SALU_CYCLE_1)
	s_and_saveexec_b32 s15, s14
	s_cbranch_execz .LBB17_26
; %bb.25:                               ;   in Loop: Header=BB17_12 Depth=1
	v_mul_f32_e32 v24, 0x3fb8aa3b, v77
	v_cmp_ngt_f32_e32 vcc_lo, 0xc2ce8ed0, v77
	s_delay_alu instid0(VALU_DEP_2) | instskip(SKIP_1) | instid1(VALU_DEP_2)
	v_rndne_f32_e32 v25, v24
	v_fma_f32 v26, 0x3fb8aa3b, v77, -v24
	v_sub_f32_e32 v24, v24, v25
	s_delay_alu instid0(VALU_DEP_2) | instskip(SKIP_1) | instid1(VALU_DEP_2)
	v_fmac_f32_e32 v26, 0x32a5705f, v77
	v_cvt_i32_f32_e32 v25, v25
	v_add_f32_e32 v24, v24, v26
	s_delay_alu instid0(VALU_DEP_1) | instskip(SKIP_2) | instid1(VALU_DEP_1)
	v_exp_f32_e32 v24, v24
	s_waitcnt_depctr 0xfff
	v_ldexp_f32 v24, v24, v25
	v_cndmask_b32_e32 v24, 0, v24, vcc_lo
	v_cmp_nlt_f32_e32 vcc_lo, 0x42b17218, v77
	s_delay_alu instid0(VALU_DEP_2) | instskip(NEXT) | instid1(VALU_DEP_1)
	v_cndmask_b32_e32 v26, 0x7f800000, v24, vcc_lo
	v_add_f32_e32 v27, 1.0, v26
	s_delay_alu instid0(VALU_DEP_1) | instskip(NEXT) | instid1(VALU_DEP_1)
	v_cvt_f64_f32_e32 v[24:25], v27
	v_frexp_exp_i32_f64_e32 v24, v[24:25]
	v_frexp_mant_f32_e32 v25, v27
	s_delay_alu instid0(VALU_DEP_1) | instskip(SKIP_1) | instid1(VALU_DEP_1)
	v_cmp_gt_f32_e32 vcc_lo, 0x3f2aaaab, v25
	v_add_f32_e32 v25, -1.0, v27
	v_sub_f32_e32 v29, v25, v27
	v_sub_f32_e32 v25, v26, v25
	s_delay_alu instid0(VALU_DEP_2) | instskip(NEXT) | instid1(VALU_DEP_1)
	v_add_f32_e32 v29, 1.0, v29
	v_add_f32_e32 v25, v25, v29
	v_cmp_gt_f32_e64 s14, 0x33800000, v26
	v_subrev_co_ci_u32_e32 v24, vcc_lo, 0, v24, vcc_lo
	v_cmp_eq_f32_e32 vcc_lo, 0x7f800000, v26
	s_delay_alu instid0(VALU_DEP_2) | instskip(SKIP_2) | instid1(VALU_DEP_2)
	v_sub_nc_u32_e32 v28, 0, v24
	v_cvt_f32_i32_e32 v24, v24
	s_or_b32 vcc_lo, s14, vcc_lo
	v_ldexp_f32 v27, v27, v28
	v_ldexp_f32 v25, v25, v28
	s_delay_alu instid0(VALU_DEP_2) | instskip(NEXT) | instid1(VALU_DEP_1)
	v_add_f32_e32 v30, 1.0, v27
	v_dual_add_f32 v28, -1.0, v27 :: v_dual_add_f32 v29, -1.0, v30
	s_delay_alu instid0(VALU_DEP_1) | instskip(NEXT) | instid1(VALU_DEP_2)
	v_add_f32_e32 v31, 1.0, v28
	v_sub_f32_e32 v29, v27, v29
	s_delay_alu instid0(VALU_DEP_2) | instskip(NEXT) | instid1(VALU_DEP_2)
	v_sub_f32_e32 v27, v27, v31
	v_add_f32_e32 v29, v25, v29
	s_delay_alu instid0(VALU_DEP_2) | instskip(NEXT) | instid1(VALU_DEP_1)
	v_add_f32_e32 v25, v25, v27
	v_add_f32_e32 v32, v28, v25
	s_delay_alu instid0(VALU_DEP_1) | instskip(NEXT) | instid1(VALU_DEP_1)
	v_dual_add_f32 v31, v30, v29 :: v_dual_sub_f32 v28, v28, v32
	v_rcp_f32_e32 v27, v31
	v_sub_f32_e32 v30, v30, v31
	s_delay_alu instid0(VALU_DEP_1) | instskip(SKIP_2) | instid1(VALU_DEP_1)
	v_add_f32_e32 v29, v29, v30
	s_waitcnt_depctr 0xfff
	v_mul_f32_e32 v33, v32, v27
	v_mul_f32_e32 v34, v31, v33
	s_delay_alu instid0(VALU_DEP_1) | instskip(NEXT) | instid1(VALU_DEP_1)
	v_fma_f32 v30, v33, v31, -v34
	v_fmac_f32_e32 v30, v33, v29
	s_delay_alu instid0(VALU_DEP_1) | instskip(NEXT) | instid1(VALU_DEP_1)
	v_add_f32_e32 v35, v34, v30
	v_sub_f32_e32 v36, v32, v35
	s_delay_alu instid0(VALU_DEP_1) | instskip(SKIP_1) | instid1(VALU_DEP_2)
	v_sub_f32_e32 v32, v32, v36
	v_dual_add_f32 v25, v25, v28 :: v_dual_sub_f32 v28, v35, v34
	v_sub_f32_e32 v32, v32, v35
	s_delay_alu instid0(VALU_DEP_1) | instskip(NEXT) | instid1(VALU_DEP_1)
	v_dual_sub_f32 v28, v28, v30 :: v_dual_add_f32 v25, v25, v32
	v_add_f32_e32 v25, v28, v25
	s_delay_alu instid0(VALU_DEP_1) | instskip(NEXT) | instid1(VALU_DEP_1)
	v_add_f32_e32 v28, v36, v25
	v_mul_f32_e32 v30, v27, v28
	s_delay_alu instid0(VALU_DEP_1) | instskip(NEXT) | instid1(VALU_DEP_1)
	v_dual_sub_f32 v35, v36, v28 :: v_dual_mul_f32 v32, v31, v30
	v_add_f32_e32 v25, v25, v35
	s_delay_alu instid0(VALU_DEP_2) | instskip(NEXT) | instid1(VALU_DEP_1)
	v_fma_f32 v31, v30, v31, -v32
	v_fmac_f32_e32 v31, v30, v29
	s_delay_alu instid0(VALU_DEP_1) | instskip(NEXT) | instid1(VALU_DEP_1)
	v_add_f32_e32 v29, v32, v31
	v_sub_f32_e32 v34, v28, v29
	s_delay_alu instid0(VALU_DEP_1) | instskip(NEXT) | instid1(VALU_DEP_1)
	v_sub_f32_e32 v28, v28, v34
	v_sub_f32_e32 v28, v28, v29
	s_delay_alu instid0(VALU_DEP_1) | instskip(SKIP_2) | instid1(VALU_DEP_1)
	v_add_f32_e32 v25, v25, v28
	v_add_f32_e32 v28, v33, v30
	v_sub_f32_e32 v32, v29, v32
	v_sub_f32_e32 v29, v32, v31
	s_delay_alu instid0(VALU_DEP_1) | instskip(NEXT) | instid1(VALU_DEP_4)
	v_add_f32_e32 v25, v29, v25
	v_sub_f32_e32 v29, v28, v33
	s_delay_alu instid0(VALU_DEP_2) | instskip(NEXT) | instid1(VALU_DEP_2)
	v_add_f32_e32 v25, v34, v25
	v_sub_f32_e32 v29, v30, v29
	s_delay_alu instid0(VALU_DEP_2) | instskip(NEXT) | instid1(VALU_DEP_1)
	v_mul_f32_e32 v25, v27, v25
	v_add_f32_e32 v25, v29, v25
	s_delay_alu instid0(VALU_DEP_1) | instskip(NEXT) | instid1(VALU_DEP_1)
	v_add_f32_e32 v27, v28, v25
	v_mul_f32_e32 v29, v27, v27
	s_delay_alu instid0(VALU_DEP_1) | instskip(SKIP_1) | instid1(VALU_DEP_2)
	v_fmaak_f32 v30, s54, v29, 0x3ecc95a3
	v_mul_f32_e32 v31, v27, v29
	v_fmaak_f32 v29, v29, v30, 0x3f2aaada
	v_ldexp_f32 v30, v27, 1
	s_delay_alu instid0(VALU_DEP_2) | instskip(SKIP_1) | instid1(VALU_DEP_2)
	v_mul_f32_e32 v29, v31, v29
	v_sub_f32_e32 v27, v27, v28
	v_dual_mul_f32 v31, 0x3f317218, v24 :: v_dual_add_f32 v28, v30, v29
	s_delay_alu instid0(VALU_DEP_2) | instskip(NEXT) | instid1(VALU_DEP_2)
	v_sub_f32_e32 v25, v25, v27
	v_sub_f32_e32 v27, v28, v30
	s_delay_alu instid0(VALU_DEP_3) | instskip(NEXT) | instid1(VALU_DEP_3)
	v_fma_f32 v30, 0x3f317218, v24, -v31
	v_ldexp_f32 v25, v25, 1
	s_delay_alu instid0(VALU_DEP_2) | instskip(NEXT) | instid1(VALU_DEP_1)
	v_dual_sub_f32 v27, v29, v27 :: v_dual_fmac_f32 v30, 0xb102e308, v24
	v_dual_add_f32 v24, v25, v27 :: v_dual_add_f32 v25, v31, v30
	s_delay_alu instid0(VALU_DEP_1) | instskip(NEXT) | instid1(VALU_DEP_1)
	v_add_f32_e32 v27, v28, v24
	v_dual_add_f32 v29, v25, v27 :: v_dual_sub_f32 v28, v27, v28
	s_delay_alu instid0(VALU_DEP_1) | instskip(NEXT) | instid1(VALU_DEP_2)
	v_sub_f32_e32 v32, v29, v25
	v_dual_sub_f32 v31, v25, v31 :: v_dual_sub_f32 v24, v24, v28
	s_delay_alu instid0(VALU_DEP_1) | instskip(SKIP_1) | instid1(VALU_DEP_2)
	v_dual_sub_f32 v33, v29, v32 :: v_dual_sub_f32 v30, v30, v31
	v_sub_f32_e32 v27, v27, v32
	v_dual_sub_f32 v25, v25, v33 :: v_dual_add_f32 v28, v30, v24
	s_delay_alu instid0(VALU_DEP_1) | instskip(NEXT) | instid1(VALU_DEP_2)
	v_add_f32_e32 v25, v27, v25
	v_sub_f32_e32 v27, v28, v30
	s_delay_alu instid0(VALU_DEP_2) | instskip(NEXT) | instid1(VALU_DEP_2)
	v_add_f32_e32 v25, v28, v25
	v_sub_f32_e32 v28, v28, v27
	s_delay_alu instid0(VALU_DEP_2) | instskip(NEXT) | instid1(VALU_DEP_1)
	v_dual_sub_f32 v24, v24, v27 :: v_dual_add_f32 v31, v29, v25
	v_dual_sub_f32 v28, v30, v28 :: v_dual_sub_f32 v27, v31, v29
	s_delay_alu instid0(VALU_DEP_1) | instskip(NEXT) | instid1(VALU_DEP_1)
	v_dual_add_f32 v24, v24, v28 :: v_dual_sub_f32 v25, v25, v27
	v_add_f32_e32 v24, v24, v25
	s_delay_alu instid0(VALU_DEP_1) | instskip(NEXT) | instid1(VALU_DEP_1)
	v_add_f32_e32 v24, v31, v24
	v_cndmask_b32_e32 v77, v24, v26, vcc_lo
.LBB17_26:                              ;   in Loop: Header=BB17_12 Depth=1
	s_or_b32 exec_lo, exec_lo, s15
	v_and_b32_e32 v24, 0xffff0000, v13
	s_delay_alu instid0(VALU_DEP_1) | instskip(NEXT) | instid1(VALU_DEP_1)
	v_add_f32_e32 v78, s56, v24
	v_cmp_ge_f32_e32 vcc_lo, 0x41a00000, v78
	s_and_b32 s14, s66, vcc_lo
	s_delay_alu instid0(SALU_CYCLE_1)
	s_and_saveexec_b32 s15, s14
	s_cbranch_execz .LBB17_28
; %bb.27:                               ;   in Loop: Header=BB17_12 Depth=1
	v_mul_f32_e32 v24, 0x3fb8aa3b, v78
	v_cmp_ngt_f32_e32 vcc_lo, 0xc2ce8ed0, v78
	s_delay_alu instid0(VALU_DEP_2) | instskip(SKIP_1) | instid1(VALU_DEP_2)
	v_rndne_f32_e32 v25, v24
	v_fma_f32 v26, 0x3fb8aa3b, v78, -v24
	v_sub_f32_e32 v24, v24, v25
	s_delay_alu instid0(VALU_DEP_2) | instskip(SKIP_1) | instid1(VALU_DEP_2)
	v_fmac_f32_e32 v26, 0x32a5705f, v78
	v_cvt_i32_f32_e32 v25, v25
	v_add_f32_e32 v24, v24, v26
	s_delay_alu instid0(VALU_DEP_1) | instskip(SKIP_2) | instid1(VALU_DEP_1)
	v_exp_f32_e32 v24, v24
	s_waitcnt_depctr 0xfff
	v_ldexp_f32 v24, v24, v25
	v_cndmask_b32_e32 v24, 0, v24, vcc_lo
	v_cmp_nlt_f32_e32 vcc_lo, 0x42b17218, v78
	s_delay_alu instid0(VALU_DEP_2) | instskip(NEXT) | instid1(VALU_DEP_1)
	v_cndmask_b32_e32 v26, 0x7f800000, v24, vcc_lo
	v_add_f32_e32 v27, 1.0, v26
	s_delay_alu instid0(VALU_DEP_1) | instskip(NEXT) | instid1(VALU_DEP_1)
	v_cvt_f64_f32_e32 v[24:25], v27
	v_frexp_exp_i32_f64_e32 v24, v[24:25]
	v_frexp_mant_f32_e32 v25, v27
	s_delay_alu instid0(VALU_DEP_1) | instskip(SKIP_1) | instid1(VALU_DEP_1)
	v_cmp_gt_f32_e32 vcc_lo, 0x3f2aaaab, v25
	v_add_f32_e32 v25, -1.0, v27
	v_sub_f32_e32 v29, v25, v27
	v_sub_f32_e32 v25, v26, v25
	s_delay_alu instid0(VALU_DEP_2) | instskip(NEXT) | instid1(VALU_DEP_1)
	v_add_f32_e32 v29, 1.0, v29
	v_add_f32_e32 v25, v25, v29
	v_cmp_gt_f32_e64 s14, 0x33800000, v26
	v_subrev_co_ci_u32_e32 v24, vcc_lo, 0, v24, vcc_lo
	v_cmp_eq_f32_e32 vcc_lo, 0x7f800000, v26
	s_delay_alu instid0(VALU_DEP_2) | instskip(SKIP_2) | instid1(VALU_DEP_2)
	v_sub_nc_u32_e32 v28, 0, v24
	v_cvt_f32_i32_e32 v24, v24
	s_or_b32 vcc_lo, s14, vcc_lo
	v_ldexp_f32 v27, v27, v28
	v_ldexp_f32 v25, v25, v28
	s_delay_alu instid0(VALU_DEP_2) | instskip(NEXT) | instid1(VALU_DEP_1)
	v_add_f32_e32 v30, 1.0, v27
	v_dual_add_f32 v28, -1.0, v27 :: v_dual_add_f32 v29, -1.0, v30
	s_delay_alu instid0(VALU_DEP_1) | instskip(NEXT) | instid1(VALU_DEP_2)
	v_add_f32_e32 v31, 1.0, v28
	v_sub_f32_e32 v29, v27, v29
	s_delay_alu instid0(VALU_DEP_2) | instskip(NEXT) | instid1(VALU_DEP_2)
	v_sub_f32_e32 v27, v27, v31
	v_add_f32_e32 v29, v25, v29
	s_delay_alu instid0(VALU_DEP_2) | instskip(NEXT) | instid1(VALU_DEP_1)
	v_add_f32_e32 v25, v25, v27
	v_add_f32_e32 v32, v28, v25
	s_delay_alu instid0(VALU_DEP_1) | instskip(NEXT) | instid1(VALU_DEP_1)
	v_dual_add_f32 v31, v30, v29 :: v_dual_sub_f32 v28, v28, v32
	v_rcp_f32_e32 v27, v31
	v_sub_f32_e32 v30, v30, v31
	s_delay_alu instid0(VALU_DEP_1) | instskip(SKIP_2) | instid1(VALU_DEP_1)
	v_add_f32_e32 v29, v29, v30
	s_waitcnt_depctr 0xfff
	v_mul_f32_e32 v33, v32, v27
	v_mul_f32_e32 v34, v31, v33
	s_delay_alu instid0(VALU_DEP_1) | instskip(NEXT) | instid1(VALU_DEP_1)
	v_fma_f32 v30, v33, v31, -v34
	v_fmac_f32_e32 v30, v33, v29
	s_delay_alu instid0(VALU_DEP_1) | instskip(NEXT) | instid1(VALU_DEP_1)
	v_add_f32_e32 v35, v34, v30
	v_sub_f32_e32 v36, v32, v35
	s_delay_alu instid0(VALU_DEP_1) | instskip(SKIP_1) | instid1(VALU_DEP_2)
	v_sub_f32_e32 v32, v32, v36
	v_dual_add_f32 v25, v25, v28 :: v_dual_sub_f32 v28, v35, v34
	v_sub_f32_e32 v32, v32, v35
	s_delay_alu instid0(VALU_DEP_1) | instskip(NEXT) | instid1(VALU_DEP_1)
	v_dual_sub_f32 v28, v28, v30 :: v_dual_add_f32 v25, v25, v32
	v_add_f32_e32 v25, v28, v25
	s_delay_alu instid0(VALU_DEP_1) | instskip(NEXT) | instid1(VALU_DEP_1)
	v_add_f32_e32 v28, v36, v25
	v_mul_f32_e32 v30, v27, v28
	s_delay_alu instid0(VALU_DEP_1) | instskip(NEXT) | instid1(VALU_DEP_1)
	v_dual_sub_f32 v35, v36, v28 :: v_dual_mul_f32 v32, v31, v30
	v_add_f32_e32 v25, v25, v35
	s_delay_alu instid0(VALU_DEP_2) | instskip(NEXT) | instid1(VALU_DEP_1)
	v_fma_f32 v31, v30, v31, -v32
	v_fmac_f32_e32 v31, v30, v29
	s_delay_alu instid0(VALU_DEP_1) | instskip(NEXT) | instid1(VALU_DEP_1)
	v_add_f32_e32 v29, v32, v31
	v_sub_f32_e32 v34, v28, v29
	s_delay_alu instid0(VALU_DEP_1) | instskip(NEXT) | instid1(VALU_DEP_1)
	v_sub_f32_e32 v28, v28, v34
	v_sub_f32_e32 v28, v28, v29
	s_delay_alu instid0(VALU_DEP_1) | instskip(SKIP_2) | instid1(VALU_DEP_1)
	v_add_f32_e32 v25, v25, v28
	v_add_f32_e32 v28, v33, v30
	v_sub_f32_e32 v32, v29, v32
	v_sub_f32_e32 v29, v32, v31
	s_delay_alu instid0(VALU_DEP_1) | instskip(NEXT) | instid1(VALU_DEP_4)
	v_add_f32_e32 v25, v29, v25
	v_sub_f32_e32 v29, v28, v33
	s_delay_alu instid0(VALU_DEP_2) | instskip(NEXT) | instid1(VALU_DEP_2)
	v_add_f32_e32 v25, v34, v25
	v_sub_f32_e32 v29, v30, v29
	s_delay_alu instid0(VALU_DEP_2) | instskip(NEXT) | instid1(VALU_DEP_1)
	v_mul_f32_e32 v25, v27, v25
	v_add_f32_e32 v25, v29, v25
	s_delay_alu instid0(VALU_DEP_1) | instskip(NEXT) | instid1(VALU_DEP_1)
	v_add_f32_e32 v27, v28, v25
	v_mul_f32_e32 v29, v27, v27
	s_delay_alu instid0(VALU_DEP_1) | instskip(SKIP_1) | instid1(VALU_DEP_2)
	v_fmaak_f32 v30, s54, v29, 0x3ecc95a3
	v_mul_f32_e32 v31, v27, v29
	v_fmaak_f32 v29, v29, v30, 0x3f2aaada
	v_ldexp_f32 v30, v27, 1
	s_delay_alu instid0(VALU_DEP_2) | instskip(SKIP_1) | instid1(VALU_DEP_2)
	v_mul_f32_e32 v29, v31, v29
	v_sub_f32_e32 v27, v27, v28
	v_dual_mul_f32 v31, 0x3f317218, v24 :: v_dual_add_f32 v28, v30, v29
	s_delay_alu instid0(VALU_DEP_2) | instskip(NEXT) | instid1(VALU_DEP_2)
	v_sub_f32_e32 v25, v25, v27
	v_sub_f32_e32 v27, v28, v30
	s_delay_alu instid0(VALU_DEP_3) | instskip(NEXT) | instid1(VALU_DEP_3)
	v_fma_f32 v30, 0x3f317218, v24, -v31
	v_ldexp_f32 v25, v25, 1
	s_delay_alu instid0(VALU_DEP_2) | instskip(NEXT) | instid1(VALU_DEP_1)
	v_dual_sub_f32 v27, v29, v27 :: v_dual_fmac_f32 v30, 0xb102e308, v24
	v_dual_add_f32 v24, v25, v27 :: v_dual_add_f32 v25, v31, v30
	s_delay_alu instid0(VALU_DEP_1) | instskip(NEXT) | instid1(VALU_DEP_1)
	v_add_f32_e32 v27, v28, v24
	v_dual_add_f32 v29, v25, v27 :: v_dual_sub_f32 v28, v27, v28
	s_delay_alu instid0(VALU_DEP_1) | instskip(NEXT) | instid1(VALU_DEP_2)
	v_sub_f32_e32 v32, v29, v25
	v_dual_sub_f32 v31, v25, v31 :: v_dual_sub_f32 v24, v24, v28
	s_delay_alu instid0(VALU_DEP_1) | instskip(SKIP_1) | instid1(VALU_DEP_2)
	v_dual_sub_f32 v33, v29, v32 :: v_dual_sub_f32 v30, v30, v31
	v_sub_f32_e32 v27, v27, v32
	v_dual_sub_f32 v25, v25, v33 :: v_dual_add_f32 v28, v30, v24
	s_delay_alu instid0(VALU_DEP_1) | instskip(NEXT) | instid1(VALU_DEP_2)
	v_add_f32_e32 v25, v27, v25
	v_sub_f32_e32 v27, v28, v30
	s_delay_alu instid0(VALU_DEP_2) | instskip(NEXT) | instid1(VALU_DEP_2)
	v_add_f32_e32 v25, v28, v25
	v_sub_f32_e32 v28, v28, v27
	s_delay_alu instid0(VALU_DEP_2) | instskip(NEXT) | instid1(VALU_DEP_1)
	v_dual_sub_f32 v24, v24, v27 :: v_dual_add_f32 v31, v29, v25
	v_dual_sub_f32 v28, v30, v28 :: v_dual_sub_f32 v27, v31, v29
	s_delay_alu instid0(VALU_DEP_1) | instskip(NEXT) | instid1(VALU_DEP_1)
	v_dual_add_f32 v24, v24, v28 :: v_dual_sub_f32 v25, v25, v27
	v_add_f32_e32 v24, v24, v25
	s_delay_alu instid0(VALU_DEP_1) | instskip(NEXT) | instid1(VALU_DEP_1)
	v_add_f32_e32 v24, v31, v24
	v_cndmask_b32_e32 v78, v24, v26, vcc_lo
.LBB17_28:                              ;   in Loop: Header=BB17_12 Depth=1
	s_or_b32 exec_lo, exec_lo, s15
	v_lshlrev_b32_e32 v24, 16, v14
	s_delay_alu instid0(VALU_DEP_1) | instskip(NEXT) | instid1(VALU_DEP_1)
	v_add_f32_e32 v79, s56, v24
	v_cmp_ge_f32_e32 vcc_lo, 0x41a00000, v79
	s_and_b32 s14, s66, vcc_lo
	s_delay_alu instid0(SALU_CYCLE_1)
	s_and_saveexec_b32 s15, s14
	s_cbranch_execz .LBB17_30
; %bb.29:                               ;   in Loop: Header=BB17_12 Depth=1
	v_mul_f32_e32 v24, 0x3fb8aa3b, v79
	v_cmp_ngt_f32_e32 vcc_lo, 0xc2ce8ed0, v79
	s_delay_alu instid0(VALU_DEP_2) | instskip(SKIP_1) | instid1(VALU_DEP_2)
	v_rndne_f32_e32 v25, v24
	v_fma_f32 v26, 0x3fb8aa3b, v79, -v24
	v_sub_f32_e32 v24, v24, v25
	s_delay_alu instid0(VALU_DEP_2) | instskip(SKIP_1) | instid1(VALU_DEP_2)
	v_fmac_f32_e32 v26, 0x32a5705f, v79
	v_cvt_i32_f32_e32 v25, v25
	v_add_f32_e32 v24, v24, v26
	s_delay_alu instid0(VALU_DEP_1) | instskip(SKIP_2) | instid1(VALU_DEP_1)
	v_exp_f32_e32 v24, v24
	s_waitcnt_depctr 0xfff
	v_ldexp_f32 v24, v24, v25
	v_cndmask_b32_e32 v24, 0, v24, vcc_lo
	v_cmp_nlt_f32_e32 vcc_lo, 0x42b17218, v79
	s_delay_alu instid0(VALU_DEP_2) | instskip(NEXT) | instid1(VALU_DEP_1)
	v_cndmask_b32_e32 v26, 0x7f800000, v24, vcc_lo
	v_add_f32_e32 v27, 1.0, v26
	s_delay_alu instid0(VALU_DEP_1) | instskip(NEXT) | instid1(VALU_DEP_1)
	v_cvt_f64_f32_e32 v[24:25], v27
	v_frexp_exp_i32_f64_e32 v24, v[24:25]
	v_frexp_mant_f32_e32 v25, v27
	s_delay_alu instid0(VALU_DEP_1) | instskip(SKIP_1) | instid1(VALU_DEP_1)
	v_cmp_gt_f32_e32 vcc_lo, 0x3f2aaaab, v25
	v_add_f32_e32 v25, -1.0, v27
	v_sub_f32_e32 v29, v25, v27
	v_sub_f32_e32 v25, v26, v25
	s_delay_alu instid0(VALU_DEP_2) | instskip(NEXT) | instid1(VALU_DEP_1)
	v_add_f32_e32 v29, 1.0, v29
	v_add_f32_e32 v25, v25, v29
	v_cmp_gt_f32_e64 s14, 0x33800000, v26
	v_subrev_co_ci_u32_e32 v24, vcc_lo, 0, v24, vcc_lo
	v_cmp_eq_f32_e32 vcc_lo, 0x7f800000, v26
	s_delay_alu instid0(VALU_DEP_2) | instskip(SKIP_2) | instid1(VALU_DEP_2)
	v_sub_nc_u32_e32 v28, 0, v24
	v_cvt_f32_i32_e32 v24, v24
	s_or_b32 vcc_lo, s14, vcc_lo
	v_ldexp_f32 v27, v27, v28
	v_ldexp_f32 v25, v25, v28
	s_delay_alu instid0(VALU_DEP_2) | instskip(NEXT) | instid1(VALU_DEP_1)
	v_add_f32_e32 v30, 1.0, v27
	v_dual_add_f32 v28, -1.0, v27 :: v_dual_add_f32 v29, -1.0, v30
	s_delay_alu instid0(VALU_DEP_1) | instskip(NEXT) | instid1(VALU_DEP_2)
	v_add_f32_e32 v31, 1.0, v28
	v_sub_f32_e32 v29, v27, v29
	s_delay_alu instid0(VALU_DEP_2) | instskip(NEXT) | instid1(VALU_DEP_2)
	v_sub_f32_e32 v27, v27, v31
	v_add_f32_e32 v29, v25, v29
	s_delay_alu instid0(VALU_DEP_2) | instskip(NEXT) | instid1(VALU_DEP_1)
	v_add_f32_e32 v25, v25, v27
	v_add_f32_e32 v32, v28, v25
	s_delay_alu instid0(VALU_DEP_1) | instskip(NEXT) | instid1(VALU_DEP_1)
	v_dual_add_f32 v31, v30, v29 :: v_dual_sub_f32 v28, v28, v32
	v_rcp_f32_e32 v27, v31
	v_sub_f32_e32 v30, v30, v31
	s_delay_alu instid0(VALU_DEP_1) | instskip(SKIP_2) | instid1(VALU_DEP_1)
	v_add_f32_e32 v29, v29, v30
	s_waitcnt_depctr 0xfff
	v_mul_f32_e32 v33, v32, v27
	v_mul_f32_e32 v34, v31, v33
	s_delay_alu instid0(VALU_DEP_1) | instskip(NEXT) | instid1(VALU_DEP_1)
	v_fma_f32 v30, v33, v31, -v34
	v_fmac_f32_e32 v30, v33, v29
	s_delay_alu instid0(VALU_DEP_1) | instskip(NEXT) | instid1(VALU_DEP_1)
	v_add_f32_e32 v35, v34, v30
	v_sub_f32_e32 v36, v32, v35
	s_delay_alu instid0(VALU_DEP_1) | instskip(SKIP_1) | instid1(VALU_DEP_2)
	v_sub_f32_e32 v32, v32, v36
	v_dual_add_f32 v25, v25, v28 :: v_dual_sub_f32 v28, v35, v34
	v_sub_f32_e32 v32, v32, v35
	s_delay_alu instid0(VALU_DEP_1) | instskip(NEXT) | instid1(VALU_DEP_1)
	v_dual_sub_f32 v28, v28, v30 :: v_dual_add_f32 v25, v25, v32
	v_add_f32_e32 v25, v28, v25
	s_delay_alu instid0(VALU_DEP_1) | instskip(NEXT) | instid1(VALU_DEP_1)
	v_add_f32_e32 v28, v36, v25
	v_mul_f32_e32 v30, v27, v28
	s_delay_alu instid0(VALU_DEP_1) | instskip(NEXT) | instid1(VALU_DEP_1)
	v_dual_sub_f32 v35, v36, v28 :: v_dual_mul_f32 v32, v31, v30
	v_add_f32_e32 v25, v25, v35
	s_delay_alu instid0(VALU_DEP_2) | instskip(NEXT) | instid1(VALU_DEP_1)
	v_fma_f32 v31, v30, v31, -v32
	v_fmac_f32_e32 v31, v30, v29
	s_delay_alu instid0(VALU_DEP_1) | instskip(NEXT) | instid1(VALU_DEP_1)
	v_add_f32_e32 v29, v32, v31
	v_sub_f32_e32 v34, v28, v29
	s_delay_alu instid0(VALU_DEP_1) | instskip(NEXT) | instid1(VALU_DEP_1)
	v_sub_f32_e32 v28, v28, v34
	v_sub_f32_e32 v28, v28, v29
	s_delay_alu instid0(VALU_DEP_1) | instskip(SKIP_2) | instid1(VALU_DEP_1)
	v_add_f32_e32 v25, v25, v28
	v_add_f32_e32 v28, v33, v30
	v_sub_f32_e32 v32, v29, v32
	v_sub_f32_e32 v29, v32, v31
	s_delay_alu instid0(VALU_DEP_1) | instskip(NEXT) | instid1(VALU_DEP_4)
	v_add_f32_e32 v25, v29, v25
	v_sub_f32_e32 v29, v28, v33
	s_delay_alu instid0(VALU_DEP_2) | instskip(NEXT) | instid1(VALU_DEP_2)
	v_add_f32_e32 v25, v34, v25
	v_sub_f32_e32 v29, v30, v29
	s_delay_alu instid0(VALU_DEP_2) | instskip(NEXT) | instid1(VALU_DEP_1)
	v_mul_f32_e32 v25, v27, v25
	v_add_f32_e32 v25, v29, v25
	s_delay_alu instid0(VALU_DEP_1) | instskip(NEXT) | instid1(VALU_DEP_1)
	v_add_f32_e32 v27, v28, v25
	v_mul_f32_e32 v29, v27, v27
	s_delay_alu instid0(VALU_DEP_1) | instskip(SKIP_1) | instid1(VALU_DEP_2)
	v_fmaak_f32 v30, s54, v29, 0x3ecc95a3
	v_mul_f32_e32 v31, v27, v29
	v_fmaak_f32 v29, v29, v30, 0x3f2aaada
	v_ldexp_f32 v30, v27, 1
	s_delay_alu instid0(VALU_DEP_2) | instskip(SKIP_1) | instid1(VALU_DEP_2)
	v_mul_f32_e32 v29, v31, v29
	v_sub_f32_e32 v27, v27, v28
	v_dual_mul_f32 v31, 0x3f317218, v24 :: v_dual_add_f32 v28, v30, v29
	s_delay_alu instid0(VALU_DEP_2) | instskip(NEXT) | instid1(VALU_DEP_2)
	v_sub_f32_e32 v25, v25, v27
	v_sub_f32_e32 v27, v28, v30
	s_delay_alu instid0(VALU_DEP_3) | instskip(NEXT) | instid1(VALU_DEP_3)
	v_fma_f32 v30, 0x3f317218, v24, -v31
	v_ldexp_f32 v25, v25, 1
	s_delay_alu instid0(VALU_DEP_2) | instskip(NEXT) | instid1(VALU_DEP_1)
	v_dual_sub_f32 v27, v29, v27 :: v_dual_fmac_f32 v30, 0xb102e308, v24
	v_dual_add_f32 v24, v25, v27 :: v_dual_add_f32 v25, v31, v30
	s_delay_alu instid0(VALU_DEP_1) | instskip(NEXT) | instid1(VALU_DEP_1)
	v_add_f32_e32 v27, v28, v24
	v_dual_add_f32 v29, v25, v27 :: v_dual_sub_f32 v28, v27, v28
	s_delay_alu instid0(VALU_DEP_1) | instskip(NEXT) | instid1(VALU_DEP_2)
	v_sub_f32_e32 v32, v29, v25
	v_dual_sub_f32 v31, v25, v31 :: v_dual_sub_f32 v24, v24, v28
	s_delay_alu instid0(VALU_DEP_1) | instskip(SKIP_1) | instid1(VALU_DEP_2)
	v_dual_sub_f32 v33, v29, v32 :: v_dual_sub_f32 v30, v30, v31
	v_sub_f32_e32 v27, v27, v32
	v_dual_sub_f32 v25, v25, v33 :: v_dual_add_f32 v28, v30, v24
	s_delay_alu instid0(VALU_DEP_1) | instskip(NEXT) | instid1(VALU_DEP_2)
	v_add_f32_e32 v25, v27, v25
	v_sub_f32_e32 v27, v28, v30
	s_delay_alu instid0(VALU_DEP_2) | instskip(NEXT) | instid1(VALU_DEP_2)
	v_add_f32_e32 v25, v28, v25
	v_sub_f32_e32 v28, v28, v27
	s_delay_alu instid0(VALU_DEP_2) | instskip(NEXT) | instid1(VALU_DEP_1)
	v_dual_sub_f32 v24, v24, v27 :: v_dual_add_f32 v31, v29, v25
	v_dual_sub_f32 v28, v30, v28 :: v_dual_sub_f32 v27, v31, v29
	s_delay_alu instid0(VALU_DEP_1) | instskip(NEXT) | instid1(VALU_DEP_1)
	v_dual_add_f32 v24, v24, v28 :: v_dual_sub_f32 v25, v25, v27
	v_add_f32_e32 v24, v24, v25
	s_delay_alu instid0(VALU_DEP_1) | instskip(NEXT) | instid1(VALU_DEP_1)
	v_add_f32_e32 v24, v31, v24
	v_cndmask_b32_e32 v79, v24, v26, vcc_lo
.LBB17_30:                              ;   in Loop: Header=BB17_12 Depth=1
	s_or_b32 exec_lo, exec_lo, s15
	v_and_b32_e32 v24, 0xffff0000, v14
	s_delay_alu instid0(VALU_DEP_1) | instskip(NEXT) | instid1(VALU_DEP_1)
	v_add_f32_e32 v80, s56, v24
	v_cmp_ge_f32_e32 vcc_lo, 0x41a00000, v80
	s_and_b32 s14, s66, vcc_lo
	s_delay_alu instid0(SALU_CYCLE_1)
	s_and_saveexec_b32 s15, s14
	s_cbranch_execz .LBB17_32
; %bb.31:                               ;   in Loop: Header=BB17_12 Depth=1
	v_mul_f32_e32 v24, 0x3fb8aa3b, v80
	v_cmp_ngt_f32_e32 vcc_lo, 0xc2ce8ed0, v80
	s_delay_alu instid0(VALU_DEP_2) | instskip(SKIP_1) | instid1(VALU_DEP_2)
	v_rndne_f32_e32 v25, v24
	v_fma_f32 v26, 0x3fb8aa3b, v80, -v24
	v_sub_f32_e32 v24, v24, v25
	s_delay_alu instid0(VALU_DEP_2) | instskip(SKIP_1) | instid1(VALU_DEP_2)
	v_fmac_f32_e32 v26, 0x32a5705f, v80
	v_cvt_i32_f32_e32 v25, v25
	v_add_f32_e32 v24, v24, v26
	s_delay_alu instid0(VALU_DEP_1) | instskip(SKIP_2) | instid1(VALU_DEP_1)
	v_exp_f32_e32 v24, v24
	s_waitcnt_depctr 0xfff
	v_ldexp_f32 v24, v24, v25
	v_cndmask_b32_e32 v24, 0, v24, vcc_lo
	v_cmp_nlt_f32_e32 vcc_lo, 0x42b17218, v80
	s_delay_alu instid0(VALU_DEP_2) | instskip(NEXT) | instid1(VALU_DEP_1)
	v_cndmask_b32_e32 v26, 0x7f800000, v24, vcc_lo
	v_add_f32_e32 v27, 1.0, v26
	s_delay_alu instid0(VALU_DEP_1) | instskip(NEXT) | instid1(VALU_DEP_1)
	v_cvt_f64_f32_e32 v[24:25], v27
	v_frexp_exp_i32_f64_e32 v24, v[24:25]
	v_frexp_mant_f32_e32 v25, v27
	s_delay_alu instid0(VALU_DEP_1) | instskip(SKIP_1) | instid1(VALU_DEP_1)
	v_cmp_gt_f32_e32 vcc_lo, 0x3f2aaaab, v25
	v_add_f32_e32 v25, -1.0, v27
	v_sub_f32_e32 v29, v25, v27
	v_sub_f32_e32 v25, v26, v25
	s_delay_alu instid0(VALU_DEP_2) | instskip(NEXT) | instid1(VALU_DEP_1)
	v_add_f32_e32 v29, 1.0, v29
	v_add_f32_e32 v25, v25, v29
	v_cmp_gt_f32_e64 s14, 0x33800000, v26
	v_subrev_co_ci_u32_e32 v24, vcc_lo, 0, v24, vcc_lo
	v_cmp_eq_f32_e32 vcc_lo, 0x7f800000, v26
	s_delay_alu instid0(VALU_DEP_2) | instskip(SKIP_2) | instid1(VALU_DEP_2)
	v_sub_nc_u32_e32 v28, 0, v24
	v_cvt_f32_i32_e32 v24, v24
	s_or_b32 vcc_lo, s14, vcc_lo
	v_ldexp_f32 v27, v27, v28
	v_ldexp_f32 v25, v25, v28
	s_delay_alu instid0(VALU_DEP_2) | instskip(NEXT) | instid1(VALU_DEP_1)
	v_add_f32_e32 v30, 1.0, v27
	v_dual_add_f32 v28, -1.0, v27 :: v_dual_add_f32 v29, -1.0, v30
	s_delay_alu instid0(VALU_DEP_1) | instskip(NEXT) | instid1(VALU_DEP_2)
	v_add_f32_e32 v31, 1.0, v28
	v_sub_f32_e32 v29, v27, v29
	s_delay_alu instid0(VALU_DEP_2) | instskip(NEXT) | instid1(VALU_DEP_2)
	v_sub_f32_e32 v27, v27, v31
	v_add_f32_e32 v29, v25, v29
	s_delay_alu instid0(VALU_DEP_2) | instskip(NEXT) | instid1(VALU_DEP_1)
	v_add_f32_e32 v25, v25, v27
	v_add_f32_e32 v32, v28, v25
	s_delay_alu instid0(VALU_DEP_1) | instskip(NEXT) | instid1(VALU_DEP_1)
	v_dual_add_f32 v31, v30, v29 :: v_dual_sub_f32 v28, v28, v32
	v_rcp_f32_e32 v27, v31
	v_sub_f32_e32 v30, v30, v31
	s_delay_alu instid0(VALU_DEP_1) | instskip(SKIP_2) | instid1(VALU_DEP_1)
	v_add_f32_e32 v29, v29, v30
	s_waitcnt_depctr 0xfff
	v_mul_f32_e32 v33, v32, v27
	v_mul_f32_e32 v34, v31, v33
	s_delay_alu instid0(VALU_DEP_1) | instskip(NEXT) | instid1(VALU_DEP_1)
	v_fma_f32 v30, v33, v31, -v34
	v_fmac_f32_e32 v30, v33, v29
	s_delay_alu instid0(VALU_DEP_1) | instskip(NEXT) | instid1(VALU_DEP_1)
	v_add_f32_e32 v35, v34, v30
	v_sub_f32_e32 v36, v32, v35
	s_delay_alu instid0(VALU_DEP_1) | instskip(SKIP_1) | instid1(VALU_DEP_2)
	v_sub_f32_e32 v32, v32, v36
	v_dual_add_f32 v25, v25, v28 :: v_dual_sub_f32 v28, v35, v34
	v_sub_f32_e32 v32, v32, v35
	s_delay_alu instid0(VALU_DEP_1) | instskip(NEXT) | instid1(VALU_DEP_1)
	v_dual_sub_f32 v28, v28, v30 :: v_dual_add_f32 v25, v25, v32
	v_add_f32_e32 v25, v28, v25
	s_delay_alu instid0(VALU_DEP_1) | instskip(NEXT) | instid1(VALU_DEP_1)
	v_add_f32_e32 v28, v36, v25
	v_mul_f32_e32 v30, v27, v28
	s_delay_alu instid0(VALU_DEP_1) | instskip(NEXT) | instid1(VALU_DEP_1)
	v_dual_sub_f32 v35, v36, v28 :: v_dual_mul_f32 v32, v31, v30
	v_add_f32_e32 v25, v25, v35
	s_delay_alu instid0(VALU_DEP_2) | instskip(NEXT) | instid1(VALU_DEP_1)
	v_fma_f32 v31, v30, v31, -v32
	v_fmac_f32_e32 v31, v30, v29
	s_delay_alu instid0(VALU_DEP_1) | instskip(NEXT) | instid1(VALU_DEP_1)
	v_add_f32_e32 v29, v32, v31
	v_sub_f32_e32 v34, v28, v29
	s_delay_alu instid0(VALU_DEP_1) | instskip(NEXT) | instid1(VALU_DEP_1)
	v_sub_f32_e32 v28, v28, v34
	v_sub_f32_e32 v28, v28, v29
	s_delay_alu instid0(VALU_DEP_1) | instskip(SKIP_2) | instid1(VALU_DEP_1)
	v_add_f32_e32 v25, v25, v28
	v_add_f32_e32 v28, v33, v30
	v_sub_f32_e32 v32, v29, v32
	v_sub_f32_e32 v29, v32, v31
	s_delay_alu instid0(VALU_DEP_1) | instskip(NEXT) | instid1(VALU_DEP_4)
	v_add_f32_e32 v25, v29, v25
	v_sub_f32_e32 v29, v28, v33
	s_delay_alu instid0(VALU_DEP_2) | instskip(NEXT) | instid1(VALU_DEP_2)
	v_add_f32_e32 v25, v34, v25
	v_sub_f32_e32 v29, v30, v29
	s_delay_alu instid0(VALU_DEP_2) | instskip(NEXT) | instid1(VALU_DEP_1)
	v_mul_f32_e32 v25, v27, v25
	v_add_f32_e32 v25, v29, v25
	s_delay_alu instid0(VALU_DEP_1) | instskip(NEXT) | instid1(VALU_DEP_1)
	v_add_f32_e32 v27, v28, v25
	v_mul_f32_e32 v29, v27, v27
	s_delay_alu instid0(VALU_DEP_1) | instskip(SKIP_1) | instid1(VALU_DEP_2)
	v_fmaak_f32 v30, s54, v29, 0x3ecc95a3
	v_mul_f32_e32 v31, v27, v29
	v_fmaak_f32 v29, v29, v30, 0x3f2aaada
	v_ldexp_f32 v30, v27, 1
	s_delay_alu instid0(VALU_DEP_2) | instskip(SKIP_1) | instid1(VALU_DEP_2)
	v_mul_f32_e32 v29, v31, v29
	v_sub_f32_e32 v27, v27, v28
	v_dual_mul_f32 v31, 0x3f317218, v24 :: v_dual_add_f32 v28, v30, v29
	s_delay_alu instid0(VALU_DEP_2) | instskip(NEXT) | instid1(VALU_DEP_2)
	v_sub_f32_e32 v25, v25, v27
	v_sub_f32_e32 v27, v28, v30
	s_delay_alu instid0(VALU_DEP_3) | instskip(NEXT) | instid1(VALU_DEP_3)
	v_fma_f32 v30, 0x3f317218, v24, -v31
	v_ldexp_f32 v25, v25, 1
	s_delay_alu instid0(VALU_DEP_2) | instskip(NEXT) | instid1(VALU_DEP_1)
	v_dual_sub_f32 v27, v29, v27 :: v_dual_fmac_f32 v30, 0xb102e308, v24
	v_dual_add_f32 v24, v25, v27 :: v_dual_add_f32 v25, v31, v30
	s_delay_alu instid0(VALU_DEP_1) | instskip(NEXT) | instid1(VALU_DEP_1)
	v_add_f32_e32 v27, v28, v24
	v_dual_add_f32 v29, v25, v27 :: v_dual_sub_f32 v28, v27, v28
	s_delay_alu instid0(VALU_DEP_1) | instskip(NEXT) | instid1(VALU_DEP_2)
	v_sub_f32_e32 v32, v29, v25
	v_dual_sub_f32 v31, v25, v31 :: v_dual_sub_f32 v24, v24, v28
	s_delay_alu instid0(VALU_DEP_1) | instskip(SKIP_1) | instid1(VALU_DEP_2)
	v_dual_sub_f32 v33, v29, v32 :: v_dual_sub_f32 v30, v30, v31
	v_sub_f32_e32 v27, v27, v32
	v_dual_sub_f32 v25, v25, v33 :: v_dual_add_f32 v28, v30, v24
	s_delay_alu instid0(VALU_DEP_1) | instskip(NEXT) | instid1(VALU_DEP_2)
	v_add_f32_e32 v25, v27, v25
	v_sub_f32_e32 v27, v28, v30
	s_delay_alu instid0(VALU_DEP_2) | instskip(NEXT) | instid1(VALU_DEP_2)
	v_add_f32_e32 v25, v28, v25
	v_sub_f32_e32 v28, v28, v27
	s_delay_alu instid0(VALU_DEP_2) | instskip(NEXT) | instid1(VALU_DEP_1)
	v_dual_sub_f32 v24, v24, v27 :: v_dual_add_f32 v31, v29, v25
	v_dual_sub_f32 v28, v30, v28 :: v_dual_sub_f32 v27, v31, v29
	s_delay_alu instid0(VALU_DEP_1) | instskip(NEXT) | instid1(VALU_DEP_1)
	v_dual_add_f32 v24, v24, v28 :: v_dual_sub_f32 v25, v25, v27
	v_add_f32_e32 v24, v24, v25
	s_delay_alu instid0(VALU_DEP_1) | instskip(NEXT) | instid1(VALU_DEP_1)
	v_add_f32_e32 v24, v31, v24
	v_cndmask_b32_e32 v80, v24, v26, vcc_lo
.LBB17_32:                              ;   in Loop: Header=BB17_12 Depth=1
	s_or_b32 exec_lo, exec_lo, s15
	v_lshlrev_b32_e32 v24, 16, v15
	s_delay_alu instid0(VALU_DEP_1) | instskip(NEXT) | instid1(VALU_DEP_1)
	v_add_f32_e32 v81, s56, v24
	v_cmp_ge_f32_e32 vcc_lo, 0x41a00000, v81
	s_and_b32 s14, s66, vcc_lo
	s_delay_alu instid0(SALU_CYCLE_1)
	s_and_saveexec_b32 s15, s14
	s_cbranch_execz .LBB17_34
; %bb.33:                               ;   in Loop: Header=BB17_12 Depth=1
	v_mul_f32_e32 v24, 0x3fb8aa3b, v81
	v_cmp_ngt_f32_e32 vcc_lo, 0xc2ce8ed0, v81
	s_delay_alu instid0(VALU_DEP_2) | instskip(SKIP_1) | instid1(VALU_DEP_2)
	v_rndne_f32_e32 v25, v24
	v_fma_f32 v26, 0x3fb8aa3b, v81, -v24
	v_sub_f32_e32 v24, v24, v25
	s_delay_alu instid0(VALU_DEP_2) | instskip(SKIP_1) | instid1(VALU_DEP_2)
	v_fmac_f32_e32 v26, 0x32a5705f, v81
	v_cvt_i32_f32_e32 v25, v25
	v_add_f32_e32 v24, v24, v26
	s_delay_alu instid0(VALU_DEP_1) | instskip(SKIP_2) | instid1(VALU_DEP_1)
	v_exp_f32_e32 v24, v24
	s_waitcnt_depctr 0xfff
	v_ldexp_f32 v24, v24, v25
	v_cndmask_b32_e32 v24, 0, v24, vcc_lo
	v_cmp_nlt_f32_e32 vcc_lo, 0x42b17218, v81
	s_delay_alu instid0(VALU_DEP_2) | instskip(NEXT) | instid1(VALU_DEP_1)
	v_cndmask_b32_e32 v26, 0x7f800000, v24, vcc_lo
	v_add_f32_e32 v27, 1.0, v26
	s_delay_alu instid0(VALU_DEP_1) | instskip(NEXT) | instid1(VALU_DEP_1)
	v_cvt_f64_f32_e32 v[24:25], v27
	v_frexp_exp_i32_f64_e32 v24, v[24:25]
	v_frexp_mant_f32_e32 v25, v27
	s_delay_alu instid0(VALU_DEP_1) | instskip(SKIP_1) | instid1(VALU_DEP_1)
	v_cmp_gt_f32_e32 vcc_lo, 0x3f2aaaab, v25
	v_add_f32_e32 v25, -1.0, v27
	v_sub_f32_e32 v29, v25, v27
	v_sub_f32_e32 v25, v26, v25
	s_delay_alu instid0(VALU_DEP_2) | instskip(NEXT) | instid1(VALU_DEP_1)
	v_add_f32_e32 v29, 1.0, v29
	v_add_f32_e32 v25, v25, v29
	v_cmp_gt_f32_e64 s14, 0x33800000, v26
	v_subrev_co_ci_u32_e32 v24, vcc_lo, 0, v24, vcc_lo
	v_cmp_eq_f32_e32 vcc_lo, 0x7f800000, v26
	s_delay_alu instid0(VALU_DEP_2) | instskip(SKIP_2) | instid1(VALU_DEP_2)
	v_sub_nc_u32_e32 v28, 0, v24
	v_cvt_f32_i32_e32 v24, v24
	s_or_b32 vcc_lo, s14, vcc_lo
	v_ldexp_f32 v27, v27, v28
	v_ldexp_f32 v25, v25, v28
	s_delay_alu instid0(VALU_DEP_2) | instskip(NEXT) | instid1(VALU_DEP_1)
	v_add_f32_e32 v30, 1.0, v27
	v_dual_add_f32 v28, -1.0, v27 :: v_dual_add_f32 v29, -1.0, v30
	s_delay_alu instid0(VALU_DEP_1) | instskip(NEXT) | instid1(VALU_DEP_2)
	v_add_f32_e32 v31, 1.0, v28
	v_sub_f32_e32 v29, v27, v29
	s_delay_alu instid0(VALU_DEP_2) | instskip(NEXT) | instid1(VALU_DEP_2)
	v_sub_f32_e32 v27, v27, v31
	v_add_f32_e32 v29, v25, v29
	s_delay_alu instid0(VALU_DEP_2) | instskip(NEXT) | instid1(VALU_DEP_1)
	v_add_f32_e32 v25, v25, v27
	v_add_f32_e32 v32, v28, v25
	s_delay_alu instid0(VALU_DEP_1) | instskip(NEXT) | instid1(VALU_DEP_1)
	v_dual_add_f32 v31, v30, v29 :: v_dual_sub_f32 v28, v28, v32
	v_rcp_f32_e32 v27, v31
	v_sub_f32_e32 v30, v30, v31
	s_delay_alu instid0(VALU_DEP_1) | instskip(SKIP_2) | instid1(VALU_DEP_1)
	v_add_f32_e32 v29, v29, v30
	s_waitcnt_depctr 0xfff
	v_mul_f32_e32 v33, v32, v27
	v_mul_f32_e32 v34, v31, v33
	s_delay_alu instid0(VALU_DEP_1) | instskip(NEXT) | instid1(VALU_DEP_1)
	v_fma_f32 v30, v33, v31, -v34
	v_fmac_f32_e32 v30, v33, v29
	s_delay_alu instid0(VALU_DEP_1) | instskip(NEXT) | instid1(VALU_DEP_1)
	v_add_f32_e32 v35, v34, v30
	v_sub_f32_e32 v36, v32, v35
	s_delay_alu instid0(VALU_DEP_1) | instskip(SKIP_1) | instid1(VALU_DEP_2)
	v_sub_f32_e32 v32, v32, v36
	v_dual_add_f32 v25, v25, v28 :: v_dual_sub_f32 v28, v35, v34
	v_sub_f32_e32 v32, v32, v35
	s_delay_alu instid0(VALU_DEP_1) | instskip(NEXT) | instid1(VALU_DEP_1)
	v_dual_sub_f32 v28, v28, v30 :: v_dual_add_f32 v25, v25, v32
	v_add_f32_e32 v25, v28, v25
	s_delay_alu instid0(VALU_DEP_1) | instskip(NEXT) | instid1(VALU_DEP_1)
	v_add_f32_e32 v28, v36, v25
	v_mul_f32_e32 v30, v27, v28
	s_delay_alu instid0(VALU_DEP_1) | instskip(NEXT) | instid1(VALU_DEP_1)
	v_dual_sub_f32 v35, v36, v28 :: v_dual_mul_f32 v32, v31, v30
	v_add_f32_e32 v25, v25, v35
	s_delay_alu instid0(VALU_DEP_2) | instskip(NEXT) | instid1(VALU_DEP_1)
	v_fma_f32 v31, v30, v31, -v32
	v_fmac_f32_e32 v31, v30, v29
	s_delay_alu instid0(VALU_DEP_1) | instskip(NEXT) | instid1(VALU_DEP_1)
	v_add_f32_e32 v29, v32, v31
	v_sub_f32_e32 v34, v28, v29
	s_delay_alu instid0(VALU_DEP_1) | instskip(NEXT) | instid1(VALU_DEP_1)
	v_sub_f32_e32 v28, v28, v34
	v_sub_f32_e32 v28, v28, v29
	s_delay_alu instid0(VALU_DEP_1) | instskip(SKIP_2) | instid1(VALU_DEP_1)
	v_add_f32_e32 v25, v25, v28
	v_add_f32_e32 v28, v33, v30
	v_sub_f32_e32 v32, v29, v32
	v_sub_f32_e32 v29, v32, v31
	s_delay_alu instid0(VALU_DEP_1) | instskip(NEXT) | instid1(VALU_DEP_4)
	v_add_f32_e32 v25, v29, v25
	v_sub_f32_e32 v29, v28, v33
	s_delay_alu instid0(VALU_DEP_2) | instskip(NEXT) | instid1(VALU_DEP_2)
	v_add_f32_e32 v25, v34, v25
	v_sub_f32_e32 v29, v30, v29
	s_delay_alu instid0(VALU_DEP_2) | instskip(NEXT) | instid1(VALU_DEP_1)
	v_mul_f32_e32 v25, v27, v25
	v_add_f32_e32 v25, v29, v25
	s_delay_alu instid0(VALU_DEP_1) | instskip(NEXT) | instid1(VALU_DEP_1)
	v_add_f32_e32 v27, v28, v25
	v_mul_f32_e32 v29, v27, v27
	s_delay_alu instid0(VALU_DEP_1) | instskip(SKIP_1) | instid1(VALU_DEP_2)
	v_fmaak_f32 v30, s54, v29, 0x3ecc95a3
	v_mul_f32_e32 v31, v27, v29
	v_fmaak_f32 v29, v29, v30, 0x3f2aaada
	v_ldexp_f32 v30, v27, 1
	s_delay_alu instid0(VALU_DEP_2) | instskip(SKIP_1) | instid1(VALU_DEP_2)
	v_mul_f32_e32 v29, v31, v29
	v_sub_f32_e32 v27, v27, v28
	v_dual_mul_f32 v31, 0x3f317218, v24 :: v_dual_add_f32 v28, v30, v29
	s_delay_alu instid0(VALU_DEP_2) | instskip(NEXT) | instid1(VALU_DEP_2)
	v_sub_f32_e32 v25, v25, v27
	v_sub_f32_e32 v27, v28, v30
	s_delay_alu instid0(VALU_DEP_3) | instskip(NEXT) | instid1(VALU_DEP_3)
	v_fma_f32 v30, 0x3f317218, v24, -v31
	v_ldexp_f32 v25, v25, 1
	s_delay_alu instid0(VALU_DEP_2) | instskip(NEXT) | instid1(VALU_DEP_1)
	v_dual_sub_f32 v27, v29, v27 :: v_dual_fmac_f32 v30, 0xb102e308, v24
	v_dual_add_f32 v24, v25, v27 :: v_dual_add_f32 v25, v31, v30
	s_delay_alu instid0(VALU_DEP_1) | instskip(NEXT) | instid1(VALU_DEP_1)
	v_add_f32_e32 v27, v28, v24
	v_dual_add_f32 v29, v25, v27 :: v_dual_sub_f32 v28, v27, v28
	s_delay_alu instid0(VALU_DEP_1) | instskip(NEXT) | instid1(VALU_DEP_2)
	v_sub_f32_e32 v32, v29, v25
	v_dual_sub_f32 v31, v25, v31 :: v_dual_sub_f32 v24, v24, v28
	s_delay_alu instid0(VALU_DEP_1) | instskip(SKIP_1) | instid1(VALU_DEP_2)
	v_dual_sub_f32 v33, v29, v32 :: v_dual_sub_f32 v30, v30, v31
	v_sub_f32_e32 v27, v27, v32
	v_dual_sub_f32 v25, v25, v33 :: v_dual_add_f32 v28, v30, v24
	s_delay_alu instid0(VALU_DEP_1) | instskip(NEXT) | instid1(VALU_DEP_2)
	v_add_f32_e32 v25, v27, v25
	v_sub_f32_e32 v27, v28, v30
	s_delay_alu instid0(VALU_DEP_2) | instskip(NEXT) | instid1(VALU_DEP_2)
	v_add_f32_e32 v25, v28, v25
	v_sub_f32_e32 v28, v28, v27
	s_delay_alu instid0(VALU_DEP_2) | instskip(NEXT) | instid1(VALU_DEP_1)
	v_dual_sub_f32 v24, v24, v27 :: v_dual_add_f32 v31, v29, v25
	v_dual_sub_f32 v28, v30, v28 :: v_dual_sub_f32 v27, v31, v29
	s_delay_alu instid0(VALU_DEP_1) | instskip(NEXT) | instid1(VALU_DEP_1)
	v_dual_add_f32 v24, v24, v28 :: v_dual_sub_f32 v25, v25, v27
	v_add_f32_e32 v24, v24, v25
	s_delay_alu instid0(VALU_DEP_1) | instskip(NEXT) | instid1(VALU_DEP_1)
	v_add_f32_e32 v24, v31, v24
	v_cndmask_b32_e32 v81, v24, v26, vcc_lo
.LBB17_34:                              ;   in Loop: Header=BB17_12 Depth=1
	s_or_b32 exec_lo, exec_lo, s15
	v_and_b32_e32 v24, 0xffff0000, v15
	s_delay_alu instid0(VALU_DEP_1) | instskip(NEXT) | instid1(VALU_DEP_1)
	v_add_f32_e32 v82, s56, v24
	v_cmp_ge_f32_e32 vcc_lo, 0x41a00000, v82
	s_and_b32 s14, s66, vcc_lo
	s_delay_alu instid0(SALU_CYCLE_1)
	s_and_saveexec_b32 s15, s14
	s_cbranch_execz .LBB17_36
; %bb.35:                               ;   in Loop: Header=BB17_12 Depth=1
	v_mul_f32_e32 v24, 0x3fb8aa3b, v82
	v_cmp_ngt_f32_e32 vcc_lo, 0xc2ce8ed0, v82
	s_delay_alu instid0(VALU_DEP_2) | instskip(SKIP_1) | instid1(VALU_DEP_2)
	v_rndne_f32_e32 v25, v24
	v_fma_f32 v26, 0x3fb8aa3b, v82, -v24
	v_sub_f32_e32 v24, v24, v25
	s_delay_alu instid0(VALU_DEP_2) | instskip(SKIP_1) | instid1(VALU_DEP_2)
	v_fmac_f32_e32 v26, 0x32a5705f, v82
	v_cvt_i32_f32_e32 v25, v25
	v_add_f32_e32 v24, v24, v26
	s_delay_alu instid0(VALU_DEP_1) | instskip(SKIP_2) | instid1(VALU_DEP_1)
	v_exp_f32_e32 v24, v24
	s_waitcnt_depctr 0xfff
	v_ldexp_f32 v24, v24, v25
	v_cndmask_b32_e32 v24, 0, v24, vcc_lo
	v_cmp_nlt_f32_e32 vcc_lo, 0x42b17218, v82
	s_delay_alu instid0(VALU_DEP_2) | instskip(NEXT) | instid1(VALU_DEP_1)
	v_cndmask_b32_e32 v26, 0x7f800000, v24, vcc_lo
	v_add_f32_e32 v27, 1.0, v26
	s_delay_alu instid0(VALU_DEP_1) | instskip(NEXT) | instid1(VALU_DEP_1)
	v_cvt_f64_f32_e32 v[24:25], v27
	v_frexp_exp_i32_f64_e32 v24, v[24:25]
	v_frexp_mant_f32_e32 v25, v27
	s_delay_alu instid0(VALU_DEP_1) | instskip(SKIP_1) | instid1(VALU_DEP_1)
	v_cmp_gt_f32_e32 vcc_lo, 0x3f2aaaab, v25
	v_add_f32_e32 v25, -1.0, v27
	v_sub_f32_e32 v29, v25, v27
	v_sub_f32_e32 v25, v26, v25
	s_delay_alu instid0(VALU_DEP_2) | instskip(NEXT) | instid1(VALU_DEP_1)
	v_add_f32_e32 v29, 1.0, v29
	v_add_f32_e32 v25, v25, v29
	v_cmp_gt_f32_e64 s14, 0x33800000, v26
	v_subrev_co_ci_u32_e32 v24, vcc_lo, 0, v24, vcc_lo
	v_cmp_eq_f32_e32 vcc_lo, 0x7f800000, v26
	s_delay_alu instid0(VALU_DEP_2) | instskip(SKIP_2) | instid1(VALU_DEP_2)
	v_sub_nc_u32_e32 v28, 0, v24
	v_cvt_f32_i32_e32 v24, v24
	s_or_b32 vcc_lo, s14, vcc_lo
	v_ldexp_f32 v27, v27, v28
	v_ldexp_f32 v25, v25, v28
	s_delay_alu instid0(VALU_DEP_2) | instskip(NEXT) | instid1(VALU_DEP_1)
	v_add_f32_e32 v30, 1.0, v27
	v_dual_add_f32 v28, -1.0, v27 :: v_dual_add_f32 v29, -1.0, v30
	s_delay_alu instid0(VALU_DEP_1) | instskip(NEXT) | instid1(VALU_DEP_2)
	v_add_f32_e32 v31, 1.0, v28
	v_sub_f32_e32 v29, v27, v29
	s_delay_alu instid0(VALU_DEP_2) | instskip(NEXT) | instid1(VALU_DEP_2)
	v_sub_f32_e32 v27, v27, v31
	v_add_f32_e32 v29, v25, v29
	s_delay_alu instid0(VALU_DEP_2) | instskip(NEXT) | instid1(VALU_DEP_1)
	v_add_f32_e32 v25, v25, v27
	v_add_f32_e32 v32, v28, v25
	s_delay_alu instid0(VALU_DEP_1) | instskip(NEXT) | instid1(VALU_DEP_1)
	v_dual_add_f32 v31, v30, v29 :: v_dual_sub_f32 v28, v28, v32
	v_rcp_f32_e32 v27, v31
	v_sub_f32_e32 v30, v30, v31
	s_delay_alu instid0(VALU_DEP_1) | instskip(SKIP_2) | instid1(VALU_DEP_1)
	v_add_f32_e32 v29, v29, v30
	s_waitcnt_depctr 0xfff
	v_mul_f32_e32 v33, v32, v27
	v_mul_f32_e32 v34, v31, v33
	s_delay_alu instid0(VALU_DEP_1) | instskip(NEXT) | instid1(VALU_DEP_1)
	v_fma_f32 v30, v33, v31, -v34
	v_fmac_f32_e32 v30, v33, v29
	s_delay_alu instid0(VALU_DEP_1) | instskip(NEXT) | instid1(VALU_DEP_1)
	v_add_f32_e32 v35, v34, v30
	v_sub_f32_e32 v36, v32, v35
	s_delay_alu instid0(VALU_DEP_1) | instskip(SKIP_1) | instid1(VALU_DEP_2)
	v_sub_f32_e32 v32, v32, v36
	v_dual_add_f32 v25, v25, v28 :: v_dual_sub_f32 v28, v35, v34
	v_sub_f32_e32 v32, v32, v35
	s_delay_alu instid0(VALU_DEP_1) | instskip(NEXT) | instid1(VALU_DEP_1)
	v_dual_sub_f32 v28, v28, v30 :: v_dual_add_f32 v25, v25, v32
	v_add_f32_e32 v25, v28, v25
	s_delay_alu instid0(VALU_DEP_1) | instskip(NEXT) | instid1(VALU_DEP_1)
	v_add_f32_e32 v28, v36, v25
	v_mul_f32_e32 v30, v27, v28
	s_delay_alu instid0(VALU_DEP_1) | instskip(NEXT) | instid1(VALU_DEP_1)
	v_dual_sub_f32 v35, v36, v28 :: v_dual_mul_f32 v32, v31, v30
	v_add_f32_e32 v25, v25, v35
	s_delay_alu instid0(VALU_DEP_2) | instskip(NEXT) | instid1(VALU_DEP_1)
	v_fma_f32 v31, v30, v31, -v32
	v_fmac_f32_e32 v31, v30, v29
	s_delay_alu instid0(VALU_DEP_1) | instskip(NEXT) | instid1(VALU_DEP_1)
	v_add_f32_e32 v29, v32, v31
	v_sub_f32_e32 v34, v28, v29
	s_delay_alu instid0(VALU_DEP_1) | instskip(NEXT) | instid1(VALU_DEP_1)
	v_sub_f32_e32 v28, v28, v34
	v_sub_f32_e32 v28, v28, v29
	s_delay_alu instid0(VALU_DEP_1) | instskip(SKIP_2) | instid1(VALU_DEP_1)
	v_add_f32_e32 v25, v25, v28
	v_add_f32_e32 v28, v33, v30
	v_sub_f32_e32 v32, v29, v32
	v_sub_f32_e32 v29, v32, v31
	s_delay_alu instid0(VALU_DEP_1) | instskip(NEXT) | instid1(VALU_DEP_4)
	v_add_f32_e32 v25, v29, v25
	v_sub_f32_e32 v29, v28, v33
	s_delay_alu instid0(VALU_DEP_2) | instskip(NEXT) | instid1(VALU_DEP_2)
	v_add_f32_e32 v25, v34, v25
	v_sub_f32_e32 v29, v30, v29
	s_delay_alu instid0(VALU_DEP_2) | instskip(NEXT) | instid1(VALU_DEP_1)
	v_mul_f32_e32 v25, v27, v25
	v_add_f32_e32 v25, v29, v25
	s_delay_alu instid0(VALU_DEP_1) | instskip(NEXT) | instid1(VALU_DEP_1)
	v_add_f32_e32 v27, v28, v25
	v_mul_f32_e32 v29, v27, v27
	s_delay_alu instid0(VALU_DEP_1) | instskip(SKIP_1) | instid1(VALU_DEP_2)
	v_fmaak_f32 v30, s54, v29, 0x3ecc95a3
	v_mul_f32_e32 v31, v27, v29
	v_fmaak_f32 v29, v29, v30, 0x3f2aaada
	v_ldexp_f32 v30, v27, 1
	s_delay_alu instid0(VALU_DEP_2) | instskip(SKIP_1) | instid1(VALU_DEP_2)
	v_mul_f32_e32 v29, v31, v29
	v_sub_f32_e32 v27, v27, v28
	v_dual_mul_f32 v31, 0x3f317218, v24 :: v_dual_add_f32 v28, v30, v29
	s_delay_alu instid0(VALU_DEP_2) | instskip(NEXT) | instid1(VALU_DEP_2)
	v_sub_f32_e32 v25, v25, v27
	v_sub_f32_e32 v27, v28, v30
	s_delay_alu instid0(VALU_DEP_3) | instskip(NEXT) | instid1(VALU_DEP_3)
	v_fma_f32 v30, 0x3f317218, v24, -v31
	v_ldexp_f32 v25, v25, 1
	s_delay_alu instid0(VALU_DEP_2) | instskip(NEXT) | instid1(VALU_DEP_1)
	v_dual_sub_f32 v27, v29, v27 :: v_dual_fmac_f32 v30, 0xb102e308, v24
	v_dual_add_f32 v24, v25, v27 :: v_dual_add_f32 v25, v31, v30
	s_delay_alu instid0(VALU_DEP_1) | instskip(NEXT) | instid1(VALU_DEP_1)
	v_add_f32_e32 v27, v28, v24
	v_dual_add_f32 v29, v25, v27 :: v_dual_sub_f32 v28, v27, v28
	s_delay_alu instid0(VALU_DEP_1) | instskip(NEXT) | instid1(VALU_DEP_2)
	v_sub_f32_e32 v32, v29, v25
	v_dual_sub_f32 v31, v25, v31 :: v_dual_sub_f32 v24, v24, v28
	s_delay_alu instid0(VALU_DEP_1) | instskip(SKIP_1) | instid1(VALU_DEP_2)
	v_dual_sub_f32 v33, v29, v32 :: v_dual_sub_f32 v30, v30, v31
	v_sub_f32_e32 v27, v27, v32
	v_dual_sub_f32 v25, v25, v33 :: v_dual_add_f32 v28, v30, v24
	s_delay_alu instid0(VALU_DEP_1) | instskip(NEXT) | instid1(VALU_DEP_2)
	v_add_f32_e32 v25, v27, v25
	v_sub_f32_e32 v27, v28, v30
	s_delay_alu instid0(VALU_DEP_2) | instskip(NEXT) | instid1(VALU_DEP_2)
	v_add_f32_e32 v25, v28, v25
	v_sub_f32_e32 v28, v28, v27
	s_delay_alu instid0(VALU_DEP_2) | instskip(NEXT) | instid1(VALU_DEP_1)
	v_dual_sub_f32 v24, v24, v27 :: v_dual_add_f32 v31, v29, v25
	v_dual_sub_f32 v28, v30, v28 :: v_dual_sub_f32 v27, v31, v29
	s_delay_alu instid0(VALU_DEP_1) | instskip(NEXT) | instid1(VALU_DEP_1)
	v_dual_add_f32 v24, v24, v28 :: v_dual_sub_f32 v25, v25, v27
	v_add_f32_e32 v24, v24, v25
	s_delay_alu instid0(VALU_DEP_1) | instskip(NEXT) | instid1(VALU_DEP_1)
	v_add_f32_e32 v24, v31, v24
	v_cndmask_b32_e32 v82, v24, v26, vcc_lo
.LBB17_36:                              ;   in Loop: Header=BB17_12 Depth=1
	s_or_b32 exec_lo, exec_lo, s15
	s_waitcnt lgkmcnt(0)
	v_lshlrev_b32_e32 v24, 16, v8
	s_delay_alu instid0(VALU_DEP_1) | instskip(NEXT) | instid1(VALU_DEP_1)
	v_add_f32_e32 v83, s56, v24
	v_cmp_ge_f32_e32 vcc_lo, 0x41a00000, v83
	s_and_b32 s14, s66, vcc_lo
	s_delay_alu instid0(SALU_CYCLE_1)
	s_and_saveexec_b32 s15, s14
	s_cbranch_execz .LBB17_38
; %bb.37:                               ;   in Loop: Header=BB17_12 Depth=1
	v_mul_f32_e32 v24, 0x3fb8aa3b, v83
	v_cmp_ngt_f32_e32 vcc_lo, 0xc2ce8ed0, v83
	s_delay_alu instid0(VALU_DEP_2) | instskip(SKIP_1) | instid1(VALU_DEP_2)
	v_rndne_f32_e32 v25, v24
	v_fma_f32 v26, 0x3fb8aa3b, v83, -v24
	v_sub_f32_e32 v24, v24, v25
	s_delay_alu instid0(VALU_DEP_2) | instskip(SKIP_1) | instid1(VALU_DEP_2)
	v_fmac_f32_e32 v26, 0x32a5705f, v83
	v_cvt_i32_f32_e32 v25, v25
	v_add_f32_e32 v24, v24, v26
	s_delay_alu instid0(VALU_DEP_1) | instskip(SKIP_2) | instid1(VALU_DEP_1)
	v_exp_f32_e32 v24, v24
	s_waitcnt_depctr 0xfff
	v_ldexp_f32 v24, v24, v25
	v_cndmask_b32_e32 v24, 0, v24, vcc_lo
	v_cmp_nlt_f32_e32 vcc_lo, 0x42b17218, v83
	s_delay_alu instid0(VALU_DEP_2) | instskip(NEXT) | instid1(VALU_DEP_1)
	v_cndmask_b32_e32 v26, 0x7f800000, v24, vcc_lo
	v_add_f32_e32 v27, 1.0, v26
	s_delay_alu instid0(VALU_DEP_1) | instskip(NEXT) | instid1(VALU_DEP_1)
	v_cvt_f64_f32_e32 v[24:25], v27
	v_frexp_exp_i32_f64_e32 v24, v[24:25]
	v_frexp_mant_f32_e32 v25, v27
	s_delay_alu instid0(VALU_DEP_1) | instskip(SKIP_1) | instid1(VALU_DEP_1)
	v_cmp_gt_f32_e32 vcc_lo, 0x3f2aaaab, v25
	v_add_f32_e32 v25, -1.0, v27
	v_sub_f32_e32 v29, v25, v27
	v_sub_f32_e32 v25, v26, v25
	s_delay_alu instid0(VALU_DEP_2) | instskip(NEXT) | instid1(VALU_DEP_1)
	v_add_f32_e32 v29, 1.0, v29
	v_add_f32_e32 v25, v25, v29
	v_cmp_gt_f32_e64 s14, 0x33800000, v26
	v_subrev_co_ci_u32_e32 v24, vcc_lo, 0, v24, vcc_lo
	v_cmp_eq_f32_e32 vcc_lo, 0x7f800000, v26
	s_delay_alu instid0(VALU_DEP_2) | instskip(SKIP_2) | instid1(VALU_DEP_2)
	v_sub_nc_u32_e32 v28, 0, v24
	v_cvt_f32_i32_e32 v24, v24
	s_or_b32 vcc_lo, s14, vcc_lo
	v_ldexp_f32 v27, v27, v28
	v_ldexp_f32 v25, v25, v28
	s_delay_alu instid0(VALU_DEP_2) | instskip(NEXT) | instid1(VALU_DEP_1)
	v_add_f32_e32 v30, 1.0, v27
	v_dual_add_f32 v28, -1.0, v27 :: v_dual_add_f32 v29, -1.0, v30
	s_delay_alu instid0(VALU_DEP_1) | instskip(NEXT) | instid1(VALU_DEP_2)
	v_add_f32_e32 v31, 1.0, v28
	v_sub_f32_e32 v29, v27, v29
	s_delay_alu instid0(VALU_DEP_2) | instskip(NEXT) | instid1(VALU_DEP_2)
	v_sub_f32_e32 v27, v27, v31
	v_add_f32_e32 v29, v25, v29
	s_delay_alu instid0(VALU_DEP_2) | instskip(NEXT) | instid1(VALU_DEP_1)
	v_add_f32_e32 v25, v25, v27
	v_add_f32_e32 v32, v28, v25
	s_delay_alu instid0(VALU_DEP_1) | instskip(NEXT) | instid1(VALU_DEP_1)
	v_dual_add_f32 v31, v30, v29 :: v_dual_sub_f32 v28, v28, v32
	v_rcp_f32_e32 v27, v31
	v_sub_f32_e32 v30, v30, v31
	s_delay_alu instid0(VALU_DEP_1) | instskip(SKIP_2) | instid1(VALU_DEP_1)
	v_add_f32_e32 v29, v29, v30
	s_waitcnt_depctr 0xfff
	v_mul_f32_e32 v33, v32, v27
	v_mul_f32_e32 v34, v31, v33
	s_delay_alu instid0(VALU_DEP_1) | instskip(NEXT) | instid1(VALU_DEP_1)
	v_fma_f32 v30, v33, v31, -v34
	v_fmac_f32_e32 v30, v33, v29
	s_delay_alu instid0(VALU_DEP_1) | instskip(NEXT) | instid1(VALU_DEP_1)
	v_add_f32_e32 v35, v34, v30
	v_sub_f32_e32 v36, v32, v35
	s_delay_alu instid0(VALU_DEP_1) | instskip(SKIP_1) | instid1(VALU_DEP_2)
	v_sub_f32_e32 v32, v32, v36
	v_dual_add_f32 v25, v25, v28 :: v_dual_sub_f32 v28, v35, v34
	v_sub_f32_e32 v32, v32, v35
	s_delay_alu instid0(VALU_DEP_1) | instskip(NEXT) | instid1(VALU_DEP_1)
	v_dual_sub_f32 v28, v28, v30 :: v_dual_add_f32 v25, v25, v32
	v_add_f32_e32 v25, v28, v25
	s_delay_alu instid0(VALU_DEP_1) | instskip(NEXT) | instid1(VALU_DEP_1)
	v_add_f32_e32 v28, v36, v25
	v_mul_f32_e32 v30, v27, v28
	s_delay_alu instid0(VALU_DEP_1) | instskip(NEXT) | instid1(VALU_DEP_1)
	v_dual_sub_f32 v35, v36, v28 :: v_dual_mul_f32 v32, v31, v30
	v_add_f32_e32 v25, v25, v35
	s_delay_alu instid0(VALU_DEP_2) | instskip(NEXT) | instid1(VALU_DEP_1)
	v_fma_f32 v31, v30, v31, -v32
	v_fmac_f32_e32 v31, v30, v29
	s_delay_alu instid0(VALU_DEP_1) | instskip(NEXT) | instid1(VALU_DEP_1)
	v_add_f32_e32 v29, v32, v31
	v_sub_f32_e32 v34, v28, v29
	s_delay_alu instid0(VALU_DEP_1) | instskip(NEXT) | instid1(VALU_DEP_1)
	v_sub_f32_e32 v28, v28, v34
	v_sub_f32_e32 v28, v28, v29
	s_delay_alu instid0(VALU_DEP_1) | instskip(SKIP_2) | instid1(VALU_DEP_1)
	v_add_f32_e32 v25, v25, v28
	v_add_f32_e32 v28, v33, v30
	v_sub_f32_e32 v32, v29, v32
	v_sub_f32_e32 v29, v32, v31
	s_delay_alu instid0(VALU_DEP_1) | instskip(NEXT) | instid1(VALU_DEP_4)
	v_add_f32_e32 v25, v29, v25
	v_sub_f32_e32 v29, v28, v33
	s_delay_alu instid0(VALU_DEP_2) | instskip(NEXT) | instid1(VALU_DEP_2)
	v_add_f32_e32 v25, v34, v25
	v_sub_f32_e32 v29, v30, v29
	s_delay_alu instid0(VALU_DEP_2) | instskip(NEXT) | instid1(VALU_DEP_1)
	v_mul_f32_e32 v25, v27, v25
	v_add_f32_e32 v25, v29, v25
	s_delay_alu instid0(VALU_DEP_1) | instskip(NEXT) | instid1(VALU_DEP_1)
	v_add_f32_e32 v27, v28, v25
	v_mul_f32_e32 v29, v27, v27
	s_delay_alu instid0(VALU_DEP_1) | instskip(SKIP_1) | instid1(VALU_DEP_2)
	v_fmaak_f32 v30, s54, v29, 0x3ecc95a3
	v_mul_f32_e32 v31, v27, v29
	v_fmaak_f32 v29, v29, v30, 0x3f2aaada
	v_ldexp_f32 v30, v27, 1
	s_delay_alu instid0(VALU_DEP_2) | instskip(SKIP_1) | instid1(VALU_DEP_2)
	v_mul_f32_e32 v29, v31, v29
	v_sub_f32_e32 v27, v27, v28
	v_dual_mul_f32 v31, 0x3f317218, v24 :: v_dual_add_f32 v28, v30, v29
	s_delay_alu instid0(VALU_DEP_2) | instskip(NEXT) | instid1(VALU_DEP_2)
	v_sub_f32_e32 v25, v25, v27
	v_sub_f32_e32 v27, v28, v30
	s_delay_alu instid0(VALU_DEP_3) | instskip(NEXT) | instid1(VALU_DEP_3)
	v_fma_f32 v30, 0x3f317218, v24, -v31
	v_ldexp_f32 v25, v25, 1
	s_delay_alu instid0(VALU_DEP_2) | instskip(NEXT) | instid1(VALU_DEP_1)
	v_dual_sub_f32 v27, v29, v27 :: v_dual_fmac_f32 v30, 0xb102e308, v24
	v_dual_add_f32 v24, v25, v27 :: v_dual_add_f32 v25, v31, v30
	s_delay_alu instid0(VALU_DEP_1) | instskip(NEXT) | instid1(VALU_DEP_1)
	v_add_f32_e32 v27, v28, v24
	v_dual_add_f32 v29, v25, v27 :: v_dual_sub_f32 v28, v27, v28
	s_delay_alu instid0(VALU_DEP_1) | instskip(NEXT) | instid1(VALU_DEP_2)
	v_sub_f32_e32 v32, v29, v25
	v_dual_sub_f32 v31, v25, v31 :: v_dual_sub_f32 v24, v24, v28
	s_delay_alu instid0(VALU_DEP_1) | instskip(SKIP_1) | instid1(VALU_DEP_2)
	v_dual_sub_f32 v33, v29, v32 :: v_dual_sub_f32 v30, v30, v31
	v_sub_f32_e32 v27, v27, v32
	v_dual_sub_f32 v25, v25, v33 :: v_dual_add_f32 v28, v30, v24
	s_delay_alu instid0(VALU_DEP_1) | instskip(NEXT) | instid1(VALU_DEP_2)
	v_add_f32_e32 v25, v27, v25
	v_sub_f32_e32 v27, v28, v30
	s_delay_alu instid0(VALU_DEP_2) | instskip(NEXT) | instid1(VALU_DEP_2)
	v_add_f32_e32 v25, v28, v25
	v_sub_f32_e32 v28, v28, v27
	s_delay_alu instid0(VALU_DEP_2) | instskip(NEXT) | instid1(VALU_DEP_1)
	v_dual_sub_f32 v24, v24, v27 :: v_dual_add_f32 v31, v29, v25
	v_dual_sub_f32 v28, v30, v28 :: v_dual_sub_f32 v27, v31, v29
	s_delay_alu instid0(VALU_DEP_1) | instskip(NEXT) | instid1(VALU_DEP_1)
	v_dual_add_f32 v24, v24, v28 :: v_dual_sub_f32 v25, v25, v27
	v_add_f32_e32 v24, v24, v25
	s_delay_alu instid0(VALU_DEP_1) | instskip(NEXT) | instid1(VALU_DEP_1)
	v_add_f32_e32 v24, v31, v24
	v_cndmask_b32_e32 v83, v24, v26, vcc_lo
.LBB17_38:                              ;   in Loop: Header=BB17_12 Depth=1
	s_or_b32 exec_lo, exec_lo, s15
	v_and_b32_e32 v24, 0xffff0000, v8
	s_delay_alu instid0(VALU_DEP_1) | instskip(NEXT) | instid1(VALU_DEP_1)
	v_add_f32_e32 v90, s56, v24
	v_cmp_ge_f32_e32 vcc_lo, 0x41a00000, v90
	s_and_b32 s14, s66, vcc_lo
	s_delay_alu instid0(SALU_CYCLE_1)
	s_and_saveexec_b32 s15, s14
	s_cbranch_execz .LBB17_40
; %bb.39:                               ;   in Loop: Header=BB17_12 Depth=1
	v_mul_f32_e32 v24, 0x3fb8aa3b, v90
	v_cmp_ngt_f32_e32 vcc_lo, 0xc2ce8ed0, v90
	s_delay_alu instid0(VALU_DEP_2) | instskip(SKIP_1) | instid1(VALU_DEP_2)
	v_rndne_f32_e32 v25, v24
	v_fma_f32 v26, 0x3fb8aa3b, v90, -v24
	v_sub_f32_e32 v24, v24, v25
	s_delay_alu instid0(VALU_DEP_2) | instskip(SKIP_1) | instid1(VALU_DEP_2)
	v_fmac_f32_e32 v26, 0x32a5705f, v90
	v_cvt_i32_f32_e32 v25, v25
	v_add_f32_e32 v24, v24, v26
	s_delay_alu instid0(VALU_DEP_1) | instskip(SKIP_2) | instid1(VALU_DEP_1)
	v_exp_f32_e32 v24, v24
	s_waitcnt_depctr 0xfff
	v_ldexp_f32 v24, v24, v25
	v_cndmask_b32_e32 v24, 0, v24, vcc_lo
	v_cmp_nlt_f32_e32 vcc_lo, 0x42b17218, v90
	s_delay_alu instid0(VALU_DEP_2) | instskip(NEXT) | instid1(VALU_DEP_1)
	v_cndmask_b32_e32 v26, 0x7f800000, v24, vcc_lo
	v_add_f32_e32 v27, 1.0, v26
	s_delay_alu instid0(VALU_DEP_1) | instskip(NEXT) | instid1(VALU_DEP_1)
	v_cvt_f64_f32_e32 v[24:25], v27
	v_frexp_exp_i32_f64_e32 v24, v[24:25]
	v_frexp_mant_f32_e32 v25, v27
	s_delay_alu instid0(VALU_DEP_1) | instskip(SKIP_1) | instid1(VALU_DEP_1)
	v_cmp_gt_f32_e32 vcc_lo, 0x3f2aaaab, v25
	v_add_f32_e32 v25, -1.0, v27
	v_sub_f32_e32 v29, v25, v27
	v_sub_f32_e32 v25, v26, v25
	s_delay_alu instid0(VALU_DEP_2) | instskip(NEXT) | instid1(VALU_DEP_1)
	v_add_f32_e32 v29, 1.0, v29
	v_add_f32_e32 v25, v25, v29
	v_cmp_gt_f32_e64 s14, 0x33800000, v26
	v_subrev_co_ci_u32_e32 v24, vcc_lo, 0, v24, vcc_lo
	v_cmp_eq_f32_e32 vcc_lo, 0x7f800000, v26
	s_delay_alu instid0(VALU_DEP_2) | instskip(SKIP_2) | instid1(VALU_DEP_2)
	v_sub_nc_u32_e32 v28, 0, v24
	v_cvt_f32_i32_e32 v24, v24
	s_or_b32 vcc_lo, s14, vcc_lo
	v_ldexp_f32 v27, v27, v28
	v_ldexp_f32 v25, v25, v28
	s_delay_alu instid0(VALU_DEP_2) | instskip(NEXT) | instid1(VALU_DEP_1)
	v_add_f32_e32 v30, 1.0, v27
	v_dual_add_f32 v28, -1.0, v27 :: v_dual_add_f32 v29, -1.0, v30
	s_delay_alu instid0(VALU_DEP_1) | instskip(NEXT) | instid1(VALU_DEP_2)
	v_add_f32_e32 v31, 1.0, v28
	v_sub_f32_e32 v29, v27, v29
	s_delay_alu instid0(VALU_DEP_2) | instskip(NEXT) | instid1(VALU_DEP_2)
	v_sub_f32_e32 v27, v27, v31
	v_add_f32_e32 v29, v25, v29
	s_delay_alu instid0(VALU_DEP_2) | instskip(NEXT) | instid1(VALU_DEP_1)
	v_add_f32_e32 v25, v25, v27
	v_add_f32_e32 v32, v28, v25
	s_delay_alu instid0(VALU_DEP_1) | instskip(NEXT) | instid1(VALU_DEP_1)
	v_dual_add_f32 v31, v30, v29 :: v_dual_sub_f32 v28, v28, v32
	v_rcp_f32_e32 v27, v31
	v_sub_f32_e32 v30, v30, v31
	s_delay_alu instid0(VALU_DEP_1) | instskip(SKIP_2) | instid1(VALU_DEP_1)
	v_add_f32_e32 v29, v29, v30
	s_waitcnt_depctr 0xfff
	v_mul_f32_e32 v33, v32, v27
	v_mul_f32_e32 v34, v31, v33
	s_delay_alu instid0(VALU_DEP_1) | instskip(NEXT) | instid1(VALU_DEP_1)
	v_fma_f32 v30, v33, v31, -v34
	v_fmac_f32_e32 v30, v33, v29
	s_delay_alu instid0(VALU_DEP_1) | instskip(NEXT) | instid1(VALU_DEP_1)
	v_add_f32_e32 v35, v34, v30
	v_sub_f32_e32 v36, v32, v35
	s_delay_alu instid0(VALU_DEP_1) | instskip(SKIP_1) | instid1(VALU_DEP_2)
	v_sub_f32_e32 v32, v32, v36
	v_dual_add_f32 v25, v25, v28 :: v_dual_sub_f32 v28, v35, v34
	v_sub_f32_e32 v32, v32, v35
	s_delay_alu instid0(VALU_DEP_1) | instskip(NEXT) | instid1(VALU_DEP_1)
	v_dual_sub_f32 v28, v28, v30 :: v_dual_add_f32 v25, v25, v32
	v_add_f32_e32 v25, v28, v25
	s_delay_alu instid0(VALU_DEP_1) | instskip(NEXT) | instid1(VALU_DEP_1)
	v_add_f32_e32 v28, v36, v25
	v_mul_f32_e32 v30, v27, v28
	s_delay_alu instid0(VALU_DEP_1) | instskip(NEXT) | instid1(VALU_DEP_1)
	v_dual_sub_f32 v35, v36, v28 :: v_dual_mul_f32 v32, v31, v30
	v_add_f32_e32 v25, v25, v35
	s_delay_alu instid0(VALU_DEP_2) | instskip(NEXT) | instid1(VALU_DEP_1)
	v_fma_f32 v31, v30, v31, -v32
	v_fmac_f32_e32 v31, v30, v29
	s_delay_alu instid0(VALU_DEP_1) | instskip(NEXT) | instid1(VALU_DEP_1)
	v_add_f32_e32 v29, v32, v31
	v_sub_f32_e32 v34, v28, v29
	s_delay_alu instid0(VALU_DEP_1) | instskip(NEXT) | instid1(VALU_DEP_1)
	v_sub_f32_e32 v28, v28, v34
	v_sub_f32_e32 v28, v28, v29
	s_delay_alu instid0(VALU_DEP_1) | instskip(SKIP_2) | instid1(VALU_DEP_1)
	v_add_f32_e32 v25, v25, v28
	v_add_f32_e32 v28, v33, v30
	v_sub_f32_e32 v32, v29, v32
	v_sub_f32_e32 v29, v32, v31
	s_delay_alu instid0(VALU_DEP_1) | instskip(NEXT) | instid1(VALU_DEP_4)
	v_add_f32_e32 v25, v29, v25
	v_sub_f32_e32 v29, v28, v33
	s_delay_alu instid0(VALU_DEP_2) | instskip(NEXT) | instid1(VALU_DEP_2)
	v_add_f32_e32 v25, v34, v25
	v_sub_f32_e32 v29, v30, v29
	s_delay_alu instid0(VALU_DEP_2) | instskip(NEXT) | instid1(VALU_DEP_1)
	v_mul_f32_e32 v25, v27, v25
	v_add_f32_e32 v25, v29, v25
	s_delay_alu instid0(VALU_DEP_1) | instskip(NEXT) | instid1(VALU_DEP_1)
	v_add_f32_e32 v27, v28, v25
	v_mul_f32_e32 v29, v27, v27
	s_delay_alu instid0(VALU_DEP_1) | instskip(SKIP_1) | instid1(VALU_DEP_2)
	v_fmaak_f32 v30, s54, v29, 0x3ecc95a3
	v_mul_f32_e32 v31, v27, v29
	v_fmaak_f32 v29, v29, v30, 0x3f2aaada
	v_ldexp_f32 v30, v27, 1
	s_delay_alu instid0(VALU_DEP_2) | instskip(SKIP_1) | instid1(VALU_DEP_2)
	v_mul_f32_e32 v29, v31, v29
	v_sub_f32_e32 v27, v27, v28
	v_dual_mul_f32 v31, 0x3f317218, v24 :: v_dual_add_f32 v28, v30, v29
	s_delay_alu instid0(VALU_DEP_2) | instskip(NEXT) | instid1(VALU_DEP_2)
	v_sub_f32_e32 v25, v25, v27
	v_sub_f32_e32 v27, v28, v30
	s_delay_alu instid0(VALU_DEP_3) | instskip(NEXT) | instid1(VALU_DEP_3)
	v_fma_f32 v30, 0x3f317218, v24, -v31
	v_ldexp_f32 v25, v25, 1
	s_delay_alu instid0(VALU_DEP_2) | instskip(NEXT) | instid1(VALU_DEP_1)
	v_dual_sub_f32 v27, v29, v27 :: v_dual_fmac_f32 v30, 0xb102e308, v24
	v_dual_add_f32 v24, v25, v27 :: v_dual_add_f32 v25, v31, v30
	s_delay_alu instid0(VALU_DEP_1) | instskip(NEXT) | instid1(VALU_DEP_1)
	v_add_f32_e32 v27, v28, v24
	v_dual_add_f32 v29, v25, v27 :: v_dual_sub_f32 v28, v27, v28
	s_delay_alu instid0(VALU_DEP_1) | instskip(NEXT) | instid1(VALU_DEP_2)
	v_sub_f32_e32 v32, v29, v25
	v_dual_sub_f32 v31, v25, v31 :: v_dual_sub_f32 v24, v24, v28
	s_delay_alu instid0(VALU_DEP_1) | instskip(SKIP_1) | instid1(VALU_DEP_2)
	v_dual_sub_f32 v33, v29, v32 :: v_dual_sub_f32 v30, v30, v31
	v_sub_f32_e32 v27, v27, v32
	v_dual_sub_f32 v25, v25, v33 :: v_dual_add_f32 v28, v30, v24
	s_delay_alu instid0(VALU_DEP_1) | instskip(NEXT) | instid1(VALU_DEP_2)
	v_add_f32_e32 v25, v27, v25
	v_sub_f32_e32 v27, v28, v30
	s_delay_alu instid0(VALU_DEP_2) | instskip(NEXT) | instid1(VALU_DEP_2)
	v_add_f32_e32 v25, v28, v25
	v_sub_f32_e32 v28, v28, v27
	s_delay_alu instid0(VALU_DEP_2) | instskip(NEXT) | instid1(VALU_DEP_1)
	v_dual_sub_f32 v24, v24, v27 :: v_dual_add_f32 v31, v29, v25
	v_dual_sub_f32 v28, v30, v28 :: v_dual_sub_f32 v27, v31, v29
	s_delay_alu instid0(VALU_DEP_1) | instskip(NEXT) | instid1(VALU_DEP_1)
	v_dual_add_f32 v24, v24, v28 :: v_dual_sub_f32 v25, v25, v27
	v_add_f32_e32 v24, v24, v25
	s_delay_alu instid0(VALU_DEP_1) | instskip(NEXT) | instid1(VALU_DEP_1)
	v_add_f32_e32 v24, v31, v24
	v_cndmask_b32_e32 v90, v24, v26, vcc_lo
.LBB17_40:                              ;   in Loop: Header=BB17_12 Depth=1
	s_or_b32 exec_lo, exec_lo, s15
	v_lshlrev_b32_e32 v24, 16, v9
	s_delay_alu instid0(VALU_DEP_1) | instskip(NEXT) | instid1(VALU_DEP_1)
	v_add_f32_e32 v93, s56, v24
	v_cmp_ge_f32_e32 vcc_lo, 0x41a00000, v93
	s_and_b32 s14, s66, vcc_lo
	s_delay_alu instid0(SALU_CYCLE_1)
	s_and_saveexec_b32 s15, s14
	s_cbranch_execz .LBB17_42
; %bb.41:                               ;   in Loop: Header=BB17_12 Depth=1
	v_mul_f32_e32 v24, 0x3fb8aa3b, v93
	v_cmp_ngt_f32_e32 vcc_lo, 0xc2ce8ed0, v93
	s_delay_alu instid0(VALU_DEP_2) | instskip(SKIP_1) | instid1(VALU_DEP_2)
	v_rndne_f32_e32 v25, v24
	v_fma_f32 v26, 0x3fb8aa3b, v93, -v24
	v_sub_f32_e32 v24, v24, v25
	s_delay_alu instid0(VALU_DEP_2) | instskip(SKIP_1) | instid1(VALU_DEP_2)
	v_fmac_f32_e32 v26, 0x32a5705f, v93
	v_cvt_i32_f32_e32 v25, v25
	v_add_f32_e32 v24, v24, v26
	s_delay_alu instid0(VALU_DEP_1) | instskip(SKIP_2) | instid1(VALU_DEP_1)
	v_exp_f32_e32 v24, v24
	s_waitcnt_depctr 0xfff
	v_ldexp_f32 v24, v24, v25
	v_cndmask_b32_e32 v24, 0, v24, vcc_lo
	v_cmp_nlt_f32_e32 vcc_lo, 0x42b17218, v93
	s_delay_alu instid0(VALU_DEP_2) | instskip(NEXT) | instid1(VALU_DEP_1)
	v_cndmask_b32_e32 v26, 0x7f800000, v24, vcc_lo
	v_add_f32_e32 v27, 1.0, v26
	s_delay_alu instid0(VALU_DEP_1) | instskip(NEXT) | instid1(VALU_DEP_1)
	v_cvt_f64_f32_e32 v[24:25], v27
	v_frexp_exp_i32_f64_e32 v24, v[24:25]
	v_frexp_mant_f32_e32 v25, v27
	s_delay_alu instid0(VALU_DEP_1) | instskip(SKIP_1) | instid1(VALU_DEP_1)
	v_cmp_gt_f32_e32 vcc_lo, 0x3f2aaaab, v25
	v_add_f32_e32 v25, -1.0, v27
	v_sub_f32_e32 v29, v25, v27
	v_sub_f32_e32 v25, v26, v25
	s_delay_alu instid0(VALU_DEP_2) | instskip(NEXT) | instid1(VALU_DEP_1)
	v_add_f32_e32 v29, 1.0, v29
	v_add_f32_e32 v25, v25, v29
	v_cmp_gt_f32_e64 s14, 0x33800000, v26
	v_subrev_co_ci_u32_e32 v24, vcc_lo, 0, v24, vcc_lo
	v_cmp_eq_f32_e32 vcc_lo, 0x7f800000, v26
	s_delay_alu instid0(VALU_DEP_2) | instskip(SKIP_2) | instid1(VALU_DEP_2)
	v_sub_nc_u32_e32 v28, 0, v24
	v_cvt_f32_i32_e32 v24, v24
	s_or_b32 vcc_lo, s14, vcc_lo
	v_ldexp_f32 v27, v27, v28
	v_ldexp_f32 v25, v25, v28
	s_delay_alu instid0(VALU_DEP_2) | instskip(NEXT) | instid1(VALU_DEP_1)
	v_add_f32_e32 v30, 1.0, v27
	v_dual_add_f32 v28, -1.0, v27 :: v_dual_add_f32 v29, -1.0, v30
	s_delay_alu instid0(VALU_DEP_1) | instskip(NEXT) | instid1(VALU_DEP_2)
	v_add_f32_e32 v31, 1.0, v28
	v_sub_f32_e32 v29, v27, v29
	s_delay_alu instid0(VALU_DEP_2) | instskip(NEXT) | instid1(VALU_DEP_2)
	v_sub_f32_e32 v27, v27, v31
	v_add_f32_e32 v29, v25, v29
	s_delay_alu instid0(VALU_DEP_2) | instskip(NEXT) | instid1(VALU_DEP_1)
	v_add_f32_e32 v25, v25, v27
	v_add_f32_e32 v32, v28, v25
	s_delay_alu instid0(VALU_DEP_1) | instskip(NEXT) | instid1(VALU_DEP_1)
	v_dual_add_f32 v31, v30, v29 :: v_dual_sub_f32 v28, v28, v32
	v_rcp_f32_e32 v27, v31
	v_sub_f32_e32 v30, v30, v31
	s_delay_alu instid0(VALU_DEP_1) | instskip(SKIP_2) | instid1(VALU_DEP_1)
	v_add_f32_e32 v29, v29, v30
	s_waitcnt_depctr 0xfff
	v_mul_f32_e32 v33, v32, v27
	v_mul_f32_e32 v34, v31, v33
	s_delay_alu instid0(VALU_DEP_1) | instskip(NEXT) | instid1(VALU_DEP_1)
	v_fma_f32 v30, v33, v31, -v34
	v_fmac_f32_e32 v30, v33, v29
	s_delay_alu instid0(VALU_DEP_1) | instskip(NEXT) | instid1(VALU_DEP_1)
	v_add_f32_e32 v35, v34, v30
	v_sub_f32_e32 v36, v32, v35
	s_delay_alu instid0(VALU_DEP_1) | instskip(SKIP_1) | instid1(VALU_DEP_2)
	v_sub_f32_e32 v32, v32, v36
	v_dual_add_f32 v25, v25, v28 :: v_dual_sub_f32 v28, v35, v34
	v_sub_f32_e32 v32, v32, v35
	s_delay_alu instid0(VALU_DEP_1) | instskip(NEXT) | instid1(VALU_DEP_1)
	v_dual_sub_f32 v28, v28, v30 :: v_dual_add_f32 v25, v25, v32
	v_add_f32_e32 v25, v28, v25
	s_delay_alu instid0(VALU_DEP_1) | instskip(NEXT) | instid1(VALU_DEP_1)
	v_add_f32_e32 v28, v36, v25
	v_mul_f32_e32 v30, v27, v28
	s_delay_alu instid0(VALU_DEP_1) | instskip(NEXT) | instid1(VALU_DEP_1)
	v_dual_sub_f32 v35, v36, v28 :: v_dual_mul_f32 v32, v31, v30
	v_add_f32_e32 v25, v25, v35
	s_delay_alu instid0(VALU_DEP_2) | instskip(NEXT) | instid1(VALU_DEP_1)
	v_fma_f32 v31, v30, v31, -v32
	v_fmac_f32_e32 v31, v30, v29
	s_delay_alu instid0(VALU_DEP_1) | instskip(NEXT) | instid1(VALU_DEP_1)
	v_add_f32_e32 v29, v32, v31
	v_sub_f32_e32 v34, v28, v29
	s_delay_alu instid0(VALU_DEP_1) | instskip(NEXT) | instid1(VALU_DEP_1)
	v_sub_f32_e32 v28, v28, v34
	v_sub_f32_e32 v28, v28, v29
	s_delay_alu instid0(VALU_DEP_1) | instskip(SKIP_2) | instid1(VALU_DEP_1)
	v_add_f32_e32 v25, v25, v28
	v_add_f32_e32 v28, v33, v30
	v_sub_f32_e32 v32, v29, v32
	v_sub_f32_e32 v29, v32, v31
	s_delay_alu instid0(VALU_DEP_1) | instskip(NEXT) | instid1(VALU_DEP_4)
	v_add_f32_e32 v25, v29, v25
	v_sub_f32_e32 v29, v28, v33
	s_delay_alu instid0(VALU_DEP_2) | instskip(NEXT) | instid1(VALU_DEP_2)
	v_add_f32_e32 v25, v34, v25
	v_sub_f32_e32 v29, v30, v29
	s_delay_alu instid0(VALU_DEP_2) | instskip(NEXT) | instid1(VALU_DEP_1)
	v_mul_f32_e32 v25, v27, v25
	v_add_f32_e32 v25, v29, v25
	s_delay_alu instid0(VALU_DEP_1) | instskip(NEXT) | instid1(VALU_DEP_1)
	v_add_f32_e32 v27, v28, v25
	v_mul_f32_e32 v29, v27, v27
	s_delay_alu instid0(VALU_DEP_1) | instskip(SKIP_1) | instid1(VALU_DEP_2)
	v_fmaak_f32 v30, s54, v29, 0x3ecc95a3
	v_mul_f32_e32 v31, v27, v29
	v_fmaak_f32 v29, v29, v30, 0x3f2aaada
	v_ldexp_f32 v30, v27, 1
	s_delay_alu instid0(VALU_DEP_2) | instskip(SKIP_1) | instid1(VALU_DEP_2)
	v_mul_f32_e32 v29, v31, v29
	v_sub_f32_e32 v27, v27, v28
	v_dual_mul_f32 v31, 0x3f317218, v24 :: v_dual_add_f32 v28, v30, v29
	s_delay_alu instid0(VALU_DEP_2) | instskip(NEXT) | instid1(VALU_DEP_2)
	v_sub_f32_e32 v25, v25, v27
	v_sub_f32_e32 v27, v28, v30
	s_delay_alu instid0(VALU_DEP_3) | instskip(NEXT) | instid1(VALU_DEP_3)
	v_fma_f32 v30, 0x3f317218, v24, -v31
	v_ldexp_f32 v25, v25, 1
	s_delay_alu instid0(VALU_DEP_2) | instskip(NEXT) | instid1(VALU_DEP_1)
	v_dual_sub_f32 v27, v29, v27 :: v_dual_fmac_f32 v30, 0xb102e308, v24
	v_dual_add_f32 v24, v25, v27 :: v_dual_add_f32 v25, v31, v30
	s_delay_alu instid0(VALU_DEP_1) | instskip(NEXT) | instid1(VALU_DEP_1)
	v_add_f32_e32 v27, v28, v24
	v_dual_add_f32 v29, v25, v27 :: v_dual_sub_f32 v28, v27, v28
	s_delay_alu instid0(VALU_DEP_1) | instskip(NEXT) | instid1(VALU_DEP_2)
	v_sub_f32_e32 v32, v29, v25
	v_dual_sub_f32 v31, v25, v31 :: v_dual_sub_f32 v24, v24, v28
	s_delay_alu instid0(VALU_DEP_1) | instskip(SKIP_1) | instid1(VALU_DEP_2)
	v_dual_sub_f32 v33, v29, v32 :: v_dual_sub_f32 v30, v30, v31
	v_sub_f32_e32 v27, v27, v32
	v_dual_sub_f32 v25, v25, v33 :: v_dual_add_f32 v28, v30, v24
	s_delay_alu instid0(VALU_DEP_1) | instskip(NEXT) | instid1(VALU_DEP_2)
	v_add_f32_e32 v25, v27, v25
	v_sub_f32_e32 v27, v28, v30
	s_delay_alu instid0(VALU_DEP_2) | instskip(NEXT) | instid1(VALU_DEP_2)
	v_add_f32_e32 v25, v28, v25
	v_sub_f32_e32 v28, v28, v27
	s_delay_alu instid0(VALU_DEP_2) | instskip(NEXT) | instid1(VALU_DEP_1)
	v_dual_sub_f32 v24, v24, v27 :: v_dual_add_f32 v31, v29, v25
	v_dual_sub_f32 v28, v30, v28 :: v_dual_sub_f32 v27, v31, v29
	s_delay_alu instid0(VALU_DEP_1) | instskip(NEXT) | instid1(VALU_DEP_1)
	v_dual_add_f32 v24, v24, v28 :: v_dual_sub_f32 v25, v25, v27
	v_add_f32_e32 v24, v24, v25
	s_delay_alu instid0(VALU_DEP_1) | instskip(NEXT) | instid1(VALU_DEP_1)
	v_add_f32_e32 v24, v31, v24
	v_cndmask_b32_e32 v93, v24, v26, vcc_lo
.LBB17_42:                              ;   in Loop: Header=BB17_12 Depth=1
	s_or_b32 exec_lo, exec_lo, s15
	v_and_b32_e32 v24, 0xffff0000, v9
	s_delay_alu instid0(VALU_DEP_1) | instskip(NEXT) | instid1(VALU_DEP_1)
	v_add_f32_e32 v96, s56, v24
	v_cmp_ge_f32_e32 vcc_lo, 0x41a00000, v96
	s_and_b32 s14, s66, vcc_lo
	s_delay_alu instid0(SALU_CYCLE_1)
	s_and_saveexec_b32 s15, s14
	s_cbranch_execz .LBB17_44
; %bb.43:                               ;   in Loop: Header=BB17_12 Depth=1
	v_mul_f32_e32 v24, 0x3fb8aa3b, v96
	v_cmp_ngt_f32_e32 vcc_lo, 0xc2ce8ed0, v96
	s_delay_alu instid0(VALU_DEP_2) | instskip(SKIP_1) | instid1(VALU_DEP_2)
	v_rndne_f32_e32 v25, v24
	v_fma_f32 v26, 0x3fb8aa3b, v96, -v24
	v_sub_f32_e32 v24, v24, v25
	s_delay_alu instid0(VALU_DEP_2) | instskip(SKIP_1) | instid1(VALU_DEP_2)
	v_fmac_f32_e32 v26, 0x32a5705f, v96
	v_cvt_i32_f32_e32 v25, v25
	v_add_f32_e32 v24, v24, v26
	s_delay_alu instid0(VALU_DEP_1) | instskip(SKIP_2) | instid1(VALU_DEP_1)
	v_exp_f32_e32 v24, v24
	s_waitcnt_depctr 0xfff
	v_ldexp_f32 v24, v24, v25
	v_cndmask_b32_e32 v24, 0, v24, vcc_lo
	v_cmp_nlt_f32_e32 vcc_lo, 0x42b17218, v96
	s_delay_alu instid0(VALU_DEP_2) | instskip(NEXT) | instid1(VALU_DEP_1)
	v_cndmask_b32_e32 v26, 0x7f800000, v24, vcc_lo
	v_add_f32_e32 v27, 1.0, v26
	s_delay_alu instid0(VALU_DEP_1) | instskip(NEXT) | instid1(VALU_DEP_1)
	v_cvt_f64_f32_e32 v[24:25], v27
	v_frexp_exp_i32_f64_e32 v24, v[24:25]
	v_frexp_mant_f32_e32 v25, v27
	s_delay_alu instid0(VALU_DEP_1) | instskip(SKIP_1) | instid1(VALU_DEP_1)
	v_cmp_gt_f32_e32 vcc_lo, 0x3f2aaaab, v25
	v_add_f32_e32 v25, -1.0, v27
	v_sub_f32_e32 v29, v25, v27
	v_sub_f32_e32 v25, v26, v25
	s_delay_alu instid0(VALU_DEP_2) | instskip(NEXT) | instid1(VALU_DEP_1)
	v_add_f32_e32 v29, 1.0, v29
	v_add_f32_e32 v25, v25, v29
	v_cmp_gt_f32_e64 s14, 0x33800000, v26
	v_subrev_co_ci_u32_e32 v24, vcc_lo, 0, v24, vcc_lo
	v_cmp_eq_f32_e32 vcc_lo, 0x7f800000, v26
	s_delay_alu instid0(VALU_DEP_2) | instskip(SKIP_2) | instid1(VALU_DEP_2)
	v_sub_nc_u32_e32 v28, 0, v24
	v_cvt_f32_i32_e32 v24, v24
	s_or_b32 vcc_lo, s14, vcc_lo
	v_ldexp_f32 v27, v27, v28
	v_ldexp_f32 v25, v25, v28
	s_delay_alu instid0(VALU_DEP_2) | instskip(NEXT) | instid1(VALU_DEP_1)
	v_add_f32_e32 v30, 1.0, v27
	v_dual_add_f32 v28, -1.0, v27 :: v_dual_add_f32 v29, -1.0, v30
	s_delay_alu instid0(VALU_DEP_1) | instskip(NEXT) | instid1(VALU_DEP_2)
	v_add_f32_e32 v31, 1.0, v28
	v_sub_f32_e32 v29, v27, v29
	s_delay_alu instid0(VALU_DEP_2) | instskip(NEXT) | instid1(VALU_DEP_2)
	v_sub_f32_e32 v27, v27, v31
	v_add_f32_e32 v29, v25, v29
	s_delay_alu instid0(VALU_DEP_2) | instskip(NEXT) | instid1(VALU_DEP_1)
	v_add_f32_e32 v25, v25, v27
	v_add_f32_e32 v32, v28, v25
	s_delay_alu instid0(VALU_DEP_1) | instskip(NEXT) | instid1(VALU_DEP_1)
	v_dual_add_f32 v31, v30, v29 :: v_dual_sub_f32 v28, v28, v32
	v_rcp_f32_e32 v27, v31
	v_sub_f32_e32 v30, v30, v31
	s_delay_alu instid0(VALU_DEP_1) | instskip(SKIP_2) | instid1(VALU_DEP_1)
	v_add_f32_e32 v29, v29, v30
	s_waitcnt_depctr 0xfff
	v_mul_f32_e32 v33, v32, v27
	v_mul_f32_e32 v34, v31, v33
	s_delay_alu instid0(VALU_DEP_1) | instskip(NEXT) | instid1(VALU_DEP_1)
	v_fma_f32 v30, v33, v31, -v34
	v_fmac_f32_e32 v30, v33, v29
	s_delay_alu instid0(VALU_DEP_1) | instskip(NEXT) | instid1(VALU_DEP_1)
	v_add_f32_e32 v35, v34, v30
	v_sub_f32_e32 v36, v32, v35
	s_delay_alu instid0(VALU_DEP_1) | instskip(SKIP_1) | instid1(VALU_DEP_2)
	v_sub_f32_e32 v32, v32, v36
	v_dual_add_f32 v25, v25, v28 :: v_dual_sub_f32 v28, v35, v34
	v_sub_f32_e32 v32, v32, v35
	s_delay_alu instid0(VALU_DEP_1) | instskip(NEXT) | instid1(VALU_DEP_1)
	v_dual_sub_f32 v28, v28, v30 :: v_dual_add_f32 v25, v25, v32
	v_add_f32_e32 v25, v28, v25
	s_delay_alu instid0(VALU_DEP_1) | instskip(NEXT) | instid1(VALU_DEP_1)
	v_add_f32_e32 v28, v36, v25
	v_mul_f32_e32 v30, v27, v28
	s_delay_alu instid0(VALU_DEP_1) | instskip(NEXT) | instid1(VALU_DEP_1)
	v_dual_sub_f32 v35, v36, v28 :: v_dual_mul_f32 v32, v31, v30
	v_add_f32_e32 v25, v25, v35
	s_delay_alu instid0(VALU_DEP_2) | instskip(NEXT) | instid1(VALU_DEP_1)
	v_fma_f32 v31, v30, v31, -v32
	v_fmac_f32_e32 v31, v30, v29
	s_delay_alu instid0(VALU_DEP_1) | instskip(NEXT) | instid1(VALU_DEP_1)
	v_add_f32_e32 v29, v32, v31
	v_sub_f32_e32 v34, v28, v29
	s_delay_alu instid0(VALU_DEP_1) | instskip(NEXT) | instid1(VALU_DEP_1)
	v_sub_f32_e32 v28, v28, v34
	v_sub_f32_e32 v28, v28, v29
	s_delay_alu instid0(VALU_DEP_1) | instskip(SKIP_2) | instid1(VALU_DEP_1)
	v_add_f32_e32 v25, v25, v28
	v_add_f32_e32 v28, v33, v30
	v_sub_f32_e32 v32, v29, v32
	v_sub_f32_e32 v29, v32, v31
	s_delay_alu instid0(VALU_DEP_1) | instskip(NEXT) | instid1(VALU_DEP_4)
	v_add_f32_e32 v25, v29, v25
	v_sub_f32_e32 v29, v28, v33
	s_delay_alu instid0(VALU_DEP_2) | instskip(NEXT) | instid1(VALU_DEP_2)
	v_add_f32_e32 v25, v34, v25
	v_sub_f32_e32 v29, v30, v29
	s_delay_alu instid0(VALU_DEP_2) | instskip(NEXT) | instid1(VALU_DEP_1)
	v_mul_f32_e32 v25, v27, v25
	v_add_f32_e32 v25, v29, v25
	s_delay_alu instid0(VALU_DEP_1) | instskip(NEXT) | instid1(VALU_DEP_1)
	v_add_f32_e32 v27, v28, v25
	v_mul_f32_e32 v29, v27, v27
	s_delay_alu instid0(VALU_DEP_1) | instskip(SKIP_1) | instid1(VALU_DEP_2)
	v_fmaak_f32 v30, s54, v29, 0x3ecc95a3
	v_mul_f32_e32 v31, v27, v29
	v_fmaak_f32 v29, v29, v30, 0x3f2aaada
	v_ldexp_f32 v30, v27, 1
	s_delay_alu instid0(VALU_DEP_2) | instskip(SKIP_1) | instid1(VALU_DEP_2)
	v_mul_f32_e32 v29, v31, v29
	v_sub_f32_e32 v27, v27, v28
	v_dual_mul_f32 v31, 0x3f317218, v24 :: v_dual_add_f32 v28, v30, v29
	s_delay_alu instid0(VALU_DEP_2) | instskip(NEXT) | instid1(VALU_DEP_2)
	v_sub_f32_e32 v25, v25, v27
	v_sub_f32_e32 v27, v28, v30
	s_delay_alu instid0(VALU_DEP_3) | instskip(NEXT) | instid1(VALU_DEP_3)
	v_fma_f32 v30, 0x3f317218, v24, -v31
	v_ldexp_f32 v25, v25, 1
	s_delay_alu instid0(VALU_DEP_2) | instskip(NEXT) | instid1(VALU_DEP_1)
	v_dual_sub_f32 v27, v29, v27 :: v_dual_fmac_f32 v30, 0xb102e308, v24
	v_dual_add_f32 v24, v25, v27 :: v_dual_add_f32 v25, v31, v30
	s_delay_alu instid0(VALU_DEP_1) | instskip(NEXT) | instid1(VALU_DEP_1)
	v_add_f32_e32 v27, v28, v24
	v_dual_add_f32 v29, v25, v27 :: v_dual_sub_f32 v28, v27, v28
	s_delay_alu instid0(VALU_DEP_1) | instskip(NEXT) | instid1(VALU_DEP_2)
	v_sub_f32_e32 v32, v29, v25
	v_dual_sub_f32 v31, v25, v31 :: v_dual_sub_f32 v24, v24, v28
	s_delay_alu instid0(VALU_DEP_1) | instskip(SKIP_1) | instid1(VALU_DEP_2)
	v_dual_sub_f32 v33, v29, v32 :: v_dual_sub_f32 v30, v30, v31
	v_sub_f32_e32 v27, v27, v32
	v_dual_sub_f32 v25, v25, v33 :: v_dual_add_f32 v28, v30, v24
	s_delay_alu instid0(VALU_DEP_1) | instskip(NEXT) | instid1(VALU_DEP_2)
	v_add_f32_e32 v25, v27, v25
	v_sub_f32_e32 v27, v28, v30
	s_delay_alu instid0(VALU_DEP_2) | instskip(NEXT) | instid1(VALU_DEP_2)
	v_add_f32_e32 v25, v28, v25
	v_sub_f32_e32 v28, v28, v27
	s_delay_alu instid0(VALU_DEP_2) | instskip(NEXT) | instid1(VALU_DEP_1)
	v_dual_sub_f32 v24, v24, v27 :: v_dual_add_f32 v31, v29, v25
	v_dual_sub_f32 v28, v30, v28 :: v_dual_sub_f32 v27, v31, v29
	s_delay_alu instid0(VALU_DEP_1) | instskip(NEXT) | instid1(VALU_DEP_1)
	v_dual_add_f32 v24, v24, v28 :: v_dual_sub_f32 v25, v25, v27
	v_add_f32_e32 v24, v24, v25
	s_delay_alu instid0(VALU_DEP_1) | instskip(NEXT) | instid1(VALU_DEP_1)
	v_add_f32_e32 v24, v31, v24
	v_cndmask_b32_e32 v96, v24, v26, vcc_lo
.LBB17_44:                              ;   in Loop: Header=BB17_12 Depth=1
	s_or_b32 exec_lo, exec_lo, s15
	v_lshlrev_b32_e32 v24, 16, v10
	s_delay_alu instid0(VALU_DEP_1) | instskip(NEXT) | instid1(VALU_DEP_1)
	v_add_f32_e32 v101, s56, v24
	v_cmp_ge_f32_e32 vcc_lo, 0x41a00000, v101
	s_and_b32 s14, s66, vcc_lo
	s_delay_alu instid0(SALU_CYCLE_1)
	s_and_saveexec_b32 s15, s14
	s_cbranch_execz .LBB17_46
; %bb.45:                               ;   in Loop: Header=BB17_12 Depth=1
	v_mul_f32_e32 v24, 0x3fb8aa3b, v101
	v_cmp_ngt_f32_e32 vcc_lo, 0xc2ce8ed0, v101
	s_delay_alu instid0(VALU_DEP_2) | instskip(SKIP_1) | instid1(VALU_DEP_2)
	v_rndne_f32_e32 v25, v24
	v_fma_f32 v26, 0x3fb8aa3b, v101, -v24
	v_sub_f32_e32 v24, v24, v25
	s_delay_alu instid0(VALU_DEP_2) | instskip(SKIP_1) | instid1(VALU_DEP_2)
	v_fmac_f32_e32 v26, 0x32a5705f, v101
	v_cvt_i32_f32_e32 v25, v25
	v_add_f32_e32 v24, v24, v26
	s_delay_alu instid0(VALU_DEP_1) | instskip(SKIP_2) | instid1(VALU_DEP_1)
	v_exp_f32_e32 v24, v24
	s_waitcnt_depctr 0xfff
	v_ldexp_f32 v24, v24, v25
	v_cndmask_b32_e32 v24, 0, v24, vcc_lo
	v_cmp_nlt_f32_e32 vcc_lo, 0x42b17218, v101
	s_delay_alu instid0(VALU_DEP_2) | instskip(NEXT) | instid1(VALU_DEP_1)
	v_cndmask_b32_e32 v26, 0x7f800000, v24, vcc_lo
	v_add_f32_e32 v27, 1.0, v26
	s_delay_alu instid0(VALU_DEP_1) | instskip(NEXT) | instid1(VALU_DEP_1)
	v_cvt_f64_f32_e32 v[24:25], v27
	v_frexp_exp_i32_f64_e32 v24, v[24:25]
	v_frexp_mant_f32_e32 v25, v27
	s_delay_alu instid0(VALU_DEP_1) | instskip(SKIP_1) | instid1(VALU_DEP_1)
	v_cmp_gt_f32_e32 vcc_lo, 0x3f2aaaab, v25
	v_add_f32_e32 v25, -1.0, v27
	v_sub_f32_e32 v29, v25, v27
	v_sub_f32_e32 v25, v26, v25
	s_delay_alu instid0(VALU_DEP_2) | instskip(NEXT) | instid1(VALU_DEP_1)
	v_add_f32_e32 v29, 1.0, v29
	v_add_f32_e32 v25, v25, v29
	v_cmp_gt_f32_e64 s14, 0x33800000, v26
	v_subrev_co_ci_u32_e32 v24, vcc_lo, 0, v24, vcc_lo
	v_cmp_eq_f32_e32 vcc_lo, 0x7f800000, v26
	s_delay_alu instid0(VALU_DEP_2) | instskip(SKIP_2) | instid1(VALU_DEP_2)
	v_sub_nc_u32_e32 v28, 0, v24
	v_cvt_f32_i32_e32 v24, v24
	s_or_b32 vcc_lo, s14, vcc_lo
	v_ldexp_f32 v27, v27, v28
	v_ldexp_f32 v25, v25, v28
	s_delay_alu instid0(VALU_DEP_2) | instskip(NEXT) | instid1(VALU_DEP_1)
	v_add_f32_e32 v30, 1.0, v27
	v_dual_add_f32 v28, -1.0, v27 :: v_dual_add_f32 v29, -1.0, v30
	s_delay_alu instid0(VALU_DEP_1) | instskip(NEXT) | instid1(VALU_DEP_2)
	v_add_f32_e32 v31, 1.0, v28
	v_sub_f32_e32 v29, v27, v29
	s_delay_alu instid0(VALU_DEP_2) | instskip(NEXT) | instid1(VALU_DEP_2)
	v_sub_f32_e32 v27, v27, v31
	v_add_f32_e32 v29, v25, v29
	s_delay_alu instid0(VALU_DEP_2) | instskip(NEXT) | instid1(VALU_DEP_1)
	v_add_f32_e32 v25, v25, v27
	v_add_f32_e32 v32, v28, v25
	s_delay_alu instid0(VALU_DEP_1) | instskip(NEXT) | instid1(VALU_DEP_1)
	v_dual_add_f32 v31, v30, v29 :: v_dual_sub_f32 v28, v28, v32
	v_rcp_f32_e32 v27, v31
	v_sub_f32_e32 v30, v30, v31
	s_delay_alu instid0(VALU_DEP_1) | instskip(SKIP_2) | instid1(VALU_DEP_1)
	v_add_f32_e32 v29, v29, v30
	s_waitcnt_depctr 0xfff
	v_mul_f32_e32 v33, v32, v27
	v_mul_f32_e32 v34, v31, v33
	s_delay_alu instid0(VALU_DEP_1) | instskip(NEXT) | instid1(VALU_DEP_1)
	v_fma_f32 v30, v33, v31, -v34
	v_fmac_f32_e32 v30, v33, v29
	s_delay_alu instid0(VALU_DEP_1) | instskip(NEXT) | instid1(VALU_DEP_1)
	v_add_f32_e32 v35, v34, v30
	v_sub_f32_e32 v36, v32, v35
	s_delay_alu instid0(VALU_DEP_1) | instskip(SKIP_1) | instid1(VALU_DEP_2)
	v_sub_f32_e32 v32, v32, v36
	v_dual_add_f32 v25, v25, v28 :: v_dual_sub_f32 v28, v35, v34
	v_sub_f32_e32 v32, v32, v35
	s_delay_alu instid0(VALU_DEP_1) | instskip(NEXT) | instid1(VALU_DEP_1)
	v_dual_sub_f32 v28, v28, v30 :: v_dual_add_f32 v25, v25, v32
	v_add_f32_e32 v25, v28, v25
	s_delay_alu instid0(VALU_DEP_1) | instskip(NEXT) | instid1(VALU_DEP_1)
	v_add_f32_e32 v28, v36, v25
	v_mul_f32_e32 v30, v27, v28
	s_delay_alu instid0(VALU_DEP_1) | instskip(NEXT) | instid1(VALU_DEP_1)
	v_dual_sub_f32 v35, v36, v28 :: v_dual_mul_f32 v32, v31, v30
	v_add_f32_e32 v25, v25, v35
	s_delay_alu instid0(VALU_DEP_2) | instskip(NEXT) | instid1(VALU_DEP_1)
	v_fma_f32 v31, v30, v31, -v32
	v_fmac_f32_e32 v31, v30, v29
	s_delay_alu instid0(VALU_DEP_1) | instskip(NEXT) | instid1(VALU_DEP_1)
	v_add_f32_e32 v29, v32, v31
	v_sub_f32_e32 v34, v28, v29
	s_delay_alu instid0(VALU_DEP_1) | instskip(NEXT) | instid1(VALU_DEP_1)
	v_sub_f32_e32 v28, v28, v34
	v_sub_f32_e32 v28, v28, v29
	s_delay_alu instid0(VALU_DEP_1) | instskip(SKIP_2) | instid1(VALU_DEP_1)
	v_add_f32_e32 v25, v25, v28
	v_add_f32_e32 v28, v33, v30
	v_sub_f32_e32 v32, v29, v32
	v_sub_f32_e32 v29, v32, v31
	s_delay_alu instid0(VALU_DEP_1) | instskip(NEXT) | instid1(VALU_DEP_4)
	v_add_f32_e32 v25, v29, v25
	v_sub_f32_e32 v29, v28, v33
	s_delay_alu instid0(VALU_DEP_2) | instskip(NEXT) | instid1(VALU_DEP_2)
	v_add_f32_e32 v25, v34, v25
	v_sub_f32_e32 v29, v30, v29
	s_delay_alu instid0(VALU_DEP_2) | instskip(NEXT) | instid1(VALU_DEP_1)
	v_mul_f32_e32 v25, v27, v25
	v_add_f32_e32 v25, v29, v25
	s_delay_alu instid0(VALU_DEP_1) | instskip(NEXT) | instid1(VALU_DEP_1)
	v_add_f32_e32 v27, v28, v25
	v_mul_f32_e32 v29, v27, v27
	s_delay_alu instid0(VALU_DEP_1) | instskip(SKIP_1) | instid1(VALU_DEP_2)
	v_fmaak_f32 v30, s54, v29, 0x3ecc95a3
	v_mul_f32_e32 v31, v27, v29
	v_fmaak_f32 v29, v29, v30, 0x3f2aaada
	v_ldexp_f32 v30, v27, 1
	s_delay_alu instid0(VALU_DEP_2) | instskip(SKIP_1) | instid1(VALU_DEP_2)
	v_mul_f32_e32 v29, v31, v29
	v_sub_f32_e32 v27, v27, v28
	v_dual_mul_f32 v31, 0x3f317218, v24 :: v_dual_add_f32 v28, v30, v29
	s_delay_alu instid0(VALU_DEP_2) | instskip(NEXT) | instid1(VALU_DEP_2)
	v_sub_f32_e32 v25, v25, v27
	v_sub_f32_e32 v27, v28, v30
	s_delay_alu instid0(VALU_DEP_3) | instskip(NEXT) | instid1(VALU_DEP_3)
	v_fma_f32 v30, 0x3f317218, v24, -v31
	v_ldexp_f32 v25, v25, 1
	s_delay_alu instid0(VALU_DEP_2) | instskip(NEXT) | instid1(VALU_DEP_1)
	v_dual_sub_f32 v27, v29, v27 :: v_dual_fmac_f32 v30, 0xb102e308, v24
	v_dual_add_f32 v24, v25, v27 :: v_dual_add_f32 v25, v31, v30
	s_delay_alu instid0(VALU_DEP_1) | instskip(NEXT) | instid1(VALU_DEP_1)
	v_add_f32_e32 v27, v28, v24
	v_dual_add_f32 v29, v25, v27 :: v_dual_sub_f32 v28, v27, v28
	s_delay_alu instid0(VALU_DEP_1) | instskip(NEXT) | instid1(VALU_DEP_2)
	v_sub_f32_e32 v32, v29, v25
	v_dual_sub_f32 v31, v25, v31 :: v_dual_sub_f32 v24, v24, v28
	s_delay_alu instid0(VALU_DEP_1) | instskip(SKIP_1) | instid1(VALU_DEP_2)
	v_dual_sub_f32 v33, v29, v32 :: v_dual_sub_f32 v30, v30, v31
	v_sub_f32_e32 v27, v27, v32
	v_dual_sub_f32 v25, v25, v33 :: v_dual_add_f32 v28, v30, v24
	s_delay_alu instid0(VALU_DEP_1) | instskip(NEXT) | instid1(VALU_DEP_2)
	v_add_f32_e32 v25, v27, v25
	v_sub_f32_e32 v27, v28, v30
	s_delay_alu instid0(VALU_DEP_2) | instskip(NEXT) | instid1(VALU_DEP_2)
	v_add_f32_e32 v25, v28, v25
	v_sub_f32_e32 v28, v28, v27
	s_delay_alu instid0(VALU_DEP_2) | instskip(NEXT) | instid1(VALU_DEP_1)
	v_dual_sub_f32 v24, v24, v27 :: v_dual_add_f32 v31, v29, v25
	v_dual_sub_f32 v28, v30, v28 :: v_dual_sub_f32 v27, v31, v29
	s_delay_alu instid0(VALU_DEP_1) | instskip(NEXT) | instid1(VALU_DEP_1)
	v_dual_add_f32 v24, v24, v28 :: v_dual_sub_f32 v25, v25, v27
	v_add_f32_e32 v24, v24, v25
	s_delay_alu instid0(VALU_DEP_1) | instskip(NEXT) | instid1(VALU_DEP_1)
	v_add_f32_e32 v24, v31, v24
	v_cndmask_b32_e32 v101, v24, v26, vcc_lo
.LBB17_46:                              ;   in Loop: Header=BB17_12 Depth=1
	s_or_b32 exec_lo, exec_lo, s15
	v_and_b32_e32 v24, 0xffff0000, v10
	s_delay_alu instid0(VALU_DEP_1) | instskip(NEXT) | instid1(VALU_DEP_1)
	v_add_f32_e32 v104, s56, v24
	v_cmp_ge_f32_e32 vcc_lo, 0x41a00000, v104
	s_and_b32 s14, s66, vcc_lo
	s_delay_alu instid0(SALU_CYCLE_1)
	s_and_saveexec_b32 s15, s14
	s_cbranch_execz .LBB17_48
; %bb.47:                               ;   in Loop: Header=BB17_12 Depth=1
	v_mul_f32_e32 v24, 0x3fb8aa3b, v104
	v_cmp_ngt_f32_e32 vcc_lo, 0xc2ce8ed0, v104
	s_delay_alu instid0(VALU_DEP_2) | instskip(SKIP_1) | instid1(VALU_DEP_2)
	v_rndne_f32_e32 v25, v24
	v_fma_f32 v26, 0x3fb8aa3b, v104, -v24
	v_sub_f32_e32 v24, v24, v25
	s_delay_alu instid0(VALU_DEP_2) | instskip(SKIP_1) | instid1(VALU_DEP_2)
	v_fmac_f32_e32 v26, 0x32a5705f, v104
	v_cvt_i32_f32_e32 v25, v25
	v_add_f32_e32 v24, v24, v26
	s_delay_alu instid0(VALU_DEP_1) | instskip(SKIP_2) | instid1(VALU_DEP_1)
	v_exp_f32_e32 v24, v24
	s_waitcnt_depctr 0xfff
	v_ldexp_f32 v24, v24, v25
	v_cndmask_b32_e32 v24, 0, v24, vcc_lo
	v_cmp_nlt_f32_e32 vcc_lo, 0x42b17218, v104
	s_delay_alu instid0(VALU_DEP_2) | instskip(NEXT) | instid1(VALU_DEP_1)
	v_cndmask_b32_e32 v26, 0x7f800000, v24, vcc_lo
	v_add_f32_e32 v27, 1.0, v26
	s_delay_alu instid0(VALU_DEP_1) | instskip(NEXT) | instid1(VALU_DEP_1)
	v_cvt_f64_f32_e32 v[24:25], v27
	v_frexp_exp_i32_f64_e32 v24, v[24:25]
	v_frexp_mant_f32_e32 v25, v27
	s_delay_alu instid0(VALU_DEP_1) | instskip(SKIP_1) | instid1(VALU_DEP_1)
	v_cmp_gt_f32_e32 vcc_lo, 0x3f2aaaab, v25
	v_add_f32_e32 v25, -1.0, v27
	v_sub_f32_e32 v29, v25, v27
	v_sub_f32_e32 v25, v26, v25
	s_delay_alu instid0(VALU_DEP_2) | instskip(NEXT) | instid1(VALU_DEP_1)
	v_add_f32_e32 v29, 1.0, v29
	v_add_f32_e32 v25, v25, v29
	v_cmp_gt_f32_e64 s14, 0x33800000, v26
	v_subrev_co_ci_u32_e32 v24, vcc_lo, 0, v24, vcc_lo
	v_cmp_eq_f32_e32 vcc_lo, 0x7f800000, v26
	s_delay_alu instid0(VALU_DEP_2) | instskip(SKIP_2) | instid1(VALU_DEP_2)
	v_sub_nc_u32_e32 v28, 0, v24
	v_cvt_f32_i32_e32 v24, v24
	s_or_b32 vcc_lo, s14, vcc_lo
	v_ldexp_f32 v27, v27, v28
	v_ldexp_f32 v25, v25, v28
	s_delay_alu instid0(VALU_DEP_2) | instskip(NEXT) | instid1(VALU_DEP_1)
	v_add_f32_e32 v30, 1.0, v27
	v_dual_add_f32 v28, -1.0, v27 :: v_dual_add_f32 v29, -1.0, v30
	s_delay_alu instid0(VALU_DEP_1) | instskip(NEXT) | instid1(VALU_DEP_2)
	v_add_f32_e32 v31, 1.0, v28
	v_sub_f32_e32 v29, v27, v29
	s_delay_alu instid0(VALU_DEP_2) | instskip(NEXT) | instid1(VALU_DEP_2)
	v_sub_f32_e32 v27, v27, v31
	v_add_f32_e32 v29, v25, v29
	s_delay_alu instid0(VALU_DEP_2) | instskip(NEXT) | instid1(VALU_DEP_1)
	v_add_f32_e32 v25, v25, v27
	v_add_f32_e32 v32, v28, v25
	s_delay_alu instid0(VALU_DEP_1) | instskip(NEXT) | instid1(VALU_DEP_1)
	v_dual_add_f32 v31, v30, v29 :: v_dual_sub_f32 v28, v28, v32
	v_rcp_f32_e32 v27, v31
	v_sub_f32_e32 v30, v30, v31
	s_delay_alu instid0(VALU_DEP_1) | instskip(SKIP_2) | instid1(VALU_DEP_1)
	v_add_f32_e32 v29, v29, v30
	s_waitcnt_depctr 0xfff
	v_mul_f32_e32 v33, v32, v27
	v_mul_f32_e32 v34, v31, v33
	s_delay_alu instid0(VALU_DEP_1) | instskip(NEXT) | instid1(VALU_DEP_1)
	v_fma_f32 v30, v33, v31, -v34
	v_fmac_f32_e32 v30, v33, v29
	s_delay_alu instid0(VALU_DEP_1) | instskip(NEXT) | instid1(VALU_DEP_1)
	v_add_f32_e32 v35, v34, v30
	v_sub_f32_e32 v36, v32, v35
	s_delay_alu instid0(VALU_DEP_1) | instskip(SKIP_1) | instid1(VALU_DEP_2)
	v_sub_f32_e32 v32, v32, v36
	v_dual_add_f32 v25, v25, v28 :: v_dual_sub_f32 v28, v35, v34
	v_sub_f32_e32 v32, v32, v35
	s_delay_alu instid0(VALU_DEP_1) | instskip(NEXT) | instid1(VALU_DEP_1)
	v_dual_sub_f32 v28, v28, v30 :: v_dual_add_f32 v25, v25, v32
	v_add_f32_e32 v25, v28, v25
	s_delay_alu instid0(VALU_DEP_1) | instskip(NEXT) | instid1(VALU_DEP_1)
	v_add_f32_e32 v28, v36, v25
	v_mul_f32_e32 v30, v27, v28
	s_delay_alu instid0(VALU_DEP_1) | instskip(NEXT) | instid1(VALU_DEP_1)
	v_dual_sub_f32 v35, v36, v28 :: v_dual_mul_f32 v32, v31, v30
	v_add_f32_e32 v25, v25, v35
	s_delay_alu instid0(VALU_DEP_2) | instskip(NEXT) | instid1(VALU_DEP_1)
	v_fma_f32 v31, v30, v31, -v32
	v_fmac_f32_e32 v31, v30, v29
	s_delay_alu instid0(VALU_DEP_1) | instskip(NEXT) | instid1(VALU_DEP_1)
	v_add_f32_e32 v29, v32, v31
	v_sub_f32_e32 v34, v28, v29
	s_delay_alu instid0(VALU_DEP_1) | instskip(NEXT) | instid1(VALU_DEP_1)
	v_sub_f32_e32 v28, v28, v34
	v_sub_f32_e32 v28, v28, v29
	s_delay_alu instid0(VALU_DEP_1) | instskip(SKIP_2) | instid1(VALU_DEP_1)
	v_add_f32_e32 v25, v25, v28
	v_add_f32_e32 v28, v33, v30
	v_sub_f32_e32 v32, v29, v32
	v_sub_f32_e32 v29, v32, v31
	s_delay_alu instid0(VALU_DEP_1) | instskip(NEXT) | instid1(VALU_DEP_4)
	v_add_f32_e32 v25, v29, v25
	v_sub_f32_e32 v29, v28, v33
	s_delay_alu instid0(VALU_DEP_2) | instskip(NEXT) | instid1(VALU_DEP_2)
	v_add_f32_e32 v25, v34, v25
	v_sub_f32_e32 v29, v30, v29
	s_delay_alu instid0(VALU_DEP_2) | instskip(NEXT) | instid1(VALU_DEP_1)
	v_mul_f32_e32 v25, v27, v25
	v_add_f32_e32 v25, v29, v25
	s_delay_alu instid0(VALU_DEP_1) | instskip(NEXT) | instid1(VALU_DEP_1)
	v_add_f32_e32 v27, v28, v25
	v_mul_f32_e32 v29, v27, v27
	s_delay_alu instid0(VALU_DEP_1) | instskip(SKIP_1) | instid1(VALU_DEP_2)
	v_fmaak_f32 v30, s54, v29, 0x3ecc95a3
	v_mul_f32_e32 v31, v27, v29
	v_fmaak_f32 v29, v29, v30, 0x3f2aaada
	v_ldexp_f32 v30, v27, 1
	s_delay_alu instid0(VALU_DEP_2) | instskip(SKIP_1) | instid1(VALU_DEP_2)
	v_mul_f32_e32 v29, v31, v29
	v_sub_f32_e32 v27, v27, v28
	v_dual_mul_f32 v31, 0x3f317218, v24 :: v_dual_add_f32 v28, v30, v29
	s_delay_alu instid0(VALU_DEP_2) | instskip(NEXT) | instid1(VALU_DEP_2)
	v_sub_f32_e32 v25, v25, v27
	v_sub_f32_e32 v27, v28, v30
	s_delay_alu instid0(VALU_DEP_3) | instskip(NEXT) | instid1(VALU_DEP_3)
	v_fma_f32 v30, 0x3f317218, v24, -v31
	v_ldexp_f32 v25, v25, 1
	s_delay_alu instid0(VALU_DEP_2) | instskip(NEXT) | instid1(VALU_DEP_1)
	v_dual_sub_f32 v27, v29, v27 :: v_dual_fmac_f32 v30, 0xb102e308, v24
	v_dual_add_f32 v24, v25, v27 :: v_dual_add_f32 v25, v31, v30
	s_delay_alu instid0(VALU_DEP_1) | instskip(NEXT) | instid1(VALU_DEP_1)
	v_add_f32_e32 v27, v28, v24
	v_dual_add_f32 v29, v25, v27 :: v_dual_sub_f32 v28, v27, v28
	s_delay_alu instid0(VALU_DEP_1) | instskip(NEXT) | instid1(VALU_DEP_2)
	v_sub_f32_e32 v32, v29, v25
	v_dual_sub_f32 v31, v25, v31 :: v_dual_sub_f32 v24, v24, v28
	s_delay_alu instid0(VALU_DEP_1) | instskip(SKIP_1) | instid1(VALU_DEP_2)
	v_dual_sub_f32 v33, v29, v32 :: v_dual_sub_f32 v30, v30, v31
	v_sub_f32_e32 v27, v27, v32
	v_dual_sub_f32 v25, v25, v33 :: v_dual_add_f32 v28, v30, v24
	s_delay_alu instid0(VALU_DEP_1) | instskip(NEXT) | instid1(VALU_DEP_2)
	v_add_f32_e32 v25, v27, v25
	v_sub_f32_e32 v27, v28, v30
	s_delay_alu instid0(VALU_DEP_2) | instskip(NEXT) | instid1(VALU_DEP_2)
	v_add_f32_e32 v25, v28, v25
	v_sub_f32_e32 v28, v28, v27
	s_delay_alu instid0(VALU_DEP_2) | instskip(NEXT) | instid1(VALU_DEP_1)
	v_dual_sub_f32 v24, v24, v27 :: v_dual_add_f32 v31, v29, v25
	v_dual_sub_f32 v28, v30, v28 :: v_dual_sub_f32 v27, v31, v29
	s_delay_alu instid0(VALU_DEP_1) | instskip(NEXT) | instid1(VALU_DEP_1)
	v_dual_add_f32 v24, v24, v28 :: v_dual_sub_f32 v25, v25, v27
	v_add_f32_e32 v24, v24, v25
	s_delay_alu instid0(VALU_DEP_1) | instskip(NEXT) | instid1(VALU_DEP_1)
	v_add_f32_e32 v24, v31, v24
	v_cndmask_b32_e32 v104, v24, v26, vcc_lo
.LBB17_48:                              ;   in Loop: Header=BB17_12 Depth=1
	s_or_b32 exec_lo, exec_lo, s15
	v_lshlrev_b32_e32 v24, 16, v11
	s_delay_alu instid0(VALU_DEP_1) | instskip(NEXT) | instid1(VALU_DEP_1)
	v_add_f32_e32 v105, s56, v24
	v_cmp_ge_f32_e32 vcc_lo, 0x41a00000, v105
	s_and_b32 s14, s66, vcc_lo
	s_delay_alu instid0(SALU_CYCLE_1)
	s_and_saveexec_b32 s15, s14
	s_cbranch_execz .LBB17_50
; %bb.49:                               ;   in Loop: Header=BB17_12 Depth=1
	v_mul_f32_e32 v24, 0x3fb8aa3b, v105
	v_cmp_ngt_f32_e32 vcc_lo, 0xc2ce8ed0, v105
	s_delay_alu instid0(VALU_DEP_2) | instskip(SKIP_1) | instid1(VALU_DEP_2)
	v_rndne_f32_e32 v25, v24
	v_fma_f32 v26, 0x3fb8aa3b, v105, -v24
	v_sub_f32_e32 v24, v24, v25
	s_delay_alu instid0(VALU_DEP_2) | instskip(SKIP_1) | instid1(VALU_DEP_2)
	v_fmac_f32_e32 v26, 0x32a5705f, v105
	v_cvt_i32_f32_e32 v25, v25
	v_add_f32_e32 v24, v24, v26
	s_delay_alu instid0(VALU_DEP_1) | instskip(SKIP_2) | instid1(VALU_DEP_1)
	v_exp_f32_e32 v24, v24
	s_waitcnt_depctr 0xfff
	v_ldexp_f32 v24, v24, v25
	v_cndmask_b32_e32 v24, 0, v24, vcc_lo
	v_cmp_nlt_f32_e32 vcc_lo, 0x42b17218, v105
	s_delay_alu instid0(VALU_DEP_2) | instskip(NEXT) | instid1(VALU_DEP_1)
	v_cndmask_b32_e32 v26, 0x7f800000, v24, vcc_lo
	v_add_f32_e32 v27, 1.0, v26
	s_delay_alu instid0(VALU_DEP_1) | instskip(NEXT) | instid1(VALU_DEP_1)
	v_cvt_f64_f32_e32 v[24:25], v27
	v_frexp_exp_i32_f64_e32 v24, v[24:25]
	v_frexp_mant_f32_e32 v25, v27
	s_delay_alu instid0(VALU_DEP_1) | instskip(SKIP_1) | instid1(VALU_DEP_1)
	v_cmp_gt_f32_e32 vcc_lo, 0x3f2aaaab, v25
	v_add_f32_e32 v25, -1.0, v27
	v_sub_f32_e32 v29, v25, v27
	v_sub_f32_e32 v25, v26, v25
	s_delay_alu instid0(VALU_DEP_2) | instskip(NEXT) | instid1(VALU_DEP_1)
	v_add_f32_e32 v29, 1.0, v29
	v_add_f32_e32 v25, v25, v29
	v_cmp_gt_f32_e64 s14, 0x33800000, v26
	v_subrev_co_ci_u32_e32 v24, vcc_lo, 0, v24, vcc_lo
	v_cmp_eq_f32_e32 vcc_lo, 0x7f800000, v26
	s_delay_alu instid0(VALU_DEP_2) | instskip(SKIP_2) | instid1(VALU_DEP_2)
	v_sub_nc_u32_e32 v28, 0, v24
	v_cvt_f32_i32_e32 v24, v24
	s_or_b32 vcc_lo, s14, vcc_lo
	v_ldexp_f32 v27, v27, v28
	v_ldexp_f32 v25, v25, v28
	s_delay_alu instid0(VALU_DEP_2) | instskip(NEXT) | instid1(VALU_DEP_1)
	v_add_f32_e32 v30, 1.0, v27
	v_dual_add_f32 v28, -1.0, v27 :: v_dual_add_f32 v29, -1.0, v30
	s_delay_alu instid0(VALU_DEP_1) | instskip(NEXT) | instid1(VALU_DEP_2)
	v_add_f32_e32 v31, 1.0, v28
	v_sub_f32_e32 v29, v27, v29
	s_delay_alu instid0(VALU_DEP_2) | instskip(NEXT) | instid1(VALU_DEP_2)
	v_sub_f32_e32 v27, v27, v31
	v_add_f32_e32 v29, v25, v29
	s_delay_alu instid0(VALU_DEP_2) | instskip(NEXT) | instid1(VALU_DEP_1)
	v_add_f32_e32 v25, v25, v27
	v_add_f32_e32 v32, v28, v25
	s_delay_alu instid0(VALU_DEP_1) | instskip(NEXT) | instid1(VALU_DEP_1)
	v_dual_add_f32 v31, v30, v29 :: v_dual_sub_f32 v28, v28, v32
	v_rcp_f32_e32 v27, v31
	v_sub_f32_e32 v30, v30, v31
	s_delay_alu instid0(VALU_DEP_1) | instskip(SKIP_2) | instid1(VALU_DEP_1)
	v_add_f32_e32 v29, v29, v30
	s_waitcnt_depctr 0xfff
	v_mul_f32_e32 v33, v32, v27
	v_mul_f32_e32 v34, v31, v33
	s_delay_alu instid0(VALU_DEP_1) | instskip(NEXT) | instid1(VALU_DEP_1)
	v_fma_f32 v30, v33, v31, -v34
	v_fmac_f32_e32 v30, v33, v29
	s_delay_alu instid0(VALU_DEP_1) | instskip(NEXT) | instid1(VALU_DEP_1)
	v_add_f32_e32 v35, v34, v30
	v_sub_f32_e32 v36, v32, v35
	s_delay_alu instid0(VALU_DEP_1) | instskip(SKIP_1) | instid1(VALU_DEP_2)
	v_sub_f32_e32 v32, v32, v36
	v_dual_add_f32 v25, v25, v28 :: v_dual_sub_f32 v28, v35, v34
	v_sub_f32_e32 v32, v32, v35
	s_delay_alu instid0(VALU_DEP_1) | instskip(NEXT) | instid1(VALU_DEP_1)
	v_dual_sub_f32 v28, v28, v30 :: v_dual_add_f32 v25, v25, v32
	v_add_f32_e32 v25, v28, v25
	s_delay_alu instid0(VALU_DEP_1) | instskip(NEXT) | instid1(VALU_DEP_1)
	v_add_f32_e32 v28, v36, v25
	v_mul_f32_e32 v30, v27, v28
	s_delay_alu instid0(VALU_DEP_1) | instskip(NEXT) | instid1(VALU_DEP_1)
	v_dual_sub_f32 v35, v36, v28 :: v_dual_mul_f32 v32, v31, v30
	v_add_f32_e32 v25, v25, v35
	s_delay_alu instid0(VALU_DEP_2) | instskip(NEXT) | instid1(VALU_DEP_1)
	v_fma_f32 v31, v30, v31, -v32
	v_fmac_f32_e32 v31, v30, v29
	s_delay_alu instid0(VALU_DEP_1) | instskip(NEXT) | instid1(VALU_DEP_1)
	v_add_f32_e32 v29, v32, v31
	v_sub_f32_e32 v34, v28, v29
	s_delay_alu instid0(VALU_DEP_1) | instskip(NEXT) | instid1(VALU_DEP_1)
	v_sub_f32_e32 v28, v28, v34
	v_sub_f32_e32 v28, v28, v29
	s_delay_alu instid0(VALU_DEP_1) | instskip(SKIP_2) | instid1(VALU_DEP_1)
	v_add_f32_e32 v25, v25, v28
	v_add_f32_e32 v28, v33, v30
	v_sub_f32_e32 v32, v29, v32
	v_sub_f32_e32 v29, v32, v31
	s_delay_alu instid0(VALU_DEP_1) | instskip(NEXT) | instid1(VALU_DEP_4)
	v_add_f32_e32 v25, v29, v25
	v_sub_f32_e32 v29, v28, v33
	s_delay_alu instid0(VALU_DEP_2) | instskip(NEXT) | instid1(VALU_DEP_2)
	v_add_f32_e32 v25, v34, v25
	v_sub_f32_e32 v29, v30, v29
	s_delay_alu instid0(VALU_DEP_2) | instskip(NEXT) | instid1(VALU_DEP_1)
	v_mul_f32_e32 v25, v27, v25
	v_add_f32_e32 v25, v29, v25
	s_delay_alu instid0(VALU_DEP_1) | instskip(NEXT) | instid1(VALU_DEP_1)
	v_add_f32_e32 v27, v28, v25
	v_mul_f32_e32 v29, v27, v27
	s_delay_alu instid0(VALU_DEP_1) | instskip(SKIP_1) | instid1(VALU_DEP_2)
	v_fmaak_f32 v30, s54, v29, 0x3ecc95a3
	v_mul_f32_e32 v31, v27, v29
	v_fmaak_f32 v29, v29, v30, 0x3f2aaada
	v_ldexp_f32 v30, v27, 1
	s_delay_alu instid0(VALU_DEP_2) | instskip(SKIP_1) | instid1(VALU_DEP_2)
	v_mul_f32_e32 v29, v31, v29
	v_sub_f32_e32 v27, v27, v28
	v_dual_mul_f32 v31, 0x3f317218, v24 :: v_dual_add_f32 v28, v30, v29
	s_delay_alu instid0(VALU_DEP_2) | instskip(NEXT) | instid1(VALU_DEP_2)
	v_sub_f32_e32 v25, v25, v27
	v_sub_f32_e32 v27, v28, v30
	s_delay_alu instid0(VALU_DEP_3) | instskip(NEXT) | instid1(VALU_DEP_3)
	v_fma_f32 v30, 0x3f317218, v24, -v31
	v_ldexp_f32 v25, v25, 1
	s_delay_alu instid0(VALU_DEP_2) | instskip(NEXT) | instid1(VALU_DEP_1)
	v_dual_sub_f32 v27, v29, v27 :: v_dual_fmac_f32 v30, 0xb102e308, v24
	v_dual_add_f32 v24, v25, v27 :: v_dual_add_f32 v25, v31, v30
	s_delay_alu instid0(VALU_DEP_1) | instskip(NEXT) | instid1(VALU_DEP_1)
	v_add_f32_e32 v27, v28, v24
	v_dual_add_f32 v29, v25, v27 :: v_dual_sub_f32 v28, v27, v28
	s_delay_alu instid0(VALU_DEP_1) | instskip(NEXT) | instid1(VALU_DEP_2)
	v_sub_f32_e32 v32, v29, v25
	v_dual_sub_f32 v31, v25, v31 :: v_dual_sub_f32 v24, v24, v28
	s_delay_alu instid0(VALU_DEP_1) | instskip(SKIP_1) | instid1(VALU_DEP_2)
	v_dual_sub_f32 v33, v29, v32 :: v_dual_sub_f32 v30, v30, v31
	v_sub_f32_e32 v27, v27, v32
	v_dual_sub_f32 v25, v25, v33 :: v_dual_add_f32 v28, v30, v24
	s_delay_alu instid0(VALU_DEP_1) | instskip(NEXT) | instid1(VALU_DEP_2)
	v_add_f32_e32 v25, v27, v25
	v_sub_f32_e32 v27, v28, v30
	s_delay_alu instid0(VALU_DEP_2) | instskip(NEXT) | instid1(VALU_DEP_2)
	v_add_f32_e32 v25, v28, v25
	v_sub_f32_e32 v28, v28, v27
	s_delay_alu instid0(VALU_DEP_2) | instskip(NEXT) | instid1(VALU_DEP_1)
	v_dual_sub_f32 v24, v24, v27 :: v_dual_add_f32 v31, v29, v25
	v_dual_sub_f32 v28, v30, v28 :: v_dual_sub_f32 v27, v31, v29
	s_delay_alu instid0(VALU_DEP_1) | instskip(NEXT) | instid1(VALU_DEP_1)
	v_dual_add_f32 v24, v24, v28 :: v_dual_sub_f32 v25, v25, v27
	v_add_f32_e32 v24, v24, v25
	s_delay_alu instid0(VALU_DEP_1) | instskip(NEXT) | instid1(VALU_DEP_1)
	v_add_f32_e32 v24, v31, v24
	v_cndmask_b32_e32 v105, v24, v26, vcc_lo
.LBB17_50:                              ;   in Loop: Header=BB17_12 Depth=1
	s_or_b32 exec_lo, exec_lo, s15
	v_and_b32_e32 v24, 0xffff0000, v11
	s_delay_alu instid0(VALU_DEP_1) | instskip(NEXT) | instid1(VALU_DEP_1)
	v_add_f32_e32 v106, s56, v24
	v_cmp_ge_f32_e32 vcc_lo, 0x41a00000, v106
	s_and_b32 s14, s66, vcc_lo
	s_delay_alu instid0(SALU_CYCLE_1)
	s_and_saveexec_b32 s15, s14
	s_cbranch_execz .LBB17_52
; %bb.51:                               ;   in Loop: Header=BB17_12 Depth=1
	v_mul_f32_e32 v24, 0x3fb8aa3b, v106
	v_cmp_ngt_f32_e32 vcc_lo, 0xc2ce8ed0, v106
	s_delay_alu instid0(VALU_DEP_2) | instskip(SKIP_1) | instid1(VALU_DEP_2)
	v_rndne_f32_e32 v25, v24
	v_fma_f32 v26, 0x3fb8aa3b, v106, -v24
	v_sub_f32_e32 v24, v24, v25
	s_delay_alu instid0(VALU_DEP_2) | instskip(SKIP_1) | instid1(VALU_DEP_2)
	v_fmac_f32_e32 v26, 0x32a5705f, v106
	v_cvt_i32_f32_e32 v25, v25
	v_add_f32_e32 v24, v24, v26
	s_delay_alu instid0(VALU_DEP_1) | instskip(SKIP_2) | instid1(VALU_DEP_1)
	v_exp_f32_e32 v24, v24
	s_waitcnt_depctr 0xfff
	v_ldexp_f32 v24, v24, v25
	v_cndmask_b32_e32 v24, 0, v24, vcc_lo
	v_cmp_nlt_f32_e32 vcc_lo, 0x42b17218, v106
	s_delay_alu instid0(VALU_DEP_2) | instskip(NEXT) | instid1(VALU_DEP_1)
	v_cndmask_b32_e32 v26, 0x7f800000, v24, vcc_lo
	v_add_f32_e32 v27, 1.0, v26
	s_delay_alu instid0(VALU_DEP_1) | instskip(NEXT) | instid1(VALU_DEP_1)
	v_cvt_f64_f32_e32 v[24:25], v27
	v_frexp_exp_i32_f64_e32 v24, v[24:25]
	v_frexp_mant_f32_e32 v25, v27
	s_delay_alu instid0(VALU_DEP_1) | instskip(SKIP_1) | instid1(VALU_DEP_1)
	v_cmp_gt_f32_e32 vcc_lo, 0x3f2aaaab, v25
	v_add_f32_e32 v25, -1.0, v27
	v_sub_f32_e32 v29, v25, v27
	v_sub_f32_e32 v25, v26, v25
	s_delay_alu instid0(VALU_DEP_2) | instskip(NEXT) | instid1(VALU_DEP_1)
	v_add_f32_e32 v29, 1.0, v29
	v_add_f32_e32 v25, v25, v29
	v_cmp_gt_f32_e64 s14, 0x33800000, v26
	v_subrev_co_ci_u32_e32 v24, vcc_lo, 0, v24, vcc_lo
	v_cmp_eq_f32_e32 vcc_lo, 0x7f800000, v26
	s_delay_alu instid0(VALU_DEP_2) | instskip(SKIP_2) | instid1(VALU_DEP_2)
	v_sub_nc_u32_e32 v28, 0, v24
	v_cvt_f32_i32_e32 v24, v24
	s_or_b32 vcc_lo, s14, vcc_lo
	v_ldexp_f32 v27, v27, v28
	v_ldexp_f32 v25, v25, v28
	s_delay_alu instid0(VALU_DEP_2) | instskip(NEXT) | instid1(VALU_DEP_1)
	v_add_f32_e32 v30, 1.0, v27
	v_dual_add_f32 v28, -1.0, v27 :: v_dual_add_f32 v29, -1.0, v30
	s_delay_alu instid0(VALU_DEP_1) | instskip(NEXT) | instid1(VALU_DEP_2)
	v_add_f32_e32 v31, 1.0, v28
	v_sub_f32_e32 v29, v27, v29
	s_delay_alu instid0(VALU_DEP_2) | instskip(NEXT) | instid1(VALU_DEP_2)
	v_sub_f32_e32 v27, v27, v31
	v_add_f32_e32 v29, v25, v29
	s_delay_alu instid0(VALU_DEP_2) | instskip(NEXT) | instid1(VALU_DEP_1)
	v_add_f32_e32 v25, v25, v27
	v_add_f32_e32 v32, v28, v25
	s_delay_alu instid0(VALU_DEP_1) | instskip(NEXT) | instid1(VALU_DEP_1)
	v_dual_add_f32 v31, v30, v29 :: v_dual_sub_f32 v28, v28, v32
	v_rcp_f32_e32 v27, v31
	v_sub_f32_e32 v30, v30, v31
	s_delay_alu instid0(VALU_DEP_1) | instskip(SKIP_2) | instid1(VALU_DEP_1)
	v_add_f32_e32 v29, v29, v30
	s_waitcnt_depctr 0xfff
	v_mul_f32_e32 v33, v32, v27
	v_mul_f32_e32 v34, v31, v33
	s_delay_alu instid0(VALU_DEP_1) | instskip(NEXT) | instid1(VALU_DEP_1)
	v_fma_f32 v30, v33, v31, -v34
	v_fmac_f32_e32 v30, v33, v29
	s_delay_alu instid0(VALU_DEP_1) | instskip(NEXT) | instid1(VALU_DEP_1)
	v_add_f32_e32 v35, v34, v30
	v_sub_f32_e32 v36, v32, v35
	s_delay_alu instid0(VALU_DEP_1) | instskip(SKIP_1) | instid1(VALU_DEP_2)
	v_sub_f32_e32 v32, v32, v36
	v_dual_add_f32 v25, v25, v28 :: v_dual_sub_f32 v28, v35, v34
	v_sub_f32_e32 v32, v32, v35
	s_delay_alu instid0(VALU_DEP_1) | instskip(NEXT) | instid1(VALU_DEP_1)
	v_dual_sub_f32 v28, v28, v30 :: v_dual_add_f32 v25, v25, v32
	v_add_f32_e32 v25, v28, v25
	s_delay_alu instid0(VALU_DEP_1) | instskip(NEXT) | instid1(VALU_DEP_1)
	v_add_f32_e32 v28, v36, v25
	v_mul_f32_e32 v30, v27, v28
	s_delay_alu instid0(VALU_DEP_1) | instskip(NEXT) | instid1(VALU_DEP_1)
	v_dual_sub_f32 v35, v36, v28 :: v_dual_mul_f32 v32, v31, v30
	v_add_f32_e32 v25, v25, v35
	s_delay_alu instid0(VALU_DEP_2) | instskip(NEXT) | instid1(VALU_DEP_1)
	v_fma_f32 v31, v30, v31, -v32
	v_fmac_f32_e32 v31, v30, v29
	s_delay_alu instid0(VALU_DEP_1) | instskip(NEXT) | instid1(VALU_DEP_1)
	v_add_f32_e32 v29, v32, v31
	v_sub_f32_e32 v34, v28, v29
	s_delay_alu instid0(VALU_DEP_1) | instskip(NEXT) | instid1(VALU_DEP_1)
	v_sub_f32_e32 v28, v28, v34
	v_sub_f32_e32 v28, v28, v29
	s_delay_alu instid0(VALU_DEP_1) | instskip(SKIP_2) | instid1(VALU_DEP_1)
	v_add_f32_e32 v25, v25, v28
	v_add_f32_e32 v28, v33, v30
	v_sub_f32_e32 v32, v29, v32
	v_sub_f32_e32 v29, v32, v31
	s_delay_alu instid0(VALU_DEP_1) | instskip(NEXT) | instid1(VALU_DEP_4)
	v_add_f32_e32 v25, v29, v25
	v_sub_f32_e32 v29, v28, v33
	s_delay_alu instid0(VALU_DEP_2) | instskip(NEXT) | instid1(VALU_DEP_2)
	v_add_f32_e32 v25, v34, v25
	v_sub_f32_e32 v29, v30, v29
	s_delay_alu instid0(VALU_DEP_2) | instskip(NEXT) | instid1(VALU_DEP_1)
	v_mul_f32_e32 v25, v27, v25
	v_add_f32_e32 v25, v29, v25
	s_delay_alu instid0(VALU_DEP_1) | instskip(NEXT) | instid1(VALU_DEP_1)
	v_add_f32_e32 v27, v28, v25
	v_mul_f32_e32 v29, v27, v27
	s_delay_alu instid0(VALU_DEP_1) | instskip(SKIP_1) | instid1(VALU_DEP_2)
	v_fmaak_f32 v30, s54, v29, 0x3ecc95a3
	v_mul_f32_e32 v31, v27, v29
	v_fmaak_f32 v29, v29, v30, 0x3f2aaada
	v_ldexp_f32 v30, v27, 1
	s_delay_alu instid0(VALU_DEP_2) | instskip(SKIP_1) | instid1(VALU_DEP_2)
	v_mul_f32_e32 v29, v31, v29
	v_sub_f32_e32 v27, v27, v28
	v_dual_mul_f32 v31, 0x3f317218, v24 :: v_dual_add_f32 v28, v30, v29
	s_delay_alu instid0(VALU_DEP_2) | instskip(NEXT) | instid1(VALU_DEP_2)
	v_sub_f32_e32 v25, v25, v27
	v_sub_f32_e32 v27, v28, v30
	s_delay_alu instid0(VALU_DEP_3) | instskip(NEXT) | instid1(VALU_DEP_3)
	v_fma_f32 v30, 0x3f317218, v24, -v31
	v_ldexp_f32 v25, v25, 1
	s_delay_alu instid0(VALU_DEP_2) | instskip(NEXT) | instid1(VALU_DEP_1)
	v_dual_sub_f32 v27, v29, v27 :: v_dual_fmac_f32 v30, 0xb102e308, v24
	v_dual_add_f32 v24, v25, v27 :: v_dual_add_f32 v25, v31, v30
	s_delay_alu instid0(VALU_DEP_1) | instskip(NEXT) | instid1(VALU_DEP_1)
	v_add_f32_e32 v27, v28, v24
	v_dual_add_f32 v29, v25, v27 :: v_dual_sub_f32 v28, v27, v28
	s_delay_alu instid0(VALU_DEP_1) | instskip(NEXT) | instid1(VALU_DEP_2)
	v_sub_f32_e32 v32, v29, v25
	v_dual_sub_f32 v31, v25, v31 :: v_dual_sub_f32 v24, v24, v28
	s_delay_alu instid0(VALU_DEP_1) | instskip(SKIP_1) | instid1(VALU_DEP_2)
	v_dual_sub_f32 v33, v29, v32 :: v_dual_sub_f32 v30, v30, v31
	v_sub_f32_e32 v27, v27, v32
	v_dual_sub_f32 v25, v25, v33 :: v_dual_add_f32 v28, v30, v24
	s_delay_alu instid0(VALU_DEP_1) | instskip(NEXT) | instid1(VALU_DEP_2)
	v_add_f32_e32 v25, v27, v25
	v_sub_f32_e32 v27, v28, v30
	s_delay_alu instid0(VALU_DEP_2) | instskip(NEXT) | instid1(VALU_DEP_2)
	v_add_f32_e32 v25, v28, v25
	v_sub_f32_e32 v28, v28, v27
	s_delay_alu instid0(VALU_DEP_2) | instskip(NEXT) | instid1(VALU_DEP_1)
	v_dual_sub_f32 v24, v24, v27 :: v_dual_add_f32 v31, v29, v25
	v_dual_sub_f32 v28, v30, v28 :: v_dual_sub_f32 v27, v31, v29
	s_delay_alu instid0(VALU_DEP_1) | instskip(NEXT) | instid1(VALU_DEP_1)
	v_dual_add_f32 v24, v24, v28 :: v_dual_sub_f32 v25, v25, v27
	v_add_f32_e32 v24, v24, v25
	s_delay_alu instid0(VALU_DEP_1) | instskip(NEXT) | instid1(VALU_DEP_1)
	v_add_f32_e32 v24, v31, v24
	v_cndmask_b32_e32 v106, v24, v26, vcc_lo
.LBB17_52:                              ;   in Loop: Header=BB17_12 Depth=1
	s_or_b32 exec_lo, exec_lo, s15
	v_and_b32_e32 v31, 0xffff0000, v23
	v_lshlrev_b32_e32 v30, 16, v16
	v_and_b32_e32 v38, 0xffff0000, v20
	v_and_b32_e32 v36, 0xffff0000, v21
	v_lshlrev_b32_e32 v39, 16, v20
	v_dual_mul_f32 v95, s57, v31 :: v_dual_lshlrev_b32 v28, 16, v17
	v_mul_f32_e32 v91, s57, v30
	v_and_b32_e32 v27, 0xffff0000, v17
	v_mul_f32_e32 v103, s57, v38
	v_dual_mul_f32 v100, s57, v36 :: v_dual_lshlrev_b32 v35, 16, v22
	v_mul_f32_e32 v88, s57, v28
	s_delay_alu instid0(VALU_DEP_4) | instskip(SKIP_1) | instid1(VALU_DEP_4)
	v_dual_mul_f32 v89, s57, v27 :: v_dual_lshlrev_b32 v26, 16, v18
	v_lshlrev_b32_e32 v24, 16, v19
	v_dual_mul_f32 v98, s57, v35 :: v_dual_lshlrev_b32 v37, 16, v21
	s_delay_alu instid0(VALU_DEP_3) | instskip(NEXT) | instid1(VALU_DEP_3)
	v_mul_f32_e32 v85, s57, v26
	v_dual_mul_f32 v84, s57, v24 :: v_dual_and_b32 v25, 0xffff0000, v18
	s_delay_alu instid0(VALU_DEP_3) | instskip(NEXT) | instid1(VALU_DEP_2)
	v_dual_mul_f32 v99, s57, v37 :: v_dual_lshlrev_b32 v32, 16, v23
	v_dual_mul_f32 v86, s57, v25 :: v_dual_and_b32 v29, 0xffff0000, v16
	s_delay_alu instid0(VALU_DEP_2) | instskip(SKIP_1) | instid1(VALU_DEP_3)
	v_dual_mul_f32 v94, s57, v32 :: v_dual_and_b32 v33, 0xffff0000, v22
	v_and_b32_e32 v34, 0xffff0000, v19
	v_mul_f32_e32 v92, s57, v29
	s_delay_alu instid0(VALU_DEP_3) | instskip(SKIP_1) | instid1(VALU_DEP_3)
	v_dual_mul_f32 v102, s57, v39 :: v_dual_mul_f32 v97, s57, v33
	s_lshl_b32 s38, s71, 10
	v_mul_f32_e32 v87, s57, v34
	s_and_b32 vcc_lo, exec_lo, s67
	s_barrier
	buffer_gl0_inv
	s_cbranch_vccz .LBB17_84
; %bb.53:                               ;   in Loop: Header=BB17_12 Depth=1
	v_dual_mul_f32 v107, v106, v34 :: v_dual_mul_f32 v112, v105, v24
	v_add_co_u32 v34, s14, s49, v73
	s_delay_alu instid0(VALU_DEP_1) | instskip(SKIP_1) | instid1(VALU_DEP_1)
	v_add_co_ci_u32_e64 v40, null, s50, 0, s14
	v_add_co_u32 v41, s14, s37, v73
	v_add_co_ci_u32_e64 v111, null, s61, 0, s14
	s_delay_alu instid0(VALU_DEP_4) | instskip(NEXT) | instid1(VALU_DEP_4)
	v_add_co_u32 v108, vcc_lo, v34, v74
	v_add_co_ci_u32_e32 v109, vcc_lo, 0, v40, vcc_lo
	s_delay_alu instid0(VALU_DEP_4)
	v_add_co_u32 v110, vcc_lo, v41, v74
	s_sub_i32 s25, s34, s38
	v_add_co_ci_u32_e32 v111, vcc_lo, 0, v111, vcc_lo
	v_cmp_gt_u32_e32 vcc_lo, s25, v48
	s_cmp_lg_u32 s71, 0
	v_cmp_gt_u32_e64 s16, s25, v59
	s_cselect_b32 s39, -1, 0
	s_cmp_eq_u32 s71, s69
	v_cmp_gt_u32_e64 s17, s25, v60
	s_cselect_b32 s72, -1, 0
	s_or_b32 s14, s68, vcc_lo
	v_cmp_gt_u32_e32 vcc_lo, s25, v58
	v_cmp_gt_u32_e64 s18, s25, v61
	v_cmp_gt_u32_e64 s19, s25, v62
	;; [unrolled: 1-line block ×4, first 2 shown]
	s_or_b32 s15, s68, vcc_lo
	v_cmp_gt_u32_e32 vcc_lo, s25, v63
	v_cmp_gt_u32_e64 s23, s25, v66
	v_cmp_gt_u32_e64 s24, s25, v67
	;; [unrolled: 1-line block ×4, first 2 shown]
	s_or_b32 s20, s68, vcc_lo
	v_cmp_gt_u32_e32 vcc_lo, s25, v68
	v_cmp_gt_u32_e64 s28, s25, v71
	v_cmp_gt_u32_e64 s29, s25, v72
	v_dual_mul_f32 v113, v104, v25 :: v_dual_mul_f32 v114, v101, v26
	v_dual_mul_f32 v115, v96, v27 :: v_dual_mul_f32 v116, v93, v28
	;; [unrolled: 1-line block ×7, first 2 shown]
	s_mov_b32 s52, 0
	s_or_b32 s16, s68, s16
	s_or_b32 s17, s68, s17
	;; [unrolled: 1-line block ×8, first 2 shown]
	s_or_b32 s25, s68, vcc_lo
	s_or_b32 s26, s68, s26
	s_or_b32 s27, s68, s27
	;; [unrolled: 1-line block ×4, first 2 shown]
	s_mov_b32 s40, s52
	s_mov_b32 s42, s52
	;; [unrolled: 1-line block ×5, first 2 shown]
	s_branch .LBB17_55
.LBB17_54:                              ;   in Loop: Header=BB17_55 Depth=2
	s_or_b32 exec_lo, exec_lo, s30
	v_cndmask_b32_e64 v33, v156, v35, s13
	v_cndmask_b32_e64 v34, v155, v34, s13
	s_add_i32 s73, s73, -1
	s_add_i32 s74, s74, 8
	s_add_i32 s46, s46, s62
	v_fma_f32 v33, v33, v130, v129
	v_mul_f32_e32 v34, v34, v130
	s_add_i32 s42, s42, s36
	s_add_i32 s40, s40, s48
	s_add_i32 s52, s52, s45
	v_cndmask_b32_e64 v33, v33, v129, s12
	v_cndmask_b32_e64 v34, v34, v130, s12
	s_cmp_eq_u32 s73, 0
	v_and_b32_e32 v35, 0xffff0000, v30
	s_waitcnt lgkmcnt(0)
	s_delay_alu instid0(VALU_DEP_2) | instskip(SKIP_1) | instid1(VALU_DEP_2)
	v_dual_fmac_f32 v33, v32, v34 :: v_dual_and_b32 v32, 0xffff0000, v28
	v_lshlrev_b32_e32 v28, 16, v28
	v_fmac_f32_e32 v36, v33, v132
	s_delay_alu instid0(VALU_DEP_1) | instskip(NEXT) | instid1(VALU_DEP_1)
	v_fmac_f32_e32 v37, v36, v133
	v_fmac_f32_e32 v38, v37, v135
	s_delay_alu instid0(VALU_DEP_1) | instskip(SKIP_3) | instid1(VALU_DEP_4)
	v_dual_fmac_f32 v102, v33, v28 :: v_dual_fmac_f32 v39, v38, v138
	v_dual_fmac_f32 v103, v36, v32 :: v_dual_and_b32 v34, 0xffff0000, v29
	v_lshlrev_b32_e32 v29, 16, v29
	v_and_b32_e32 v40, 0xffff0000, v31
	v_fmac_f32_e32 v127, v39, v139
	v_lshlrev_b32_e32 v31, 16, v31
	s_delay_alu instid0(VALU_DEP_4) | instskip(NEXT) | instid1(VALU_DEP_3)
	v_dual_fmac_f32 v99, v37, v29 :: v_dual_and_b32 v130, 0xffff0000, v26
	v_dual_fmac_f32 v100, v38, v34 :: v_dual_fmac_f32 v97, v127, v35
	v_fmac_f32_e32 v128, v127, v140
	s_delay_alu instid0(VALU_DEP_1) | instskip(SKIP_1) | instid1(VALU_DEP_2)
	v_dual_fmac_f32 v131, v128, v141 :: v_dual_and_b32 v132, 0xffff0000, v27
	v_lshlrev_b32_e32 v27, 16, v27
	v_fmac_f32_e32 v134, v131, v143
	v_fmac_f32_e32 v95, v131, v40
	s_delay_alu instid0(VALU_DEP_2) | instskip(NEXT) | instid1(VALU_DEP_1)
	v_fmac_f32_e32 v136, v134, v144
	v_dual_fmac_f32 v137, v136, v145 :: v_dual_lshlrev_b32 v30, 16, v30
	s_delay_alu instid0(VALU_DEP_1) | instskip(SKIP_1) | instid1(VALU_DEP_2)
	v_dual_fmac_f32 v142, v137, v153 :: v_dual_and_b32 v41, 0xffff0000, v24
	v_and_b32_e32 v129, 0xffff0000, v25
	v_dual_fmac_f32 v146, v142, v148 :: v_dual_lshlrev_b32 v25, 16, v25
	s_delay_alu instid0(VALU_DEP_1) | instskip(SKIP_1) | instid1(VALU_DEP_2)
	v_dual_fmac_f32 v147, v146, v150 :: v_dual_lshlrev_b32 v24, 16, v24
	v_lshlrev_b32_e32 v26, 16, v26
	v_dual_fmac_f32 v98, v39, v30 :: v_dual_fmac_f32 v91, v134, v24
	s_delay_alu instid0(VALU_DEP_3) | instskip(SKIP_1) | instid1(VALU_DEP_4)
	v_dual_fmac_f32 v89, v142, v129 :: v_dual_fmac_f32 v86, v147, v130
	v_dual_fmac_f32 v149, v147, v152 :: v_dual_fmac_f32 v94, v128, v31
	v_dual_fmac_f32 v92, v136, v41 :: v_dual_fmac_f32 v85, v146, v26
	s_delay_alu instid0(VALU_DEP_2) | instskip(SKIP_1) | instid1(VALU_DEP_2)
	v_fmac_f32_e32 v151, v149, v154
	v_fmac_f32_e32 v88, v137, v25
	v_dual_fmac_f32 v84, v149, v27 :: v_dual_fmac_f32 v87, v151, v132
	s_cbranch_scc1 .LBB17_84
.LBB17_55:                              ;   Parent Loop BB17_12 Depth=1
                                        ; =>  This Inner Loop Header: Depth=2
	s_lshl_b64 s[30:31], s[52:53], 2
	s_mov_b32 s41, s53
	s_add_u32 s30, s59, s30
	s_addc_u32 s31, s60, s31
	s_lshl_b64 s[76:77], s[40:41], 1
	s_mov_b32 s43, s53
	v_add_co_u32 v28, vcc_lo, v108, s76
	v_add_co_ci_u32_e32 v29, vcc_lo, s77, v109, vcc_lo
	s_lshl_b64 s[76:77], s[42:43], 1
	s_clause 0x1
	global_load_b128 v[24:27], v[28:29], off
	global_load_b128 v[28:31], v[28:29], off offset:512
	v_add_co_u32 v32, vcc_lo, v110, s76
	v_add_co_ci_u32_e32 v33, vcc_lo, s77, v111, vcc_lo
	global_load_b32 v127, v42, s[30:31]
	s_and_not1_b32 vcc_lo, exec_lo, s39
	s_waitcnt vmcnt(2)
	ds_store_b128 v43, v[24:27]
	s_waitcnt vmcnt(1)
	ds_store_b128 v44, v[28:31] offset:512
	; wave barrier
	s_clause 0x1
	global_load_b128 v[24:27], v[32:33], off
	global_load_b128 v[28:31], v[32:33], off offset:512
	ds_load_b128 v[36:39], v45
	ds_load_b128 v[32:35], v45 offset:16
	s_waitcnt vmcnt(1)
	ds_store_b128 v43, v[24:27] offset:2112
	s_waitcnt vmcnt(0)
	ds_store_b128 v46, v[28:31] offset:512
	; wave barrier
	ds_load_b128 v[28:31], v45 offset:2112
	ds_load_b128 v[24:27], v47 offset:16
	s_cbranch_vccnz .LBB17_57
; %bb.56:                               ;   in Loop: Header=BB17_55 Depth=2
	v_mov_b32_e32 v40, s74
	ds_load_b64 v[40:41], v40
	s_cbranch_execz .LBB17_58
	s_branch .LBB17_61
.LBB17_57:                              ;   in Loop: Header=BB17_55 Depth=2
                                        ; implicit-def: $vgpr40
.LBB17_58:                              ;   in Loop: Header=BB17_55 Depth=2
	s_waitcnt lgkmcnt(0)
	v_mov_b32_e32 v41, 0
	s_and_not1_b32 vcc_lo, exec_lo, s33
	s_cbranch_vccnz .LBB17_60
; %bb.59:                               ;   in Loop: Header=BB17_55 Depth=2
	s_mov_b32 s47, s53
	s_delay_alu instid0(SALU_CYCLE_1) | instskip(NEXT) | instid1(SALU_CYCLE_1)
	s_lshl_b64 s[30:31], s[46:47], 1
	s_add_u32 s30, s63, s30
	s_addc_u32 s31, s64, s31
	global_load_u16 v40, v42, s[30:31]
	s_waitcnt vmcnt(0)
	v_lshlrev_b32_e32 v41, 16, v40
.LBB17_60:                              ;   in Loop: Header=BB17_55 Depth=2
	v_mov_b32_e32 v40, 1.0
.LBB17_61:                              ;   in Loop: Header=BB17_55 Depth=2
	s_waitcnt lgkmcnt(5)
	v_dual_mul_f32 v149, 0x3fb8aa3b, v127 :: v_dual_lshlrev_b32 v128, 16, v37
	v_lshlrev_b32_e32 v127, 16, v36
	v_and_b32_e32 v36, 0xffff0000, v36
	v_and_b32_e32 v131, 0xffff0000, v37
	s_delay_alu instid0(VALU_DEP_4) | instskip(SKIP_3) | instid1(VALU_DEP_3)
	v_dual_mul_f32 v37, v149, v75 :: v_dual_and_b32 v136, 0xffff0000, v38
	v_mul_f32_e32 v130, v149, v78
	s_waitcnt lgkmcnt(4)
	v_dual_mul_f32 v127, v126, v127 :: v_dual_lshlrev_b32 v142, 16, v32
	v_cmp_gt_f32_e32 vcc_lo, 0xc2fc0000, v37
	v_dual_mul_f32 v143, v149, v93 :: v_dual_lshlrev_b32 v146, 16, v34
	s_delay_alu instid0(VALU_DEP_3)
	v_mul_f32_e32 v142, v118, v142
	v_mul_f32_e32 v152, v149, v104
	v_cndmask_b32_e64 v37, 0, 0x42800000, vcc_lo
	v_lshlrev_b32_e32 v134, 16, v38
	v_mul_f32_e32 v38, v149, v76
	v_cndmask_b32_e64 v129, 1.0, 0x1f800000, vcc_lo
	v_mul_f32_e32 v154, v149, v106
	v_fmac_f32_e32 v37, v149, v75
	v_mul_f32_e32 v36, v125, v36
	v_cmp_gt_f32_e64 s30, 0xc2fc0000, v38
	v_mul_f32_e32 v128, v124, v128
	s_delay_alu instid0(VALU_DEP_4) | instskip(SKIP_1) | instid1(VALU_DEP_3)
	v_exp_f32_e32 v37, v37
	v_and_b32_e32 v140, 0xffff0000, v39
	v_cndmask_b32_e64 v38, 0, 0x42800000, s30
	v_lshlrev_b32_e32 v137, 16, v39
	v_mul_f32_e32 v39, v149, v77
	v_mul_f32_e32 v136, v121, v136
	v_cndmask_b32_e64 v36, 0, v36, s15
	v_fmac_f32_e32 v38, v149, v76
	v_mul_f32_e32 v141, v149, v83
	v_cmp_gt_f32_e32 vcc_lo, 0xc2fc0000, v39
	v_mul_f32_e32 v37, v37, v129
	v_cndmask_b32_e64 v129, 0, v127, s14
	v_exp_f32_e32 v38, v38
	v_cndmask_b32_e64 v127, 1.0, 0x1f800000, s30
	v_cndmask_b32_e64 v39, 0, 0x42800000, vcc_lo
	v_cmp_gt_f32_e64 s30, 0xc2fc0000, v130
	v_and_b32_e32 v32, 0xffff0000, v32
	v_lshlrev_b32_e32 v144, 16, v33
	v_cndmask_b32_e64 v130, 1.0, v37, s14
	v_fmac_f32_e32 v39, v149, v77
	v_cndmask_b32_e64 v132, 0, 0x42800000, s30
	v_lshlrev_b32_e32 v151, 16, v35
	v_mul_f32_e32 v37, v38, v127
	v_and_b32_e32 v35, 0xffff0000, v35
	v_exp_f32_e32 v38, v39
	v_fmac_f32_e32 v132, v149, v78
	v_mul_f32_e32 v39, v149, v79
	v_cndmask_b32_e64 v127, 1.0, 0x1f800000, vcc_lo
	v_dual_mul_f32 v32, v117, v32 :: v_dual_and_b32 v33, 0xffff0000, v33
	v_mul_f32_e32 v151, v112, v151
	v_exp_f32_e32 v135, v132
	v_cmp_gt_f32_e32 vcc_lo, 0xc2fc0000, v39
	v_cndmask_b32_e64 v132, 1.0, v37, s15
	s_delay_alu instid0(TRANS32_DEP_2)
	v_mul_f32_e32 v38, v38, v127
	v_cndmask_b32_e64 v127, 1.0, 0x1f800000, s30
	v_cndmask_b32_e64 v37, 0, v128, s16
	v_cndmask_b32_e64 v39, 0, 0x42800000, vcc_lo
	v_mul_f32_e32 v128, v149, v80
	v_and_b32_e32 v34, 0xffff0000, v34
	v_cndmask_b32_e64 v133, 1.0, v38, s16
	v_mul_f32_e32 v127, v135, v127
	v_fmac_f32_e32 v39, v149, v79
	v_cmp_gt_f32_e64 s30, 0xc2fc0000, v128
	v_dual_mul_f32 v38, v123, v131 :: v_dual_mul_f32 v131, v149, v81
	s_delay_alu instid0(VALU_DEP_4) | instskip(NEXT) | instid1(VALU_DEP_4)
	v_cndmask_b32_e64 v135, 1.0, v127, s17
	v_exp_f32_e32 v39, v39
	s_delay_alu instid0(VALU_DEP_3)
	v_cndmask_b32_e64 v128, 0, 0x42800000, s30
	v_cndmask_b32_e64 v127, 1.0, 0x1f800000, vcc_lo
	v_cmp_gt_f32_e32 vcc_lo, 0xc2fc0000, v131
	v_cndmask_b32_e64 v139, 1.0, 0x1f800000, s30
	v_fma_f32 v150, v132, v129, v36
	v_fmac_f32_e32 v128, v149, v80
	v_mul_f32_e32 v34, v113, v34
	v_cndmask_b32_e64 v131, 0, 0x42800000, vcc_lo
	v_mul_f32_e32 v33, v115, v33
	v_mul_f32_e32 v127, v39, v127
	v_exp_f32_e32 v128, v128
	v_mul_f32_e32 v39, v122, v134
	v_fmac_f32_e32 v131, v149, v81
	v_cndmask_b32_e64 v38, 0, v38, s17
	v_dual_mul_f32 v35, v107, v35 :: v_dual_mul_f32 v146, v114, v146
	s_delay_alu instid0(VALU_DEP_4)
	v_cndmask_b32_e64 v39, 0, v39, s18
	s_waitcnt_depctr 0xfff
	v_mul_f32_e32 v128, v128, v139
	v_exp_f32_e32 v131, v131
	v_mul_f32_e32 v138, v149, v82
	v_cndmask_b32_e64 v146, 0, v146, s26
	s_delay_alu instid0(VALU_DEP_3) | instskip(SKIP_1) | instid1(VALU_DEP_4)
	v_cndmask_b32_e64 v139, 1.0, v128, s19
	v_mul_f32_e32 v128, v120, v137
	v_cmp_gt_f32_e64 s31, 0xc2fc0000, v138
	v_cndmask_b32_e64 v138, 1.0, v127, s18
	v_cndmask_b32_e64 v127, 0, v136, s19
	v_cndmask_b32_e64 v136, 1.0, 0x1f800000, vcc_lo
	v_cmp_gt_f32_e32 vcc_lo, 0xc2fc0000, v141
	v_cndmask_b32_e64 v134, 0, 0x42800000, s31
	v_mul_f32_e32 v141, v119, v140
	v_cndmask_b32_e64 v128, 0, v128, s20
	v_mul_f32_e32 v131, v131, v136
	v_cndmask_b32_e64 v136, 1.0, 0x1f800000, s31
	v_fmac_f32_e32 v134, v149, v82
	v_cndmask_b32_e64 v137, 0, 0x42800000, vcc_lo
	v_cmp_gt_f32_e64 s31, 0xc2fc0000, v143
	v_cndmask_b32_e64 v140, 1.0, v131, s20
	v_cndmask_b32_e64 v131, 0, v141, s21
	v_exp_f32_e32 v134, v134
	v_fmac_f32_e32 v137, v149, v83
	v_cndmask_b32_e64 v145, 1.0, 0x1f800000, vcc_lo
	s_waitcnt_depctr 0xfff
	v_mul_f32_e32 v134, v134, v136
	v_mul_f32_e32 v136, v149, v90
	s_delay_alu instid0(VALU_DEP_2) | instskip(NEXT) | instid1(VALU_DEP_2)
	v_cndmask_b32_e64 v141, 1.0, v134, s21
	v_cmp_gt_f32_e64 s30, 0xc2fc0000, v136
	v_exp_f32_e32 v134, v137
	v_cndmask_b32_e64 v137, 0, 0x42800000, s31
	s_delay_alu instid0(VALU_DEP_2) | instskip(NEXT) | instid1(VALU_DEP_2)
	v_cndmask_b32_e64 v136, 0, 0x42800000, s30
	v_fmac_f32_e32 v137, v149, v93
	s_delay_alu instid0(VALU_DEP_2) | instskip(NEXT) | instid1(VALU_DEP_1)
	v_fmac_f32_e32 v136, v149, v90
	v_exp_f32_e32 v136, v136
	v_mul_f32_e32 v143, v149, v96
	s_delay_alu instid0(VALU_DEP_1) | instskip(NEXT) | instid1(TRANS32_DEP_2)
	v_cmp_gt_f32_e32 vcc_lo, 0xc2fc0000, v143
	v_mul_f32_e32 v143, v134, v145
	v_cndmask_b32_e64 v134, 0, v142, s22
	v_cndmask_b32_e64 v142, 1.0, 0x1f800000, s30
	v_cndmask_b32_e64 v145, 1.0, 0x1f800000, s31
	v_cndmask_b32_e64 v147, 0, 0x42800000, vcc_lo
	v_cndmask_b32_e64 v148, 1.0, 0x1f800000, vcc_lo
	v_cmp_gt_f32_e64 s30, 0xc2fc0000, v152
	v_mul_f32_e32 v142, v136, v142
	v_cndmask_b32_e64 v136, 0, v32, s23
	v_fmac_f32_e32 v147, v149, v96
	v_mul_f32_e32 v32, v116, v144
	v_exp_f32_e32 v137, v137
	v_cndmask_b32_e64 v144, 1.0, v142, s23
	v_mul_f32_e32 v142, v149, v101
	v_exp_f32_e32 v147, v147
	v_cndmask_b32_e64 v152, 1.0, 0x1f800000, s30
	v_cndmask_b32_e64 v143, 1.0, v143, s22
	s_delay_alu instid0(VALU_DEP_3) | instskip(SKIP_1) | instid1(TRANS32_DEP_2)
	v_cmp_gt_f32_e32 vcc_lo, 0xc2fc0000, v142
	v_cndmask_b32_e64 v142, 0, v33, s25
	v_mul_f32_e32 v145, v137, v145
	v_cndmask_b32_e64 v137, 0, v32, s24
	s_delay_alu instid0(TRANS32_DEP_1) | instskip(SKIP_3) | instid1(VALU_DEP_4)
	v_mul_f32_e32 v32, v147, v148
	v_cndmask_b32_e64 v147, 0, 0x42800000, vcc_lo
	v_mul_f32_e32 v148, v132, v130
	v_cndmask_b32_e64 v145, 1.0, v145, s24
	v_cndmask_b32_e64 v153, 1.0, v32, s25
	s_delay_alu instid0(VALU_DEP_4) | instskip(NEXT) | instid1(VALU_DEP_4)
	v_fmac_f32_e32 v147, v149, v101
	v_mul_f32_e32 v33, v148, v133
	v_fma_f32 v148, v150, v133, v37
	v_cndmask_b32_e64 v150, 0, 0x42800000, s30
	v_cndmask_b32_e64 v32, 1.0, 0x1f800000, vcc_lo
	v_exp_f32_e32 v147, v147
	v_mul_f32_e32 v33, v33, v135
	v_fma_f32 v148, v148, v135, v38
	v_fmac_f32_e32 v150, v149, v104
	v_cmp_gt_f32_e64 s30, 0xc2fc0000, v154
	s_delay_alu instid0(VALU_DEP_3) | instskip(NEXT) | instid1(VALU_DEP_3)
	v_fma_f32 v148, v148, v138, v39
	v_exp_f32_e32 v150, v150
	s_delay_alu instid0(TRANS32_DEP_2) | instskip(NEXT) | instid1(VALU_DEP_2)
	v_dual_mul_f32 v32, v147, v32 :: v_dual_mul_f32 v33, v33, v138
	v_fma_f32 v147, v148, v139, v127
	s_delay_alu instid0(VALU_DEP_2) | instskip(SKIP_2) | instid1(VALU_DEP_1)
	v_cndmask_b32_e64 v148, 1.0, v32, s26
	s_waitcnt_depctr 0xfff
	v_dual_mul_f32 v150, v150, v152 :: v_dual_mul_f32 v33, v33, v139
	v_cndmask_b32_e64 v150, 1.0, v150, s27
	s_delay_alu instid0(VALU_DEP_2) | instskip(SKIP_1) | instid1(VALU_DEP_2)
	v_mul_f32_e32 v32, v33, v140
	v_fma_f32 v33, v147, v140, v128
	v_mul_f32_e32 v32, v32, v141
	v_mul_f32_e32 v147, v149, v105
	s_delay_alu instid0(VALU_DEP_3) | instskip(NEXT) | instid1(VALU_DEP_3)
	v_fma_f32 v33, v33, v141, v131
	v_mul_f32_e32 v32, v32, v143
	s_delay_alu instid0(VALU_DEP_3) | instskip(NEXT) | instid1(VALU_DEP_3)
	v_cmp_gt_f32_e32 vcc_lo, 0xc2fc0000, v147
	v_fma_f32 v33, v33, v143, v134
	v_cndmask_b32_e64 v147, 0, v34, s27
	v_cndmask_b32_e64 v34, 0, 0x42800000, s30
	v_mul_f32_e32 v32, v32, v144
	v_cndmask_b32_e64 v152, 0, 0x42800000, vcc_lo
	v_fma_f32 v33, v33, v144, v136
	s_delay_alu instid0(VALU_DEP_4) | instskip(NEXT) | instid1(VALU_DEP_4)
	v_fmac_f32_e32 v34, v149, v106
	v_mul_f32_e32 v32, v32, v145
	s_delay_alu instid0(VALU_DEP_4) | instskip(NEXT) | instid1(VALU_DEP_4)
	v_fmac_f32_e32 v152, v149, v105
	v_fma_f32 v33, v33, v145, v137
	v_cndmask_b32_e64 v149, 1.0, 0x1f800000, vcc_lo
	v_exp_f32_e32 v34, v34
	v_mul_f32_e32 v32, v32, v153
	v_exp_f32_e32 v152, v152
	v_fma_f32 v33, v33, v153, v142
	s_delay_alu instid0(VALU_DEP_2) | instskip(NEXT) | instid1(VALU_DEP_2)
	v_mul_f32_e32 v32, v32, v148
	v_fma_f32 v33, v33, v148, v146
	s_delay_alu instid0(VALU_DEP_2)
	v_mul_f32_e32 v32, v32, v150
	s_waitcnt_depctr 0xfff
	v_mul_f32_e32 v152, v152, v149
	v_cndmask_b32_e64 v149, 0, v151, s28
	v_cndmask_b32_e64 v151, 1.0, 0x1f800000, s30
	v_fma_f32 v33, v33, v150, v147
	s_delay_alu instid0(VALU_DEP_4) | instskip(NEXT) | instid1(VALU_DEP_3)
	v_cndmask_b32_e64 v152, 1.0, v152, s28
	v_mul_f32_e32 v34, v34, v151
	v_cndmask_b32_e64 v151, 0, v35, s29
	s_delay_alu instid0(VALU_DEP_3) | instskip(SKIP_1) | instid1(VALU_DEP_4)
	v_mul_f32_e32 v32, v32, v152
	v_fma_f32 v33, v33, v152, v149
	v_cndmask_b32_e64 v154, 1.0, v34, s29
	s_delay_alu instid0(VALU_DEP_1) | instskip(NEXT) | instid1(VALU_DEP_3)
	v_mul_f32_e32 v32, v32, v154
	v_fma_f32 v33, v33, v154, v151
	s_delay_alu instid0(VALU_DEP_2) | instskip(NEXT) | instid1(VALU_DEP_2)
	v_mov_b32_dpp v35, v32 row_shr:1 row_mask:0xf bank_mask:0xf
	v_mov_b32_dpp v34, v33 row_shr:1 row_mask:0xf bank_mask:0xf
	s_and_saveexec_b32 s30, s2
; %bb.62:                               ;   in Loop: Header=BB17_55 Depth=2
	s_delay_alu instid0(VALU_DEP_2) | instskip(NEXT) | instid1(VALU_DEP_1)
	v_mul_f32_e32 v35, v32, v35
	v_dual_fmac_f32 v33, v32, v34 :: v_dual_mov_b32 v32, v35
; %bb.63:                               ;   in Loop: Header=BB17_55 Depth=2
	s_or_b32 exec_lo, exec_lo, s30
	s_delay_alu instid0(VALU_DEP_1) | instskip(NEXT) | instid1(VALU_DEP_2)
	v_mov_b32_dpp v34, v32 row_shr:2 row_mask:0xf bank_mask:0xf
	v_mov_b32_dpp v35, v33 row_shr:2 row_mask:0xf bank_mask:0xf
	s_and_saveexec_b32 s30, s3
; %bb.64:                               ;   in Loop: Header=BB17_55 Depth=2
	s_delay_alu instid0(VALU_DEP_1) | instskip(NEXT) | instid1(VALU_DEP_3)
	v_fmac_f32_e32 v33, v32, v35
	v_mul_f32_e32 v32, v32, v34
; %bb.65:                               ;   in Loop: Header=BB17_55 Depth=2
	s_or_b32 exec_lo, exec_lo, s30
	s_delay_alu instid0(VALU_DEP_1) | instskip(NEXT) | instid1(VALU_DEP_3)
	v_mov_b32_dpp v34, v32 row_shr:4 row_mask:0xf bank_mask:0xf
	v_mov_b32_dpp v35, v33 row_shr:4 row_mask:0xf bank_mask:0xf
	s_and_saveexec_b32 s30, s4
; %bb.66:                               ;   in Loop: Header=BB17_55 Depth=2
	s_delay_alu instid0(VALU_DEP_1) | instskip(NEXT) | instid1(VALU_DEP_3)
	v_fmac_f32_e32 v33, v32, v35
	v_mul_f32_e32 v32, v32, v34
; %bb.67:                               ;   in Loop: Header=BB17_55 Depth=2
	s_or_b32 exec_lo, exec_lo, s30
	s_delay_alu instid0(VALU_DEP_1) | instskip(NEXT) | instid1(VALU_DEP_3)
	v_mov_b32_dpp v34, v32 row_shr:8 row_mask:0xf bank_mask:0xf
	v_mov_b32_dpp v35, v33 row_shr:8 row_mask:0xf bank_mask:0xf
	s_and_saveexec_b32 s30, s5
; %bb.68:                               ;   in Loop: Header=BB17_55 Depth=2
	s_delay_alu instid0(VALU_DEP_1) | instskip(NEXT) | instid1(VALU_DEP_3)
	v_fmac_f32_e32 v33, v32, v35
	v_mul_f32_e32 v32, v32, v34
; %bb.69:                               ;   in Loop: Header=BB17_55 Depth=2
	s_or_b32 exec_lo, exec_lo, s30
	ds_swizzle_b32 v35, v32 offset:swizzle(BROADCAST,32,15)
	ds_swizzle_b32 v34, v33 offset:swizzle(BROADCAST,32,15)
	s_and_saveexec_b32 s30, s6
	s_cbranch_execz .LBB17_71
; %bb.70:                               ;   in Loop: Header=BB17_55 Depth=2
	s_waitcnt lgkmcnt(1)
	v_mul_f32_e32 v35, v32, v35
	s_waitcnt lgkmcnt(0)
	s_delay_alu instid0(VALU_DEP_1)
	v_dual_fmac_f32 v33, v32, v34 :: v_dual_mov_b32 v32, v35
.LBB17_71:                              ;   in Loop: Header=BB17_55 Depth=2
	s_or_b32 exec_lo, exec_lo, s30
	s_and_saveexec_b32 s30, s7
	s_cbranch_execz .LBB17_73
; %bb.72:                               ;   in Loop: Header=BB17_55 Depth=2
	ds_store_b64 v49, v[32:33] offset:4224
.LBB17_73:                              ;   in Loop: Header=BB17_55 Depth=2
	s_or_b32 exec_lo, exec_lo, s30
	s_waitcnt lgkmcnt(0)
	s_waitcnt_vscnt null, 0x0
	s_barrier
	buffer_gl0_inv
	s_and_saveexec_b32 s30, s8
	s_cbranch_execz .LBB17_75
; %bb.74:                               ;   in Loop: Header=BB17_55 Depth=2
	ds_load_b64 v[34:35], v50 offset:4224
	s_waitcnt lgkmcnt(0)
	v_mov_b32_dpp v155, v34 row_shr:1 row_mask:0xf bank_mask:0xf
	v_mov_b32_dpp v156, v35 row_shr:1 row_mask:0xf bank_mask:0xf
	s_delay_alu instid0(VALU_DEP_2) | instskip(NEXT) | instid1(VALU_DEP_2)
	v_mul_f32_e32 v155, v34, v155
	v_fma_f32 v156, v34, v156, v35
	s_delay_alu instid0(VALU_DEP_2) | instskip(NEXT) | instid1(VALU_DEP_2)
	v_cndmask_b32_e64 v34, v155, v34, s9
	v_cndmask_b32_e64 v35, v156, v35, s9
	ds_store_b64 v50, v[34:35] offset:4224
.LBB17_75:                              ;   in Loop: Header=BB17_55 Depth=2
	s_or_b32 exec_lo, exec_lo, s30
	s_waitcnt lgkmcnt(0)
	s_barrier
	buffer_gl0_inv
                                        ; implicit-def: $vgpr35
	s_and_saveexec_b32 s30, s11
	s_cbranch_execz .LBB17_77
; %bb.76:                               ;   in Loop: Header=BB17_55 Depth=2
	ds_load_b64 v[34:35], v49 offset:4216
	s_waitcnt lgkmcnt(0)
	v_mul_f32_e32 v155, v32, v34
	s_delay_alu instid0(VALU_DEP_1)
	v_dual_fmac_f32 v33, v32, v35 :: v_dual_mov_b32 v32, v155
.LBB17_77:                              ;   in Loop: Header=BB17_55 Depth=2
	s_or_b32 exec_lo, exec_lo, s30
	ds_bpermute_b32 v155, v51, v32
	ds_bpermute_b32 v156, v51, v33
	s_and_saveexec_b32 s30, s10
	s_cbranch_execz .LBB17_81
; %bb.78:                               ;   in Loop: Header=BB17_55 Depth=2
	ds_load_b64 v[32:33], v42 offset:4232
	s_and_saveexec_b32 s31, s12
	s_cbranch_execz .LBB17_80
; %bb.79:                               ;   in Loop: Header=BB17_55 Depth=2
	ds_store_b64 v42, v[40:41] offset:4232
.LBB17_80:                              ;   in Loop: Header=BB17_55 Depth=2
	s_or_b32 exec_lo, exec_lo, s31
	s_waitcnt lgkmcnt(0)
	v_fmac_f32_e32 v33, v32, v41
	s_delay_alu instid0(VALU_DEP_1)
	v_dual_mul_f32 v40, v40, v32 :: v_dual_mov_b32 v41, v33
.LBB17_81:                              ;   in Loop: Header=BB17_55 Depth=2
	s_or_b32 exec_lo, exec_lo, s30
	s_waitcnt lgkmcnt(0)
	s_barrier
	buffer_gl0_inv
	ds_load_b32 v32, v42 offset:4236
	s_and_saveexec_b32 s30, s12
	s_cbranch_execz .LBB17_54
; %bb.82:                               ;   in Loop: Header=BB17_55 Depth=2
	v_mov_b32_e32 v33, s74
	s_and_not1_b32 vcc_lo, exec_lo, s72
	ds_store_b64 v33, v[40:41]
	s_cbranch_vccnz .LBB17_54
; %bb.83:                               ;   in Loop: Header=BB17_55 Depth=2
	v_bfe_u32 v33, v41, 16, 1
	v_cmp_o_f32_e32 vcc_lo, v41, v41
	s_mov_b32 s47, s53
	s_delay_alu instid0(SALU_CYCLE_1) | instskip(NEXT) | instid1(VALU_DEP_2)
	s_lshl_b64 s[76:77], s[46:47], 1
	v_add3_u32 v33, v41, v33, 0x7fff
	s_add_u32 s76, s63, s76
	s_addc_u32 s77, s64, s77
	s_delay_alu instid0(VALU_DEP_1) | instskip(NEXT) | instid1(VALU_DEP_1)
	v_lshrrev_b32_e32 v33, 16, v33
	v_cndmask_b32_e32 v33, 0x7fc0, v33, vcc_lo
	global_store_b16 v42, v33, s[76:77]
	s_branch .LBB17_54
.LBB17_84:                              ;   in Loop: Header=BB17_12 Depth=1
	v_bfe_u32 v24, v102, 16, 1
	v_bfe_u32 v25, v103, 16, 1
	v_cmp_o_f32_e32 vcc_lo, v102, v102
	v_bfe_u32 v26, v99, 16, 1
	v_bfe_u32 v28, v97, 16, 1
	v_add3_u32 v24, v102, v24, 0x7fff
	v_add3_u32 v25, v103, v25, 0x7fff
	v_bfe_u32 v31, v94, 16, 1
	v_add3_u32 v26, v99, v26, 0x7fff
	v_bfe_u32 v30, v95, 16, 1
	v_lshrrev_b32_e32 v24, 16, v24
	v_lshrrev_b32_e32 v25, 16, v25
	v_add3_u32 v28, v97, v28, 0x7fff
	v_lshrrev_b32_e32 v26, 16, v26
	v_add3_u32 v31, v94, v31, 0x7fff
	v_cndmask_b32_e32 v24, 0x7fc0, v24, vcc_lo
	v_cmp_o_f32_e32 vcc_lo, v103, v103
	v_add3_u32 v30, v95, v30, 0x7fff
	v_bfe_u32 v27, v100, 16, 1
	v_bfe_u32 v34, v89, 16, 1
	;; [unrolled: 1-line block ×3, first 2 shown]
	v_cndmask_b32_e32 v29, 0x7fc0, v25, vcc_lo
	v_bfe_u32 v25, v98, 16, 1
	v_cmp_o_f32_e32 vcc_lo, v99, v99
	v_lshrrev_b32_e32 v30, 16, v30
	v_add3_u32 v27, v100, v27, 0x7fff
	v_bfe_u32 v36, v87, 16, 1
	v_add3_u32 v25, v98, v25, 0x7fff
	v_cndmask_b32_e32 v32, 0x7fc0, v26, vcc_lo
	v_cmp_o_f32_e32 vcc_lo, v98, v98
	v_lshrrev_b32_e32 v26, 16, v28
	v_lshrrev_b32_e32 v28, 16, v31
	;; [unrolled: 1-line block ×4, first 2 shown]
	v_bfe_u32 v31, v91, 16, 1
	v_add3_u32 v35, v84, v35, 0x7fff
	v_perm_b32 v24, v29, v24, 0x5040100
	v_cndmask_b32_e32 v25, 0x7fc0, v25, vcc_lo
	v_cmp_o_f32_e32 vcc_lo, v94, v94
	s_waitcnt_vscnt null, 0x0
	s_barrier
	buffer_gl0_inv
	s_mov_b32 s39, s53
	v_cndmask_b32_e32 v28, 0x7fc0, v28, vcc_lo
	v_cmp_o_f32_e32 vcc_lo, v95, v95
	s_lshl_b64 s[18:19], s[38:39], 1
	v_cndmask_b32_e32 v30, 0x7fc0, v30, vcc_lo
	v_cmp_o_f32_e32 vcc_lo, v97, v97
	v_cndmask_b32_e32 v26, 0x7fc0, v26, vcc_lo
	v_cmp_o_f32_e32 vcc_lo, v100, v100
	s_delay_alu instid0(VALU_DEP_2)
	v_perm_b32 v26, v26, v25, 0x5040100
	v_cndmask_b32_e32 v33, 0x7fc0, v27, vcc_lo
	v_perm_b32 v27, v30, v28, 0x5040100
	v_add3_u32 v30, v91, v31, 0x7fff
	v_bfe_u32 v31, v88, 16, 1
	v_cmp_o_f32_e32 vcc_lo, v91, v91
	v_perm_b32 v25, v33, v32, 0x5040100
	v_add3_u32 v32, v89, v34, 0x7fff
	v_lshrrev_b32_e32 v30, 16, v30
	v_add3_u32 v31, v88, v31, 0x7fff
	v_bfe_u32 v34, v86, 16, 1
	v_bfe_u32 v28, v92, 16, 1
	s_delay_alu instid0(VALU_DEP_4) | instskip(NEXT) | instid1(VALU_DEP_4)
	v_cndmask_b32_e32 v33, 0x7fc0, v30, vcc_lo
	v_lshrrev_b32_e32 v30, 16, v31
	v_lshrrev_b32_e32 v31, 16, v32
	v_bfe_u32 v32, v85, 16, 1
	v_cmp_o_f32_e32 vcc_lo, v88, v88
	v_add3_u32 v28, v92, v28, 0x7fff
	s_delay_alu instid0(VALU_DEP_3)
	v_add3_u32 v32, v85, v32, 0x7fff
	v_cndmask_b32_e32 v37, 0x7fc0, v30, vcc_lo
	v_cmp_o_f32_e32 vcc_lo, v89, v89
	v_add3_u32 v30, v86, v34, 0x7fff
	v_add3_u32 v34, v87, v36, 0x7fff
	v_lshrrev_b32_e32 v28, 16, v28
	v_cndmask_b32_e32 v36, 0x7fc0, v31, vcc_lo
	v_lshrrev_b32_e32 v31, 16, v32
	v_cmp_o_f32_e32 vcc_lo, v85, v85
	v_lshrrev_b32_e32 v32, 16, v35
	v_lshrrev_b32_e32 v34, 16, v34
	v_lshrrev_b32_e32 v30, 16, v30
	v_perm_b32 v29, v36, v37, 0x5040100
	v_cndmask_b32_e32 v35, 0x7fc0, v31, vcc_lo
	v_cmp_o_f32_e32 vcc_lo, v84, v84
	v_cndmask_b32_e32 v31, 0x7fc0, v32, vcc_lo
	v_cmp_o_f32_e32 vcc_lo, v87, v87
	;; [unrolled: 2-line block ×3, first 2 shown]
	s_delay_alu instid0(VALU_DEP_2) | instskip(SKIP_2) | instid1(VALU_DEP_2)
	v_perm_b32 v31, v32, v31, 0x5040100
	v_cndmask_b32_e32 v30, 0x7fc0, v30, vcc_lo
	v_cmp_o_f32_e32 vcc_lo, v92, v92
	v_perm_b32 v30, v30, v35, 0x5040100
	v_cndmask_b32_e32 v28, 0x7fc0, v28, vcc_lo
	v_add_co_u32 v32, vcc_lo, v52, s18
	s_delay_alu instid0(VALU_DEP_2)
	v_perm_b32 v28, v28, v33, 0x5040100
	ds_store_b128 v45, v[24:27]
	ds_store_b128 v45, v[28:31] offset:16
	; wave barrier
	ds_load_b128 v[24:27], v43
	ds_load_b128 v[28:31], v44 offset:512
	v_add_co_ci_u32_e32 v33, vcc_lo, s19, v53, vcc_lo
	s_waitcnt lgkmcnt(1)
	v_alignbit_b32 v35, v26, v25, 16
	v_alignbit_b32 v26, v27, v26, 16
	;; [unrolled: 1-line block ×3, first 2 shown]
	s_clause 0x3
	global_store_b16 v[32:33], v24, off
	global_store_d16_hi_b16 v[32:33], v27, off offset:14
	global_store_b32 v[32:33], v26, off offset:10
	global_store_b64 v[32:33], v[34:35], off offset:2
	v_add_co_u32 v24, vcc_lo, v54, s18
	v_add_co_ci_u32_e32 v25, vcc_lo, s19, v55, vcc_lo
	s_waitcnt lgkmcnt(0)
	global_store_b128 v[32:33], v[28:31], off offset:512
	s_waitcnt_vscnt null, 0x0
	s_barrier
	buffer_gl0_inv
	s_and_saveexec_b32 s14, s0
	s_cbranch_execz .LBB17_86
; %bb.85:                               ;   in Loop: Header=BB17_12 Depth=1
	global_load_b128 v[4:7], v[24:25], off
.LBB17_86:                              ;   in Loop: Header=BB17_12 Depth=1
	s_or_b32 exec_lo, exec_lo, s14
	s_and_saveexec_b32 s14, s1
	s_cbranch_execz .LBB17_11
; %bb.87:                               ;   in Loop: Header=BB17_12 Depth=1
	global_load_b128 v[0:3], v[24:25], off offset:512
	s_branch .LBB17_11
.LBB17_88:
	s_nop 0
	s_sendmsg sendmsg(MSG_DEALLOC_VGPRS)
	s_endpgm
	.section	.rodata,"a",@progbits
	.p2align	6, 0x0
	.amdhsa_kernel _Z25selective_scan_fwd_kernelI32Selective_Scan_fwd_kernel_traitsILi64ELi16ELi1ELb1ELb1ELb1ELb1ELb0EN3c108BFloat16EfS2_EEv13SSMParamsBase
		.amdhsa_group_segment_fixed_size 0
		.amdhsa_private_segment_fixed_size 0
		.amdhsa_kernarg_size 248
		.amdhsa_user_sgpr_count 14
		.amdhsa_user_sgpr_dispatch_ptr 0
		.amdhsa_user_sgpr_queue_ptr 0
		.amdhsa_user_sgpr_kernarg_segment_ptr 1
		.amdhsa_user_sgpr_dispatch_id 0
		.amdhsa_user_sgpr_private_segment_size 0
		.amdhsa_wavefront_size32 1
		.amdhsa_uses_dynamic_stack 0
		.amdhsa_enable_private_segment 0
		.amdhsa_system_sgpr_workgroup_id_x 1
		.amdhsa_system_sgpr_workgroup_id_y 1
		.amdhsa_system_sgpr_workgroup_id_z 0
		.amdhsa_system_sgpr_workgroup_info 0
		.amdhsa_system_vgpr_workitem_id 0
		.amdhsa_next_free_vgpr 157
		.amdhsa_next_free_sgpr 78
		.amdhsa_reserve_vcc 1
		.amdhsa_float_round_mode_32 0
		.amdhsa_float_round_mode_16_64 0
		.amdhsa_float_denorm_mode_32 3
		.amdhsa_float_denorm_mode_16_64 3
		.amdhsa_dx10_clamp 1
		.amdhsa_ieee_mode 1
		.amdhsa_fp16_overflow 0
		.amdhsa_workgroup_processor_mode 1
		.amdhsa_memory_ordered 1
		.amdhsa_forward_progress 0
		.amdhsa_shared_vgpr_count 0
		.amdhsa_exception_fp_ieee_invalid_op 0
		.amdhsa_exception_fp_denorm_src 0
		.amdhsa_exception_fp_ieee_div_zero 0
		.amdhsa_exception_fp_ieee_overflow 0
		.amdhsa_exception_fp_ieee_underflow 0
		.amdhsa_exception_fp_ieee_inexact 0
		.amdhsa_exception_int_div_zero 0
	.end_amdhsa_kernel
	.section	.text._Z25selective_scan_fwd_kernelI32Selective_Scan_fwd_kernel_traitsILi64ELi16ELi1ELb1ELb1ELb1ELb1ELb0EN3c108BFloat16EfS2_EEv13SSMParamsBase,"axG",@progbits,_Z25selective_scan_fwd_kernelI32Selective_Scan_fwd_kernel_traitsILi64ELi16ELi1ELb1ELb1ELb1ELb1ELb0EN3c108BFloat16EfS2_EEv13SSMParamsBase,comdat
.Lfunc_end17:
	.size	_Z25selective_scan_fwd_kernelI32Selective_Scan_fwd_kernel_traitsILi64ELi16ELi1ELb1ELb1ELb1ELb1ELb0EN3c108BFloat16EfS2_EEv13SSMParamsBase, .Lfunc_end17-_Z25selective_scan_fwd_kernelI32Selective_Scan_fwd_kernel_traitsILi64ELi16ELi1ELb1ELb1ELb1ELb1ELb0EN3c108BFloat16EfS2_EEv13SSMParamsBase
                                        ; -- End function
	.section	.AMDGPU.csdata,"",@progbits
; Kernel info:
; codeLenInByte = 22684
; NumSgprs: 80
; NumVgprs: 157
; ScratchSize: 0
; MemoryBound: 1
; FloatMode: 240
; IeeeMode: 1
; LDSByteSize: 0 bytes/workgroup (compile time only)
; SGPRBlocks: 9
; VGPRBlocks: 19
; NumSGPRsForWavesPerEU: 80
; NumVGPRsForWavesPerEU: 157
; Occupancy: 9
; WaveLimiterHint : 1
; COMPUTE_PGM_RSRC2:SCRATCH_EN: 0
; COMPUTE_PGM_RSRC2:USER_SGPR: 14
; COMPUTE_PGM_RSRC2:TRAP_HANDLER: 0
; COMPUTE_PGM_RSRC2:TGID_X_EN: 1
; COMPUTE_PGM_RSRC2:TGID_Y_EN: 1
; COMPUTE_PGM_RSRC2:TGID_Z_EN: 0
; COMPUTE_PGM_RSRC2:TIDIG_COMP_CNT: 0
	.section	.text._Z25selective_scan_fwd_kernelI32Selective_Scan_fwd_kernel_traitsILi64ELi16ELi1ELb1ELb1ELb1ELb0ELb1EN3c108BFloat16EfS2_EEv13SSMParamsBase,"axG",@progbits,_Z25selective_scan_fwd_kernelI32Selective_Scan_fwd_kernel_traitsILi64ELi16ELi1ELb1ELb1ELb1ELb0ELb1EN3c108BFloat16EfS2_EEv13SSMParamsBase,comdat
	.protected	_Z25selective_scan_fwd_kernelI32Selective_Scan_fwd_kernel_traitsILi64ELi16ELi1ELb1ELb1ELb1ELb0ELb1EN3c108BFloat16EfS2_EEv13SSMParamsBase ; -- Begin function _Z25selective_scan_fwd_kernelI32Selective_Scan_fwd_kernel_traitsILi64ELi16ELi1ELb1ELb1ELb1ELb0ELb1EN3c108BFloat16EfS2_EEv13SSMParamsBase
	.globl	_Z25selective_scan_fwd_kernelI32Selective_Scan_fwd_kernel_traitsILi64ELi16ELi1ELb1ELb1ELb1ELb0ELb1EN3c108BFloat16EfS2_EEv13SSMParamsBase
	.p2align	8
	.type	_Z25selective_scan_fwd_kernelI32Selective_Scan_fwd_kernel_traitsILi64ELi16ELi1ELb1ELb1ELb1ELb0ELb1EN3c108BFloat16EfS2_EEv13SSMParamsBase,@function
_Z25selective_scan_fwd_kernelI32Selective_Scan_fwd_kernel_traitsILi64ELi16ELi1ELb1ELb1ELb1ELb0ELb1EN3c108BFloat16EfS2_EEv13SSMParamsBase: ; @_Z25selective_scan_fwd_kernelI32Selective_Scan_fwd_kernel_traitsILi64ELi16ELi1ELb1ELb1ELb1ELb0ELb1EN3c108BFloat16EfS2_EEv13SSMParamsBase
; %bb.0:
	s_clause 0x2
	s_load_b32 s34, s[0:1], 0x18
	s_load_b128 s[4:7], s[0:1], 0xe0
	s_load_b64 s[10:11], s[0:1], 0xf0
	s_mov_b32 s12, s15
	s_ashr_i32 s15, s14, 31
	s_mov_b32 s47, 0
	s_lshl_b64 s[8:9], s[14:15], 2
	s_waitcnt lgkmcnt(0)
	s_abs_i32 s33, s34
	s_add_u32 s2, s4, s8
	v_cvt_f32_u32_e32 v1, s33
	s_addc_u32 s3, s5, s9
	s_cmp_eq_u64 s[10:11], 0
	s_delay_alu instid0(VALU_DEP_1) | instskip(SKIP_2) | instid1(VALU_DEP_1)
	v_rcp_iflag_f32_e32 v1, v1
	s_waitcnt_depctr 0xfff
	v_mul_f32_e32 v1, 0x4f7ffffe, v1
	v_cvt_u32_f32_e32 v1, v1
	s_delay_alu instid0(VALU_DEP_1)
	v_readfirstlane_b32 s35, v1
	s_cbranch_scc1 .LBB18_2
; %bb.1:
	v_mov_b32_e32 v1, 0
	s_add_u32 s4, s10, s14
	s_addc_u32 s5, s11, s15
	global_load_u8 v1, v1, s[4:5]
	s_waitcnt vmcnt(0)
	v_and_b32_e32 v1, 1, v1
	s_delay_alu instid0(VALU_DEP_1)
	v_cmp_eq_u32_e64 s47, 1, v1
.LBB18_2:
	s_load_b64 s[4:5], s[0:1], 0x20
	s_cmp_eq_u64 s[6:7], 0
	s_cbranch_scc1 .LBB18_4
; %bb.3:
	s_add_u32 s6, s6, s8
	s_addc_u32 s7, s7, s9
	s_load_b32 s14, s[6:7], 0x0
	s_waitcnt lgkmcnt(0)
	s_ashr_i32 s15, s14, 31
.LBB18_4:
	s_waitcnt lgkmcnt(0)
	s_cmp_eq_u64 s[4:5], s[14:15]
	s_cbranch_scc1 .LBB18_236
; %bb.5:
	s_load_b512 s[16:31], s[0:1], 0x88
	s_load_b64 s[10:11], s[2:3], 0x0
	s_mov_b32 s66, 0
	s_mov_b32 s67, 0
	s_waitcnt lgkmcnt(0)
	s_cmp_eq_u64 s[22:23], 0
	s_cbranch_scc1 .LBB18_7
; %bb.6:
	s_ashr_i32 s13, s12, 31
	s_delay_alu instid0(SALU_CYCLE_1) | instskip(NEXT) | instid1(SALU_CYCLE_1)
	s_lshl_b64 s[2:3], s[12:13], 2
	s_add_u32 s2, s22, s2
	s_addc_u32 s3, s23, s3
	s_load_b32 s67, s[2:3], 0x0
.LBB18_7:
	s_cmp_eq_u64 s[28:29], 0
	s_cbranch_scc1 .LBB18_9
; %bb.8:
	s_ashr_i32 s13, s12, 31
	s_delay_alu instid0(SALU_CYCLE_1) | instskip(NEXT) | instid1(SALU_CYCLE_1)
	s_lshl_b64 s[2:3], s[12:13], 2
	s_add_u32 s2, s28, s2
	s_addc_u32 s3, s29, s3
	s_load_b32 s66, s[2:3], 0x0
.LBB18_9:
	s_sub_i32 s68, s11, s10
	s_delay_alu instid0(SALU_CYCLE_1)
	s_cmp_lt_i32 s68, 1
	s_cbranch_scc1 .LBB18_236
; %bb.10:
	s_sub_i32 s2, 0, s33
	s_abs_i32 s5, s12
	s_mul_i32 s4, s2, s35
	s_clause 0x1
	s_load_b64 s[2:3], s[0:1], 0x5c
	s_load_b128 s[56:59], s[0:1], 0x4c
	s_mul_hi_u32 s4, s35, s4
	s_ashr_i32 s7, s34, 31
	s_add_i32 s35, s35, s4
	s_ashr_i32 s4, s12, 31
	s_mul_hi_u32 s6, s5, s35
	s_xor_b32 s7, s4, s7
	s_mul_i32 s8, s6, s33
	s_load_b256 s[48:55], s[0:1], 0x2c
	s_sub_i32 s4, s5, s8
	s_add_i32 s5, s6, 1
	s_sub_i32 s8, s4, s33
	s_cmp_ge_u32 s4, s33
	s_mov_b32 s65, 0
	s_cselect_b32 s5, s5, s6
	s_cselect_b32 s4, s8, s4
	s_add_i32 s6, s5, 1
	s_cmp_ge_u32 s4, s33
	s_load_b128 s[60:63], s[0:1], 0x7c
	s_cselect_b32 s4, s6, s5
	s_waitcnt lgkmcnt(0)
	s_mul_i32 s64, s10, s58
	s_xor_b32 s6, s4, s7
	s_lshl_b64 s[4:5], s[64:65], 1
	s_sub_i32 s6, s6, s7
	s_mul_i32 s64, s59, s12
	s_add_u32 s7, s24, s4
	s_addc_u32 s8, s25, s5
	s_lshl_b64 s[4:5], s[64:65], 1
	s_mul_i32 s64, s10, s2
	s_add_u32 s69, s7, s4
	s_addc_u32 s70, s8, s5
	s_lshl_b64 s[4:5], s[64:65], 1
	;; [unrolled: 4-line block ×3, first 2 shown]
	v_dual_mov_b32 v21, 0 :: v_dual_lshlrev_b32 v18, 4, v0
	s_add_u32 s71, s4, s2
	s_mul_i32 s64, s48, s12
	s_addc_u32 s48, s5, s3
	s_load_b64 s[4:5], s[0:1], 0xc8
	s_lshl_b64 s[2:3], s[64:65], 2
	v_mbcnt_lo_u32_b32 v19, -1, 0
	v_and_b32_e32 v1, 0x200, v18
	s_mul_i32 s64, s10, s50
	s_add_u32 s72, s16, s2
	s_addc_u32 s63, s17, s3
	s_lshl_b64 s[2:3], s[64:65], 1
	s_mul_i32 s64, s6, s53
	s_clause 0x2
	s_load_b64 s[16:17], s[0:1], 0x6c
	s_load_b32 s77, s[0:1], 0xc
	s_load_b32 s0, s[0:1], 0x28
	s_add_u32 s7, s18, s2
	v_or_b32_e32 v20, v19, v1
	s_addc_u32 s8, s19, s3
	s_lshl_b64 s[2:3], s[64:65], 1
	s_mul_i32 s64, s10, s54
	s_add_u32 s53, s7, s2
	s_addc_u32 s73, s8, s3
	s_lshl_b64 s[2:3], s[64:65], 1
	s_mul_i32 s64, s6, s57
	v_or_b32_e32 v24, 0x60, v20
	v_and_b32_e32 v14, 32, v0
	s_add_u32 s7, s20, s2
	s_addc_u32 s6, s21, s3
	s_lshl_b64 s[2:3], s[64:65], 1
	s_mul_i32 s64, s14, s60
	s_add_u32 s57, s7, s2
	s_addc_u32 s74, s6, s3
	s_lshl_b64 s[2:3], s[64:65], 1
	v_or_b32_e32 v26, 0xa0, v20
	v_or_b32_e32 v28, 0xe0, v20
	;; [unrolled: 1-line block ×5, first 2 shown]
	v_lshrrev_b32_e32 v2, 5, v24
	v_or_b32_e32 v36, 0x1e0, v20
	v_or_b32_e32 v16, v19, v14
	s_mul_i32 s64, s61, s12
	s_waitcnt lgkmcnt(0)
	s_add_u32 s4, s4, s2
	s_addc_u32 s5, s5, s3
	s_lshl_b64 s[2:3], s[64:65], 1
	v_or_b32_e32 v23, 64, v20
	s_add_u32 s75, s4, s2
	v_or_b32_e32 v25, 0x80, v20
	v_or_b32_e32 v27, 0xc0, v20
	;; [unrolled: 1-line block ×6, first 2 shown]
	v_and_b32_e32 v2, 18, v2
	v_lshrrev_b32_e32 v5, 5, v26
	v_lshrrev_b32_e32 v8, 5, v28
	;; [unrolled: 1-line block ×6, first 2 shown]
	v_lshrrev_b16 v50, 1, v16
	s_addc_u32 s76, s5, s3
	s_add_i32 s2, s68, 0x7ff
	v_lshrrev_b32_e32 v3, 5, v1
	s_lshr_b32 s78, s2, 11
	s_bitcmp1_b32 s0, 0
	v_lshrrev_b32_e32 v4, 5, v23
	v_lshrrev_b32_e32 v6, 5, v25
	v_add_lshl_u32 v2, v2, v20, 1
	v_and_b32_e32 v5, 20, v5
	v_lshrrev_b32_e32 v7, 5, v27
	v_and_b32_e32 v8, 22, v8
	v_lshrrev_b32_e32 v10, 5, v29
	;; [unrolled: 2-line block ×5, first 2 shown]
	v_and_b32_e32 v51, 30, v49
	v_lshlrev_b32_e32 v16, 4, v16
	v_and_b32_e32 v52, 30, v50
	s_cselect_b32 s79, -1, 0
	s_cmp_gt_i32 s77, 0
	v_add_lshl_u32 v3, v3, v20, 1
	s_cselect_b32 s80, -1, 0
	s_add_i32 s0, 0, 0x840
	v_add_lshl_u32 v4, v4, v20, 1
	v_add_lshl_u32 v6, v6, v20, 1
	v_add_nc_u32_e32 v39, 0, v2
	v_add_lshl_u32 v5, v5, v20, 1
	v_add_lshl_u32 v7, v7, v20, 1
	;; [unrolled: 1-line block ×12, first 2 shown]
	v_add_nc_u32_e32 v55, s0, v2
	v_and_b32_e32 v2, 15, v19
	s_and_b32 s1, s68, 0x3ff
	v_add_nc_u32_e32 v51, 0, v67
	v_add_nc_u32_e32 v53, s0, v3
	;; [unrolled: 1-line block ×15, first 2 shown]
	s_cmp_eq_u32 s1, 0
	v_add_nc_u32_e32 v68, s0, v16
	v_cmp_ne_u32_e64 s0, 0, v2
	v_cmp_lt_u32_e64 s1, 1, v2
	v_cmp_lt_u32_e64 s2, 3, v2
	;; [unrolled: 1-line block ×3, first 2 shown]
	v_add_nc_u32_e32 v2, -1, v19
	v_add_nc_u32_e32 v37, 0, v3
	v_lshrrev_b32_e32 v3, 2, v0
	v_add_nc_u32_e32 v41, 0, v5
	v_or_b32_e32 v5, 31, v14
	v_cmp_gt_i32_e32 vcc_lo, 0, v2
	s_mul_i32 s64, s10, s16
	v_and_b32_e32 v3, 8, v3
	s_cselect_b32 s81, -1, 0
	s_lshl_b64 s[14:15], s[64:65], 1
	v_cndmask_b32_e32 v2, v2, v19, vcc_lo
	s_add_i32 s82, s78, -1
	s_mul_i32 s64, s17, s12
	v_cmp_eq_u32_e64 s5, v5, v0
	v_cmp_gt_u32_e64 s6, 2, v0
	v_lshl_add_u32 v70, v0, 3, 0
	v_cmp_gt_u32_e64 s8, 32, v0
	v_cmp_lt_u32_e64 s9, 31, v0
	v_cmp_eq_u32_e64 s10, 0, v0
	s_add_u32 s11, s30, s14
	v_lshlrev_b32_e32 v0, 1, v19
	s_addc_u32 s14, s31, s15
	s_lshl_b64 s[12:13], s[64:65], 1
	v_add_nc_u32_e32 v69, 0, v3
	v_and_b32_e32 v3, 1, v19
	s_add_u32 s11, s11, s12
	v_lshlrev_b32_e32 v71, 2, v2
	s_addc_u32 s12, s14, s13
	v_lshlrev_b32_e32 v2, 1, v1
	v_add_co_u32 v0, s11, s11, v0
	v_add_nc_u32_e32 v38, 0, v4
	v_and_b32_e32 v4, 16, v19
	v_cmp_eq_u32_e64 s7, 0, v3
	v_add_co_ci_u32_e64 v3, null, s12, 0, s11
	v_add_co_u32 v72, vcc_lo, v0, v2
	v_or_b32_e32 v22, 32, v20
	v_add_nc_u32_e32 v40, 0, v6
	v_add_nc_u32_e32 v42, 0, v7
	;; [unrolled: 1-line block ×11, first 2 shown]
	v_cmp_ne_u32_e64 s4, 0, v4
	v_cmp_eq_u32_e64 s11, 0, v19
	v_add_co_ci_u32_e32 v73, vcc_lo, 0, v3, vcc_lo
	v_or_b32_e32 v74, 1, v18
	v_or_b32_e32 v75, 2, v18
	;; [unrolled: 1-line block ×15, first 2 shown]
	v_lshlrev_b32_e32 v89, 1, v1
	s_mov_b32 s83, 0x3e9b6dac
	s_add_i32 s84, 0, 0x1090
	s_mov_b32 s85, 0
	s_branch .LBB18_12
.LBB18_11:                              ;   in Loop: Header=BB18_12 Depth=1
	s_or_b32 exec_lo, exec_lo, s12
	s_add_u32 s71, s71, 0x800
	s_addc_u32 s48, s48, 0
	s_add_u32 s69, s69, 0x800
	s_addc_u32 s70, s70, 0
	;; [unrolled: 2-line block ×4, first 2 shown]
	s_add_i32 s85, s85, 1
	s_delay_alu instid0(SALU_CYCLE_1)
	s_cmp_eq_u32 s85, s78
	s_cbranch_scc1 .LBB18_236
.LBB18_12:                              ; =>This Loop Header: Depth=1
                                        ;     Child Loop BB18_109 Depth 2
	s_waitcnt lgkmcnt(14)
	v_lshlrev_b32_e32 v16, 1, v19
	s_lshl_b32 s50, s85, 10
	s_waitcnt lgkmcnt(0)
	v_mov_b32_e32 v2, 0
	s_sub_i32 s40, s68, s50
	v_add_co_u32 v0, s12, s69, v16
	s_delay_alu instid0(VALU_DEP_1) | instskip(SKIP_1) | instid1(VALU_DEP_3)
	v_add_co_ci_u32_e64 v1, null, s70, 0, s12
	v_cmp_gt_u32_e64 s12, s40, v20
	v_add_co_u32 v0, vcc_lo, v0, v89
	s_delay_alu instid0(VALU_DEP_3)
	v_add_co_ci_u32_e32 v1, vcc_lo, 0, v1, vcc_lo
	s_waitcnt_vscnt null, 0x0
	s_barrier
	buffer_gl0_inv
	s_and_saveexec_b32 s13, s12
	s_cbranch_execz .LBB18_14
; %bb.13:                               ;   in Loop: Header=BB18_12 Depth=1
	global_load_u16 v2, v[0:1], off
.LBB18_14:                              ;   in Loop: Header=BB18_12 Depth=1
	s_or_b32 exec_lo, exec_lo, s13
	v_cmp_gt_u32_e64 s13, s40, v22
	v_dual_mov_b32 v3, 0 :: v_dual_mov_b32 v4, 0
	s_delay_alu instid0(VALU_DEP_2)
	s_and_saveexec_b32 s14, s13
	s_cbranch_execz .LBB18_16
; %bb.15:                               ;   in Loop: Header=BB18_12 Depth=1
	global_load_u16 v4, v[0:1], off offset:64
.LBB18_16:                              ;   in Loop: Header=BB18_12 Depth=1
	s_or_b32 exec_lo, exec_lo, s14
	v_cmp_gt_u32_e64 s14, s40, v23
	s_delay_alu instid0(VALU_DEP_1)
	s_and_saveexec_b32 s15, s14
	s_cbranch_execz .LBB18_18
; %bb.17:                               ;   in Loop: Header=BB18_12 Depth=1
	global_load_u16 v3, v[0:1], off offset:128
.LBB18_18:                              ;   in Loop: Header=BB18_12 Depth=1
	s_or_b32 exec_lo, exec_lo, s15
	v_cmp_gt_u32_e64 s15, s40, v24
	v_dual_mov_b32 v5, 0 :: v_dual_mov_b32 v6, 0
	s_delay_alu instid0(VALU_DEP_2)
	s_and_saveexec_b32 s16, s15
	s_cbranch_execz .LBB18_20
; %bb.19:                               ;   in Loop: Header=BB18_12 Depth=1
	global_load_u16 v6, v[0:1], off offset:192
.LBB18_20:                              ;   in Loop: Header=BB18_12 Depth=1
	s_or_b32 exec_lo, exec_lo, s16
	v_cmp_gt_u32_e64 s16, s40, v25
	s_delay_alu instid0(VALU_DEP_1)
	s_and_saveexec_b32 s17, s16
	s_cbranch_execz .LBB18_22
; %bb.21:                               ;   in Loop: Header=BB18_12 Depth=1
	global_load_u16 v5, v[0:1], off offset:256
.LBB18_22:                              ;   in Loop: Header=BB18_12 Depth=1
	;; [unrolled: 17-line block ×3, first 2 shown]
	s_or_b32 exec_lo, exec_lo, s19
	v_cmp_gt_u32_e64 s19, s40, v28
	v_mov_b32_e32 v9, 0
	v_mov_b32_e32 v11, 0
	s_delay_alu instid0(VALU_DEP_3)
	s_and_saveexec_b32 s20, s19
	s_cbranch_execz .LBB18_28
; %bb.27:                               ;   in Loop: Header=BB18_12 Depth=1
	global_load_u16 v11, v[0:1], off offset:448
.LBB18_28:                              ;   in Loop: Header=BB18_12 Depth=1
	s_or_b32 exec_lo, exec_lo, s20
	v_cmp_gt_u32_e64 s20, s40, v29
	s_delay_alu instid0(VALU_DEP_1)
	s_and_saveexec_b32 s21, s20
	s_cbranch_execz .LBB18_30
; %bb.29:                               ;   in Loop: Header=BB18_12 Depth=1
	global_load_u16 v9, v[0:1], off offset:512
.LBB18_30:                              ;   in Loop: Header=BB18_12 Depth=1
	s_or_b32 exec_lo, exec_lo, s21
	v_cmp_gt_u32_e64 s21, s40, v30
	v_dual_mov_b32 v12, 0 :: v_dual_mov_b32 v13, 0
	s_delay_alu instid0(VALU_DEP_2)
	s_and_saveexec_b32 s22, s21
	s_cbranch_execz .LBB18_32
; %bb.31:                               ;   in Loop: Header=BB18_12 Depth=1
	global_load_u16 v13, v[0:1], off offset:576
.LBB18_32:                              ;   in Loop: Header=BB18_12 Depth=1
	s_or_b32 exec_lo, exec_lo, s22
	v_cmp_gt_u32_e64 s22, s40, v31
	s_delay_alu instid0(VALU_DEP_1)
	s_and_saveexec_b32 s23, s22
	s_cbranch_execz .LBB18_34
; %bb.33:                               ;   in Loop: Header=BB18_12 Depth=1
	global_load_u16 v12, v[0:1], off offset:640
.LBB18_34:                              ;   in Loop: Header=BB18_12 Depth=1
	s_or_b32 exec_lo, exec_lo, s23
	v_cmp_gt_u32_e64 s23, s40, v32
	v_dual_mov_b32 v14, 0 :: v_dual_mov_b32 v15, 0
	s_delay_alu instid0(VALU_DEP_2)
	;; [unrolled: 17-line block ×4, first 2 shown]
	s_and_saveexec_b32 s28, s27
	s_cbranch_execz .LBB18_44
; %bb.43:                               ;   in Loop: Header=BB18_12 Depth=1
	global_load_u16 v91, v[0:1], off offset:960
.LBB18_44:                              ;   in Loop: Header=BB18_12 Depth=1
	s_or_b32 exec_lo, exec_lo, s28
	s_waitcnt vmcnt(0)
	ds_store_b16 v37, v2
	ds_store_b16 v37, v4 offset:64
	ds_store_b16 v38, v3 offset:128
	;; [unrolled: 1-line block ×15, first 2 shown]
	; wave barrier
	ds_load_b128 v[0:3], v52
	ds_load_b128 v[4:7], v52 offset:16
	v_add_co_u32 v8, s28, s71, v16
	s_delay_alu instid0(VALU_DEP_1) | instskip(SKIP_1) | instid1(VALU_DEP_2)
	v_add_co_ci_u32_e64 v9, null, s48, 0, s28
	s_waitcnt lgkmcnt(0)
	v_add_co_u32 v8, vcc_lo, v8, v89
	s_delay_alu instid0(VALU_DEP_2)
	v_add_co_ci_u32_e32 v9, vcc_lo, 0, v9, vcc_lo
	s_barrier
	buffer_gl0_inv
	s_and_saveexec_b32 s28, s12
	s_cbranch_execz .LBB18_46
; %bb.45:                               ;   in Loop: Header=BB18_12 Depth=1
	global_load_u16 v10, v[8:9], off
.LBB18_46:                              ;   in Loop: Header=BB18_12 Depth=1
	s_or_b32 exec_lo, exec_lo, s28
	v_dual_mov_b32 v11, 0 :: v_dual_mov_b32 v12, 0
	s_and_saveexec_b32 s28, s13
	s_cbranch_execz .LBB18_48
; %bb.47:                               ;   in Loop: Header=BB18_12 Depth=1
	global_load_u16 v12, v[8:9], off offset:64
.LBB18_48:                              ;   in Loop: Header=BB18_12 Depth=1
	s_or_b32 exec_lo, exec_lo, s28
	s_and_saveexec_b32 s28, s14
	s_cbranch_execz .LBB18_50
; %bb.49:                               ;   in Loop: Header=BB18_12 Depth=1
	global_load_u16 v11, v[8:9], off offset:128
.LBB18_50:                              ;   in Loop: Header=BB18_12 Depth=1
	s_or_b32 exec_lo, exec_lo, s28
	v_dual_mov_b32 v13, 0 :: v_dual_mov_b32 v14, 0
	s_and_saveexec_b32 s28, s15
	s_cbranch_execz .LBB18_52
; %bb.51:                               ;   in Loop: Header=BB18_12 Depth=1
	global_load_u16 v14, v[8:9], off offset:192
.LBB18_52:                              ;   in Loop: Header=BB18_12 Depth=1
	s_or_b32 exec_lo, exec_lo, s28
	s_and_saveexec_b32 s28, s16
	s_cbranch_execz .LBB18_54
; %bb.53:                               ;   in Loop: Header=BB18_12 Depth=1
	global_load_u16 v13, v[8:9], off offset:256
.LBB18_54:                              ;   in Loop: Header=BB18_12 Depth=1
	s_or_b32 exec_lo, exec_lo, s28
	v_mov_b32_e32 v15, 0
	v_mov_b32_e32 v17, 0
	s_and_saveexec_b32 s28, s17
	s_cbranch_execz .LBB18_56
; %bb.55:                               ;   in Loop: Header=BB18_12 Depth=1
	global_load_u16 v17, v[8:9], off offset:320
.LBB18_56:                              ;   in Loop: Header=BB18_12 Depth=1
	s_or_b32 exec_lo, exec_lo, s28
	s_and_saveexec_b32 s28, s18
	s_cbranch_execz .LBB18_58
; %bb.57:                               ;   in Loop: Header=BB18_12 Depth=1
	global_load_u16 v15, v[8:9], off offset:384
.LBB18_58:                              ;   in Loop: Header=BB18_12 Depth=1
	s_or_b32 exec_lo, exec_lo, s28
	v_dual_mov_b32 v90, 0 :: v_dual_mov_b32 v91, 0
	s_and_saveexec_b32 s28, s19
	s_cbranch_execz .LBB18_60
; %bb.59:                               ;   in Loop: Header=BB18_12 Depth=1
	global_load_u16 v91, v[8:9], off offset:448
.LBB18_60:                              ;   in Loop: Header=BB18_12 Depth=1
	s_or_b32 exec_lo, exec_lo, s28
	s_and_saveexec_b32 s28, s20
	s_cbranch_execz .LBB18_62
; %bb.61:                               ;   in Loop: Header=BB18_12 Depth=1
	global_load_u16 v90, v[8:9], off offset:512
.LBB18_62:                              ;   in Loop: Header=BB18_12 Depth=1
	s_or_b32 exec_lo, exec_lo, s28
	v_dual_mov_b32 v92, 0 :: v_dual_mov_b32 v93, 0
	;; [unrolled: 13-line block ×4, first 2 shown]
	s_and_saveexec_b32 s28, s25
	s_cbranch_execnz .LBB18_218
; %bb.71:                               ;   in Loop: Header=BB18_12 Depth=1
	s_or_b32 exec_lo, exec_lo, s28
	s_and_saveexec_b32 s28, s26
	s_cbranch_execnz .LBB18_219
.LBB18_72:                              ;   in Loop: Header=BB18_12 Depth=1
	s_or_b32 exec_lo, exec_lo, s28
	v_mov_b32_e32 v98, 0
	s_and_saveexec_b32 s28, s27
	s_cbranch_execz .LBB18_74
.LBB18_73:                              ;   in Loop: Header=BB18_12 Depth=1
	global_load_u16 v98, v[8:9], off offset:960
.LBB18_74:                              ;   in Loop: Header=BB18_12 Depth=1
	s_or_b32 exec_lo, exec_lo, s28
	s_waitcnt vmcnt(0)
	ds_store_b16 v37, v10
	ds_store_b16 v37, v12 offset:64
	ds_store_b16 v38, v11 offset:128
	;; [unrolled: 1-line block ×15, first 2 shown]
	; wave barrier
	ds_load_b128 v[12:15], v52
	ds_load_b128 v[8:11], v52 offset:16
	s_waitcnt lgkmcnt(1)
	v_lshlrev_b32_e32 v17, 16, v12
	s_delay_alu instid0(VALU_DEP_1) | instskip(NEXT) | instid1(VALU_DEP_1)
	v_add_f32_e32 v90, s66, v17
	v_cmp_ge_f32_e32 vcc_lo, 0x41a00000, v90
	s_and_b32 s28, s79, vcc_lo
	s_delay_alu instid0(SALU_CYCLE_1)
	s_and_saveexec_b32 s29, s28
	s_cbranch_execz .LBB18_76
; %bb.75:                               ;   in Loop: Header=BB18_12 Depth=1
	v_mul_f32_e32 v17, 0x3fb8aa3b, v90
	v_cmp_ngt_f32_e32 vcc_lo, 0xc2ce8ed0, v90
	s_delay_alu instid0(VALU_DEP_2) | instskip(SKIP_1) | instid1(VALU_DEP_1)
	v_rndne_f32_e32 v91, v17
	v_fma_f32 v92, 0x3fb8aa3b, v90, -v17
	v_dual_sub_f32 v17, v17, v91 :: v_dual_fmac_f32 v92, 0x32a5705f, v90
	v_cvt_i32_f32_e32 v91, v91
	s_delay_alu instid0(VALU_DEP_2) | instskip(NEXT) | instid1(VALU_DEP_1)
	v_add_f32_e32 v17, v17, v92
	v_exp_f32_e32 v17, v17
	s_waitcnt_depctr 0xfff
	v_ldexp_f32 v17, v17, v91
	s_delay_alu instid0(VALU_DEP_1) | instskip(SKIP_1) | instid1(VALU_DEP_2)
	v_cndmask_b32_e32 v17, 0, v17, vcc_lo
	v_cmp_nlt_f32_e32 vcc_lo, 0x42b17218, v90
	v_cndmask_b32_e32 v17, 0x7f800000, v17, vcc_lo
	s_delay_alu instid0(VALU_DEP_1) | instskip(NEXT) | instid1(VALU_DEP_1)
	v_add_f32_e32 v92, 1.0, v17
	v_cvt_f64_f32_e32 v[90:91], v92
	s_delay_alu instid0(VALU_DEP_1) | instskip(SKIP_1) | instid1(VALU_DEP_1)
	v_frexp_exp_i32_f64_e32 v90, v[90:91]
	v_frexp_mant_f32_e32 v91, v92
	v_cmp_gt_f32_e32 vcc_lo, 0x3f2aaaab, v91
	v_add_f32_e32 v91, -1.0, v92
	s_delay_alu instid0(VALU_DEP_1) | instskip(NEXT) | instid1(VALU_DEP_1)
	v_dual_sub_f32 v94, v91, v92 :: v_dual_sub_f32 v91, v17, v91
	v_add_f32_e32 v94, 1.0, v94
	v_subrev_co_ci_u32_e32 v90, vcc_lo, 0, v90, vcc_lo
	s_delay_alu instid0(VALU_DEP_1) | instskip(SKIP_1) | instid1(VALU_DEP_2)
	v_sub_nc_u32_e32 v93, 0, v90
	v_cvt_f32_i32_e32 v90, v90
	v_ldexp_f32 v92, v92, v93
	v_add_f32_e32 v91, v91, v94
	s_delay_alu instid0(VALU_DEP_1) | instskip(NEXT) | instid1(VALU_DEP_3)
	v_ldexp_f32 v91, v91, v93
	v_add_f32_e32 v95, 1.0, v92
	s_delay_alu instid0(VALU_DEP_1) | instskip(NEXT) | instid1(VALU_DEP_1)
	v_add_f32_e32 v94, -1.0, v95
	v_sub_f32_e32 v94, v92, v94
	v_cmp_eq_f32_e32 vcc_lo, 0x7f800000, v17
	v_cmp_gt_f32_e64 s28, 0x33800000, v17
	s_delay_alu instid0(VALU_DEP_3) | instskip(NEXT) | instid1(VALU_DEP_2)
	v_dual_add_f32 v94, v91, v94 :: v_dual_add_f32 v93, -1.0, v92
	s_or_b32 vcc_lo, s28, vcc_lo
	s_delay_alu instid0(VALU_DEP_1) | instskip(NEXT) | instid1(VALU_DEP_1)
	v_add_f32_e32 v96, 1.0, v93
	v_sub_f32_e32 v92, v92, v96
	s_delay_alu instid0(VALU_DEP_3) | instskip(NEXT) | instid1(VALU_DEP_1)
	v_add_f32_e32 v96, v95, v94
	v_sub_f32_e32 v95, v95, v96
	s_delay_alu instid0(VALU_DEP_3) | instskip(SKIP_1) | instid1(VALU_DEP_2)
	v_add_f32_e32 v91, v91, v92
	v_rcp_f32_e32 v92, v96
	v_add_f32_e32 v94, v94, v95
	s_delay_alu instid0(VALU_DEP_2) | instskip(NEXT) | instid1(VALU_DEP_1)
	v_add_f32_e32 v97, v93, v91
	v_sub_f32_e32 v93, v93, v97
	s_waitcnt_depctr 0xfff
	v_dual_mul_f32 v98, v97, v92 :: v_dual_add_f32 v91, v91, v93
	s_delay_alu instid0(VALU_DEP_1) | instskip(NEXT) | instid1(VALU_DEP_1)
	v_mul_f32_e32 v99, v96, v98
	v_fma_f32 v95, v98, v96, -v99
	s_delay_alu instid0(VALU_DEP_1) | instskip(NEXT) | instid1(VALU_DEP_1)
	v_fmac_f32_e32 v95, v98, v94
	v_add_f32_e32 v100, v99, v95
	s_delay_alu instid0(VALU_DEP_1) | instskip(NEXT) | instid1(VALU_DEP_1)
	v_sub_f32_e32 v101, v97, v100
	v_sub_f32_e32 v97, v97, v101
	;; [unrolled: 1-line block ×3, first 2 shown]
	s_delay_alu instid0(VALU_DEP_2) | instskip(NEXT) | instid1(VALU_DEP_2)
	v_sub_f32_e32 v97, v97, v100
	v_sub_f32_e32 v93, v93, v95
	s_delay_alu instid0(VALU_DEP_2) | instskip(NEXT) | instid1(VALU_DEP_1)
	v_add_f32_e32 v91, v91, v97
	v_add_f32_e32 v91, v93, v91
	s_delay_alu instid0(VALU_DEP_1) | instskip(NEXT) | instid1(VALU_DEP_1)
	v_add_f32_e32 v93, v101, v91
	v_mul_f32_e32 v95, v92, v93
	s_delay_alu instid0(VALU_DEP_1) | instskip(NEXT) | instid1(VALU_DEP_1)
	v_dual_sub_f32 v100, v101, v93 :: v_dual_mul_f32 v97, v96, v95
	v_add_f32_e32 v91, v91, v100
	s_delay_alu instid0(VALU_DEP_2) | instskip(NEXT) | instid1(VALU_DEP_1)
	v_fma_f32 v96, v95, v96, -v97
	v_fmac_f32_e32 v96, v95, v94
	s_delay_alu instid0(VALU_DEP_1) | instskip(NEXT) | instid1(VALU_DEP_1)
	v_add_f32_e32 v94, v97, v96
	v_sub_f32_e32 v99, v93, v94
	v_sub_f32_e32 v97, v94, v97
	s_delay_alu instid0(VALU_DEP_2) | instskip(NEXT) | instid1(VALU_DEP_1)
	v_sub_f32_e32 v93, v93, v99
	v_sub_f32_e32 v93, v93, v94
	s_delay_alu instid0(VALU_DEP_1) | instskip(SKIP_1) | instid1(VALU_DEP_1)
	v_dual_sub_f32 v94, v97, v96 :: v_dual_add_f32 v91, v91, v93
	v_add_f32_e32 v93, v98, v95
	v_dual_add_f32 v91, v94, v91 :: v_dual_sub_f32 v94, v93, v98
	s_delay_alu instid0(VALU_DEP_1) | instskip(NEXT) | instid1(VALU_DEP_1)
	v_add_f32_e32 v91, v99, v91
	v_dual_sub_f32 v94, v95, v94 :: v_dual_mul_f32 v91, v92, v91
	s_delay_alu instid0(VALU_DEP_1) | instskip(NEXT) | instid1(VALU_DEP_1)
	v_add_f32_e32 v91, v94, v91
	v_add_f32_e32 v92, v93, v91
	s_delay_alu instid0(VALU_DEP_1) | instskip(NEXT) | instid1(VALU_DEP_1)
	v_mul_f32_e32 v94, v92, v92
	v_fmaak_f32 v95, s83, v94, 0x3ecc95a3
	v_mul_f32_e32 v96, v92, v94
	s_delay_alu instid0(VALU_DEP_2) | instskip(SKIP_2) | instid1(VALU_DEP_3)
	v_fmaak_f32 v94, v94, v95, 0x3f2aaada
	v_ldexp_f32 v95, v92, 1
	v_sub_f32_e32 v92, v92, v93
	v_mul_f32_e32 v94, v96, v94
	s_delay_alu instid0(VALU_DEP_2) | instskip(NEXT) | instid1(VALU_DEP_2)
	v_dual_mul_f32 v96, 0x3f317218, v90 :: v_dual_sub_f32 v91, v91, v92
	v_add_f32_e32 v93, v95, v94
	s_delay_alu instid0(VALU_DEP_2) | instskip(NEXT) | instid1(VALU_DEP_2)
	v_ldexp_f32 v91, v91, 1
	v_sub_f32_e32 v92, v93, v95
	s_delay_alu instid0(VALU_DEP_4) | instskip(NEXT) | instid1(VALU_DEP_1)
	v_fma_f32 v95, 0x3f317218, v90, -v96
	v_dual_sub_f32 v92, v94, v92 :: v_dual_fmac_f32 v95, 0xb102e308, v90
	s_delay_alu instid0(VALU_DEP_1) | instskip(NEXT) | instid1(VALU_DEP_1)
	v_dual_add_f32 v90, v91, v92 :: v_dual_add_f32 v91, v96, v95
	v_add_f32_e32 v92, v93, v90
	s_delay_alu instid0(VALU_DEP_2) | instskip(NEXT) | instid1(VALU_DEP_2)
	v_sub_f32_e32 v96, v91, v96
	v_dual_add_f32 v94, v91, v92 :: v_dual_sub_f32 v93, v92, v93
	s_delay_alu instid0(VALU_DEP_2) | instskip(NEXT) | instid1(VALU_DEP_2)
	v_sub_f32_e32 v95, v95, v96
	v_sub_f32_e32 v97, v94, v91
	s_delay_alu instid0(VALU_DEP_3) | instskip(NEXT) | instid1(VALU_DEP_2)
	v_sub_f32_e32 v90, v90, v93
	v_sub_f32_e32 v98, v94, v97
	s_delay_alu instid0(VALU_DEP_2) | instskip(NEXT) | instid1(VALU_DEP_2)
	v_dual_sub_f32 v92, v92, v97 :: v_dual_add_f32 v93, v95, v90
	v_sub_f32_e32 v91, v91, v98
	s_delay_alu instid0(VALU_DEP_1) | instskip(NEXT) | instid1(VALU_DEP_3)
	v_add_f32_e32 v91, v92, v91
	v_sub_f32_e32 v92, v93, v95
	s_delay_alu instid0(VALU_DEP_2) | instskip(NEXT) | instid1(VALU_DEP_2)
	v_add_f32_e32 v91, v93, v91
	v_sub_f32_e32 v93, v93, v92
	v_sub_f32_e32 v90, v90, v92
	s_delay_alu instid0(VALU_DEP_2) | instskip(NEXT) | instid1(VALU_DEP_1)
	v_dual_add_f32 v96, v94, v91 :: v_dual_sub_f32 v93, v95, v93
	v_sub_f32_e32 v92, v96, v94
	s_delay_alu instid0(VALU_DEP_1) | instskip(NEXT) | instid1(VALU_DEP_1)
	v_dual_add_f32 v90, v90, v93 :: v_dual_sub_f32 v91, v91, v92
	v_add_f32_e32 v90, v90, v91
	s_delay_alu instid0(VALU_DEP_1) | instskip(NEXT) | instid1(VALU_DEP_1)
	v_add_f32_e32 v90, v96, v90
	v_cndmask_b32_e32 v90, v90, v17, vcc_lo
.LBB18_76:                              ;   in Loop: Header=BB18_12 Depth=1
	s_or_b32 exec_lo, exec_lo, s29
	v_and_b32_e32 v12, 0xffff0000, v12
	s_delay_alu instid0(VALU_DEP_1) | instskip(NEXT) | instid1(VALU_DEP_1)
	v_add_f32_e32 v91, s66, v12
	v_cmp_ge_f32_e32 vcc_lo, 0x41a00000, v91
	s_and_b32 s28, s79, vcc_lo
	s_delay_alu instid0(SALU_CYCLE_1)
	s_and_saveexec_b32 s29, s28
	s_cbranch_execz .LBB18_78
; %bb.77:                               ;   in Loop: Header=BB18_12 Depth=1
	v_mul_f32_e32 v12, 0x3fb8aa3b, v91
	v_cmp_ngt_f32_e32 vcc_lo, 0xc2ce8ed0, v91
	s_delay_alu instid0(VALU_DEP_2) | instskip(SKIP_1) | instid1(VALU_DEP_2)
	v_rndne_f32_e32 v17, v12
	v_fma_f32 v92, 0x3fb8aa3b, v91, -v12
	v_sub_f32_e32 v12, v12, v17
	s_delay_alu instid0(VALU_DEP_2) | instskip(SKIP_1) | instid1(VALU_DEP_2)
	v_fmac_f32_e32 v92, 0x32a5705f, v91
	v_cvt_i32_f32_e32 v17, v17
	v_add_f32_e32 v12, v12, v92
	s_delay_alu instid0(VALU_DEP_1) | instskip(SKIP_2) | instid1(VALU_DEP_1)
	v_exp_f32_e32 v12, v12
	s_waitcnt_depctr 0xfff
	v_ldexp_f32 v12, v12, v17
	v_cndmask_b32_e32 v12, 0, v12, vcc_lo
	v_cmp_nlt_f32_e32 vcc_lo, 0x42b17218, v91
	s_delay_alu instid0(VALU_DEP_2) | instskip(NEXT) | instid1(VALU_DEP_1)
	v_cndmask_b32_e32 v12, 0x7f800000, v12, vcc_lo
	v_add_f32_e32 v17, 1.0, v12
	s_delay_alu instid0(VALU_DEP_1) | instskip(NEXT) | instid1(VALU_DEP_1)
	v_cvt_f64_f32_e32 v[91:92], v17
	v_frexp_exp_i32_f64_e32 v91, v[91:92]
	v_frexp_mant_f32_e32 v92, v17
	s_delay_alu instid0(VALU_DEP_1) | instskip(SKIP_1) | instid1(VALU_DEP_1)
	v_cmp_gt_f32_e32 vcc_lo, 0x3f2aaaab, v92
	v_add_f32_e32 v92, -1.0, v17
	v_sub_f32_e32 v94, v92, v17
	v_sub_f32_e32 v92, v12, v92
	s_delay_alu instid0(VALU_DEP_2) | instskip(NEXT) | instid1(VALU_DEP_1)
	v_add_f32_e32 v94, 1.0, v94
	v_add_f32_e32 v92, v92, v94
	v_subrev_co_ci_u32_e32 v91, vcc_lo, 0, v91, vcc_lo
	s_delay_alu instid0(VALU_DEP_1) | instskip(SKIP_1) | instid1(VALU_DEP_2)
	v_sub_nc_u32_e32 v93, 0, v91
	v_cvt_f32_i32_e32 v91, v91
	v_ldexp_f32 v17, v17, v93
	v_ldexp_f32 v92, v92, v93
	s_delay_alu instid0(VALU_DEP_2) | instskip(NEXT) | instid1(VALU_DEP_1)
	v_add_f32_e32 v95, 1.0, v17
	v_dual_add_f32 v93, -1.0, v17 :: v_dual_add_f32 v94, -1.0, v95
	s_delay_alu instid0(VALU_DEP_1) | instskip(NEXT) | instid1(VALU_DEP_2)
	v_add_f32_e32 v96, 1.0, v93
	v_sub_f32_e32 v94, v17, v94
	s_delay_alu instid0(VALU_DEP_2) | instskip(NEXT) | instid1(VALU_DEP_1)
	v_sub_f32_e32 v17, v17, v96
	v_add_f32_e32 v17, v92, v17
	s_delay_alu instid0(VALU_DEP_1) | instskip(SKIP_2) | instid1(VALU_DEP_3)
	v_add_f32_e32 v97, v93, v17
	v_cmp_eq_f32_e32 vcc_lo, 0x7f800000, v12
	v_cmp_gt_f32_e64 s28, 0x33800000, v12
	v_dual_sub_f32 v93, v93, v97 :: v_dual_add_f32 v94, v92, v94
	s_delay_alu instid0(VALU_DEP_2) | instskip(NEXT) | instid1(VALU_DEP_1)
	s_or_b32 vcc_lo, s28, vcc_lo
	v_dual_add_f32 v17, v17, v93 :: v_dual_add_f32 v96, v95, v94
	s_delay_alu instid0(VALU_DEP_1) | instskip(SKIP_1) | instid1(VALU_DEP_1)
	v_rcp_f32_e32 v92, v96
	v_sub_f32_e32 v95, v95, v96
	v_add_f32_e32 v94, v94, v95
	s_waitcnt_depctr 0xfff
	v_mul_f32_e32 v98, v97, v92
	s_delay_alu instid0(VALU_DEP_1) | instskip(NEXT) | instid1(VALU_DEP_1)
	v_mul_f32_e32 v99, v96, v98
	v_fma_f32 v95, v98, v96, -v99
	s_delay_alu instid0(VALU_DEP_1) | instskip(NEXT) | instid1(VALU_DEP_1)
	v_fmac_f32_e32 v95, v98, v94
	v_add_f32_e32 v100, v99, v95
	s_delay_alu instid0(VALU_DEP_1) | instskip(SKIP_1) | instid1(VALU_DEP_2)
	v_sub_f32_e32 v101, v97, v100
	v_sub_f32_e32 v93, v100, v99
	;; [unrolled: 1-line block ×3, first 2 shown]
	s_delay_alu instid0(VALU_DEP_2) | instskip(NEXT) | instid1(VALU_DEP_2)
	v_sub_f32_e32 v93, v93, v95
	v_sub_f32_e32 v97, v97, v100
	s_delay_alu instid0(VALU_DEP_1) | instskip(NEXT) | instid1(VALU_DEP_1)
	v_add_f32_e32 v17, v17, v97
	v_add_f32_e32 v17, v93, v17
	s_delay_alu instid0(VALU_DEP_1) | instskip(NEXT) | instid1(VALU_DEP_1)
	v_add_f32_e32 v93, v101, v17
	v_mul_f32_e32 v95, v92, v93
	s_delay_alu instid0(VALU_DEP_1) | instskip(NEXT) | instid1(VALU_DEP_1)
	v_mul_f32_e32 v97, v96, v95
	v_fma_f32 v96, v95, v96, -v97
	s_delay_alu instid0(VALU_DEP_1) | instskip(SKIP_1) | instid1(VALU_DEP_2)
	v_fmac_f32_e32 v96, v95, v94
	v_sub_f32_e32 v100, v101, v93
	v_add_f32_e32 v94, v97, v96
	s_delay_alu instid0(VALU_DEP_2) | instskip(NEXT) | instid1(VALU_DEP_2)
	v_add_f32_e32 v17, v17, v100
	v_sub_f32_e32 v99, v93, v94
	s_delay_alu instid0(VALU_DEP_1) | instskip(NEXT) | instid1(VALU_DEP_1)
	v_sub_f32_e32 v93, v93, v99
	v_sub_f32_e32 v93, v93, v94
	s_delay_alu instid0(VALU_DEP_1) | instskip(SKIP_2) | instid1(VALU_DEP_1)
	v_add_f32_e32 v17, v17, v93
	v_add_f32_e32 v93, v98, v95
	v_sub_f32_e32 v97, v94, v97
	v_sub_f32_e32 v94, v97, v96
	s_delay_alu instid0(VALU_DEP_1) | instskip(NEXT) | instid1(VALU_DEP_1)
	v_dual_add_f32 v17, v94, v17 :: v_dual_sub_f32 v94, v93, v98
	v_add_f32_e32 v17, v99, v17
	s_delay_alu instid0(VALU_DEP_1) | instskip(NEXT) | instid1(VALU_DEP_1)
	v_dual_sub_f32 v94, v95, v94 :: v_dual_mul_f32 v17, v92, v17
	v_add_f32_e32 v17, v94, v17
	s_delay_alu instid0(VALU_DEP_1) | instskip(NEXT) | instid1(VALU_DEP_1)
	v_add_f32_e32 v92, v93, v17
	v_mul_f32_e32 v94, v92, v92
	s_delay_alu instid0(VALU_DEP_1) | instskip(SKIP_1) | instid1(VALU_DEP_2)
	v_fmaak_f32 v95, s83, v94, 0x3ecc95a3
	v_mul_f32_e32 v96, v92, v94
	v_fmaak_f32 v94, v94, v95, 0x3f2aaada
	v_ldexp_f32 v95, v92, 1
	s_delay_alu instid0(VALU_DEP_2) | instskip(SKIP_1) | instid1(VALU_DEP_2)
	v_mul_f32_e32 v94, v96, v94
	v_sub_f32_e32 v92, v92, v93
	v_dual_mul_f32 v96, 0x3f317218, v91 :: v_dual_add_f32 v93, v95, v94
	s_delay_alu instid0(VALU_DEP_2) | instskip(NEXT) | instid1(VALU_DEP_2)
	v_sub_f32_e32 v17, v17, v92
	v_sub_f32_e32 v92, v93, v95
	s_delay_alu instid0(VALU_DEP_3) | instskip(NEXT) | instid1(VALU_DEP_3)
	v_fma_f32 v95, 0x3f317218, v91, -v96
	v_ldexp_f32 v17, v17, 1
	s_delay_alu instid0(VALU_DEP_2) | instskip(NEXT) | instid1(VALU_DEP_1)
	v_dual_sub_f32 v92, v94, v92 :: v_dual_fmac_f32 v95, 0xb102e308, v91
	v_add_f32_e32 v17, v17, v92
	s_delay_alu instid0(VALU_DEP_1) | instskip(NEXT) | instid1(VALU_DEP_1)
	v_dual_add_f32 v91, v96, v95 :: v_dual_add_f32 v92, v93, v17
	v_sub_f32_e32 v96, v91, v96
	s_delay_alu instid0(VALU_DEP_2) | instskip(NEXT) | instid1(VALU_DEP_2)
	v_dual_add_f32 v94, v91, v92 :: v_dual_sub_f32 v93, v92, v93
	v_sub_f32_e32 v95, v95, v96
	s_delay_alu instid0(VALU_DEP_2) | instskip(NEXT) | instid1(VALU_DEP_1)
	v_sub_f32_e32 v97, v94, v91
	v_sub_f32_e32 v98, v94, v97
	;; [unrolled: 1-line block ×4, first 2 shown]
	s_delay_alu instid0(VALU_DEP_1) | instskip(NEXT) | instid1(VALU_DEP_4)
	v_add_f32_e32 v93, v95, v17
	v_sub_f32_e32 v91, v91, v98
	s_delay_alu instid0(VALU_DEP_1) | instskip(NEXT) | instid1(VALU_DEP_3)
	v_add_f32_e32 v91, v92, v91
	v_sub_f32_e32 v92, v93, v95
	s_delay_alu instid0(VALU_DEP_2) | instskip(NEXT) | instid1(VALU_DEP_2)
	v_add_f32_e32 v91, v93, v91
	v_sub_f32_e32 v93, v93, v92
	s_delay_alu instid0(VALU_DEP_2) | instskip(NEXT) | instid1(VALU_DEP_1)
	v_dual_sub_f32 v17, v17, v92 :: v_dual_add_f32 v96, v94, v91
	v_dual_sub_f32 v92, v96, v94 :: v_dual_sub_f32 v93, v95, v93
	s_delay_alu instid0(VALU_DEP_1) | instskip(NEXT) | instid1(VALU_DEP_2)
	v_sub_f32_e32 v91, v91, v92
	v_add_f32_e32 v17, v17, v93
	s_delay_alu instid0(VALU_DEP_1) | instskip(NEXT) | instid1(VALU_DEP_1)
	v_add_f32_e32 v17, v17, v91
	v_add_f32_e32 v17, v96, v17
	s_delay_alu instid0(VALU_DEP_1)
	v_cndmask_b32_e32 v91, v17, v12, vcc_lo
.LBB18_78:                              ;   in Loop: Header=BB18_12 Depth=1
	s_or_b32 exec_lo, exec_lo, s29
	v_lshlrev_b32_e32 v12, 16, v13
	s_delay_alu instid0(VALU_DEP_1) | instskip(NEXT) | instid1(VALU_DEP_1)
	v_add_f32_e32 v92, s66, v12
	v_cmp_ge_f32_e32 vcc_lo, 0x41a00000, v92
	s_and_b32 s28, s79, vcc_lo
	s_delay_alu instid0(SALU_CYCLE_1)
	s_and_saveexec_b32 s29, s28
	s_cbranch_execz .LBB18_80
; %bb.79:                               ;   in Loop: Header=BB18_12 Depth=1
	v_mul_f32_e32 v12, 0x3fb8aa3b, v92
	v_cmp_ngt_f32_e32 vcc_lo, 0xc2ce8ed0, v92
	s_delay_alu instid0(VALU_DEP_2) | instskip(SKIP_1) | instid1(VALU_DEP_1)
	v_rndne_f32_e32 v17, v12
	v_fma_f32 v93, 0x3fb8aa3b, v92, -v12
	v_dual_sub_f32 v12, v12, v17 :: v_dual_fmac_f32 v93, 0x32a5705f, v92
	v_cvt_i32_f32_e32 v17, v17
	s_delay_alu instid0(VALU_DEP_2) | instskip(NEXT) | instid1(VALU_DEP_1)
	v_add_f32_e32 v12, v12, v93
	v_exp_f32_e32 v12, v12
	s_waitcnt_depctr 0xfff
	v_ldexp_f32 v12, v12, v17
	s_delay_alu instid0(VALU_DEP_1) | instskip(SKIP_1) | instid1(VALU_DEP_2)
	v_cndmask_b32_e32 v12, 0, v12, vcc_lo
	v_cmp_nlt_f32_e32 vcc_lo, 0x42b17218, v92
	v_cndmask_b32_e32 v12, 0x7f800000, v12, vcc_lo
	s_delay_alu instid0(VALU_DEP_1) | instskip(NEXT) | instid1(VALU_DEP_1)
	v_add_f32_e32 v17, 1.0, v12
	v_cvt_f64_f32_e32 v[92:93], v17
	s_delay_alu instid0(VALU_DEP_1) | instskip(SKIP_1) | instid1(VALU_DEP_1)
	v_frexp_exp_i32_f64_e32 v92, v[92:93]
	v_frexp_mant_f32_e32 v93, v17
	v_cmp_gt_f32_e32 vcc_lo, 0x3f2aaaab, v93
	v_add_f32_e32 v93, -1.0, v17
	s_delay_alu instid0(VALU_DEP_1) | instskip(SKIP_1) | instid1(VALU_DEP_2)
	v_sub_f32_e32 v95, v93, v17
	v_sub_f32_e32 v93, v12, v93
	v_add_f32_e32 v95, 1.0, v95
	s_delay_alu instid0(VALU_DEP_1) | instskip(SKIP_3) | instid1(VALU_DEP_2)
	v_add_f32_e32 v93, v93, v95
	v_cmp_gt_f32_e64 s28, 0x33800000, v12
	v_subrev_co_ci_u32_e32 v92, vcc_lo, 0, v92, vcc_lo
	v_cmp_eq_f32_e32 vcc_lo, 0x7f800000, v12
	v_sub_nc_u32_e32 v94, 0, v92
	v_cvt_f32_i32_e32 v92, v92
	s_or_b32 vcc_lo, s28, vcc_lo
	s_delay_alu instid0(VALU_DEP_2) | instskip(SKIP_1) | instid1(VALU_DEP_2)
	v_ldexp_f32 v17, v17, v94
	v_ldexp_f32 v93, v93, v94
	v_add_f32_e32 v96, 1.0, v17
	s_delay_alu instid0(VALU_DEP_1) | instskip(NEXT) | instid1(VALU_DEP_1)
	v_dual_add_f32 v94, -1.0, v17 :: v_dual_add_f32 v95, -1.0, v96
	v_add_f32_e32 v97, 1.0, v94
	s_delay_alu instid0(VALU_DEP_2) | instskip(NEXT) | instid1(VALU_DEP_2)
	v_sub_f32_e32 v95, v17, v95
	v_sub_f32_e32 v17, v17, v97
	s_delay_alu instid0(VALU_DEP_1) | instskip(NEXT) | instid1(VALU_DEP_1)
	v_add_f32_e32 v17, v93, v17
	v_dual_add_f32 v98, v94, v17 :: v_dual_add_f32 v95, v93, v95
	s_delay_alu instid0(VALU_DEP_1) | instskip(NEXT) | instid1(VALU_DEP_1)
	v_dual_sub_f32 v94, v94, v98 :: v_dual_add_f32 v97, v96, v95
	v_rcp_f32_e32 v93, v97
	v_sub_f32_e32 v96, v96, v97
	s_delay_alu instid0(VALU_DEP_1) | instskip(SKIP_2) | instid1(VALU_DEP_1)
	v_add_f32_e32 v95, v95, v96
	s_waitcnt_depctr 0xfff
	v_mul_f32_e32 v99, v98, v93
	v_mul_f32_e32 v100, v97, v99
	s_delay_alu instid0(VALU_DEP_1) | instskip(NEXT) | instid1(VALU_DEP_1)
	v_fma_f32 v96, v99, v97, -v100
	v_fmac_f32_e32 v96, v99, v95
	s_delay_alu instid0(VALU_DEP_1) | instskip(NEXT) | instid1(VALU_DEP_1)
	v_add_f32_e32 v101, v100, v96
	v_sub_f32_e32 v102, v98, v101
	s_delay_alu instid0(VALU_DEP_1) | instskip(SKIP_2) | instid1(VALU_DEP_3)
	v_sub_f32_e32 v98, v98, v102
	v_add_f32_e32 v17, v17, v94
	v_sub_f32_e32 v94, v101, v100
	v_sub_f32_e32 v98, v98, v101
	s_delay_alu instid0(VALU_DEP_1) | instskip(NEXT) | instid1(VALU_DEP_1)
	v_dual_sub_f32 v94, v94, v96 :: v_dual_add_f32 v17, v17, v98
	v_add_f32_e32 v17, v94, v17
	s_delay_alu instid0(VALU_DEP_1) | instskip(NEXT) | instid1(VALU_DEP_1)
	v_add_f32_e32 v94, v102, v17
	v_mul_f32_e32 v96, v93, v94
	s_delay_alu instid0(VALU_DEP_1) | instskip(NEXT) | instid1(VALU_DEP_1)
	v_dual_sub_f32 v101, v102, v94 :: v_dual_mul_f32 v98, v97, v96
	v_add_f32_e32 v17, v17, v101
	s_delay_alu instid0(VALU_DEP_2) | instskip(NEXT) | instid1(VALU_DEP_1)
	v_fma_f32 v97, v96, v97, -v98
	v_fmac_f32_e32 v97, v96, v95
	s_delay_alu instid0(VALU_DEP_1) | instskip(NEXT) | instid1(VALU_DEP_1)
	v_add_f32_e32 v95, v98, v97
	v_sub_f32_e32 v100, v94, v95
	s_delay_alu instid0(VALU_DEP_1) | instskip(NEXT) | instid1(VALU_DEP_1)
	v_sub_f32_e32 v94, v94, v100
	v_sub_f32_e32 v94, v94, v95
	s_delay_alu instid0(VALU_DEP_1) | instskip(SKIP_1) | instid1(VALU_DEP_1)
	v_dual_add_f32 v17, v17, v94 :: v_dual_add_f32 v94, v99, v96
	v_sub_f32_e32 v98, v95, v98
	v_sub_f32_e32 v95, v98, v97
	s_delay_alu instid0(VALU_DEP_1) | instskip(NEXT) | instid1(VALU_DEP_4)
	v_add_f32_e32 v17, v95, v17
	v_sub_f32_e32 v95, v94, v99
	s_delay_alu instid0(VALU_DEP_2) | instskip(NEXT) | instid1(VALU_DEP_2)
	v_add_f32_e32 v17, v100, v17
	v_sub_f32_e32 v95, v96, v95
	s_delay_alu instid0(VALU_DEP_2) | instskip(NEXT) | instid1(VALU_DEP_1)
	v_mul_f32_e32 v17, v93, v17
	v_add_f32_e32 v17, v95, v17
	s_delay_alu instid0(VALU_DEP_1) | instskip(NEXT) | instid1(VALU_DEP_1)
	v_add_f32_e32 v93, v94, v17
	v_mul_f32_e32 v95, v93, v93
	s_delay_alu instid0(VALU_DEP_1) | instskip(SKIP_1) | instid1(VALU_DEP_2)
	v_fmaak_f32 v96, s83, v95, 0x3ecc95a3
	v_mul_f32_e32 v97, v93, v95
	v_fmaak_f32 v95, v95, v96, 0x3f2aaada
	v_ldexp_f32 v96, v93, 1
	v_sub_f32_e32 v93, v93, v94
	s_delay_alu instid0(VALU_DEP_3) | instskip(SKIP_1) | instid1(VALU_DEP_2)
	v_mul_f32_e32 v95, v97, v95
	v_mul_f32_e32 v97, 0x3f317218, v92
	v_dual_sub_f32 v17, v17, v93 :: v_dual_add_f32 v94, v96, v95
	s_delay_alu instid0(VALU_DEP_1) | instskip(NEXT) | instid1(VALU_DEP_2)
	v_ldexp_f32 v17, v17, 1
	v_sub_f32_e32 v93, v94, v96
	s_delay_alu instid0(VALU_DEP_4) | instskip(NEXT) | instid1(VALU_DEP_1)
	v_fma_f32 v96, 0x3f317218, v92, -v97
	v_dual_sub_f32 v93, v95, v93 :: v_dual_fmac_f32 v96, 0xb102e308, v92
	s_delay_alu instid0(VALU_DEP_1) | instskip(NEXT) | instid1(VALU_DEP_1)
	v_add_f32_e32 v17, v17, v93
	v_dual_add_f32 v92, v97, v96 :: v_dual_add_f32 v93, v94, v17
	s_delay_alu instid0(VALU_DEP_1) | instskip(NEXT) | instid1(VALU_DEP_2)
	v_sub_f32_e32 v97, v92, v97
	v_dual_add_f32 v95, v92, v93 :: v_dual_sub_f32 v94, v93, v94
	s_delay_alu instid0(VALU_DEP_2) | instskip(NEXT) | instid1(VALU_DEP_2)
	v_sub_f32_e32 v96, v96, v97
	v_dual_sub_f32 v98, v95, v92 :: v_dual_sub_f32 v17, v17, v94
	s_delay_alu instid0(VALU_DEP_1) | instskip(NEXT) | instid1(VALU_DEP_2)
	v_sub_f32_e32 v99, v95, v98
	v_dual_sub_f32 v93, v93, v98 :: v_dual_add_f32 v94, v96, v17
	s_delay_alu instid0(VALU_DEP_2) | instskip(NEXT) | instid1(VALU_DEP_1)
	v_sub_f32_e32 v92, v92, v99
	v_add_f32_e32 v92, v93, v92
	s_delay_alu instid0(VALU_DEP_3) | instskip(NEXT) | instid1(VALU_DEP_2)
	v_sub_f32_e32 v93, v94, v96
	v_add_f32_e32 v92, v94, v92
	s_delay_alu instid0(VALU_DEP_2) | instskip(SKIP_1) | instid1(VALU_DEP_2)
	v_sub_f32_e32 v94, v94, v93
	v_sub_f32_e32 v17, v17, v93
	v_dual_add_f32 v97, v95, v92 :: v_dual_sub_f32 v94, v96, v94
	s_delay_alu instid0(VALU_DEP_1) | instskip(NEXT) | instid1(VALU_DEP_1)
	v_sub_f32_e32 v93, v97, v95
	v_dual_add_f32 v17, v17, v94 :: v_dual_sub_f32 v92, v92, v93
	s_delay_alu instid0(VALU_DEP_1) | instskip(NEXT) | instid1(VALU_DEP_1)
	v_add_f32_e32 v17, v17, v92
	v_add_f32_e32 v17, v97, v17
	s_delay_alu instid0(VALU_DEP_1)
	v_cndmask_b32_e32 v92, v17, v12, vcc_lo
.LBB18_80:                              ;   in Loop: Header=BB18_12 Depth=1
	s_or_b32 exec_lo, exec_lo, s29
	v_and_b32_e32 v12, 0xffff0000, v13
	s_delay_alu instid0(VALU_DEP_1) | instskip(NEXT) | instid1(VALU_DEP_1)
	v_add_f32_e32 v93, s66, v12
	v_cmp_ge_f32_e32 vcc_lo, 0x41a00000, v93
	s_and_b32 s28, s79, vcc_lo
	s_delay_alu instid0(SALU_CYCLE_1)
	s_and_saveexec_b32 s29, s28
	s_cbranch_execz .LBB18_82
; %bb.81:                               ;   in Loop: Header=BB18_12 Depth=1
	v_mul_f32_e32 v12, 0x3fb8aa3b, v93
	v_cmp_ngt_f32_e32 vcc_lo, 0xc2ce8ed0, v93
	s_delay_alu instid0(VALU_DEP_2) | instskip(SKIP_1) | instid1(VALU_DEP_2)
	v_rndne_f32_e32 v13, v12
	v_fma_f32 v17, 0x3fb8aa3b, v93, -v12
	v_sub_f32_e32 v12, v12, v13
	s_delay_alu instid0(VALU_DEP_2) | instskip(SKIP_1) | instid1(VALU_DEP_2)
	v_fmac_f32_e32 v17, 0x32a5705f, v93
	v_cvt_i32_f32_e32 v13, v13
	v_add_f32_e32 v12, v12, v17
	s_delay_alu instid0(VALU_DEP_1) | instskip(SKIP_2) | instid1(VALU_DEP_1)
	v_exp_f32_e32 v12, v12
	s_waitcnt_depctr 0xfff
	v_ldexp_f32 v12, v12, v13
	v_cndmask_b32_e32 v12, 0, v12, vcc_lo
	v_cmp_nlt_f32_e32 vcc_lo, 0x42b17218, v93
	s_delay_alu instid0(VALU_DEP_2) | instskip(NEXT) | instid1(VALU_DEP_1)
	v_cndmask_b32_e32 v17, 0x7f800000, v12, vcc_lo
	v_add_f32_e32 v93, 1.0, v17
	s_delay_alu instid0(VALU_DEP_1) | instskip(NEXT) | instid1(VALU_DEP_1)
	v_cvt_f64_f32_e32 v[12:13], v93
	v_frexp_exp_i32_f64_e32 v12, v[12:13]
	v_frexp_mant_f32_e32 v13, v93
	s_delay_alu instid0(VALU_DEP_1) | instskip(SKIP_1) | instid1(VALU_DEP_1)
	v_cmp_gt_f32_e32 vcc_lo, 0x3f2aaaab, v13
	v_add_f32_e32 v13, -1.0, v93
	v_sub_f32_e32 v95, v13, v93
	s_delay_alu instid0(VALU_DEP_1) | instskip(SKIP_1) | instid1(VALU_DEP_1)
	v_add_f32_e32 v95, 1.0, v95
	v_subrev_co_ci_u32_e32 v12, vcc_lo, 0, v12, vcc_lo
	v_sub_nc_u32_e32 v94, 0, v12
	v_cvt_f32_i32_e32 v12, v12
	s_delay_alu instid0(VALU_DEP_2) | instskip(NEXT) | instid1(VALU_DEP_1)
	v_ldexp_f32 v93, v93, v94
	v_add_f32_e32 v96, 1.0, v93
	v_sub_f32_e32 v13, v17, v13
	v_cmp_eq_f32_e32 vcc_lo, 0x7f800000, v17
	v_cmp_gt_f32_e64 s28, 0x33800000, v17
	s_delay_alu instid0(VALU_DEP_3) | instskip(SKIP_1) | instid1(VALU_DEP_3)
	v_add_f32_e32 v13, v13, v95
	v_add_f32_e32 v95, -1.0, v96
	s_or_b32 vcc_lo, s28, vcc_lo
	s_delay_alu instid0(VALU_DEP_2) | instskip(NEXT) | instid1(VALU_DEP_2)
	v_ldexp_f32 v13, v13, v94
	v_dual_add_f32 v94, -1.0, v93 :: v_dual_sub_f32 v95, v93, v95
	s_delay_alu instid0(VALU_DEP_1) | instskip(NEXT) | instid1(VALU_DEP_2)
	v_add_f32_e32 v97, 1.0, v94
	v_add_f32_e32 v95, v13, v95
	s_delay_alu instid0(VALU_DEP_2) | instskip(NEXT) | instid1(VALU_DEP_1)
	v_sub_f32_e32 v93, v93, v97
	v_add_f32_e32 v13, v13, v93
	s_delay_alu instid0(VALU_DEP_1) | instskip(NEXT) | instid1(VALU_DEP_1)
	v_dual_add_f32 v98, v94, v13 :: v_dual_add_f32 v97, v96, v95
	v_sub_f32_e32 v94, v94, v98
	s_delay_alu instid0(VALU_DEP_2) | instskip(NEXT) | instid1(VALU_DEP_1)
	v_rcp_f32_e32 v93, v97
	v_dual_sub_f32 v96, v96, v97 :: v_dual_add_f32 v13, v13, v94
	s_delay_alu instid0(VALU_DEP_1) | instskip(SKIP_2) | instid1(VALU_DEP_1)
	v_add_f32_e32 v95, v95, v96
	s_waitcnt_depctr 0xfff
	v_mul_f32_e32 v99, v98, v93
	v_mul_f32_e32 v100, v97, v99
	s_delay_alu instid0(VALU_DEP_1) | instskip(NEXT) | instid1(VALU_DEP_1)
	v_fma_f32 v96, v99, v97, -v100
	v_fmac_f32_e32 v96, v99, v95
	s_delay_alu instid0(VALU_DEP_1) | instskip(NEXT) | instid1(VALU_DEP_1)
	v_add_f32_e32 v101, v100, v96
	v_sub_f32_e32 v102, v98, v101
	v_sub_f32_e32 v94, v101, v100
	s_delay_alu instid0(VALU_DEP_2) | instskip(NEXT) | instid1(VALU_DEP_2)
	v_sub_f32_e32 v98, v98, v102
	v_sub_f32_e32 v94, v94, v96
	s_delay_alu instid0(VALU_DEP_2) | instskip(NEXT) | instid1(VALU_DEP_1)
	v_sub_f32_e32 v98, v98, v101
	v_add_f32_e32 v13, v13, v98
	s_delay_alu instid0(VALU_DEP_1) | instskip(NEXT) | instid1(VALU_DEP_1)
	v_add_f32_e32 v13, v94, v13
	v_add_f32_e32 v94, v102, v13
	s_delay_alu instid0(VALU_DEP_1) | instskip(NEXT) | instid1(VALU_DEP_1)
	v_mul_f32_e32 v96, v93, v94
	v_dual_sub_f32 v101, v102, v94 :: v_dual_mul_f32 v98, v97, v96
	s_delay_alu instid0(VALU_DEP_1) | instskip(NEXT) | instid1(VALU_DEP_1)
	v_fma_f32 v97, v96, v97, -v98
	v_fmac_f32_e32 v97, v96, v95
	s_delay_alu instid0(VALU_DEP_1) | instskip(NEXT) | instid1(VALU_DEP_1)
	v_add_f32_e32 v95, v98, v97
	v_dual_add_f32 v13, v13, v101 :: v_dual_sub_f32 v100, v94, v95
	s_delay_alu instid0(VALU_DEP_1) | instskip(NEXT) | instid1(VALU_DEP_1)
	v_sub_f32_e32 v94, v94, v100
	v_sub_f32_e32 v94, v94, v95
	s_delay_alu instid0(VALU_DEP_1) | instskip(SKIP_1) | instid1(VALU_DEP_1)
	v_dual_add_f32 v13, v13, v94 :: v_dual_add_f32 v94, v99, v96
	v_sub_f32_e32 v98, v95, v98
	v_sub_f32_e32 v95, v98, v97
	s_delay_alu instid0(VALU_DEP_1) | instskip(NEXT) | instid1(VALU_DEP_4)
	v_add_f32_e32 v13, v95, v13
	v_sub_f32_e32 v95, v94, v99
	s_delay_alu instid0(VALU_DEP_2) | instskip(NEXT) | instid1(VALU_DEP_2)
	v_add_f32_e32 v13, v100, v13
	v_sub_f32_e32 v95, v96, v95
	s_delay_alu instid0(VALU_DEP_2) | instskip(NEXT) | instid1(VALU_DEP_1)
	v_mul_f32_e32 v13, v93, v13
	v_add_f32_e32 v13, v95, v13
	s_delay_alu instid0(VALU_DEP_1) | instskip(NEXT) | instid1(VALU_DEP_1)
	v_add_f32_e32 v93, v94, v13
	v_mul_f32_e32 v95, v93, v93
	s_delay_alu instid0(VALU_DEP_1) | instskip(SKIP_1) | instid1(VALU_DEP_2)
	v_fmaak_f32 v96, s83, v95, 0x3ecc95a3
	v_mul_f32_e32 v97, v93, v95
	v_fmaak_f32 v95, v95, v96, 0x3f2aaada
	v_ldexp_f32 v96, v93, 1
	v_sub_f32_e32 v93, v93, v94
	s_delay_alu instid0(VALU_DEP_3) | instskip(SKIP_1) | instid1(VALU_DEP_2)
	v_mul_f32_e32 v95, v97, v95
	v_mul_f32_e32 v97, 0x3f317218, v12
	v_dual_sub_f32 v13, v13, v93 :: v_dual_add_f32 v94, v96, v95
	s_delay_alu instid0(VALU_DEP_1) | instskip(NEXT) | instid1(VALU_DEP_2)
	v_ldexp_f32 v13, v13, 1
	v_sub_f32_e32 v93, v94, v96
	s_delay_alu instid0(VALU_DEP_4) | instskip(NEXT) | instid1(VALU_DEP_1)
	v_fma_f32 v96, 0x3f317218, v12, -v97
	v_dual_sub_f32 v93, v95, v93 :: v_dual_fmac_f32 v96, 0xb102e308, v12
	s_delay_alu instid0(VALU_DEP_1) | instskip(NEXT) | instid1(VALU_DEP_2)
	v_add_f32_e32 v12, v13, v93
	v_add_f32_e32 v13, v97, v96
	s_delay_alu instid0(VALU_DEP_2) | instskip(NEXT) | instid1(VALU_DEP_2)
	v_add_f32_e32 v93, v94, v12
	v_sub_f32_e32 v97, v13, v97
	s_delay_alu instid0(VALU_DEP_2) | instskip(SKIP_1) | instid1(VALU_DEP_3)
	v_add_f32_e32 v95, v13, v93
	v_sub_f32_e32 v94, v93, v94
	v_sub_f32_e32 v96, v96, v97
	s_delay_alu instid0(VALU_DEP_3) | instskip(NEXT) | instid1(VALU_DEP_3)
	v_sub_f32_e32 v98, v95, v13
	v_sub_f32_e32 v12, v12, v94
	s_delay_alu instid0(VALU_DEP_2) | instskip(NEXT) | instid1(VALU_DEP_2)
	v_sub_f32_e32 v99, v95, v98
	v_dual_sub_f32 v93, v93, v98 :: v_dual_add_f32 v94, v96, v12
	s_delay_alu instid0(VALU_DEP_2) | instskip(NEXT) | instid1(VALU_DEP_1)
	v_sub_f32_e32 v13, v13, v99
	v_add_f32_e32 v13, v93, v13
	s_delay_alu instid0(VALU_DEP_3) | instskip(NEXT) | instid1(VALU_DEP_2)
	v_sub_f32_e32 v93, v94, v96
	v_add_f32_e32 v13, v94, v13
	s_delay_alu instid0(VALU_DEP_2) | instskip(SKIP_1) | instid1(VALU_DEP_1)
	v_sub_f32_e32 v12, v12, v93
	v_sub_f32_e32 v94, v94, v93
	v_dual_add_f32 v97, v95, v13 :: v_dual_sub_f32 v94, v96, v94
	s_delay_alu instid0(VALU_DEP_1) | instskip(NEXT) | instid1(VALU_DEP_1)
	v_dual_sub_f32 v93, v97, v95 :: v_dual_add_f32 v12, v12, v94
	v_sub_f32_e32 v13, v13, v93
	s_delay_alu instid0(VALU_DEP_1) | instskip(NEXT) | instid1(VALU_DEP_1)
	v_add_f32_e32 v12, v12, v13
	v_add_f32_e32 v12, v97, v12
	s_delay_alu instid0(VALU_DEP_1)
	v_cndmask_b32_e32 v93, v12, v17, vcc_lo
.LBB18_82:                              ;   in Loop: Header=BB18_12 Depth=1
	s_or_b32 exec_lo, exec_lo, s29
	v_lshlrev_b32_e32 v12, 16, v14
	s_delay_alu instid0(VALU_DEP_1) | instskip(NEXT) | instid1(VALU_DEP_1)
	v_add_f32_e32 v94, s66, v12
	v_cmp_ge_f32_e32 vcc_lo, 0x41a00000, v94
	s_and_b32 s28, s79, vcc_lo
	s_delay_alu instid0(SALU_CYCLE_1)
	s_and_saveexec_b32 s29, s28
	s_cbranch_execz .LBB18_84
; %bb.83:                               ;   in Loop: Header=BB18_12 Depth=1
	v_mul_f32_e32 v12, 0x3fb8aa3b, v94
	v_cmp_ngt_f32_e32 vcc_lo, 0xc2ce8ed0, v94
	s_delay_alu instid0(VALU_DEP_2) | instskip(SKIP_1) | instid1(VALU_DEP_1)
	v_rndne_f32_e32 v13, v12
	v_fma_f32 v17, 0x3fb8aa3b, v94, -v12
	v_dual_sub_f32 v12, v12, v13 :: v_dual_fmac_f32 v17, 0x32a5705f, v94
	v_cvt_i32_f32_e32 v13, v13
	s_delay_alu instid0(VALU_DEP_2) | instskip(NEXT) | instid1(VALU_DEP_1)
	v_add_f32_e32 v12, v12, v17
	v_exp_f32_e32 v12, v12
	s_waitcnt_depctr 0xfff
	v_ldexp_f32 v12, v12, v13
	s_delay_alu instid0(VALU_DEP_1) | instskip(SKIP_1) | instid1(VALU_DEP_2)
	v_cndmask_b32_e32 v12, 0, v12, vcc_lo
	v_cmp_nlt_f32_e32 vcc_lo, 0x42b17218, v94
	v_cndmask_b32_e32 v17, 0x7f800000, v12, vcc_lo
	s_delay_alu instid0(VALU_DEP_1) | instskip(NEXT) | instid1(VALU_DEP_1)
	v_add_f32_e32 v94, 1.0, v17
	v_cvt_f64_f32_e32 v[12:13], v94
	s_delay_alu instid0(VALU_DEP_1) | instskip(SKIP_1) | instid1(VALU_DEP_1)
	v_frexp_exp_i32_f64_e32 v12, v[12:13]
	v_frexp_mant_f32_e32 v13, v94
	v_cmp_gt_f32_e32 vcc_lo, 0x3f2aaaab, v13
	v_add_f32_e32 v13, -1.0, v94
	s_delay_alu instid0(VALU_DEP_1) | instskip(SKIP_2) | instid1(VALU_DEP_3)
	v_sub_f32_e32 v96, v13, v94
	v_sub_f32_e32 v13, v17, v13
	v_cmp_gt_f32_e64 s28, 0x33800000, v17
	v_add_f32_e32 v96, 1.0, v96
	s_delay_alu instid0(VALU_DEP_1) | instskip(SKIP_2) | instid1(VALU_DEP_2)
	v_add_f32_e32 v13, v13, v96
	v_subrev_co_ci_u32_e32 v12, vcc_lo, 0, v12, vcc_lo
	v_cmp_eq_f32_e32 vcc_lo, 0x7f800000, v17
	v_sub_nc_u32_e32 v95, 0, v12
	v_cvt_f32_i32_e32 v12, v12
	s_or_b32 vcc_lo, s28, vcc_lo
	s_delay_alu instid0(VALU_DEP_2) | instskip(SKIP_1) | instid1(VALU_DEP_2)
	v_ldexp_f32 v94, v94, v95
	v_ldexp_f32 v13, v13, v95
	v_add_f32_e32 v95, -1.0, v94
	s_delay_alu instid0(VALU_DEP_1) | instskip(NEXT) | instid1(VALU_DEP_1)
	v_dual_add_f32 v97, 1.0, v94 :: v_dual_add_f32 v98, 1.0, v95
	v_add_f32_e32 v96, -1.0, v97
	s_delay_alu instid0(VALU_DEP_1) | instskip(NEXT) | instid1(VALU_DEP_3)
	v_sub_f32_e32 v96, v94, v96
	v_sub_f32_e32 v94, v94, v98
	s_delay_alu instid0(VALU_DEP_2) | instskip(NEXT) | instid1(VALU_DEP_2)
	v_add_f32_e32 v96, v13, v96
	v_add_f32_e32 v13, v13, v94
	s_delay_alu instid0(VALU_DEP_1) | instskip(NEXT) | instid1(VALU_DEP_1)
	v_dual_add_f32 v99, v95, v13 :: v_dual_add_f32 v98, v97, v96
	v_sub_f32_e32 v95, v95, v99
	s_delay_alu instid0(VALU_DEP_2) | instskip(SKIP_1) | instid1(VALU_DEP_1)
	v_rcp_f32_e32 v94, v98
	v_sub_f32_e32 v97, v97, v98
	v_dual_add_f32 v13, v13, v95 :: v_dual_add_f32 v96, v96, v97
	s_waitcnt_depctr 0xfff
	v_mul_f32_e32 v100, v99, v94
	s_delay_alu instid0(VALU_DEP_1) | instskip(NEXT) | instid1(VALU_DEP_1)
	v_mul_f32_e32 v101, v98, v100
	v_fma_f32 v97, v100, v98, -v101
	s_delay_alu instid0(VALU_DEP_1) | instskip(NEXT) | instid1(VALU_DEP_1)
	v_fmac_f32_e32 v97, v100, v96
	v_add_f32_e32 v102, v101, v97
	s_delay_alu instid0(VALU_DEP_1) | instskip(SKIP_1) | instid1(VALU_DEP_2)
	v_sub_f32_e32 v103, v99, v102
	v_sub_f32_e32 v95, v102, v101
	;; [unrolled: 1-line block ×3, first 2 shown]
	s_delay_alu instid0(VALU_DEP_2) | instskip(NEXT) | instid1(VALU_DEP_2)
	v_sub_f32_e32 v95, v95, v97
	v_sub_f32_e32 v99, v99, v102
	s_delay_alu instid0(VALU_DEP_1) | instskip(NEXT) | instid1(VALU_DEP_1)
	v_add_f32_e32 v13, v13, v99
	v_add_f32_e32 v13, v95, v13
	s_delay_alu instid0(VALU_DEP_1) | instskip(NEXT) | instid1(VALU_DEP_1)
	v_add_f32_e32 v95, v103, v13
	v_mul_f32_e32 v97, v94, v95
	s_delay_alu instid0(VALU_DEP_1) | instskip(NEXT) | instid1(VALU_DEP_1)
	v_dual_sub_f32 v102, v103, v95 :: v_dual_mul_f32 v99, v98, v97
	v_add_f32_e32 v13, v13, v102
	s_delay_alu instid0(VALU_DEP_2) | instskip(NEXT) | instid1(VALU_DEP_1)
	v_fma_f32 v98, v97, v98, -v99
	v_fmac_f32_e32 v98, v97, v96
	s_delay_alu instid0(VALU_DEP_1) | instskip(NEXT) | instid1(VALU_DEP_1)
	v_add_f32_e32 v96, v99, v98
	v_sub_f32_e32 v101, v95, v96
	s_delay_alu instid0(VALU_DEP_1) | instskip(NEXT) | instid1(VALU_DEP_1)
	v_sub_f32_e32 v95, v95, v101
	v_sub_f32_e32 v95, v95, v96
	s_delay_alu instid0(VALU_DEP_1) | instskip(SKIP_2) | instid1(VALU_DEP_1)
	v_add_f32_e32 v13, v13, v95
	v_add_f32_e32 v95, v100, v97
	v_sub_f32_e32 v99, v96, v99
	v_sub_f32_e32 v96, v99, v98
	s_delay_alu instid0(VALU_DEP_1) | instskip(NEXT) | instid1(VALU_DEP_1)
	v_dual_add_f32 v13, v96, v13 :: v_dual_sub_f32 v96, v95, v100
	v_add_f32_e32 v13, v101, v13
	s_delay_alu instid0(VALU_DEP_1) | instskip(NEXT) | instid1(VALU_DEP_1)
	v_dual_sub_f32 v96, v97, v96 :: v_dual_mul_f32 v13, v94, v13
	v_add_f32_e32 v13, v96, v13
	s_delay_alu instid0(VALU_DEP_1) | instskip(NEXT) | instid1(VALU_DEP_1)
	v_add_f32_e32 v94, v95, v13
	v_mul_f32_e32 v96, v94, v94
	s_delay_alu instid0(VALU_DEP_1) | instskip(SKIP_1) | instid1(VALU_DEP_2)
	v_fmaak_f32 v97, s83, v96, 0x3ecc95a3
	v_mul_f32_e32 v98, v94, v96
	v_fmaak_f32 v96, v96, v97, 0x3f2aaada
	v_ldexp_f32 v97, v94, 1
	v_sub_f32_e32 v94, v94, v95
	s_delay_alu instid0(VALU_DEP_3) | instskip(NEXT) | instid1(VALU_DEP_2)
	v_mul_f32_e32 v96, v98, v96
	v_dual_mul_f32 v98, 0x3f317218, v12 :: v_dual_sub_f32 v13, v13, v94
	s_delay_alu instid0(VALU_DEP_2) | instskip(NEXT) | instid1(VALU_DEP_2)
	v_add_f32_e32 v95, v97, v96
	v_ldexp_f32 v13, v13, 1
	s_delay_alu instid0(VALU_DEP_2) | instskip(NEXT) | instid1(VALU_DEP_4)
	v_sub_f32_e32 v94, v95, v97
	v_fma_f32 v97, 0x3f317218, v12, -v98
	s_delay_alu instid0(VALU_DEP_1) | instskip(NEXT) | instid1(VALU_DEP_1)
	v_dual_sub_f32 v94, v96, v94 :: v_dual_fmac_f32 v97, 0xb102e308, v12
	v_add_f32_e32 v12, v13, v94
	s_delay_alu instid0(VALU_DEP_1) | instskip(NEXT) | instid1(VALU_DEP_1)
	v_add_f32_e32 v94, v95, v12
	v_sub_f32_e32 v95, v94, v95
	s_delay_alu instid0(VALU_DEP_1) | instskip(NEXT) | instid1(VALU_DEP_1)
	v_dual_sub_f32 v12, v12, v95 :: v_dual_add_f32 v13, v98, v97
	v_add_f32_e32 v96, v13, v94
	s_delay_alu instid0(VALU_DEP_1) | instskip(NEXT) | instid1(VALU_DEP_1)
	v_dual_sub_f32 v98, v13, v98 :: v_dual_sub_f32 v99, v96, v13
	v_dual_sub_f32 v97, v97, v98 :: v_dual_sub_f32 v100, v96, v99
	s_delay_alu instid0(VALU_DEP_1) | instskip(NEXT) | instid1(VALU_DEP_2)
	v_dual_sub_f32 v94, v94, v99 :: v_dual_add_f32 v95, v97, v12
	v_sub_f32_e32 v13, v13, v100
	s_delay_alu instid0(VALU_DEP_1) | instskip(NEXT) | instid1(VALU_DEP_3)
	v_add_f32_e32 v13, v94, v13
	v_sub_f32_e32 v94, v95, v97
	s_delay_alu instid0(VALU_DEP_2) | instskip(NEXT) | instid1(VALU_DEP_2)
	v_add_f32_e32 v13, v95, v13
	v_sub_f32_e32 v95, v95, v94
	v_sub_f32_e32 v12, v12, v94
	s_delay_alu instid0(VALU_DEP_2) | instskip(NEXT) | instid1(VALU_DEP_1)
	v_dual_add_f32 v98, v96, v13 :: v_dual_sub_f32 v95, v97, v95
	v_sub_f32_e32 v94, v98, v96
	s_delay_alu instid0(VALU_DEP_1) | instskip(NEXT) | instid1(VALU_DEP_1)
	v_dual_add_f32 v12, v12, v95 :: v_dual_sub_f32 v13, v13, v94
	v_add_f32_e32 v12, v12, v13
	s_delay_alu instid0(VALU_DEP_1) | instskip(NEXT) | instid1(VALU_DEP_1)
	v_add_f32_e32 v12, v98, v12
	v_cndmask_b32_e32 v94, v12, v17, vcc_lo
.LBB18_84:                              ;   in Loop: Header=BB18_12 Depth=1
	s_or_b32 exec_lo, exec_lo, s29
	v_and_b32_e32 v12, 0xffff0000, v14
	s_delay_alu instid0(VALU_DEP_1) | instskip(NEXT) | instid1(VALU_DEP_1)
	v_add_f32_e32 v95, s66, v12
	v_cmp_ge_f32_e32 vcc_lo, 0x41a00000, v95
	s_and_b32 s28, s79, vcc_lo
	s_delay_alu instid0(SALU_CYCLE_1)
	s_and_saveexec_b32 s29, s28
	s_cbranch_execz .LBB18_86
; %bb.85:                               ;   in Loop: Header=BB18_12 Depth=1
	v_mul_f32_e32 v12, 0x3fb8aa3b, v95
	v_cmp_ngt_f32_e32 vcc_lo, 0xc2ce8ed0, v95
	s_delay_alu instid0(VALU_DEP_2) | instskip(SKIP_1) | instid1(VALU_DEP_2)
	v_rndne_f32_e32 v13, v12
	v_fma_f32 v14, 0x3fb8aa3b, v95, -v12
	v_sub_f32_e32 v12, v12, v13
	s_delay_alu instid0(VALU_DEP_2) | instskip(SKIP_1) | instid1(VALU_DEP_2)
	v_fmac_f32_e32 v14, 0x32a5705f, v95
	v_cvt_i32_f32_e32 v13, v13
	v_add_f32_e32 v12, v12, v14
	s_delay_alu instid0(VALU_DEP_1) | instskip(SKIP_2) | instid1(VALU_DEP_1)
	v_exp_f32_e32 v12, v12
	s_waitcnt_depctr 0xfff
	v_ldexp_f32 v12, v12, v13
	v_cndmask_b32_e32 v12, 0, v12, vcc_lo
	v_cmp_nlt_f32_e32 vcc_lo, 0x42b17218, v95
	s_delay_alu instid0(VALU_DEP_2) | instskip(NEXT) | instid1(VALU_DEP_1)
	v_cndmask_b32_e32 v14, 0x7f800000, v12, vcc_lo
	v_add_f32_e32 v17, 1.0, v14
	s_delay_alu instid0(VALU_DEP_1) | instskip(NEXT) | instid1(VALU_DEP_1)
	v_cvt_f64_f32_e32 v[12:13], v17
	v_frexp_exp_i32_f64_e32 v12, v[12:13]
	v_frexp_mant_f32_e32 v13, v17
	s_delay_alu instid0(VALU_DEP_1) | instskip(SKIP_1) | instid1(VALU_DEP_1)
	v_cmp_gt_f32_e32 vcc_lo, 0x3f2aaaab, v13
	v_add_f32_e32 v13, -1.0, v17
	v_sub_f32_e32 v96, v13, v17
	v_sub_f32_e32 v13, v14, v13
	v_subrev_co_ci_u32_e32 v12, vcc_lo, 0, v12, vcc_lo
	s_delay_alu instid0(VALU_DEP_1) | instskip(SKIP_1) | instid1(VALU_DEP_2)
	v_sub_nc_u32_e32 v95, 0, v12
	v_cvt_f32_i32_e32 v12, v12
	v_ldexp_f32 v17, v17, v95
	s_delay_alu instid0(VALU_DEP_1) | instskip(NEXT) | instid1(VALU_DEP_1)
	v_dual_add_f32 v96, 1.0, v96 :: v_dual_add_f32 v97, 1.0, v17
	v_dual_add_f32 v13, v13, v96 :: v_dual_add_f32 v96, -1.0, v97
	s_delay_alu instid0(VALU_DEP_1) | instskip(SKIP_4) | instid1(VALU_DEP_4)
	v_ldexp_f32 v13, v13, v95
	v_add_f32_e32 v95, -1.0, v17
	v_cmp_eq_f32_e32 vcc_lo, 0x7f800000, v14
	v_cmp_gt_f32_e64 s28, 0x33800000, v14
	v_sub_f32_e32 v96, v17, v96
	v_add_f32_e32 v98, 1.0, v95
	s_delay_alu instid0(VALU_DEP_3) | instskip(NEXT) | instid1(VALU_DEP_2)
	s_or_b32 vcc_lo, s28, vcc_lo
	v_add_f32_e32 v96, v13, v96
	s_delay_alu instid0(VALU_DEP_2) | instskip(NEXT) | instid1(VALU_DEP_1)
	v_sub_f32_e32 v17, v17, v98
	v_add_f32_e32 v13, v13, v17
	s_delay_alu instid0(VALU_DEP_1) | instskip(NEXT) | instid1(VALU_DEP_1)
	v_dual_add_f32 v99, v95, v13 :: v_dual_add_f32 v98, v97, v96
	v_sub_f32_e32 v95, v95, v99
	s_delay_alu instid0(VALU_DEP_2) | instskip(SKIP_1) | instid1(VALU_DEP_1)
	v_rcp_f32_e32 v17, v98
	v_sub_f32_e32 v97, v97, v98
	v_dual_add_f32 v13, v13, v95 :: v_dual_add_f32 v96, v96, v97
	s_waitcnt_depctr 0xfff
	v_mul_f32_e32 v100, v99, v17
	s_delay_alu instid0(VALU_DEP_1) | instskip(NEXT) | instid1(VALU_DEP_1)
	v_mul_f32_e32 v101, v98, v100
	v_fma_f32 v97, v100, v98, -v101
	s_delay_alu instid0(VALU_DEP_1) | instskip(NEXT) | instid1(VALU_DEP_1)
	v_fmac_f32_e32 v97, v100, v96
	v_add_f32_e32 v102, v101, v97
	s_delay_alu instid0(VALU_DEP_1) | instskip(NEXT) | instid1(VALU_DEP_1)
	v_sub_f32_e32 v103, v99, v102
	v_sub_f32_e32 v99, v99, v103
	;; [unrolled: 1-line block ×3, first 2 shown]
	s_delay_alu instid0(VALU_DEP_2) | instskip(NEXT) | instid1(VALU_DEP_2)
	v_sub_f32_e32 v99, v99, v102
	v_sub_f32_e32 v95, v95, v97
	s_delay_alu instid0(VALU_DEP_2) | instskip(NEXT) | instid1(VALU_DEP_1)
	v_add_f32_e32 v13, v13, v99
	v_add_f32_e32 v13, v95, v13
	s_delay_alu instid0(VALU_DEP_1) | instskip(NEXT) | instid1(VALU_DEP_1)
	v_add_f32_e32 v95, v103, v13
	v_mul_f32_e32 v97, v17, v95
	s_delay_alu instid0(VALU_DEP_1) | instskip(NEXT) | instid1(VALU_DEP_1)
	v_dual_sub_f32 v102, v103, v95 :: v_dual_mul_f32 v99, v98, v97
	v_add_f32_e32 v13, v13, v102
	s_delay_alu instid0(VALU_DEP_2) | instskip(NEXT) | instid1(VALU_DEP_1)
	v_fma_f32 v98, v97, v98, -v99
	v_fmac_f32_e32 v98, v97, v96
	s_delay_alu instid0(VALU_DEP_1) | instskip(NEXT) | instid1(VALU_DEP_1)
	v_add_f32_e32 v96, v99, v98
	v_sub_f32_e32 v101, v95, v96
	v_sub_f32_e32 v99, v96, v99
	s_delay_alu instid0(VALU_DEP_2) | instskip(NEXT) | instid1(VALU_DEP_1)
	v_sub_f32_e32 v95, v95, v101
	v_sub_f32_e32 v95, v95, v96
	s_delay_alu instid0(VALU_DEP_1) | instskip(SKIP_1) | instid1(VALU_DEP_1)
	v_dual_sub_f32 v96, v99, v98 :: v_dual_add_f32 v13, v13, v95
	v_add_f32_e32 v95, v100, v97
	v_dual_add_f32 v13, v96, v13 :: v_dual_sub_f32 v96, v95, v100
	s_delay_alu instid0(VALU_DEP_1) | instskip(NEXT) | instid1(VALU_DEP_2)
	v_add_f32_e32 v13, v101, v13
	v_sub_f32_e32 v96, v97, v96
	s_delay_alu instid0(VALU_DEP_2) | instskip(NEXT) | instid1(VALU_DEP_1)
	v_mul_f32_e32 v13, v17, v13
	v_add_f32_e32 v13, v96, v13
	s_delay_alu instid0(VALU_DEP_1) | instskip(NEXT) | instid1(VALU_DEP_1)
	v_add_f32_e32 v17, v95, v13
	v_mul_f32_e32 v96, v17, v17
	s_delay_alu instid0(VALU_DEP_1) | instskip(SKIP_1) | instid1(VALU_DEP_2)
	v_fmaak_f32 v97, s83, v96, 0x3ecc95a3
	v_mul_f32_e32 v98, v17, v96
	v_fmaak_f32 v96, v96, v97, 0x3f2aaada
	v_ldexp_f32 v97, v17, 1
	s_delay_alu instid0(VALU_DEP_2) | instskip(NEXT) | instid1(VALU_DEP_1)
	v_dual_sub_f32 v17, v17, v95 :: v_dual_mul_f32 v96, v98, v96
	v_dual_mul_f32 v98, 0x3f317218, v12 :: v_dual_sub_f32 v13, v13, v17
	s_delay_alu instid0(VALU_DEP_2) | instskip(NEXT) | instid1(VALU_DEP_2)
	v_add_f32_e32 v95, v97, v96
	v_ldexp_f32 v13, v13, 1
	s_delay_alu instid0(VALU_DEP_2) | instskip(NEXT) | instid1(VALU_DEP_4)
	v_sub_f32_e32 v17, v95, v97
	v_fma_f32 v97, 0x3f317218, v12, -v98
	s_delay_alu instid0(VALU_DEP_2) | instskip(NEXT) | instid1(VALU_DEP_1)
	v_sub_f32_e32 v17, v96, v17
	v_dual_fmac_f32 v97, 0xb102e308, v12 :: v_dual_add_f32 v12, v13, v17
	s_delay_alu instid0(VALU_DEP_1) | instskip(NEXT) | instid1(VALU_DEP_1)
	v_add_f32_e32 v13, v98, v97
	v_dual_add_f32 v17, v95, v12 :: v_dual_sub_f32 v98, v13, v98
	s_delay_alu instid0(VALU_DEP_1) | instskip(SKIP_1) | instid1(VALU_DEP_3)
	v_add_f32_e32 v96, v13, v17
	v_sub_f32_e32 v95, v17, v95
	v_sub_f32_e32 v97, v97, v98
	s_delay_alu instid0(VALU_DEP_3) | instskip(NEXT) | instid1(VALU_DEP_3)
	v_sub_f32_e32 v99, v96, v13
	v_sub_f32_e32 v12, v12, v95
	s_delay_alu instid0(VALU_DEP_2) | instskip(SKIP_1) | instid1(VALU_DEP_3)
	v_sub_f32_e32 v100, v96, v99
	v_sub_f32_e32 v17, v17, v99
	v_add_f32_e32 v95, v97, v12
	s_delay_alu instid0(VALU_DEP_3) | instskip(NEXT) | instid1(VALU_DEP_1)
	v_sub_f32_e32 v13, v13, v100
	v_add_f32_e32 v13, v17, v13
	s_delay_alu instid0(VALU_DEP_3) | instskip(NEXT) | instid1(VALU_DEP_2)
	v_sub_f32_e32 v17, v95, v97
	v_add_f32_e32 v13, v95, v13
	s_delay_alu instid0(VALU_DEP_2) | instskip(SKIP_1) | instid1(VALU_DEP_2)
	v_sub_f32_e32 v95, v95, v17
	v_sub_f32_e32 v12, v12, v17
	v_dual_add_f32 v98, v96, v13 :: v_dual_sub_f32 v95, v97, v95
	s_delay_alu instid0(VALU_DEP_1) | instskip(NEXT) | instid1(VALU_DEP_1)
	v_dual_sub_f32 v17, v98, v96 :: v_dual_add_f32 v12, v12, v95
	v_sub_f32_e32 v13, v13, v17
	s_delay_alu instid0(VALU_DEP_1) | instskip(NEXT) | instid1(VALU_DEP_1)
	v_add_f32_e32 v12, v12, v13
	v_add_f32_e32 v12, v98, v12
	s_delay_alu instid0(VALU_DEP_1)
	v_cndmask_b32_e32 v95, v12, v14, vcc_lo
.LBB18_86:                              ;   in Loop: Header=BB18_12 Depth=1
	s_or_b32 exec_lo, exec_lo, s29
	v_lshlrev_b32_e32 v12, 16, v15
	s_delay_alu instid0(VALU_DEP_1) | instskip(NEXT) | instid1(VALU_DEP_1)
	v_add_f32_e32 v96, s66, v12
	v_cmp_ge_f32_e32 vcc_lo, 0x41a00000, v96
	s_and_b32 s28, s79, vcc_lo
	s_delay_alu instid0(SALU_CYCLE_1)
	s_and_saveexec_b32 s29, s28
	s_cbranch_execz .LBB18_88
; %bb.87:                               ;   in Loop: Header=BB18_12 Depth=1
	v_mul_f32_e32 v12, 0x3fb8aa3b, v96
	v_cmp_ngt_f32_e32 vcc_lo, 0xc2ce8ed0, v96
	s_delay_alu instid0(VALU_DEP_2) | instskip(SKIP_1) | instid1(VALU_DEP_2)
	v_rndne_f32_e32 v13, v12
	v_fma_f32 v14, 0x3fb8aa3b, v96, -v12
	v_sub_f32_e32 v12, v12, v13
	s_delay_alu instid0(VALU_DEP_2) | instskip(SKIP_1) | instid1(VALU_DEP_2)
	v_fmac_f32_e32 v14, 0x32a5705f, v96
	v_cvt_i32_f32_e32 v13, v13
	v_add_f32_e32 v12, v12, v14
	s_delay_alu instid0(VALU_DEP_1) | instskip(SKIP_2) | instid1(VALU_DEP_1)
	v_exp_f32_e32 v12, v12
	s_waitcnt_depctr 0xfff
	v_ldexp_f32 v12, v12, v13
	v_cndmask_b32_e32 v12, 0, v12, vcc_lo
	v_cmp_nlt_f32_e32 vcc_lo, 0x42b17218, v96
	s_delay_alu instid0(VALU_DEP_2) | instskip(NEXT) | instid1(VALU_DEP_1)
	v_cndmask_b32_e32 v14, 0x7f800000, v12, vcc_lo
	v_add_f32_e32 v17, 1.0, v14
	s_delay_alu instid0(VALU_DEP_1) | instskip(NEXT) | instid1(VALU_DEP_1)
	v_cvt_f64_f32_e32 v[12:13], v17
	v_frexp_exp_i32_f64_e32 v12, v[12:13]
	v_frexp_mant_f32_e32 v13, v17
	s_delay_alu instid0(VALU_DEP_1) | instskip(SKIP_1) | instid1(VALU_DEP_1)
	v_cmp_gt_f32_e32 vcc_lo, 0x3f2aaaab, v13
	v_add_f32_e32 v13, -1.0, v17
	v_sub_f32_e32 v97, v13, v17
	s_delay_alu instid0(VALU_DEP_1) | instskip(SKIP_2) | instid1(VALU_DEP_2)
	v_add_f32_e32 v97, 1.0, v97
	v_sub_f32_e32 v13, v14, v13
	v_cmp_gt_f32_e64 s28, 0x33800000, v14
	v_add_f32_e32 v13, v13, v97
	v_subrev_co_ci_u32_e32 v12, vcc_lo, 0, v12, vcc_lo
	v_cmp_eq_f32_e32 vcc_lo, 0x7f800000, v14
	s_delay_alu instid0(VALU_DEP_2) | instskip(SKIP_2) | instid1(VALU_DEP_2)
	v_sub_nc_u32_e32 v96, 0, v12
	v_cvt_f32_i32_e32 v12, v12
	s_or_b32 vcc_lo, s28, vcc_lo
	v_ldexp_f32 v17, v17, v96
	v_ldexp_f32 v13, v13, v96
	s_delay_alu instid0(VALU_DEP_2) | instskip(NEXT) | instid1(VALU_DEP_1)
	v_add_f32_e32 v96, -1.0, v17
	v_dual_add_f32 v98, 1.0, v17 :: v_dual_add_f32 v99, 1.0, v96
	s_delay_alu instid0(VALU_DEP_1) | instskip(NEXT) | instid1(VALU_DEP_1)
	v_add_f32_e32 v97, -1.0, v98
	v_sub_f32_e32 v97, v17, v97
	s_delay_alu instid0(VALU_DEP_3) | instskip(NEXT) | instid1(VALU_DEP_2)
	v_sub_f32_e32 v17, v17, v99
	v_add_f32_e32 v97, v13, v97
	s_delay_alu instid0(VALU_DEP_2) | instskip(NEXT) | instid1(VALU_DEP_1)
	v_add_f32_e32 v13, v13, v17
	v_add_f32_e32 v100, v96, v13
	s_delay_alu instid0(VALU_DEP_1) | instskip(NEXT) | instid1(VALU_DEP_1)
	v_dual_sub_f32 v96, v96, v100 :: v_dual_add_f32 v99, v98, v97
	v_add_f32_e32 v13, v13, v96
	s_delay_alu instid0(VALU_DEP_2) | instskip(SKIP_1) | instid1(VALU_DEP_1)
	v_rcp_f32_e32 v17, v99
	v_sub_f32_e32 v98, v98, v99
	v_add_f32_e32 v97, v97, v98
	s_waitcnt_depctr 0xfff
	v_mul_f32_e32 v101, v100, v17
	s_delay_alu instid0(VALU_DEP_1) | instskip(NEXT) | instid1(VALU_DEP_1)
	v_mul_f32_e32 v102, v99, v101
	v_fma_f32 v98, v101, v99, -v102
	s_delay_alu instid0(VALU_DEP_1) | instskip(NEXT) | instid1(VALU_DEP_1)
	v_fmac_f32_e32 v98, v101, v97
	v_add_f32_e32 v103, v102, v98
	s_delay_alu instid0(VALU_DEP_1) | instskip(SKIP_1) | instid1(VALU_DEP_2)
	v_sub_f32_e32 v104, v100, v103
	v_sub_f32_e32 v96, v103, v102
	;; [unrolled: 1-line block ×3, first 2 shown]
	s_delay_alu instid0(VALU_DEP_1) | instskip(NEXT) | instid1(VALU_DEP_1)
	v_sub_f32_e32 v100, v100, v103
	v_dual_sub_f32 v96, v96, v98 :: v_dual_add_f32 v13, v13, v100
	s_delay_alu instid0(VALU_DEP_1) | instskip(NEXT) | instid1(VALU_DEP_1)
	v_add_f32_e32 v13, v96, v13
	v_add_f32_e32 v96, v104, v13
	s_delay_alu instid0(VALU_DEP_1) | instskip(NEXT) | instid1(VALU_DEP_1)
	v_mul_f32_e32 v98, v17, v96
	v_dual_sub_f32 v103, v104, v96 :: v_dual_mul_f32 v100, v99, v98
	s_delay_alu instid0(VALU_DEP_1) | instskip(NEXT) | instid1(VALU_DEP_2)
	v_add_f32_e32 v13, v13, v103
	v_fma_f32 v99, v98, v99, -v100
	s_delay_alu instid0(VALU_DEP_1) | instskip(NEXT) | instid1(VALU_DEP_1)
	v_fmac_f32_e32 v99, v98, v97
	v_add_f32_e32 v97, v100, v99
	s_delay_alu instid0(VALU_DEP_1) | instskip(NEXT) | instid1(VALU_DEP_1)
	v_sub_f32_e32 v102, v96, v97
	v_sub_f32_e32 v96, v96, v102
	s_delay_alu instid0(VALU_DEP_1) | instskip(NEXT) | instid1(VALU_DEP_1)
	v_sub_f32_e32 v96, v96, v97
	v_add_f32_e32 v13, v13, v96
	v_add_f32_e32 v96, v101, v98
	v_sub_f32_e32 v100, v97, v100
	s_delay_alu instid0(VALU_DEP_1) | instskip(NEXT) | instid1(VALU_DEP_1)
	v_sub_f32_e32 v97, v100, v99
	v_add_f32_e32 v13, v97, v13
	s_delay_alu instid0(VALU_DEP_4) | instskip(NEXT) | instid1(VALU_DEP_2)
	v_sub_f32_e32 v97, v96, v101
	v_add_f32_e32 v13, v102, v13
	s_delay_alu instid0(VALU_DEP_2) | instskip(NEXT) | instid1(VALU_DEP_2)
	v_sub_f32_e32 v97, v98, v97
	v_mul_f32_e32 v13, v17, v13
	s_delay_alu instid0(VALU_DEP_1) | instskip(NEXT) | instid1(VALU_DEP_1)
	v_add_f32_e32 v13, v97, v13
	v_add_f32_e32 v17, v96, v13
	s_delay_alu instid0(VALU_DEP_1) | instskip(NEXT) | instid1(VALU_DEP_1)
	v_mul_f32_e32 v97, v17, v17
	v_fmaak_f32 v98, s83, v97, 0x3ecc95a3
	v_mul_f32_e32 v99, v17, v97
	s_delay_alu instid0(VALU_DEP_2) | instskip(SKIP_1) | instid1(VALU_DEP_2)
	v_fmaak_f32 v97, v97, v98, 0x3f2aaada
	v_ldexp_f32 v98, v17, 1
	v_mul_f32_e32 v97, v99, v97
	s_delay_alu instid0(VALU_DEP_1) | instskip(NEXT) | instid1(VALU_DEP_1)
	v_dual_sub_f32 v17, v17, v96 :: v_dual_add_f32 v96, v98, v97
	v_sub_f32_e32 v13, v13, v17
	s_delay_alu instid0(VALU_DEP_2) | instskip(NEXT) | instid1(VALU_DEP_2)
	v_sub_f32_e32 v17, v96, v98
	v_ldexp_f32 v13, v13, 1
	s_delay_alu instid0(VALU_DEP_2) | instskip(SKIP_1) | instid1(VALU_DEP_1)
	v_sub_f32_e32 v17, v97, v17
	v_mul_f32_e32 v99, 0x3f317218, v12
	v_fma_f32 v98, 0x3f317218, v12, -v99
	s_delay_alu instid0(VALU_DEP_1) | instskip(NEXT) | instid1(VALU_DEP_1)
	v_fmac_f32_e32 v98, 0xb102e308, v12
	v_dual_add_f32 v12, v13, v17 :: v_dual_add_f32 v13, v99, v98
	s_delay_alu instid0(VALU_DEP_1) | instskip(NEXT) | instid1(VALU_DEP_1)
	v_add_f32_e32 v17, v96, v12
	v_add_f32_e32 v97, v13, v17
	v_sub_f32_e32 v96, v17, v96
	s_delay_alu instid0(VALU_DEP_2) | instskip(NEXT) | instid1(VALU_DEP_2)
	v_sub_f32_e32 v100, v97, v13
	v_dual_sub_f32 v12, v12, v96 :: v_dual_sub_f32 v99, v13, v99
	s_delay_alu instid0(VALU_DEP_2) | instskip(NEXT) | instid1(VALU_DEP_2)
	v_sub_f32_e32 v101, v97, v100
	v_dual_sub_f32 v17, v17, v100 :: v_dual_sub_f32 v98, v98, v99
	s_delay_alu instid0(VALU_DEP_1) | instskip(NEXT) | instid1(VALU_DEP_1)
	v_dual_sub_f32 v13, v13, v101 :: v_dual_add_f32 v96, v98, v12
	v_add_f32_e32 v13, v17, v13
	s_delay_alu instid0(VALU_DEP_2) | instskip(NEXT) | instid1(VALU_DEP_2)
	v_sub_f32_e32 v17, v96, v98
	v_add_f32_e32 v13, v96, v13
	s_delay_alu instid0(VALU_DEP_2) | instskip(SKIP_1) | instid1(VALU_DEP_2)
	v_sub_f32_e32 v96, v96, v17
	v_sub_f32_e32 v12, v12, v17
	v_dual_add_f32 v99, v97, v13 :: v_dual_sub_f32 v96, v98, v96
	s_delay_alu instid0(VALU_DEP_1) | instskip(NEXT) | instid1(VALU_DEP_1)
	v_dual_sub_f32 v17, v99, v97 :: v_dual_add_f32 v12, v12, v96
	v_sub_f32_e32 v13, v13, v17
	s_delay_alu instid0(VALU_DEP_1) | instskip(NEXT) | instid1(VALU_DEP_1)
	v_add_f32_e32 v12, v12, v13
	v_add_f32_e32 v12, v99, v12
	s_delay_alu instid0(VALU_DEP_1)
	v_cndmask_b32_e32 v96, v12, v14, vcc_lo
.LBB18_88:                              ;   in Loop: Header=BB18_12 Depth=1
	s_or_b32 exec_lo, exec_lo, s29
	v_and_b32_e32 v12, 0xffff0000, v15
	s_delay_alu instid0(VALU_DEP_1) | instskip(NEXT) | instid1(VALU_DEP_1)
	v_add_f32_e32 v97, s66, v12
	v_cmp_ge_f32_e32 vcc_lo, 0x41a00000, v97
	s_and_b32 s28, s79, vcc_lo
	s_delay_alu instid0(SALU_CYCLE_1)
	s_and_saveexec_b32 s29, s28
	s_cbranch_execz .LBB18_90
; %bb.89:                               ;   in Loop: Header=BB18_12 Depth=1
	v_mul_f32_e32 v12, 0x3fb8aa3b, v97
	v_cmp_ngt_f32_e32 vcc_lo, 0xc2ce8ed0, v97
	s_delay_alu instid0(VALU_DEP_2) | instskip(SKIP_1) | instid1(VALU_DEP_2)
	v_rndne_f32_e32 v13, v12
	v_fma_f32 v14, 0x3fb8aa3b, v97, -v12
	v_sub_f32_e32 v12, v12, v13
	s_delay_alu instid0(VALU_DEP_2) | instskip(SKIP_1) | instid1(VALU_DEP_2)
	v_fmac_f32_e32 v14, 0x32a5705f, v97
	v_cvt_i32_f32_e32 v13, v13
	v_add_f32_e32 v12, v12, v14
	s_delay_alu instid0(VALU_DEP_1) | instskip(SKIP_2) | instid1(VALU_DEP_1)
	v_exp_f32_e32 v12, v12
	s_waitcnt_depctr 0xfff
	v_ldexp_f32 v12, v12, v13
	v_cndmask_b32_e32 v12, 0, v12, vcc_lo
	v_cmp_nlt_f32_e32 vcc_lo, 0x42b17218, v97
	s_delay_alu instid0(VALU_DEP_2) | instskip(NEXT) | instid1(VALU_DEP_1)
	v_cndmask_b32_e32 v14, 0x7f800000, v12, vcc_lo
	v_add_f32_e32 v15, 1.0, v14
	s_delay_alu instid0(VALU_DEP_1) | instskip(NEXT) | instid1(VALU_DEP_1)
	v_cvt_f64_f32_e32 v[12:13], v15
	v_frexp_exp_i32_f64_e32 v12, v[12:13]
	v_frexp_mant_f32_e32 v13, v15
	s_delay_alu instid0(VALU_DEP_1) | instskip(SKIP_1) | instid1(VALU_DEP_1)
	v_cmp_gt_f32_e32 vcc_lo, 0x3f2aaaab, v13
	v_add_f32_e32 v13, -1.0, v15
	v_sub_f32_e32 v97, v13, v15
	v_sub_f32_e32 v13, v14, v13
	s_delay_alu instid0(VALU_DEP_2) | instskip(NEXT) | instid1(VALU_DEP_1)
	v_add_f32_e32 v97, 1.0, v97
	v_add_f32_e32 v13, v13, v97
	v_cmp_gt_f32_e64 s28, 0x33800000, v14
	v_subrev_co_ci_u32_e32 v12, vcc_lo, 0, v12, vcc_lo
	v_cmp_eq_f32_e32 vcc_lo, 0x7f800000, v14
	s_delay_alu instid0(VALU_DEP_2) | instskip(SKIP_2) | instid1(VALU_DEP_2)
	v_sub_nc_u32_e32 v17, 0, v12
	v_cvt_f32_i32_e32 v12, v12
	s_or_b32 vcc_lo, s28, vcc_lo
	v_ldexp_f32 v15, v15, v17
	v_ldexp_f32 v13, v13, v17
	s_delay_alu instid0(VALU_DEP_2) | instskip(SKIP_1) | instid1(VALU_DEP_2)
	v_add_f32_e32 v98, 1.0, v15
	v_add_f32_e32 v17, -1.0, v15
	v_add_f32_e32 v97, -1.0, v98
	s_delay_alu instid0(VALU_DEP_2) | instskip(NEXT) | instid1(VALU_DEP_2)
	v_add_f32_e32 v99, 1.0, v17
	v_sub_f32_e32 v97, v15, v97
	s_delay_alu instid0(VALU_DEP_2) | instskip(NEXT) | instid1(VALU_DEP_2)
	v_sub_f32_e32 v15, v15, v99
	v_add_f32_e32 v97, v13, v97
	s_delay_alu instid0(VALU_DEP_2) | instskip(NEXT) | instid1(VALU_DEP_1)
	v_add_f32_e32 v13, v13, v15
	v_add_f32_e32 v100, v17, v13
	s_delay_alu instid0(VALU_DEP_3) | instskip(NEXT) | instid1(VALU_DEP_1)
	v_add_f32_e32 v99, v98, v97
	v_rcp_f32_e32 v15, v99
	v_sub_f32_e32 v98, v98, v99
	s_delay_alu instid0(VALU_DEP_1) | instskip(SKIP_2) | instid1(VALU_DEP_1)
	v_add_f32_e32 v97, v97, v98
	s_waitcnt_depctr 0xfff
	v_mul_f32_e32 v101, v100, v15
	v_dual_mul_f32 v102, v99, v101 :: v_dual_sub_f32 v17, v17, v100
	s_delay_alu instid0(VALU_DEP_1) | instskip(NEXT) | instid1(VALU_DEP_2)
	v_fma_f32 v98, v101, v99, -v102
	v_add_f32_e32 v13, v13, v17
	s_delay_alu instid0(VALU_DEP_2) | instskip(NEXT) | instid1(VALU_DEP_1)
	v_fmac_f32_e32 v98, v101, v97
	v_add_f32_e32 v103, v102, v98
	s_delay_alu instid0(VALU_DEP_1) | instskip(NEXT) | instid1(VALU_DEP_1)
	v_dual_sub_f32 v104, v100, v103 :: v_dual_sub_f32 v17, v103, v102
	v_dual_sub_f32 v100, v100, v104 :: v_dual_sub_f32 v17, v17, v98
	s_delay_alu instid0(VALU_DEP_1) | instskip(NEXT) | instid1(VALU_DEP_1)
	v_sub_f32_e32 v100, v100, v103
	v_add_f32_e32 v13, v13, v100
	s_delay_alu instid0(VALU_DEP_1) | instskip(NEXT) | instid1(VALU_DEP_1)
	v_add_f32_e32 v13, v17, v13
	v_add_f32_e32 v17, v104, v13
	s_delay_alu instid0(VALU_DEP_1) | instskip(NEXT) | instid1(VALU_DEP_1)
	v_mul_f32_e32 v98, v15, v17
	v_dual_sub_f32 v103, v104, v17 :: v_dual_mul_f32 v100, v99, v98
	s_delay_alu instid0(VALU_DEP_1) | instskip(NEXT) | instid1(VALU_DEP_2)
	v_add_f32_e32 v13, v13, v103
	v_fma_f32 v99, v98, v99, -v100
	s_delay_alu instid0(VALU_DEP_1) | instskip(NEXT) | instid1(VALU_DEP_1)
	v_fmac_f32_e32 v99, v98, v97
	v_add_f32_e32 v97, v100, v99
	s_delay_alu instid0(VALU_DEP_1) | instskip(SKIP_1) | instid1(VALU_DEP_2)
	v_sub_f32_e32 v102, v17, v97
	v_sub_f32_e32 v100, v97, v100
	;; [unrolled: 1-line block ×3, first 2 shown]
	s_delay_alu instid0(VALU_DEP_1) | instskip(NEXT) | instid1(VALU_DEP_3)
	v_sub_f32_e32 v17, v17, v97
	v_sub_f32_e32 v97, v100, v99
	s_delay_alu instid0(VALU_DEP_2) | instskip(SKIP_1) | instid1(VALU_DEP_2)
	v_add_f32_e32 v13, v13, v17
	v_add_f32_e32 v17, v101, v98
	;; [unrolled: 1-line block ×3, first 2 shown]
	s_delay_alu instid0(VALU_DEP_2) | instskip(NEXT) | instid1(VALU_DEP_2)
	v_sub_f32_e32 v97, v17, v101
	v_add_f32_e32 v13, v102, v13
	s_delay_alu instid0(VALU_DEP_2) | instskip(NEXT) | instid1(VALU_DEP_2)
	v_sub_f32_e32 v97, v98, v97
	v_mul_f32_e32 v13, v15, v13
	s_delay_alu instid0(VALU_DEP_1) | instskip(NEXT) | instid1(VALU_DEP_1)
	v_add_f32_e32 v13, v97, v13
	v_add_f32_e32 v15, v17, v13
	s_delay_alu instid0(VALU_DEP_1) | instskip(NEXT) | instid1(VALU_DEP_1)
	v_mul_f32_e32 v97, v15, v15
	v_fmaak_f32 v98, s83, v97, 0x3ecc95a3
	v_mul_f32_e32 v99, v15, v97
	s_delay_alu instid0(VALU_DEP_2) | instskip(SKIP_2) | instid1(VALU_DEP_3)
	v_fmaak_f32 v97, v97, v98, 0x3f2aaada
	v_ldexp_f32 v98, v15, 1
	v_sub_f32_e32 v15, v15, v17
	v_mul_f32_e32 v97, v99, v97
	v_mul_f32_e32 v99, 0x3f317218, v12
	s_delay_alu instid0(VALU_DEP_3) | instskip(NEXT) | instid1(VALU_DEP_3)
	v_sub_f32_e32 v13, v13, v15
	v_add_f32_e32 v17, v98, v97
	s_delay_alu instid0(VALU_DEP_2) | instskip(NEXT) | instid1(VALU_DEP_2)
	v_ldexp_f32 v13, v13, 1
	v_sub_f32_e32 v15, v17, v98
	v_fma_f32 v98, 0x3f317218, v12, -v99
	s_delay_alu instid0(VALU_DEP_1) | instskip(NEXT) | instid1(VALU_DEP_1)
	v_dual_sub_f32 v15, v97, v15 :: v_dual_fmac_f32 v98, 0xb102e308, v12
	v_dual_add_f32 v12, v13, v15 :: v_dual_add_f32 v13, v99, v98
	s_delay_alu instid0(VALU_DEP_1) | instskip(NEXT) | instid1(VALU_DEP_1)
	v_add_f32_e32 v15, v17, v12
	v_add_f32_e32 v97, v13, v15
	v_sub_f32_e32 v17, v15, v17
	s_delay_alu instid0(VALU_DEP_2) | instskip(NEXT) | instid1(VALU_DEP_2)
	v_sub_f32_e32 v100, v97, v13
	v_dual_sub_f32 v99, v13, v99 :: v_dual_sub_f32 v12, v12, v17
	s_delay_alu instid0(VALU_DEP_1) | instskip(SKIP_1) | instid1(VALU_DEP_2)
	v_dual_sub_f32 v101, v97, v100 :: v_dual_sub_f32 v98, v98, v99
	v_sub_f32_e32 v15, v15, v100
	v_sub_f32_e32 v13, v13, v101
	s_delay_alu instid0(VALU_DEP_3) | instskip(NEXT) | instid1(VALU_DEP_2)
	v_add_f32_e32 v17, v98, v12
	v_add_f32_e32 v13, v15, v13
	s_delay_alu instid0(VALU_DEP_2) | instskip(NEXT) | instid1(VALU_DEP_2)
	v_sub_f32_e32 v15, v17, v98
	v_add_f32_e32 v13, v17, v13
	s_delay_alu instid0(VALU_DEP_2) | instskip(NEXT) | instid1(VALU_DEP_2)
	v_sub_f32_e32 v17, v17, v15
	v_dual_sub_f32 v12, v12, v15 :: v_dual_add_f32 v99, v97, v13
	s_delay_alu instid0(VALU_DEP_2) | instskip(NEXT) | instid1(VALU_DEP_2)
	v_sub_f32_e32 v17, v98, v17
	v_sub_f32_e32 v15, v99, v97
	s_delay_alu instid0(VALU_DEP_1) | instskip(NEXT) | instid1(VALU_DEP_1)
	v_dual_add_f32 v12, v12, v17 :: v_dual_sub_f32 v13, v13, v15
	v_add_f32_e32 v12, v12, v13
	s_delay_alu instid0(VALU_DEP_1) | instskip(NEXT) | instid1(VALU_DEP_1)
	v_add_f32_e32 v12, v99, v12
	v_cndmask_b32_e32 v97, v12, v14, vcc_lo
.LBB18_90:                              ;   in Loop: Header=BB18_12 Depth=1
	s_or_b32 exec_lo, exec_lo, s29
	s_waitcnt lgkmcnt(0)
	v_lshlrev_b32_e32 v12, 16, v8
	s_delay_alu instid0(VALU_DEP_1) | instskip(NEXT) | instid1(VALU_DEP_1)
	v_add_f32_e32 v98, s66, v12
	v_cmp_ge_f32_e32 vcc_lo, 0x41a00000, v98
	s_and_b32 s28, s79, vcc_lo
	s_delay_alu instid0(SALU_CYCLE_1)
	s_and_saveexec_b32 s29, s28
	s_cbranch_execz .LBB18_92
; %bb.91:                               ;   in Loop: Header=BB18_12 Depth=1
	v_mul_f32_e32 v12, 0x3fb8aa3b, v98
	v_cmp_ngt_f32_e32 vcc_lo, 0xc2ce8ed0, v98
	s_delay_alu instid0(VALU_DEP_2) | instskip(SKIP_1) | instid1(VALU_DEP_2)
	v_rndne_f32_e32 v13, v12
	v_fma_f32 v14, 0x3fb8aa3b, v98, -v12
	v_sub_f32_e32 v12, v12, v13
	s_delay_alu instid0(VALU_DEP_2) | instskip(SKIP_1) | instid1(VALU_DEP_2)
	v_fmac_f32_e32 v14, 0x32a5705f, v98
	v_cvt_i32_f32_e32 v13, v13
	v_add_f32_e32 v12, v12, v14
	s_delay_alu instid0(VALU_DEP_1) | instskip(SKIP_2) | instid1(VALU_DEP_1)
	v_exp_f32_e32 v12, v12
	s_waitcnt_depctr 0xfff
	v_ldexp_f32 v12, v12, v13
	v_cndmask_b32_e32 v12, 0, v12, vcc_lo
	v_cmp_nlt_f32_e32 vcc_lo, 0x42b17218, v98
	s_delay_alu instid0(VALU_DEP_2) | instskip(NEXT) | instid1(VALU_DEP_1)
	v_cndmask_b32_e32 v14, 0x7f800000, v12, vcc_lo
	v_add_f32_e32 v15, 1.0, v14
	s_delay_alu instid0(VALU_DEP_1) | instskip(NEXT) | instid1(VALU_DEP_1)
	v_cvt_f64_f32_e32 v[12:13], v15
	v_frexp_exp_i32_f64_e32 v12, v[12:13]
	v_frexp_mant_f32_e32 v13, v15
	s_delay_alu instid0(VALU_DEP_1) | instskip(SKIP_1) | instid1(VALU_DEP_1)
	v_cmp_gt_f32_e32 vcc_lo, 0x3f2aaaab, v13
	v_add_f32_e32 v13, -1.0, v15
	v_dual_sub_f32 v98, v13, v15 :: v_dual_sub_f32 v13, v14, v13
	s_delay_alu instid0(VALU_DEP_1) | instskip(NEXT) | instid1(VALU_DEP_1)
	v_add_f32_e32 v98, 1.0, v98
	v_add_f32_e32 v13, v13, v98
	v_subrev_co_ci_u32_e32 v12, vcc_lo, 0, v12, vcc_lo
	s_delay_alu instid0(VALU_DEP_1) | instskip(SKIP_1) | instid1(VALU_DEP_2)
	v_sub_nc_u32_e32 v17, 0, v12
	v_cvt_f32_i32_e32 v12, v12
	v_ldexp_f32 v15, v15, v17
	v_ldexp_f32 v13, v13, v17
	s_delay_alu instid0(VALU_DEP_2) | instskip(SKIP_3) | instid1(VALU_DEP_4)
	v_add_f32_e32 v99, 1.0, v15
	v_add_f32_e32 v17, -1.0, v15
	v_cmp_eq_f32_e32 vcc_lo, 0x7f800000, v14
	v_cmp_gt_f32_e64 s28, 0x33800000, v14
	v_add_f32_e32 v98, -1.0, v99
	s_delay_alu instid0(VALU_DEP_4) | instskip(NEXT) | instid1(VALU_DEP_3)
	v_add_f32_e32 v100, 1.0, v17
	s_or_b32 vcc_lo, s28, vcc_lo
	s_delay_alu instid0(VALU_DEP_2) | instskip(NEXT) | instid1(VALU_DEP_1)
	v_sub_f32_e32 v98, v15, v98
	v_dual_sub_f32 v15, v15, v100 :: v_dual_add_f32 v98, v13, v98
	s_delay_alu instid0(VALU_DEP_1) | instskip(NEXT) | instid1(VALU_DEP_1)
	v_add_f32_e32 v13, v13, v15
	v_dual_add_f32 v101, v17, v13 :: v_dual_add_f32 v100, v99, v98
	s_delay_alu instid0(VALU_DEP_1) | instskip(NEXT) | instid1(VALU_DEP_2)
	v_sub_f32_e32 v17, v17, v101
	v_rcp_f32_e32 v15, v100
	v_sub_f32_e32 v99, v99, v100
	s_delay_alu instid0(VALU_DEP_1) | instskip(SKIP_2) | instid1(VALU_DEP_1)
	v_dual_add_f32 v98, v98, v99 :: v_dual_add_f32 v13, v13, v17
	s_waitcnt_depctr 0xfff
	v_mul_f32_e32 v102, v101, v15
	v_mul_f32_e32 v103, v100, v102
	s_delay_alu instid0(VALU_DEP_1) | instskip(NEXT) | instid1(VALU_DEP_1)
	v_fma_f32 v99, v102, v100, -v103
	v_fmac_f32_e32 v99, v102, v98
	s_delay_alu instid0(VALU_DEP_1) | instskip(NEXT) | instid1(VALU_DEP_1)
	v_add_f32_e32 v104, v103, v99
	v_sub_f32_e32 v105, v101, v104
	s_delay_alu instid0(VALU_DEP_1) | instskip(SKIP_1) | instid1(VALU_DEP_2)
	v_sub_f32_e32 v101, v101, v105
	v_sub_f32_e32 v17, v104, v103
	;; [unrolled: 1-line block ×3, first 2 shown]
	s_delay_alu instid0(VALU_DEP_2) | instskip(NEXT) | instid1(VALU_DEP_2)
	v_sub_f32_e32 v17, v17, v99
	v_add_f32_e32 v13, v13, v101
	s_delay_alu instid0(VALU_DEP_1) | instskip(NEXT) | instid1(VALU_DEP_1)
	v_add_f32_e32 v13, v17, v13
	v_add_f32_e32 v17, v105, v13
	s_delay_alu instid0(VALU_DEP_1) | instskip(NEXT) | instid1(VALU_DEP_1)
	v_mul_f32_e32 v99, v15, v17
	v_dual_sub_f32 v104, v105, v17 :: v_dual_mul_f32 v101, v100, v99
	s_delay_alu instid0(VALU_DEP_1) | instskip(NEXT) | instid1(VALU_DEP_2)
	v_add_f32_e32 v13, v13, v104
	v_fma_f32 v100, v99, v100, -v101
	s_delay_alu instid0(VALU_DEP_1) | instskip(NEXT) | instid1(VALU_DEP_1)
	v_fmac_f32_e32 v100, v99, v98
	v_add_f32_e32 v98, v101, v100
	s_delay_alu instid0(VALU_DEP_1) | instskip(NEXT) | instid1(VALU_DEP_1)
	v_sub_f32_e32 v103, v17, v98
	v_sub_f32_e32 v17, v17, v103
	s_delay_alu instid0(VALU_DEP_1) | instskip(NEXT) | instid1(VALU_DEP_1)
	v_sub_f32_e32 v17, v17, v98
	v_add_f32_e32 v13, v13, v17
	v_add_f32_e32 v17, v102, v99
	v_sub_f32_e32 v101, v98, v101
	s_delay_alu instid0(VALU_DEP_1) | instskip(NEXT) | instid1(VALU_DEP_1)
	v_sub_f32_e32 v98, v101, v100
	v_dual_add_f32 v13, v98, v13 :: v_dual_sub_f32 v98, v17, v102
	s_delay_alu instid0(VALU_DEP_1) | instskip(NEXT) | instid1(VALU_DEP_2)
	v_add_f32_e32 v13, v103, v13
	v_sub_f32_e32 v98, v99, v98
	s_delay_alu instid0(VALU_DEP_2) | instskip(NEXT) | instid1(VALU_DEP_1)
	v_mul_f32_e32 v13, v15, v13
	v_add_f32_e32 v13, v98, v13
	s_delay_alu instid0(VALU_DEP_1) | instskip(NEXT) | instid1(VALU_DEP_1)
	v_add_f32_e32 v15, v17, v13
	v_mul_f32_e32 v98, v15, v15
	s_delay_alu instid0(VALU_DEP_1) | instskip(SKIP_1) | instid1(VALU_DEP_2)
	v_fmaak_f32 v99, s83, v98, 0x3ecc95a3
	v_mul_f32_e32 v100, v15, v98
	v_fmaak_f32 v98, v98, v99, 0x3f2aaada
	v_ldexp_f32 v99, v15, 1
	s_delay_alu instid0(VALU_DEP_2) | instskip(NEXT) | instid1(VALU_DEP_1)
	v_dual_sub_f32 v15, v15, v17 :: v_dual_mul_f32 v98, v100, v98
	v_dual_mul_f32 v100, 0x3f317218, v12 :: v_dual_sub_f32 v13, v13, v15
	s_delay_alu instid0(VALU_DEP_2) | instskip(NEXT) | instid1(VALU_DEP_2)
	v_add_f32_e32 v17, v99, v98
	v_ldexp_f32 v13, v13, 1
	s_delay_alu instid0(VALU_DEP_2) | instskip(NEXT) | instid1(VALU_DEP_4)
	v_sub_f32_e32 v15, v17, v99
	v_fma_f32 v99, 0x3f317218, v12, -v100
	s_delay_alu instid0(VALU_DEP_2) | instskip(NEXT) | instid1(VALU_DEP_1)
	v_sub_f32_e32 v15, v98, v15
	v_dual_fmac_f32 v99, 0xb102e308, v12 :: v_dual_add_f32 v12, v13, v15
	s_delay_alu instid0(VALU_DEP_1) | instskip(NEXT) | instid1(VALU_DEP_2)
	v_add_f32_e32 v13, v100, v99
	v_add_f32_e32 v15, v17, v12
	s_delay_alu instid0(VALU_DEP_2) | instskip(NEXT) | instid1(VALU_DEP_2)
	v_sub_f32_e32 v100, v13, v100
	v_dual_add_f32 v98, v13, v15 :: v_dual_sub_f32 v17, v15, v17
	s_delay_alu instid0(VALU_DEP_2) | instskip(NEXT) | instid1(VALU_DEP_2)
	v_sub_f32_e32 v99, v99, v100
	v_sub_f32_e32 v101, v98, v13
	s_delay_alu instid0(VALU_DEP_3) | instskip(NEXT) | instid1(VALU_DEP_2)
	v_sub_f32_e32 v12, v12, v17
	v_sub_f32_e32 v102, v98, v101
	;; [unrolled: 1-line block ×3, first 2 shown]
	s_delay_alu instid0(VALU_DEP_3) | instskip(NEXT) | instid1(VALU_DEP_3)
	v_add_f32_e32 v17, v99, v12
	v_sub_f32_e32 v13, v13, v102
	s_delay_alu instid0(VALU_DEP_1) | instskip(NEXT) | instid1(VALU_DEP_3)
	v_add_f32_e32 v13, v15, v13
	v_sub_f32_e32 v15, v17, v99
	s_delay_alu instid0(VALU_DEP_2) | instskip(NEXT) | instid1(VALU_DEP_2)
	v_add_f32_e32 v13, v17, v13
	v_sub_f32_e32 v17, v17, v15
	v_sub_f32_e32 v12, v12, v15
	s_delay_alu instid0(VALU_DEP_3) | instskip(NEXT) | instid1(VALU_DEP_3)
	v_add_f32_e32 v100, v98, v13
	v_sub_f32_e32 v17, v99, v17
	s_delay_alu instid0(VALU_DEP_2) | instskip(NEXT) | instid1(VALU_DEP_1)
	v_sub_f32_e32 v15, v100, v98
	v_dual_add_f32 v12, v12, v17 :: v_dual_sub_f32 v13, v13, v15
	s_delay_alu instid0(VALU_DEP_1) | instskip(NEXT) | instid1(VALU_DEP_1)
	v_add_f32_e32 v12, v12, v13
	v_add_f32_e32 v12, v100, v12
	s_delay_alu instid0(VALU_DEP_1)
	v_cndmask_b32_e32 v98, v12, v14, vcc_lo
.LBB18_92:                              ;   in Loop: Header=BB18_12 Depth=1
	s_or_b32 exec_lo, exec_lo, s29
	v_and_b32_e32 v8, 0xffff0000, v8
	s_delay_alu instid0(VALU_DEP_1) | instskip(NEXT) | instid1(VALU_DEP_1)
	v_add_f32_e32 v99, s66, v8
	v_cmp_ge_f32_e32 vcc_lo, 0x41a00000, v99
	s_and_b32 s28, s79, vcc_lo
	s_delay_alu instid0(SALU_CYCLE_1)
	s_and_saveexec_b32 s29, s28
	s_cbranch_execz .LBB18_94
; %bb.93:                               ;   in Loop: Header=BB18_12 Depth=1
	v_mul_f32_e32 v8, 0x3fb8aa3b, v99
	v_cmp_ngt_f32_e32 vcc_lo, 0xc2ce8ed0, v99
	s_delay_alu instid0(VALU_DEP_2) | instskip(SKIP_1) | instid1(VALU_DEP_1)
	v_rndne_f32_e32 v12, v8
	v_fma_f32 v13, 0x3fb8aa3b, v99, -v8
	v_dual_sub_f32 v8, v8, v12 :: v_dual_fmac_f32 v13, 0x32a5705f, v99
	v_cvt_i32_f32_e32 v12, v12
	s_delay_alu instid0(VALU_DEP_2) | instskip(NEXT) | instid1(VALU_DEP_1)
	v_add_f32_e32 v8, v8, v13
	v_exp_f32_e32 v8, v8
	s_waitcnt_depctr 0xfff
	v_ldexp_f32 v8, v8, v12
	s_delay_alu instid0(VALU_DEP_1) | instskip(SKIP_1) | instid1(VALU_DEP_2)
	v_cndmask_b32_e32 v8, 0, v8, vcc_lo
	v_cmp_nlt_f32_e32 vcc_lo, 0x42b17218, v99
	v_cndmask_b32_e32 v8, 0x7f800000, v8, vcc_lo
	s_delay_alu instid0(VALU_DEP_1) | instskip(NEXT) | instid1(VALU_DEP_1)
	v_add_f32_e32 v14, 1.0, v8
	v_cvt_f64_f32_e32 v[12:13], v14
	s_delay_alu instid0(VALU_DEP_1) | instskip(SKIP_1) | instid1(VALU_DEP_1)
	v_frexp_exp_i32_f64_e32 v12, v[12:13]
	v_frexp_mant_f32_e32 v13, v14
	v_cmp_gt_f32_e32 vcc_lo, 0x3f2aaaab, v13
	v_add_f32_e32 v13, -1.0, v14
	s_delay_alu instid0(VALU_DEP_1) | instskip(NEXT) | instid1(VALU_DEP_1)
	v_sub_f32_e32 v17, v13, v14
	v_add_f32_e32 v17, 1.0, v17
	v_subrev_co_ci_u32_e32 v12, vcc_lo, 0, v12, vcc_lo
	s_delay_alu instid0(VALU_DEP_1) | instskip(SKIP_1) | instid1(VALU_DEP_2)
	v_sub_nc_u32_e32 v15, 0, v12
	v_cvt_f32_i32_e32 v12, v12
	v_ldexp_f32 v14, v14, v15
	s_delay_alu instid0(VALU_DEP_1) | instskip(SKIP_3) | instid1(VALU_DEP_3)
	v_add_f32_e32 v99, 1.0, v14
	v_sub_f32_e32 v13, v8, v13
	v_cmp_eq_f32_e32 vcc_lo, 0x7f800000, v8
	v_cmp_gt_f32_e64 s28, 0x33800000, v8
	v_add_f32_e32 v13, v13, v17
	s_delay_alu instid0(VALU_DEP_2) | instskip(NEXT) | instid1(VALU_DEP_1)
	s_or_b32 vcc_lo, s28, vcc_lo
	v_ldexp_f32 v13, v13, v15
	v_add_f32_e32 v15, -1.0, v14
	s_delay_alu instid0(VALU_DEP_1) | instskip(SKIP_1) | instid1(VALU_DEP_1)
	v_add_f32_e32 v100, 1.0, v15
	v_add_f32_e32 v17, -1.0, v99
	v_sub_f32_e32 v17, v14, v17
	s_delay_alu instid0(VALU_DEP_1) | instskip(NEXT) | instid1(VALU_DEP_1)
	v_dual_sub_f32 v14, v14, v100 :: v_dual_add_f32 v17, v13, v17
	v_add_f32_e32 v100, v99, v17
	s_delay_alu instid0(VALU_DEP_1) | instskip(NEXT) | instid1(VALU_DEP_1)
	v_sub_f32_e32 v99, v99, v100
	v_add_f32_e32 v17, v17, v99
	s_delay_alu instid0(VALU_DEP_4) | instskip(SKIP_1) | instid1(VALU_DEP_1)
	v_add_f32_e32 v13, v13, v14
	v_rcp_f32_e32 v14, v100
	v_add_f32_e32 v101, v15, v13
	s_waitcnt_depctr 0xfff
	v_dual_sub_f32 v15, v15, v101 :: v_dual_mul_f32 v102, v101, v14
	s_delay_alu instid0(VALU_DEP_1) | instskip(NEXT) | instid1(VALU_DEP_2)
	v_add_f32_e32 v13, v13, v15
	v_mul_f32_e32 v103, v100, v102
	s_delay_alu instid0(VALU_DEP_1) | instskip(NEXT) | instid1(VALU_DEP_1)
	v_fma_f32 v99, v102, v100, -v103
	v_fmac_f32_e32 v99, v102, v17
	s_delay_alu instid0(VALU_DEP_1) | instskip(NEXT) | instid1(VALU_DEP_1)
	v_add_f32_e32 v104, v103, v99
	v_sub_f32_e32 v105, v101, v104
	v_sub_f32_e32 v15, v104, v103
	s_delay_alu instid0(VALU_DEP_2) | instskip(NEXT) | instid1(VALU_DEP_2)
	v_sub_f32_e32 v101, v101, v105
	v_sub_f32_e32 v15, v15, v99
	s_delay_alu instid0(VALU_DEP_2) | instskip(NEXT) | instid1(VALU_DEP_1)
	v_sub_f32_e32 v101, v101, v104
	v_add_f32_e32 v13, v13, v101
	s_delay_alu instid0(VALU_DEP_1) | instskip(NEXT) | instid1(VALU_DEP_1)
	v_add_f32_e32 v13, v15, v13
	v_add_f32_e32 v15, v105, v13
	s_delay_alu instid0(VALU_DEP_1) | instskip(SKIP_1) | instid1(VALU_DEP_2)
	v_mul_f32_e32 v99, v14, v15
	v_sub_f32_e32 v104, v105, v15
	v_mul_f32_e32 v101, v100, v99
	s_delay_alu instid0(VALU_DEP_2) | instskip(NEXT) | instid1(VALU_DEP_2)
	v_add_f32_e32 v13, v13, v104
	v_fma_f32 v100, v99, v100, -v101
	s_delay_alu instid0(VALU_DEP_1) | instskip(NEXT) | instid1(VALU_DEP_1)
	v_fmac_f32_e32 v100, v99, v17
	v_add_f32_e32 v17, v101, v100
	s_delay_alu instid0(VALU_DEP_1) | instskip(SKIP_1) | instid1(VALU_DEP_2)
	v_sub_f32_e32 v103, v15, v17
	v_sub_f32_e32 v101, v17, v101
	;; [unrolled: 1-line block ×3, first 2 shown]
	s_delay_alu instid0(VALU_DEP_1) | instskip(NEXT) | instid1(VALU_DEP_3)
	v_sub_f32_e32 v15, v15, v17
	v_sub_f32_e32 v17, v101, v100
	s_delay_alu instid0(VALU_DEP_2) | instskip(SKIP_1) | instid1(VALU_DEP_2)
	v_add_f32_e32 v13, v13, v15
	v_add_f32_e32 v15, v102, v99
	;; [unrolled: 1-line block ×3, first 2 shown]
	s_delay_alu instid0(VALU_DEP_2) | instskip(NEXT) | instid1(VALU_DEP_2)
	v_sub_f32_e32 v17, v15, v102
	v_add_f32_e32 v13, v103, v13
	s_delay_alu instid0(VALU_DEP_2) | instskip(NEXT) | instid1(VALU_DEP_2)
	v_sub_f32_e32 v17, v99, v17
	v_mul_f32_e32 v13, v14, v13
	s_delay_alu instid0(VALU_DEP_1) | instskip(NEXT) | instid1(VALU_DEP_1)
	v_add_f32_e32 v13, v17, v13
	v_add_f32_e32 v14, v15, v13
	s_delay_alu instid0(VALU_DEP_1) | instskip(NEXT) | instid1(VALU_DEP_1)
	v_mul_f32_e32 v17, v14, v14
	v_fmaak_f32 v99, s83, v17, 0x3ecc95a3
	s_delay_alu instid0(VALU_DEP_1) | instskip(SKIP_1) | instid1(VALU_DEP_2)
	v_dual_mul_f32 v100, v14, v17 :: v_dual_fmaak_f32 v17, v17, v99, 0x3f2aaada
	v_ldexp_f32 v99, v14, 1
	v_dual_sub_f32 v14, v14, v15 :: v_dual_mul_f32 v17, v100, v17
	s_delay_alu instid0(VALU_DEP_1) | instskip(NEXT) | instid1(VALU_DEP_2)
	v_dual_mul_f32 v100, 0x3f317218, v12 :: v_dual_sub_f32 v13, v13, v14
	v_add_f32_e32 v15, v99, v17
	s_delay_alu instid0(VALU_DEP_2) | instskip(NEXT) | instid1(VALU_DEP_2)
	v_ldexp_f32 v13, v13, 1
	v_sub_f32_e32 v14, v15, v99
	s_delay_alu instid0(VALU_DEP_4) | instskip(NEXT) | instid1(VALU_DEP_1)
	v_fma_f32 v99, 0x3f317218, v12, -v100
	v_dual_sub_f32 v14, v17, v14 :: v_dual_fmac_f32 v99, 0xb102e308, v12
	s_delay_alu instid0(VALU_DEP_1) | instskip(NEXT) | instid1(VALU_DEP_1)
	v_dual_add_f32 v12, v13, v14 :: v_dual_add_f32 v13, v100, v99
	v_add_f32_e32 v14, v15, v12
	s_delay_alu instid0(VALU_DEP_2) | instskip(NEXT) | instid1(VALU_DEP_2)
	v_sub_f32_e32 v100, v13, v100
	v_add_f32_e32 v17, v13, v14
	v_sub_f32_e32 v15, v14, v15
	s_delay_alu instid0(VALU_DEP_3) | instskip(NEXT) | instid1(VALU_DEP_2)
	v_sub_f32_e32 v99, v99, v100
	v_dual_sub_f32 v101, v17, v13 :: v_dual_sub_f32 v12, v12, v15
	s_delay_alu instid0(VALU_DEP_1) | instskip(NEXT) | instid1(VALU_DEP_2)
	v_sub_f32_e32 v102, v17, v101
	v_dual_sub_f32 v14, v14, v101 :: v_dual_add_f32 v15, v99, v12
	s_delay_alu instid0(VALU_DEP_2) | instskip(NEXT) | instid1(VALU_DEP_1)
	v_sub_f32_e32 v13, v13, v102
	v_dual_add_f32 v13, v14, v13 :: v_dual_sub_f32 v14, v15, v99
	s_delay_alu instid0(VALU_DEP_1) | instskip(NEXT) | instid1(VALU_DEP_2)
	v_add_f32_e32 v13, v15, v13
	v_sub_f32_e32 v15, v15, v14
	v_sub_f32_e32 v12, v12, v14
	s_delay_alu instid0(VALU_DEP_2) | instskip(NEXT) | instid1(VALU_DEP_1)
	v_dual_add_f32 v100, v17, v13 :: v_dual_sub_f32 v15, v99, v15
	v_sub_f32_e32 v14, v100, v17
	s_delay_alu instid0(VALU_DEP_1) | instskip(NEXT) | instid1(VALU_DEP_1)
	v_dual_add_f32 v12, v12, v15 :: v_dual_sub_f32 v13, v13, v14
	v_add_f32_e32 v12, v12, v13
	s_delay_alu instid0(VALU_DEP_1) | instskip(NEXT) | instid1(VALU_DEP_1)
	v_add_f32_e32 v12, v100, v12
	v_cndmask_b32_e32 v99, v12, v8, vcc_lo
.LBB18_94:                              ;   in Loop: Header=BB18_12 Depth=1
	s_or_b32 exec_lo, exec_lo, s29
	v_lshlrev_b32_e32 v8, 16, v9
	s_delay_alu instid0(VALU_DEP_1) | instskip(NEXT) | instid1(VALU_DEP_1)
	v_add_f32_e32 v100, s66, v8
	v_cmp_ge_f32_e32 vcc_lo, 0x41a00000, v100
	s_and_b32 s28, s79, vcc_lo
	s_delay_alu instid0(SALU_CYCLE_1)
	s_and_saveexec_b32 s29, s28
	s_cbranch_execz .LBB18_96
; %bb.95:                               ;   in Loop: Header=BB18_12 Depth=1
	v_mul_f32_e32 v8, 0x3fb8aa3b, v100
	v_cmp_ngt_f32_e32 vcc_lo, 0xc2ce8ed0, v100
	s_delay_alu instid0(VALU_DEP_2) | instskip(SKIP_1) | instid1(VALU_DEP_2)
	v_rndne_f32_e32 v12, v8
	v_fma_f32 v13, 0x3fb8aa3b, v100, -v8
	v_sub_f32_e32 v8, v8, v12
	s_delay_alu instid0(VALU_DEP_2) | instskip(SKIP_1) | instid1(VALU_DEP_2)
	v_fmac_f32_e32 v13, 0x32a5705f, v100
	v_cvt_i32_f32_e32 v12, v12
	v_add_f32_e32 v8, v8, v13
	s_delay_alu instid0(VALU_DEP_1) | instskip(SKIP_2) | instid1(VALU_DEP_1)
	v_exp_f32_e32 v8, v8
	s_waitcnt_depctr 0xfff
	v_ldexp_f32 v8, v8, v12
	v_cndmask_b32_e32 v8, 0, v8, vcc_lo
	v_cmp_nlt_f32_e32 vcc_lo, 0x42b17218, v100
	s_delay_alu instid0(VALU_DEP_2) | instskip(NEXT) | instid1(VALU_DEP_1)
	v_cndmask_b32_e32 v8, 0x7f800000, v8, vcc_lo
	v_add_f32_e32 v14, 1.0, v8
	s_delay_alu instid0(VALU_DEP_1) | instskip(NEXT) | instid1(VALU_DEP_1)
	v_cvt_f64_f32_e32 v[12:13], v14
	v_frexp_exp_i32_f64_e32 v12, v[12:13]
	v_frexp_mant_f32_e32 v13, v14
	s_delay_alu instid0(VALU_DEP_1) | instskip(SKIP_1) | instid1(VALU_DEP_1)
	v_cmp_gt_f32_e32 vcc_lo, 0x3f2aaaab, v13
	v_add_f32_e32 v13, -1.0, v14
	v_sub_f32_e32 v17, v13, v14
	v_sub_f32_e32 v13, v8, v13
	s_delay_alu instid0(VALU_DEP_2) | instskip(NEXT) | instid1(VALU_DEP_1)
	v_add_f32_e32 v17, 1.0, v17
	v_add_f32_e32 v13, v13, v17
	v_cmp_gt_f32_e64 s28, 0x33800000, v8
	v_subrev_co_ci_u32_e32 v12, vcc_lo, 0, v12, vcc_lo
	v_cmp_eq_f32_e32 vcc_lo, 0x7f800000, v8
	s_delay_alu instid0(VALU_DEP_2) | instskip(SKIP_2) | instid1(VALU_DEP_2)
	v_sub_nc_u32_e32 v15, 0, v12
	v_cvt_f32_i32_e32 v12, v12
	s_or_b32 vcc_lo, s28, vcc_lo
	v_ldexp_f32 v14, v14, v15
	v_ldexp_f32 v13, v13, v15
	s_delay_alu instid0(VALU_DEP_2) | instskip(SKIP_1) | instid1(VALU_DEP_2)
	v_add_f32_e32 v100, 1.0, v14
	v_add_f32_e32 v15, -1.0, v14
	v_add_f32_e32 v17, -1.0, v100
	s_delay_alu instid0(VALU_DEP_2) | instskip(NEXT) | instid1(VALU_DEP_2)
	v_add_f32_e32 v101, 1.0, v15
	v_sub_f32_e32 v17, v14, v17
	s_delay_alu instid0(VALU_DEP_2) | instskip(NEXT) | instid1(VALU_DEP_2)
	v_sub_f32_e32 v14, v14, v101
	v_add_f32_e32 v17, v13, v17
	s_delay_alu instid0(VALU_DEP_1) | instskip(NEXT) | instid1(VALU_DEP_1)
	v_add_f32_e32 v101, v100, v17
	v_dual_add_f32 v13, v13, v14 :: v_dual_sub_f32 v100, v100, v101
	v_rcp_f32_e32 v14, v101
	s_delay_alu instid0(VALU_DEP_1) | instskip(NEXT) | instid1(VALU_DEP_1)
	v_dual_add_f32 v102, v15, v13 :: v_dual_add_f32 v17, v17, v100
	v_sub_f32_e32 v15, v15, v102
	s_waitcnt_depctr 0xfff
	v_mul_f32_e32 v103, v102, v14
	v_add_f32_e32 v13, v13, v15
	s_delay_alu instid0(VALU_DEP_2) | instskip(NEXT) | instid1(VALU_DEP_1)
	v_mul_f32_e32 v104, v101, v103
	v_fma_f32 v100, v103, v101, -v104
	s_delay_alu instid0(VALU_DEP_1) | instskip(NEXT) | instid1(VALU_DEP_1)
	v_fmac_f32_e32 v100, v103, v17
	v_add_f32_e32 v105, v104, v100
	s_delay_alu instid0(VALU_DEP_1) | instskip(NEXT) | instid1(VALU_DEP_1)
	v_dual_sub_f32 v106, v102, v105 :: v_dual_sub_f32 v15, v105, v104
	v_dual_sub_f32 v102, v102, v106 :: v_dual_sub_f32 v15, v15, v100
	s_delay_alu instid0(VALU_DEP_1) | instskip(NEXT) | instid1(VALU_DEP_1)
	v_sub_f32_e32 v102, v102, v105
	v_add_f32_e32 v13, v13, v102
	s_delay_alu instid0(VALU_DEP_1) | instskip(NEXT) | instid1(VALU_DEP_1)
	v_add_f32_e32 v13, v15, v13
	v_add_f32_e32 v15, v106, v13
	s_delay_alu instid0(VALU_DEP_1) | instskip(NEXT) | instid1(VALU_DEP_1)
	v_mul_f32_e32 v100, v14, v15
	v_dual_sub_f32 v105, v106, v15 :: v_dual_mul_f32 v102, v101, v100
	s_delay_alu instid0(VALU_DEP_1) | instskip(NEXT) | instid1(VALU_DEP_2)
	v_add_f32_e32 v13, v13, v105
	v_fma_f32 v101, v100, v101, -v102
	s_delay_alu instid0(VALU_DEP_1) | instskip(NEXT) | instid1(VALU_DEP_1)
	v_fmac_f32_e32 v101, v100, v17
	v_add_f32_e32 v17, v102, v101
	s_delay_alu instid0(VALU_DEP_1) | instskip(NEXT) | instid1(VALU_DEP_1)
	v_sub_f32_e32 v104, v15, v17
	v_dual_sub_f32 v102, v17, v102 :: v_dual_sub_f32 v15, v15, v104
	s_delay_alu instid0(VALU_DEP_1) | instskip(NEXT) | instid1(VALU_DEP_2)
	v_sub_f32_e32 v15, v15, v17
	v_sub_f32_e32 v17, v102, v101
	s_delay_alu instid0(VALU_DEP_2) | instskip(SKIP_1) | instid1(VALU_DEP_2)
	v_add_f32_e32 v13, v13, v15
	v_add_f32_e32 v15, v103, v100
	;; [unrolled: 1-line block ×3, first 2 shown]
	s_delay_alu instid0(VALU_DEP_2) | instskip(NEXT) | instid1(VALU_DEP_2)
	v_sub_f32_e32 v17, v15, v103
	v_add_f32_e32 v13, v104, v13
	s_delay_alu instid0(VALU_DEP_2) | instskip(NEXT) | instid1(VALU_DEP_2)
	v_sub_f32_e32 v17, v100, v17
	v_mul_f32_e32 v13, v14, v13
	s_delay_alu instid0(VALU_DEP_1) | instskip(NEXT) | instid1(VALU_DEP_1)
	v_add_f32_e32 v13, v17, v13
	v_add_f32_e32 v14, v15, v13
	s_delay_alu instid0(VALU_DEP_1) | instskip(NEXT) | instid1(VALU_DEP_1)
	v_mul_f32_e32 v17, v14, v14
	v_fmaak_f32 v100, s83, v17, 0x3ecc95a3
	v_mul_f32_e32 v101, v14, v17
	s_delay_alu instid0(VALU_DEP_2) | instskip(SKIP_1) | instid1(VALU_DEP_2)
	v_fmaak_f32 v17, v17, v100, 0x3f2aaada
	v_ldexp_f32 v100, v14, 1
	v_dual_sub_f32 v14, v14, v15 :: v_dual_mul_f32 v17, v101, v17
	v_mul_f32_e32 v101, 0x3f317218, v12
	s_delay_alu instid0(VALU_DEP_2) | instskip(NEXT) | instid1(VALU_DEP_3)
	v_sub_f32_e32 v13, v13, v14
	v_add_f32_e32 v15, v100, v17
	s_delay_alu instid0(VALU_DEP_2) | instskip(NEXT) | instid1(VALU_DEP_2)
	v_ldexp_f32 v13, v13, 1
	v_sub_f32_e32 v14, v15, v100
	v_fma_f32 v100, 0x3f317218, v12, -v101
	s_delay_alu instid0(VALU_DEP_2) | instskip(NEXT) | instid1(VALU_DEP_2)
	v_sub_f32_e32 v14, v17, v14
	v_fmac_f32_e32 v100, 0xb102e308, v12
	s_delay_alu instid0(VALU_DEP_2) | instskip(NEXT) | instid1(VALU_DEP_2)
	v_add_f32_e32 v12, v13, v14
	v_add_f32_e32 v13, v101, v100
	s_delay_alu instid0(VALU_DEP_1) | instskip(NEXT) | instid1(VALU_DEP_1)
	v_dual_add_f32 v14, v15, v12 :: v_dual_sub_f32 v101, v13, v101
	v_add_f32_e32 v17, v13, v14
	s_delay_alu instid0(VALU_DEP_2) | instskip(NEXT) | instid1(VALU_DEP_2)
	v_dual_sub_f32 v15, v14, v15 :: v_dual_sub_f32 v100, v100, v101
	v_sub_f32_e32 v102, v17, v13
	s_delay_alu instid0(VALU_DEP_1) | instskip(NEXT) | instid1(VALU_DEP_1)
	v_dual_sub_f32 v12, v12, v15 :: v_dual_sub_f32 v103, v17, v102
	v_dual_sub_f32 v14, v14, v102 :: v_dual_add_f32 v15, v100, v12
	s_delay_alu instid0(VALU_DEP_2) | instskip(NEXT) | instid1(VALU_DEP_1)
	v_sub_f32_e32 v13, v13, v103
	v_dual_add_f32 v13, v14, v13 :: v_dual_sub_f32 v14, v15, v100
	s_delay_alu instid0(VALU_DEP_1) | instskip(NEXT) | instid1(VALU_DEP_2)
	v_add_f32_e32 v13, v15, v13
	v_sub_f32_e32 v15, v15, v14
	s_delay_alu instid0(VALU_DEP_2) | instskip(NEXT) | instid1(VALU_DEP_1)
	v_dual_sub_f32 v12, v12, v14 :: v_dual_add_f32 v101, v17, v13
	v_dual_sub_f32 v15, v100, v15 :: v_dual_sub_f32 v14, v101, v17
	s_delay_alu instid0(VALU_DEP_1) | instskip(NEXT) | instid1(VALU_DEP_1)
	v_dual_add_f32 v12, v12, v15 :: v_dual_sub_f32 v13, v13, v14
	v_add_f32_e32 v12, v12, v13
	s_delay_alu instid0(VALU_DEP_1) | instskip(NEXT) | instid1(VALU_DEP_1)
	v_add_f32_e32 v12, v101, v12
	v_cndmask_b32_e32 v100, v12, v8, vcc_lo
.LBB18_96:                              ;   in Loop: Header=BB18_12 Depth=1
	s_or_b32 exec_lo, exec_lo, s29
	v_and_b32_e32 v8, 0xffff0000, v9
	s_delay_alu instid0(VALU_DEP_1) | instskip(NEXT) | instid1(VALU_DEP_1)
	v_add_f32_e32 v101, s66, v8
	v_cmp_ge_f32_e32 vcc_lo, 0x41a00000, v101
	s_and_b32 s28, s79, vcc_lo
	s_delay_alu instid0(SALU_CYCLE_1)
	s_and_saveexec_b32 s29, s28
	s_cbranch_execz .LBB18_98
; %bb.97:                               ;   in Loop: Header=BB18_12 Depth=1
	v_mul_f32_e32 v8, 0x3fb8aa3b, v101
	v_cmp_ngt_f32_e32 vcc_lo, 0xc2ce8ed0, v101
	s_delay_alu instid0(VALU_DEP_2) | instskip(SKIP_1) | instid1(VALU_DEP_2)
	v_rndne_f32_e32 v9, v8
	v_fma_f32 v12, 0x3fb8aa3b, v101, -v8
	v_sub_f32_e32 v8, v8, v9
	s_delay_alu instid0(VALU_DEP_2) | instskip(SKIP_1) | instid1(VALU_DEP_2)
	v_fmac_f32_e32 v12, 0x32a5705f, v101
	v_cvt_i32_f32_e32 v9, v9
	v_add_f32_e32 v8, v8, v12
	s_delay_alu instid0(VALU_DEP_1) | instskip(SKIP_2) | instid1(VALU_DEP_1)
	v_exp_f32_e32 v8, v8
	s_waitcnt_depctr 0xfff
	v_ldexp_f32 v8, v8, v9
	v_cndmask_b32_e32 v8, 0, v8, vcc_lo
	v_cmp_nlt_f32_e32 vcc_lo, 0x42b17218, v101
	s_delay_alu instid0(VALU_DEP_2) | instskip(NEXT) | instid1(VALU_DEP_1)
	v_cndmask_b32_e32 v12, 0x7f800000, v8, vcc_lo
	v_add_f32_e32 v13, 1.0, v12
	s_delay_alu instid0(VALU_DEP_1) | instskip(NEXT) | instid1(VALU_DEP_1)
	v_cvt_f64_f32_e32 v[8:9], v13
	v_frexp_exp_i32_f64_e32 v8, v[8:9]
	v_frexp_mant_f32_e32 v9, v13
	s_delay_alu instid0(VALU_DEP_1) | instskip(SKIP_1) | instid1(VALU_DEP_1)
	v_cmp_gt_f32_e32 vcc_lo, 0x3f2aaaab, v9
	v_add_f32_e32 v9, -1.0, v13
	v_sub_f32_e32 v15, v9, v13
	s_delay_alu instid0(VALU_DEP_1) | instskip(SKIP_1) | instid1(VALU_DEP_1)
	v_add_f32_e32 v15, 1.0, v15
	v_subrev_co_ci_u32_e32 v8, vcc_lo, 0, v8, vcc_lo
	v_sub_nc_u32_e32 v14, 0, v8
	v_cvt_f32_i32_e32 v8, v8
	s_delay_alu instid0(VALU_DEP_2) | instskip(NEXT) | instid1(VALU_DEP_1)
	v_ldexp_f32 v13, v13, v14
	v_add_f32_e32 v17, 1.0, v13
	v_sub_f32_e32 v9, v12, v9
	v_cmp_eq_f32_e32 vcc_lo, 0x7f800000, v12
	v_cmp_gt_f32_e64 s28, 0x33800000, v12
	s_delay_alu instid0(VALU_DEP_3) | instskip(NEXT) | instid1(VALU_DEP_2)
	v_add_f32_e32 v9, v9, v15
	s_or_b32 vcc_lo, s28, vcc_lo
	s_delay_alu instid0(VALU_DEP_1) | instskip(SKIP_2) | instid1(VALU_DEP_1)
	v_ldexp_f32 v9, v9, v14
	v_add_f32_e32 v14, -1.0, v13
	v_add_f32_e32 v15, -1.0, v17
	v_sub_f32_e32 v15, v13, v15
	s_delay_alu instid0(VALU_DEP_3) | instskip(NEXT) | instid1(VALU_DEP_2)
	v_add_f32_e32 v101, 1.0, v14
	v_add_f32_e32 v15, v9, v15
	s_delay_alu instid0(VALU_DEP_2) | instskip(NEXT) | instid1(VALU_DEP_2)
	v_sub_f32_e32 v13, v13, v101
	v_add_f32_e32 v101, v17, v15
	s_delay_alu instid0(VALU_DEP_2) | instskip(NEXT) | instid1(VALU_DEP_2)
	v_add_f32_e32 v9, v9, v13
	v_rcp_f32_e32 v13, v101
	s_delay_alu instid0(VALU_DEP_1) | instskip(NEXT) | instid1(VALU_DEP_1)
	v_add_f32_e32 v102, v14, v9
	v_dual_sub_f32 v17, v17, v101 :: v_dual_sub_f32 v14, v14, v102
	s_delay_alu instid0(VALU_DEP_1) | instskip(SKIP_2) | instid1(VALU_DEP_1)
	v_add_f32_e32 v15, v15, v17
	s_waitcnt_depctr 0xfff
	v_mul_f32_e32 v103, v102, v13
	v_mul_f32_e32 v104, v101, v103
	s_delay_alu instid0(VALU_DEP_1) | instskip(NEXT) | instid1(VALU_DEP_1)
	v_fma_f32 v17, v103, v101, -v104
	v_fmac_f32_e32 v17, v103, v15
	v_add_f32_e32 v9, v9, v14
	s_delay_alu instid0(VALU_DEP_2) | instskip(NEXT) | instid1(VALU_DEP_1)
	v_add_f32_e32 v105, v104, v17
	v_sub_f32_e32 v106, v102, v105
	v_sub_f32_e32 v14, v105, v104
	s_delay_alu instid0(VALU_DEP_2) | instskip(NEXT) | instid1(VALU_DEP_2)
	v_sub_f32_e32 v102, v102, v106
	v_sub_f32_e32 v14, v14, v17
	s_delay_alu instid0(VALU_DEP_2) | instskip(NEXT) | instid1(VALU_DEP_1)
	v_sub_f32_e32 v102, v102, v105
	v_add_f32_e32 v9, v9, v102
	s_delay_alu instid0(VALU_DEP_1) | instskip(NEXT) | instid1(VALU_DEP_1)
	v_add_f32_e32 v9, v14, v9
	v_add_f32_e32 v14, v106, v9
	s_delay_alu instid0(VALU_DEP_1) | instskip(NEXT) | instid1(VALU_DEP_1)
	v_mul_f32_e32 v17, v13, v14
	v_dual_sub_f32 v105, v106, v14 :: v_dual_mul_f32 v102, v101, v17
	s_delay_alu instid0(VALU_DEP_1) | instskip(NEXT) | instid1(VALU_DEP_2)
	v_add_f32_e32 v9, v9, v105
	v_fma_f32 v101, v17, v101, -v102
	s_delay_alu instid0(VALU_DEP_1) | instskip(NEXT) | instid1(VALU_DEP_1)
	v_fmac_f32_e32 v101, v17, v15
	v_add_f32_e32 v15, v102, v101
	s_delay_alu instid0(VALU_DEP_1) | instskip(SKIP_1) | instid1(VALU_DEP_2)
	v_sub_f32_e32 v104, v14, v15
	v_sub_f32_e32 v102, v15, v102
	;; [unrolled: 1-line block ×3, first 2 shown]
	s_delay_alu instid0(VALU_DEP_1) | instskip(NEXT) | instid1(VALU_DEP_1)
	v_sub_f32_e32 v14, v14, v15
	v_dual_add_f32 v9, v9, v14 :: v_dual_add_f32 v14, v103, v17
	s_delay_alu instid0(VALU_DEP_4) | instskip(NEXT) | instid1(VALU_DEP_1)
	v_sub_f32_e32 v15, v102, v101
	v_add_f32_e32 v9, v15, v9
	s_delay_alu instid0(VALU_DEP_3) | instskip(NEXT) | instid1(VALU_DEP_2)
	v_sub_f32_e32 v15, v14, v103
	v_add_f32_e32 v9, v104, v9
	s_delay_alu instid0(VALU_DEP_2) | instskip(NEXT) | instid1(VALU_DEP_2)
	v_sub_f32_e32 v15, v17, v15
	v_mul_f32_e32 v9, v13, v9
	s_delay_alu instid0(VALU_DEP_1) | instskip(NEXT) | instid1(VALU_DEP_1)
	v_add_f32_e32 v9, v15, v9
	v_add_f32_e32 v13, v14, v9
	s_delay_alu instid0(VALU_DEP_1) | instskip(NEXT) | instid1(VALU_DEP_1)
	v_mul_f32_e32 v15, v13, v13
	v_fmaak_f32 v17, s83, v15, 0x3ecc95a3
	v_mul_f32_e32 v101, v13, v15
	s_delay_alu instid0(VALU_DEP_2) | instskip(SKIP_2) | instid1(VALU_DEP_3)
	v_fmaak_f32 v15, v15, v17, 0x3f2aaada
	v_ldexp_f32 v17, v13, 1
	v_sub_f32_e32 v13, v13, v14
	v_mul_f32_e32 v15, v101, v15
	v_mul_f32_e32 v101, 0x3f317218, v8
	s_delay_alu instid0(VALU_DEP_3) | instskip(NEXT) | instid1(VALU_DEP_3)
	v_sub_f32_e32 v9, v9, v13
	v_add_f32_e32 v14, v17, v15
	s_delay_alu instid0(VALU_DEP_2) | instskip(NEXT) | instid1(VALU_DEP_2)
	v_ldexp_f32 v9, v9, 1
	v_sub_f32_e32 v13, v14, v17
	v_fma_f32 v17, 0x3f317218, v8, -v101
	s_delay_alu instid0(VALU_DEP_2) | instskip(NEXT) | instid1(VALU_DEP_1)
	v_sub_f32_e32 v13, v15, v13
	v_dual_fmac_f32 v17, 0xb102e308, v8 :: v_dual_add_f32 v8, v9, v13
	s_delay_alu instid0(VALU_DEP_1) | instskip(NEXT) | instid1(VALU_DEP_2)
	v_add_f32_e32 v9, v101, v17
	v_add_f32_e32 v13, v14, v8
	s_delay_alu instid0(VALU_DEP_2) | instskip(NEXT) | instid1(VALU_DEP_2)
	v_sub_f32_e32 v101, v9, v101
	v_add_f32_e32 v15, v9, v13
	v_sub_f32_e32 v14, v13, v14
	s_delay_alu instid0(VALU_DEP_3) | instskip(NEXT) | instid1(VALU_DEP_3)
	v_sub_f32_e32 v17, v17, v101
	v_sub_f32_e32 v102, v15, v9
	s_delay_alu instid0(VALU_DEP_3) | instskip(NEXT) | instid1(VALU_DEP_2)
	v_sub_f32_e32 v8, v8, v14
	v_sub_f32_e32 v103, v15, v102
	;; [unrolled: 1-line block ×3, first 2 shown]
	s_delay_alu instid0(VALU_DEP_3) | instskip(NEXT) | instid1(VALU_DEP_3)
	v_add_f32_e32 v14, v17, v8
	v_sub_f32_e32 v9, v9, v103
	s_delay_alu instid0(VALU_DEP_1) | instskip(NEXT) | instid1(VALU_DEP_3)
	v_add_f32_e32 v9, v13, v9
	v_sub_f32_e32 v13, v14, v17
	s_delay_alu instid0(VALU_DEP_2) | instskip(NEXT) | instid1(VALU_DEP_2)
	v_add_f32_e32 v9, v14, v9
	v_sub_f32_e32 v14, v14, v13
	v_sub_f32_e32 v8, v8, v13
	s_delay_alu instid0(VALU_DEP_2) | instskip(NEXT) | instid1(VALU_DEP_1)
	v_dual_add_f32 v101, v15, v9 :: v_dual_sub_f32 v14, v17, v14
	v_dual_sub_f32 v13, v101, v15 :: v_dual_add_f32 v8, v8, v14
	s_delay_alu instid0(VALU_DEP_1) | instskip(NEXT) | instid1(VALU_DEP_1)
	v_sub_f32_e32 v9, v9, v13
	v_add_f32_e32 v8, v8, v9
	s_delay_alu instid0(VALU_DEP_1) | instskip(NEXT) | instid1(VALU_DEP_1)
	v_add_f32_e32 v8, v101, v8
	v_cndmask_b32_e32 v101, v8, v12, vcc_lo
.LBB18_98:                              ;   in Loop: Header=BB18_12 Depth=1
	s_or_b32 exec_lo, exec_lo, s29
	v_lshlrev_b32_e32 v8, 16, v10
	s_delay_alu instid0(VALU_DEP_1) | instskip(NEXT) | instid1(VALU_DEP_1)
	v_add_f32_e32 v102, s66, v8
	v_cmp_ge_f32_e32 vcc_lo, 0x41a00000, v102
	s_and_b32 s28, s79, vcc_lo
	s_delay_alu instid0(SALU_CYCLE_1)
	s_and_saveexec_b32 s29, s28
	s_cbranch_execz .LBB18_100
; %bb.99:                               ;   in Loop: Header=BB18_12 Depth=1
	v_mul_f32_e32 v8, 0x3fb8aa3b, v102
	v_cmp_ngt_f32_e32 vcc_lo, 0xc2ce8ed0, v102
	s_delay_alu instid0(VALU_DEP_2) | instskip(SKIP_1) | instid1(VALU_DEP_2)
	v_rndne_f32_e32 v9, v8
	v_fma_f32 v12, 0x3fb8aa3b, v102, -v8
	v_sub_f32_e32 v8, v8, v9
	s_delay_alu instid0(VALU_DEP_2) | instskip(SKIP_1) | instid1(VALU_DEP_2)
	v_fmac_f32_e32 v12, 0x32a5705f, v102
	v_cvt_i32_f32_e32 v9, v9
	v_add_f32_e32 v8, v8, v12
	s_delay_alu instid0(VALU_DEP_1) | instskip(SKIP_2) | instid1(VALU_DEP_1)
	v_exp_f32_e32 v8, v8
	s_waitcnt_depctr 0xfff
	v_ldexp_f32 v8, v8, v9
	v_cndmask_b32_e32 v8, 0, v8, vcc_lo
	v_cmp_nlt_f32_e32 vcc_lo, 0x42b17218, v102
	s_delay_alu instid0(VALU_DEP_2) | instskip(NEXT) | instid1(VALU_DEP_1)
	v_cndmask_b32_e32 v12, 0x7f800000, v8, vcc_lo
	v_add_f32_e32 v13, 1.0, v12
	s_delay_alu instid0(VALU_DEP_1) | instskip(NEXT) | instid1(VALU_DEP_1)
	v_cvt_f64_f32_e32 v[8:9], v13
	v_frexp_exp_i32_f64_e32 v8, v[8:9]
	v_frexp_mant_f32_e32 v9, v13
	s_delay_alu instid0(VALU_DEP_1) | instskip(SKIP_1) | instid1(VALU_DEP_1)
	v_cmp_gt_f32_e32 vcc_lo, 0x3f2aaaab, v9
	v_add_f32_e32 v9, -1.0, v13
	v_sub_f32_e32 v15, v9, v13
	s_delay_alu instid0(VALU_DEP_1) | instskip(SKIP_1) | instid1(VALU_DEP_1)
	v_add_f32_e32 v15, 1.0, v15
	v_subrev_co_ci_u32_e32 v8, vcc_lo, 0, v8, vcc_lo
	v_sub_nc_u32_e32 v14, 0, v8
	v_cvt_f32_i32_e32 v8, v8
	s_delay_alu instid0(VALU_DEP_2) | instskip(NEXT) | instid1(VALU_DEP_1)
	v_ldexp_f32 v13, v13, v14
	v_add_f32_e32 v17, 1.0, v13
	v_sub_f32_e32 v9, v12, v9
	v_cmp_eq_f32_e32 vcc_lo, 0x7f800000, v12
	v_cmp_gt_f32_e64 s28, 0x33800000, v12
	s_delay_alu instid0(VALU_DEP_3) | instskip(NEXT) | instid1(VALU_DEP_2)
	v_add_f32_e32 v9, v9, v15
	s_or_b32 vcc_lo, s28, vcc_lo
	s_delay_alu instid0(VALU_DEP_1) | instskip(SKIP_1) | instid1(VALU_DEP_1)
	v_ldexp_f32 v9, v9, v14
	v_add_f32_e32 v14, -1.0, v13
	v_dual_add_f32 v15, -1.0, v17 :: v_dual_add_f32 v102, 1.0, v14
	s_delay_alu instid0(VALU_DEP_1) | instskip(NEXT) | instid1(VALU_DEP_2)
	v_sub_f32_e32 v15, v13, v15
	v_sub_f32_e32 v13, v13, v102
	s_delay_alu instid0(VALU_DEP_2) | instskip(NEXT) | instid1(VALU_DEP_2)
	v_add_f32_e32 v15, v9, v15
	v_add_f32_e32 v9, v9, v13
	s_delay_alu instid0(VALU_DEP_1) | instskip(NEXT) | instid1(VALU_DEP_1)
	v_dual_add_f32 v102, v17, v15 :: v_dual_add_f32 v103, v14, v9
	v_rcp_f32_e32 v13, v102
	s_delay_alu instid0(VALU_DEP_1) | instskip(NEXT) | instid1(VALU_DEP_1)
	v_dual_sub_f32 v17, v17, v102 :: v_dual_sub_f32 v14, v14, v103
	v_add_f32_e32 v15, v15, v17
	s_waitcnt_depctr 0xfff
	v_dual_add_f32 v9, v9, v14 :: v_dual_mul_f32 v104, v103, v13
	s_delay_alu instid0(VALU_DEP_1) | instskip(NEXT) | instid1(VALU_DEP_1)
	v_mul_f32_e32 v105, v102, v104
	v_fma_f32 v17, v104, v102, -v105
	s_delay_alu instid0(VALU_DEP_1) | instskip(NEXT) | instid1(VALU_DEP_1)
	v_fmac_f32_e32 v17, v104, v15
	v_add_f32_e32 v106, v105, v17
	s_delay_alu instid0(VALU_DEP_1) | instskip(NEXT) | instid1(VALU_DEP_1)
	v_sub_f32_e32 v107, v103, v106
	v_dual_sub_f32 v103, v103, v107 :: v_dual_sub_f32 v14, v106, v105
	s_delay_alu instid0(VALU_DEP_1) | instskip(NEXT) | instid1(VALU_DEP_1)
	v_dual_sub_f32 v103, v103, v106 :: v_dual_sub_f32 v14, v14, v17
	v_add_f32_e32 v9, v9, v103
	s_delay_alu instid0(VALU_DEP_1) | instskip(NEXT) | instid1(VALU_DEP_1)
	v_add_f32_e32 v9, v14, v9
	v_add_f32_e32 v14, v107, v9
	s_delay_alu instid0(VALU_DEP_1) | instskip(NEXT) | instid1(VALU_DEP_1)
	v_mul_f32_e32 v17, v13, v14
	v_dual_sub_f32 v106, v107, v14 :: v_dual_mul_f32 v103, v102, v17
	s_delay_alu instid0(VALU_DEP_1) | instskip(NEXT) | instid1(VALU_DEP_2)
	v_add_f32_e32 v9, v9, v106
	v_fma_f32 v102, v17, v102, -v103
	s_delay_alu instid0(VALU_DEP_1) | instskip(NEXT) | instid1(VALU_DEP_1)
	v_fmac_f32_e32 v102, v17, v15
	v_add_f32_e32 v15, v103, v102
	s_delay_alu instid0(VALU_DEP_1) | instskip(NEXT) | instid1(VALU_DEP_1)
	v_sub_f32_e32 v105, v14, v15
	v_dual_sub_f32 v103, v15, v103 :: v_dual_sub_f32 v14, v14, v105
	s_delay_alu instid0(VALU_DEP_1) | instskip(NEXT) | instid1(VALU_DEP_1)
	v_dual_sub_f32 v14, v14, v15 :: v_dual_sub_f32 v15, v103, v102
	v_dual_add_f32 v9, v9, v14 :: v_dual_add_f32 v14, v104, v17
	s_delay_alu instid0(VALU_DEP_1) | instskip(NEXT) | instid1(VALU_DEP_2)
	v_add_f32_e32 v9, v15, v9
	v_sub_f32_e32 v15, v14, v104
	s_delay_alu instid0(VALU_DEP_2) | instskip(NEXT) | instid1(VALU_DEP_2)
	v_add_f32_e32 v9, v105, v9
	v_sub_f32_e32 v15, v17, v15
	s_delay_alu instid0(VALU_DEP_2) | instskip(NEXT) | instid1(VALU_DEP_1)
	v_mul_f32_e32 v9, v13, v9
	v_add_f32_e32 v9, v15, v9
	s_delay_alu instid0(VALU_DEP_1) | instskip(NEXT) | instid1(VALU_DEP_1)
	v_add_f32_e32 v13, v14, v9
	v_mul_f32_e32 v15, v13, v13
	s_delay_alu instid0(VALU_DEP_1) | instskip(NEXT) | instid1(VALU_DEP_1)
	v_fmaak_f32 v17, s83, v15, 0x3ecc95a3
	v_dual_mul_f32 v102, v13, v15 :: v_dual_fmaak_f32 v15, v15, v17, 0x3f2aaada
	v_ldexp_f32 v17, v13, 1
	v_sub_f32_e32 v13, v13, v14
	s_delay_alu instid0(VALU_DEP_3) | instskip(NEXT) | instid1(VALU_DEP_2)
	v_dual_mul_f32 v15, v102, v15 :: v_dual_mul_f32 v102, 0x3f317218, v8
	v_sub_f32_e32 v9, v9, v13
	s_delay_alu instid0(VALU_DEP_2) | instskip(NEXT) | instid1(VALU_DEP_2)
	v_add_f32_e32 v14, v17, v15
	v_ldexp_f32 v9, v9, 1
	s_delay_alu instid0(VALU_DEP_2) | instskip(SKIP_1) | instid1(VALU_DEP_2)
	v_sub_f32_e32 v13, v14, v17
	v_fma_f32 v17, 0x3f317218, v8, -v102
	v_sub_f32_e32 v13, v15, v13
	s_delay_alu instid0(VALU_DEP_1) | instskip(NEXT) | instid1(VALU_DEP_1)
	v_dual_fmac_f32 v17, 0xb102e308, v8 :: v_dual_add_f32 v8, v9, v13
	v_add_f32_e32 v9, v102, v17
	s_delay_alu instid0(VALU_DEP_1) | instskip(NEXT) | instid1(VALU_DEP_1)
	v_dual_add_f32 v13, v14, v8 :: v_dual_sub_f32 v102, v9, v102
	v_add_f32_e32 v15, v9, v13
	v_sub_f32_e32 v14, v13, v14
	s_delay_alu instid0(VALU_DEP_3) | instskip(NEXT) | instid1(VALU_DEP_2)
	v_sub_f32_e32 v17, v17, v102
	v_dual_sub_f32 v103, v15, v9 :: v_dual_sub_f32 v8, v8, v14
	s_delay_alu instid0(VALU_DEP_1) | instskip(SKIP_1) | instid1(VALU_DEP_3)
	v_sub_f32_e32 v104, v15, v103
	v_sub_f32_e32 v13, v13, v103
	v_add_f32_e32 v14, v17, v8
	s_delay_alu instid0(VALU_DEP_3) | instskip(NEXT) | instid1(VALU_DEP_1)
	v_sub_f32_e32 v9, v9, v104
	v_add_f32_e32 v9, v13, v9
	s_delay_alu instid0(VALU_DEP_3) | instskip(NEXT) | instid1(VALU_DEP_2)
	v_sub_f32_e32 v13, v14, v17
	v_add_f32_e32 v9, v14, v9
	s_delay_alu instid0(VALU_DEP_2) | instskip(SKIP_1) | instid1(VALU_DEP_3)
	v_sub_f32_e32 v14, v14, v13
	v_sub_f32_e32 v8, v8, v13
	v_add_f32_e32 v102, v15, v9
	s_delay_alu instid0(VALU_DEP_1) | instskip(NEXT) | instid1(VALU_DEP_1)
	v_dual_sub_f32 v14, v17, v14 :: v_dual_sub_f32 v13, v102, v15
	v_dual_add_f32 v8, v8, v14 :: v_dual_sub_f32 v9, v9, v13
	s_delay_alu instid0(VALU_DEP_1) | instskip(NEXT) | instid1(VALU_DEP_1)
	v_add_f32_e32 v8, v8, v9
	v_add_f32_e32 v8, v102, v8
	s_delay_alu instid0(VALU_DEP_1)
	v_cndmask_b32_e32 v102, v8, v12, vcc_lo
.LBB18_100:                             ;   in Loop: Header=BB18_12 Depth=1
	s_or_b32 exec_lo, exec_lo, s29
	v_and_b32_e32 v8, 0xffff0000, v10
	s_delay_alu instid0(VALU_DEP_1) | instskip(NEXT) | instid1(VALU_DEP_1)
	v_add_f32_e32 v103, s66, v8
	v_cmp_ge_f32_e32 vcc_lo, 0x41a00000, v103
	s_and_b32 s28, s79, vcc_lo
	s_delay_alu instid0(SALU_CYCLE_1)
	s_and_saveexec_b32 s29, s28
	s_cbranch_execz .LBB18_102
; %bb.101:                              ;   in Loop: Header=BB18_12 Depth=1
	v_mul_f32_e32 v8, 0x3fb8aa3b, v103
	v_cmp_ngt_f32_e32 vcc_lo, 0xc2ce8ed0, v103
	s_delay_alu instid0(VALU_DEP_2) | instskip(SKIP_1) | instid1(VALU_DEP_2)
	v_rndne_f32_e32 v9, v8
	v_fma_f32 v10, 0x3fb8aa3b, v103, -v8
	v_sub_f32_e32 v8, v8, v9
	s_delay_alu instid0(VALU_DEP_2) | instskip(SKIP_1) | instid1(VALU_DEP_2)
	v_fmac_f32_e32 v10, 0x32a5705f, v103
	v_cvt_i32_f32_e32 v9, v9
	v_add_f32_e32 v8, v8, v10
	s_delay_alu instid0(VALU_DEP_1) | instskip(SKIP_2) | instid1(VALU_DEP_1)
	v_exp_f32_e32 v8, v8
	s_waitcnt_depctr 0xfff
	v_ldexp_f32 v8, v8, v9
	v_cndmask_b32_e32 v8, 0, v8, vcc_lo
	v_cmp_nlt_f32_e32 vcc_lo, 0x42b17218, v103
	s_delay_alu instid0(VALU_DEP_2) | instskip(NEXT) | instid1(VALU_DEP_1)
	v_cndmask_b32_e32 v10, 0x7f800000, v8, vcc_lo
	v_add_f32_e32 v12, 1.0, v10
	s_delay_alu instid0(VALU_DEP_1) | instskip(NEXT) | instid1(VALU_DEP_1)
	v_cvt_f64_f32_e32 v[8:9], v12
	v_frexp_exp_i32_f64_e32 v8, v[8:9]
	v_frexp_mant_f32_e32 v9, v12
	s_delay_alu instid0(VALU_DEP_1) | instskip(SKIP_1) | instid1(VALU_DEP_1)
	v_cmp_gt_f32_e32 vcc_lo, 0x3f2aaaab, v9
	v_add_f32_e32 v9, -1.0, v12
	v_dual_sub_f32 v14, v9, v12 :: v_dual_sub_f32 v9, v10, v9
	v_subrev_co_ci_u32_e32 v8, vcc_lo, 0, v8, vcc_lo
	s_delay_alu instid0(VALU_DEP_1) | instskip(SKIP_1) | instid1(VALU_DEP_2)
	v_sub_nc_u32_e32 v13, 0, v8
	v_cvt_f32_i32_e32 v8, v8
	v_ldexp_f32 v12, v12, v13
	s_delay_alu instid0(VALU_DEP_1) | instskip(NEXT) | instid1(VALU_DEP_1)
	v_dual_add_f32 v14, 1.0, v14 :: v_dual_add_f32 v15, 1.0, v12
	v_add_f32_e32 v9, v9, v14
	s_delay_alu instid0(VALU_DEP_1) | instskip(NEXT) | instid1(VALU_DEP_3)
	v_ldexp_f32 v9, v9, v13
	v_dual_add_f32 v13, -1.0, v12 :: v_dual_add_f32 v14, -1.0, v15
	s_delay_alu instid0(VALU_DEP_1) | instskip(NEXT) | instid1(VALU_DEP_1)
	v_dual_add_f32 v17, 1.0, v13 :: v_dual_sub_f32 v14, v12, v14
	v_sub_f32_e32 v12, v12, v17
	s_delay_alu instid0(VALU_DEP_2) | instskip(NEXT) | instid1(VALU_DEP_2)
	v_add_f32_e32 v14, v9, v14
	v_add_f32_e32 v9, v9, v12
	s_delay_alu instid0(VALU_DEP_2) | instskip(SKIP_2) | instid1(VALU_DEP_4)
	v_add_f32_e32 v17, v15, v14
	v_cmp_eq_f32_e32 vcc_lo, 0x7f800000, v10
	v_cmp_gt_f32_e64 s28, 0x33800000, v10
	v_add_f32_e32 v103, v13, v9
	s_delay_alu instid0(VALU_DEP_4) | instskip(SKIP_1) | instid1(VALU_DEP_3)
	v_rcp_f32_e32 v12, v17
	v_sub_f32_e32 v15, v15, v17
	s_or_b32 vcc_lo, s28, vcc_lo
	s_delay_alu instid0(VALU_DEP_2) | instskip(NEXT) | instid1(VALU_DEP_1)
	v_sub_f32_e32 v13, v13, v103
	v_dual_add_f32 v14, v14, v15 :: v_dual_add_f32 v9, v9, v13
	s_waitcnt_depctr 0xfff
	v_mul_f32_e32 v104, v103, v12
	s_delay_alu instid0(VALU_DEP_1) | instskip(NEXT) | instid1(VALU_DEP_1)
	v_mul_f32_e32 v105, v17, v104
	v_fma_f32 v15, v104, v17, -v105
	s_delay_alu instid0(VALU_DEP_1) | instskip(NEXT) | instid1(VALU_DEP_1)
	v_fmac_f32_e32 v15, v104, v14
	v_add_f32_e32 v106, v105, v15
	s_delay_alu instid0(VALU_DEP_1) | instskip(SKIP_1) | instid1(VALU_DEP_2)
	v_sub_f32_e32 v107, v103, v106
	v_sub_f32_e32 v13, v106, v105
	v_sub_f32_e32 v103, v103, v107
	s_delay_alu instid0(VALU_DEP_2) | instskip(NEXT) | instid1(VALU_DEP_2)
	v_sub_f32_e32 v13, v13, v15
	v_sub_f32_e32 v103, v103, v106
	s_delay_alu instid0(VALU_DEP_1) | instskip(NEXT) | instid1(VALU_DEP_1)
	v_add_f32_e32 v9, v9, v103
	v_add_f32_e32 v9, v13, v9
	s_delay_alu instid0(VALU_DEP_1) | instskip(NEXT) | instid1(VALU_DEP_1)
	v_add_f32_e32 v13, v107, v9
	v_mul_f32_e32 v15, v12, v13
	s_delay_alu instid0(VALU_DEP_1) | instskip(NEXT) | instid1(VALU_DEP_1)
	v_dual_sub_f32 v106, v107, v13 :: v_dual_mul_f32 v103, v17, v15
	v_add_f32_e32 v9, v9, v106
	s_delay_alu instid0(VALU_DEP_2) | instskip(NEXT) | instid1(VALU_DEP_1)
	v_fma_f32 v17, v15, v17, -v103
	v_fmac_f32_e32 v17, v15, v14
	s_delay_alu instid0(VALU_DEP_1) | instskip(NEXT) | instid1(VALU_DEP_1)
	v_add_f32_e32 v14, v103, v17
	v_sub_f32_e32 v105, v13, v14
	v_sub_f32_e32 v103, v14, v103
	s_delay_alu instid0(VALU_DEP_2) | instskip(NEXT) | instid1(VALU_DEP_1)
	v_sub_f32_e32 v13, v13, v105
	v_dual_sub_f32 v13, v13, v14 :: v_dual_sub_f32 v14, v103, v17
	s_delay_alu instid0(VALU_DEP_1) | instskip(SKIP_1) | instid1(VALU_DEP_1)
	v_add_f32_e32 v9, v9, v13
	v_add_f32_e32 v13, v104, v15
	v_dual_add_f32 v9, v14, v9 :: v_dual_sub_f32 v14, v13, v104
	s_delay_alu instid0(VALU_DEP_1) | instskip(NEXT) | instid1(VALU_DEP_1)
	v_dual_add_f32 v9, v105, v9 :: v_dual_sub_f32 v14, v15, v14
	v_mul_f32_e32 v9, v12, v9
	s_delay_alu instid0(VALU_DEP_1) | instskip(NEXT) | instid1(VALU_DEP_1)
	v_add_f32_e32 v9, v14, v9
	v_add_f32_e32 v12, v13, v9
	s_delay_alu instid0(VALU_DEP_1) | instskip(NEXT) | instid1(VALU_DEP_1)
	v_mul_f32_e32 v14, v12, v12
	v_fmaak_f32 v15, s83, v14, 0x3ecc95a3
	s_delay_alu instid0(VALU_DEP_1) | instskip(SKIP_2) | instid1(VALU_DEP_3)
	v_dual_mul_f32 v17, v12, v14 :: v_dual_fmaak_f32 v14, v14, v15, 0x3f2aaada
	v_ldexp_f32 v15, v12, 1
	v_sub_f32_e32 v12, v12, v13
	v_dual_mul_f32 v14, v17, v14 :: v_dual_mul_f32 v17, 0x3f317218, v8
	s_delay_alu instid0(VALU_DEP_2) | instskip(NEXT) | instid1(VALU_DEP_2)
	v_sub_f32_e32 v9, v9, v12
	v_add_f32_e32 v13, v15, v14
	s_delay_alu instid0(VALU_DEP_2) | instskip(NEXT) | instid1(VALU_DEP_2)
	v_ldexp_f32 v9, v9, 1
	v_sub_f32_e32 v12, v13, v15
	v_fma_f32 v15, 0x3f317218, v8, -v17
	s_delay_alu instid0(VALU_DEP_2) | instskip(NEXT) | instid1(VALU_DEP_2)
	v_sub_f32_e32 v12, v14, v12
	v_fmac_f32_e32 v15, 0xb102e308, v8
	s_delay_alu instid0(VALU_DEP_2) | instskip(NEXT) | instid1(VALU_DEP_2)
	v_add_f32_e32 v8, v9, v12
	v_add_f32_e32 v9, v17, v15
	s_delay_alu instid0(VALU_DEP_2) | instskip(NEXT) | instid1(VALU_DEP_2)
	v_add_f32_e32 v12, v13, v8
	v_sub_f32_e32 v17, v9, v17
	s_delay_alu instid0(VALU_DEP_2) | instskip(NEXT) | instid1(VALU_DEP_2)
	v_dual_add_f32 v14, v9, v12 :: v_dual_sub_f32 v13, v12, v13
	v_sub_f32_e32 v15, v15, v17
	s_delay_alu instid0(VALU_DEP_2) | instskip(NEXT) | instid1(VALU_DEP_3)
	v_sub_f32_e32 v103, v14, v9
	v_sub_f32_e32 v8, v8, v13
	s_delay_alu instid0(VALU_DEP_2) | instskip(NEXT) | instid1(VALU_DEP_2)
	v_sub_f32_e32 v104, v14, v103
	v_dual_sub_f32 v12, v12, v103 :: v_dual_add_f32 v13, v15, v8
	s_delay_alu instid0(VALU_DEP_2) | instskip(NEXT) | instid1(VALU_DEP_1)
	v_sub_f32_e32 v9, v9, v104
	v_dual_add_f32 v9, v12, v9 :: v_dual_sub_f32 v12, v13, v15
	s_delay_alu instid0(VALU_DEP_1) | instskip(NEXT) | instid1(VALU_DEP_2)
	v_add_f32_e32 v9, v13, v9
	v_sub_f32_e32 v13, v13, v12
	s_delay_alu instid0(VALU_DEP_2) | instskip(NEXT) | instid1(VALU_DEP_1)
	v_dual_sub_f32 v8, v8, v12 :: v_dual_add_f32 v17, v14, v9
	v_dual_sub_f32 v13, v15, v13 :: v_dual_sub_f32 v12, v17, v14
	s_delay_alu instid0(VALU_DEP_1) | instskip(NEXT) | instid1(VALU_DEP_1)
	v_dual_add_f32 v8, v8, v13 :: v_dual_sub_f32 v9, v9, v12
	v_add_f32_e32 v8, v8, v9
	s_delay_alu instid0(VALU_DEP_1) | instskip(NEXT) | instid1(VALU_DEP_1)
	v_add_f32_e32 v8, v17, v8
	v_cndmask_b32_e32 v103, v8, v10, vcc_lo
.LBB18_102:                             ;   in Loop: Header=BB18_12 Depth=1
	s_or_b32 exec_lo, exec_lo, s29
	v_lshlrev_b32_e32 v8, 16, v11
	s_delay_alu instid0(VALU_DEP_1) | instskip(NEXT) | instid1(VALU_DEP_1)
	v_add_f32_e32 v104, s66, v8
	v_cmp_ge_f32_e32 vcc_lo, 0x41a00000, v104
	s_and_b32 s28, s79, vcc_lo
	s_delay_alu instid0(SALU_CYCLE_1)
	s_and_saveexec_b32 s29, s28
	s_cbranch_execz .LBB18_104
; %bb.103:                              ;   in Loop: Header=BB18_12 Depth=1
	v_mul_f32_e32 v8, 0x3fb8aa3b, v104
	v_cmp_ngt_f32_e32 vcc_lo, 0xc2ce8ed0, v104
	s_delay_alu instid0(VALU_DEP_2) | instskip(SKIP_1) | instid1(VALU_DEP_2)
	v_rndne_f32_e32 v9, v8
	v_fma_f32 v10, 0x3fb8aa3b, v104, -v8
	v_sub_f32_e32 v8, v8, v9
	s_delay_alu instid0(VALU_DEP_2) | instskip(SKIP_1) | instid1(VALU_DEP_2)
	v_fmac_f32_e32 v10, 0x32a5705f, v104
	v_cvt_i32_f32_e32 v9, v9
	v_add_f32_e32 v8, v8, v10
	s_delay_alu instid0(VALU_DEP_1) | instskip(SKIP_2) | instid1(VALU_DEP_1)
	v_exp_f32_e32 v8, v8
	s_waitcnt_depctr 0xfff
	v_ldexp_f32 v8, v8, v9
	v_cndmask_b32_e32 v8, 0, v8, vcc_lo
	v_cmp_nlt_f32_e32 vcc_lo, 0x42b17218, v104
	s_delay_alu instid0(VALU_DEP_2) | instskip(NEXT) | instid1(VALU_DEP_1)
	v_cndmask_b32_e32 v10, 0x7f800000, v8, vcc_lo
	v_add_f32_e32 v12, 1.0, v10
	s_delay_alu instid0(VALU_DEP_1) | instskip(NEXT) | instid1(VALU_DEP_1)
	v_cvt_f64_f32_e32 v[8:9], v12
	v_frexp_exp_i32_f64_e32 v8, v[8:9]
	v_frexp_mant_f32_e32 v9, v12
	s_delay_alu instid0(VALU_DEP_1) | instskip(SKIP_1) | instid1(VALU_DEP_1)
	v_cmp_gt_f32_e32 vcc_lo, 0x3f2aaaab, v9
	v_add_f32_e32 v9, -1.0, v12
	v_dual_sub_f32 v14, v9, v12 :: v_dual_sub_f32 v9, v10, v9
	v_subrev_co_ci_u32_e32 v8, vcc_lo, 0, v8, vcc_lo
	s_delay_alu instid0(VALU_DEP_1) | instskip(SKIP_1) | instid1(VALU_DEP_2)
	v_sub_nc_u32_e32 v13, 0, v8
	v_cvt_f32_i32_e32 v8, v8
	v_ldexp_f32 v12, v12, v13
	s_delay_alu instid0(VALU_DEP_1) | instskip(NEXT) | instid1(VALU_DEP_1)
	v_dual_add_f32 v14, 1.0, v14 :: v_dual_add_f32 v15, 1.0, v12
	v_add_f32_e32 v9, v9, v14
	s_delay_alu instid0(VALU_DEP_1) | instskip(NEXT) | instid1(VALU_DEP_3)
	v_ldexp_f32 v9, v9, v13
	v_dual_add_f32 v13, -1.0, v12 :: v_dual_add_f32 v14, -1.0, v15
	s_delay_alu instid0(VALU_DEP_1) | instskip(NEXT) | instid1(VALU_DEP_1)
	v_dual_add_f32 v17, 1.0, v13 :: v_dual_sub_f32 v14, v12, v14
	v_sub_f32_e32 v12, v12, v17
	s_delay_alu instid0(VALU_DEP_2) | instskip(NEXT) | instid1(VALU_DEP_2)
	v_add_f32_e32 v14, v9, v14
	v_add_f32_e32 v9, v9, v12
	s_delay_alu instid0(VALU_DEP_2) | instskip(SKIP_2) | instid1(VALU_DEP_4)
	v_add_f32_e32 v17, v15, v14
	v_cmp_eq_f32_e32 vcc_lo, 0x7f800000, v10
	v_cmp_gt_f32_e64 s28, 0x33800000, v10
	v_add_f32_e32 v104, v13, v9
	s_delay_alu instid0(VALU_DEP_4) | instskip(SKIP_1) | instid1(VALU_DEP_3)
	v_rcp_f32_e32 v12, v17
	v_sub_f32_e32 v15, v15, v17
	s_or_b32 vcc_lo, s28, vcc_lo
	s_delay_alu instid0(VALU_DEP_2) | instskip(NEXT) | instid1(VALU_DEP_1)
	v_sub_f32_e32 v13, v13, v104
	v_add_f32_e32 v9, v9, v13
	s_waitcnt_depctr 0xfff
	v_dual_mul_f32 v105, v104, v12 :: v_dual_add_f32 v14, v14, v15
	s_delay_alu instid0(VALU_DEP_1) | instskip(NEXT) | instid1(VALU_DEP_1)
	v_mul_f32_e32 v106, v17, v105
	v_fma_f32 v15, v105, v17, -v106
	s_delay_alu instid0(VALU_DEP_1) | instskip(NEXT) | instid1(VALU_DEP_1)
	v_fmac_f32_e32 v15, v105, v14
	v_add_f32_e32 v107, v106, v15
	s_delay_alu instid0(VALU_DEP_1) | instskip(NEXT) | instid1(VALU_DEP_1)
	v_dual_sub_f32 v13, v107, v106 :: v_dual_sub_f32 v108, v104, v107
	v_dual_sub_f32 v13, v13, v15 :: v_dual_sub_f32 v104, v104, v108
	s_delay_alu instid0(VALU_DEP_1) | instskip(NEXT) | instid1(VALU_DEP_1)
	v_sub_f32_e32 v104, v104, v107
	v_add_f32_e32 v9, v9, v104
	s_delay_alu instid0(VALU_DEP_1) | instskip(NEXT) | instid1(VALU_DEP_1)
	v_add_f32_e32 v9, v13, v9
	v_add_f32_e32 v13, v108, v9
	s_delay_alu instid0(VALU_DEP_1) | instskip(NEXT) | instid1(VALU_DEP_1)
	v_mul_f32_e32 v15, v12, v13
	v_mul_f32_e32 v104, v17, v15
	s_delay_alu instid0(VALU_DEP_1) | instskip(NEXT) | instid1(VALU_DEP_1)
	v_fma_f32 v17, v15, v17, -v104
	v_fmac_f32_e32 v17, v15, v14
	s_delay_alu instid0(VALU_DEP_1) | instskip(NEXT) | instid1(VALU_DEP_1)
	v_add_f32_e32 v14, v104, v17
	v_dual_sub_f32 v107, v108, v13 :: v_dual_sub_f32 v106, v13, v14
	s_delay_alu instid0(VALU_DEP_1) | instskip(NEXT) | instid1(VALU_DEP_2)
	v_dual_sub_f32 v13, v13, v106 :: v_dual_sub_f32 v104, v14, v104
	v_add_f32_e32 v9, v9, v107
	s_delay_alu instid0(VALU_DEP_2) | instskip(NEXT) | instid1(VALU_DEP_1)
	v_dual_sub_f32 v13, v13, v14 :: v_dual_sub_f32 v14, v104, v17
	v_add_f32_e32 v9, v9, v13
	v_add_f32_e32 v13, v105, v15
	s_delay_alu instid0(VALU_DEP_2) | instskip(NEXT) | instid1(VALU_DEP_2)
	v_add_f32_e32 v9, v14, v9
	v_sub_f32_e32 v14, v13, v105
	s_delay_alu instid0(VALU_DEP_1) | instskip(NEXT) | instid1(VALU_DEP_1)
	v_dual_add_f32 v9, v106, v9 :: v_dual_sub_f32 v14, v15, v14
	v_mul_f32_e32 v9, v12, v9
	s_delay_alu instid0(VALU_DEP_1) | instskip(NEXT) | instid1(VALU_DEP_1)
	v_add_f32_e32 v9, v14, v9
	v_add_f32_e32 v12, v13, v9
	s_delay_alu instid0(VALU_DEP_1) | instskip(NEXT) | instid1(VALU_DEP_1)
	v_mul_f32_e32 v14, v12, v12
	v_fmaak_f32 v15, s83, v14, 0x3ecc95a3
	s_delay_alu instid0(VALU_DEP_1) | instskip(SKIP_1) | instid1(VALU_DEP_2)
	v_dual_mul_f32 v17, v12, v14 :: v_dual_fmaak_f32 v14, v14, v15, 0x3f2aaada
	v_ldexp_f32 v15, v12, 1
	v_mul_f32_e32 v14, v17, v14
	v_dual_sub_f32 v12, v12, v13 :: v_dual_mul_f32 v17, 0x3f317218, v8
	s_delay_alu instid0(VALU_DEP_2) | instskip(NEXT) | instid1(VALU_DEP_2)
	v_add_f32_e32 v13, v15, v14
	v_sub_f32_e32 v9, v9, v12
	s_delay_alu instid0(VALU_DEP_2) | instskip(NEXT) | instid1(VALU_DEP_4)
	v_sub_f32_e32 v12, v13, v15
	v_fma_f32 v15, 0x3f317218, v8, -v17
	s_delay_alu instid0(VALU_DEP_3) | instskip(NEXT) | instid1(VALU_DEP_3)
	v_ldexp_f32 v9, v9, 1
	v_sub_f32_e32 v12, v14, v12
	s_delay_alu instid0(VALU_DEP_3) | instskip(NEXT) | instid1(VALU_DEP_2)
	v_fmac_f32_e32 v15, 0xb102e308, v8
	v_add_f32_e32 v8, v9, v12
	s_delay_alu instid0(VALU_DEP_1) | instskip(NEXT) | instid1(VALU_DEP_3)
	v_add_f32_e32 v12, v13, v8
	v_add_f32_e32 v9, v17, v15
	s_delay_alu instid0(VALU_DEP_1) | instskip(NEXT) | instid1(VALU_DEP_1)
	v_dual_sub_f32 v13, v12, v13 :: v_dual_add_f32 v14, v9, v12
	v_sub_f32_e32 v8, v8, v13
	s_delay_alu instid0(VALU_DEP_2) | instskip(NEXT) | instid1(VALU_DEP_1)
	v_sub_f32_e32 v104, v14, v9
	v_dual_sub_f32 v12, v12, v104 :: v_dual_sub_f32 v17, v9, v17
	s_delay_alu instid0(VALU_DEP_1) | instskip(NEXT) | instid1(VALU_DEP_1)
	v_sub_f32_e32 v15, v15, v17
	v_add_f32_e32 v13, v15, v8
	v_sub_f32_e32 v105, v14, v104
	s_delay_alu instid0(VALU_DEP_1) | instskip(NEXT) | instid1(VALU_DEP_1)
	v_sub_f32_e32 v9, v9, v105
	v_dual_add_f32 v9, v12, v9 :: v_dual_sub_f32 v12, v13, v15
	s_delay_alu instid0(VALU_DEP_1) | instskip(NEXT) | instid1(VALU_DEP_2)
	v_add_f32_e32 v9, v13, v9
	v_sub_f32_e32 v13, v13, v12
	s_delay_alu instid0(VALU_DEP_2) | instskip(NEXT) | instid1(VALU_DEP_1)
	v_dual_sub_f32 v8, v8, v12 :: v_dual_add_f32 v17, v14, v9
	v_dual_sub_f32 v12, v17, v14 :: v_dual_sub_f32 v13, v15, v13
	s_delay_alu instid0(VALU_DEP_1) | instskip(NEXT) | instid1(VALU_DEP_1)
	v_dual_sub_f32 v9, v9, v12 :: v_dual_add_f32 v8, v8, v13
	v_add_f32_e32 v8, v8, v9
	s_delay_alu instid0(VALU_DEP_1) | instskip(NEXT) | instid1(VALU_DEP_1)
	v_add_f32_e32 v8, v17, v8
	v_cndmask_b32_e32 v104, v8, v10, vcc_lo
.LBB18_104:                             ;   in Loop: Header=BB18_12 Depth=1
	s_or_b32 exec_lo, exec_lo, s29
	v_and_b32_e32 v8, 0xffff0000, v11
	s_delay_alu instid0(VALU_DEP_1) | instskip(NEXT) | instid1(VALU_DEP_1)
	v_add_f32_e32 v121, s66, v8
	v_cmp_ge_f32_e32 vcc_lo, 0x41a00000, v121
	s_and_b32 s28, s79, vcc_lo
	s_delay_alu instid0(SALU_CYCLE_1)
	s_and_saveexec_b32 s29, s28
	s_cbranch_execz .LBB18_106
; %bb.105:                              ;   in Loop: Header=BB18_12 Depth=1
	v_mul_f32_e32 v8, 0x3fb8aa3b, v121
	v_cmp_ngt_f32_e32 vcc_lo, 0xc2ce8ed0, v121
	s_delay_alu instid0(VALU_DEP_2) | instskip(SKIP_1) | instid1(VALU_DEP_2)
	v_rndne_f32_e32 v9, v8
	v_fma_f32 v10, 0x3fb8aa3b, v121, -v8
	v_sub_f32_e32 v8, v8, v9
	s_delay_alu instid0(VALU_DEP_2) | instskip(SKIP_1) | instid1(VALU_DEP_2)
	v_fmac_f32_e32 v10, 0x32a5705f, v121
	v_cvt_i32_f32_e32 v9, v9
	v_add_f32_e32 v8, v8, v10
	s_delay_alu instid0(VALU_DEP_1) | instskip(SKIP_2) | instid1(VALU_DEP_1)
	v_exp_f32_e32 v8, v8
	s_waitcnt_depctr 0xfff
	v_ldexp_f32 v8, v8, v9
	v_cndmask_b32_e32 v8, 0, v8, vcc_lo
	v_cmp_nlt_f32_e32 vcc_lo, 0x42b17218, v121
	s_delay_alu instid0(VALU_DEP_2) | instskip(NEXT) | instid1(VALU_DEP_1)
	v_cndmask_b32_e32 v10, 0x7f800000, v8, vcc_lo
	v_add_f32_e32 v11, 1.0, v10
	s_delay_alu instid0(VALU_DEP_1) | instskip(NEXT) | instid1(VALU_DEP_1)
	v_cvt_f64_f32_e32 v[8:9], v11
	v_frexp_exp_i32_f64_e32 v8, v[8:9]
	v_frexp_mant_f32_e32 v9, v11
	s_delay_alu instid0(VALU_DEP_1) | instskip(SKIP_1) | instid1(VALU_DEP_1)
	v_cmp_gt_f32_e32 vcc_lo, 0x3f2aaaab, v9
	v_add_f32_e32 v9, -1.0, v11
	v_sub_f32_e32 v13, v9, v11
	v_sub_f32_e32 v9, v10, v9
	s_delay_alu instid0(VALU_DEP_2) | instskip(NEXT) | instid1(VALU_DEP_1)
	v_add_f32_e32 v13, 1.0, v13
	v_add_f32_e32 v9, v9, v13
	v_cmp_gt_f32_e64 s28, 0x33800000, v10
	v_subrev_co_ci_u32_e32 v8, vcc_lo, 0, v8, vcc_lo
	v_cmp_eq_f32_e32 vcc_lo, 0x7f800000, v10
	s_delay_alu instid0(VALU_DEP_2) | instskip(SKIP_2) | instid1(VALU_DEP_2)
	v_sub_nc_u32_e32 v12, 0, v8
	v_cvt_f32_i32_e32 v8, v8
	s_or_b32 vcc_lo, s28, vcc_lo
	v_ldexp_f32 v11, v11, v12
	v_ldexp_f32 v9, v9, v12
	s_delay_alu instid0(VALU_DEP_2) | instskip(NEXT) | instid1(VALU_DEP_1)
	v_add_f32_e32 v14, 1.0, v11
	v_dual_add_f32 v12, -1.0, v11 :: v_dual_add_f32 v13, -1.0, v14
	s_delay_alu instid0(VALU_DEP_1) | instskip(NEXT) | instid1(VALU_DEP_2)
	v_add_f32_e32 v15, 1.0, v12
	v_sub_f32_e32 v13, v11, v13
	s_delay_alu instid0(VALU_DEP_2) | instskip(NEXT) | instid1(VALU_DEP_2)
	v_sub_f32_e32 v11, v11, v15
	v_add_f32_e32 v13, v9, v13
	s_delay_alu instid0(VALU_DEP_2) | instskip(NEXT) | instid1(VALU_DEP_1)
	v_add_f32_e32 v9, v9, v11
	v_add_f32_e32 v17, v12, v9
	s_delay_alu instid0(VALU_DEP_3) | instskip(NEXT) | instid1(VALU_DEP_2)
	v_add_f32_e32 v15, v14, v13
	v_sub_f32_e32 v12, v12, v17
	s_delay_alu instid0(VALU_DEP_2) | instskip(SKIP_1) | instid1(VALU_DEP_1)
	v_rcp_f32_e32 v11, v15
	v_sub_f32_e32 v14, v14, v15
	v_add_f32_e32 v13, v13, v14
	s_waitcnt_depctr 0xfff
	v_mul_f32_e32 v105, v17, v11
	s_delay_alu instid0(VALU_DEP_1) | instskip(NEXT) | instid1(VALU_DEP_1)
	v_dual_mul_f32 v106, v15, v105 :: v_dual_add_f32 v9, v9, v12
	v_fma_f32 v14, v105, v15, -v106
	s_delay_alu instid0(VALU_DEP_1) | instskip(NEXT) | instid1(VALU_DEP_1)
	v_fmac_f32_e32 v14, v105, v13
	v_add_f32_e32 v107, v106, v14
	s_delay_alu instid0(VALU_DEP_1) | instskip(SKIP_1) | instid1(VALU_DEP_1)
	v_sub_f32_e32 v12, v107, v106
	v_sub_f32_e32 v108, v17, v107
	v_dual_sub_f32 v12, v12, v14 :: v_dual_sub_f32 v17, v17, v108
	s_delay_alu instid0(VALU_DEP_1) | instskip(NEXT) | instid1(VALU_DEP_1)
	v_sub_f32_e32 v17, v17, v107
	v_add_f32_e32 v9, v9, v17
	s_delay_alu instid0(VALU_DEP_1) | instskip(NEXT) | instid1(VALU_DEP_1)
	v_add_f32_e32 v9, v12, v9
	v_add_f32_e32 v12, v108, v9
	s_delay_alu instid0(VALU_DEP_1) | instskip(SKIP_1) | instid1(VALU_DEP_2)
	v_mul_f32_e32 v14, v11, v12
	v_sub_f32_e32 v107, v108, v12
	v_mul_f32_e32 v17, v15, v14
	s_delay_alu instid0(VALU_DEP_2) | instskip(NEXT) | instid1(VALU_DEP_2)
	v_add_f32_e32 v9, v9, v107
	v_fma_f32 v15, v14, v15, -v17
	s_delay_alu instid0(VALU_DEP_1) | instskip(NEXT) | instid1(VALU_DEP_1)
	v_fmac_f32_e32 v15, v14, v13
	v_add_f32_e32 v13, v17, v15
	s_delay_alu instid0(VALU_DEP_1) | instskip(NEXT) | instid1(VALU_DEP_1)
	v_sub_f32_e32 v106, v12, v13
	v_dual_sub_f32 v17, v13, v17 :: v_dual_sub_f32 v12, v12, v106
	s_delay_alu instid0(VALU_DEP_1) | instskip(NEXT) | instid1(VALU_DEP_1)
	v_dual_sub_f32 v12, v12, v13 :: v_dual_sub_f32 v13, v17, v15
	v_add_f32_e32 v9, v9, v12
	v_add_f32_e32 v12, v105, v14
	s_delay_alu instid0(VALU_DEP_2) | instskip(NEXT) | instid1(VALU_DEP_2)
	v_add_f32_e32 v9, v13, v9
	v_sub_f32_e32 v13, v12, v105
	s_delay_alu instid0(VALU_DEP_2) | instskip(NEXT) | instid1(VALU_DEP_2)
	v_add_f32_e32 v9, v106, v9
	v_sub_f32_e32 v13, v14, v13
	s_delay_alu instid0(VALU_DEP_2) | instskip(NEXT) | instid1(VALU_DEP_1)
	v_mul_f32_e32 v9, v11, v9
	v_add_f32_e32 v9, v13, v9
	s_delay_alu instid0(VALU_DEP_1) | instskip(NEXT) | instid1(VALU_DEP_1)
	v_add_f32_e32 v11, v12, v9
	v_mul_f32_e32 v13, v11, v11
	s_delay_alu instid0(VALU_DEP_1) | instskip(SKIP_1) | instid1(VALU_DEP_2)
	v_fmaak_f32 v14, s83, v13, 0x3ecc95a3
	v_mul_f32_e32 v15, v11, v13
	v_fmaak_f32 v13, v13, v14, 0x3f2aaada
	v_ldexp_f32 v14, v11, 1
	v_sub_f32_e32 v11, v11, v12
	s_delay_alu instid0(VALU_DEP_3) | instskip(SKIP_1) | instid1(VALU_DEP_2)
	v_mul_f32_e32 v13, v15, v13
	v_mul_f32_e32 v15, 0x3f317218, v8
	v_dual_sub_f32 v9, v9, v11 :: v_dual_add_f32 v12, v14, v13
	s_delay_alu instid0(VALU_DEP_1) | instskip(NEXT) | instid1(VALU_DEP_2)
	v_ldexp_f32 v9, v9, 1
	v_sub_f32_e32 v11, v12, v14
	s_delay_alu instid0(VALU_DEP_4) | instskip(NEXT) | instid1(VALU_DEP_1)
	v_fma_f32 v14, 0x3f317218, v8, -v15
	v_dual_sub_f32 v11, v13, v11 :: v_dual_fmac_f32 v14, 0xb102e308, v8
	s_delay_alu instid0(VALU_DEP_1) | instskip(NEXT) | instid1(VALU_DEP_1)
	v_dual_add_f32 v8, v9, v11 :: v_dual_add_f32 v9, v15, v14
	v_add_f32_e32 v11, v12, v8
	s_delay_alu instid0(VALU_DEP_2) | instskip(NEXT) | instid1(VALU_DEP_2)
	v_sub_f32_e32 v15, v9, v15
	v_dual_add_f32 v13, v9, v11 :: v_dual_sub_f32 v12, v11, v12
	s_delay_alu instid0(VALU_DEP_1) | instskip(NEXT) | instid1(VALU_DEP_1)
	v_dual_sub_f32 v14, v14, v15 :: v_dual_sub_f32 v17, v13, v9
	v_dual_sub_f32 v8, v8, v12 :: v_dual_sub_f32 v105, v13, v17
	s_delay_alu instid0(VALU_DEP_1) | instskip(NEXT) | instid1(VALU_DEP_2)
	v_dual_sub_f32 v11, v11, v17 :: v_dual_add_f32 v12, v14, v8
	v_sub_f32_e32 v9, v9, v105
	s_delay_alu instid0(VALU_DEP_1) | instskip(NEXT) | instid1(VALU_DEP_3)
	v_add_f32_e32 v9, v11, v9
	v_sub_f32_e32 v11, v12, v14
	s_delay_alu instid0(VALU_DEP_2) | instskip(NEXT) | instid1(VALU_DEP_2)
	v_add_f32_e32 v9, v12, v9
	v_sub_f32_e32 v12, v12, v11
	s_delay_alu instid0(VALU_DEP_2) | instskip(NEXT) | instid1(VALU_DEP_1)
	v_dual_sub_f32 v8, v8, v11 :: v_dual_add_f32 v15, v13, v9
	v_dual_sub_f32 v12, v14, v12 :: v_dual_sub_f32 v11, v15, v13
	s_delay_alu instid0(VALU_DEP_1) | instskip(NEXT) | instid1(VALU_DEP_1)
	v_dual_add_f32 v8, v8, v12 :: v_dual_sub_f32 v9, v9, v11
	v_add_f32_e32 v8, v8, v9
	s_delay_alu instid0(VALU_DEP_1) | instskip(NEXT) | instid1(VALU_DEP_1)
	v_add_f32_e32 v8, v15, v8
	v_cndmask_b32_e32 v121, v8, v10, vcc_lo
.LBB18_106:                             ;   in Loop: Header=BB18_12 Depth=1
	s_or_b32 exec_lo, exec_lo, s29
	v_and_b32_e32 v11, 0xffff0000, v3
	v_and_b32_e32 v9, 0xffff0000, v6
	v_lshlrev_b32_e32 v6, 16, v6
	v_and_b32_e32 v15, 0xffff0000, v0
	v_lshlrev_b32_e32 v8, 16, v7
	v_mul_f32_e32 v115, s67, v11
	v_mul_f32_e32 v105, s67, v9
	v_dual_mul_f32 v107, s67, v6 :: v_dual_and_b32 v10, 0xffff0000, v5
	v_and_b32_e32 v14, 0xffff0000, v7
	v_and_b32_e32 v7, 0xffff0000, v4
	v_lshlrev_b32_e32 v5, 16, v5
	s_delay_alu instid0(VALU_DEP_4) | instskip(NEXT) | instid1(VALU_DEP_4)
	v_dual_mul_f32 v109, s67, v10 :: v_dual_lshlrev_b32 v0, 16, v0
	v_mul_f32_e32 v111, s67, v14
	v_and_b32_e32 v13, 0xffff0000, v1
	v_lshlrev_b32_e32 v3, 16, v3
	v_mul_f32_e32 v108, s67, v7
	v_mul_f32_e32 v120, s67, v0
	s_delay_alu instid0(VALU_DEP_4) | instskip(SKIP_3) | instid1(VALU_DEP_4)
	v_dual_mul_f32 v113, s67, v13 :: v_dual_and_b32 v12, 0xffff0000, v2
	v_lshlrev_b32_e32 v1, 16, v1
	v_mul_f32_e32 v110, s67, v5
	v_mul_f32_e32 v106, s67, v8
	;; [unrolled: 1-line block ×5, first 2 shown]
	v_dual_mul_f32 v119, s67, v15 :: v_dual_lshlrev_b32 v2, 16, v2
	v_lshlrev_b32_e32 v4, 16, v4
	s_and_b32 vcc_lo, exec_lo, s80
	s_delay_alu instid0(VALU_DEP_2) | instskip(SKIP_1) | instid1(VALU_DEP_2)
	v_mul_f32_e32 v117, s67, v2
	s_barrier
	v_mul_f32_e32 v112, s67, v4
	buffer_gl0_inv
	s_cbranch_vccz .LBB18_202
; %bb.107:                              ;   in Loop: Header=BB18_12 Depth=1
	v_dual_mul_f32 v122, v121, v14 :: v_dual_mul_f32 v127, v104, v8
	v_add_co_u32 v14, s28, s53, v16
	s_delay_alu instid0(VALU_DEP_1) | instskip(SKIP_1) | instid1(VALU_DEP_1)
	v_add_co_ci_u32_e64 v17, null, s73, 0, s28
	v_add_co_u32 v16, s28, s57, v16
	v_add_co_ci_u32_e64 v126, null, s74, 0, s28
	s_delay_alu instid0(VALU_DEP_4) | instskip(NEXT) | instid1(VALU_DEP_4)
	v_add_co_u32 v123, vcc_lo, v14, v89
	v_add_co_ci_u32_e32 v124, vcc_lo, 0, v17, vcc_lo
	s_delay_alu instid0(VALU_DEP_4) | instskip(NEXT) | instid1(VALU_DEP_4)
	v_add_co_u32 v125, vcc_lo, v16, v89
	v_add_co_ci_u32_e32 v126, vcc_lo, 0, v126, vcc_lo
	v_cmp_gt_u32_e32 vcc_lo, s40, v18
	s_cmp_lg_u32 s85, 0
	v_cmp_gt_u32_e64 s30, s40, v75
	s_cselect_b32 s51, -1, 0
	s_cmp_eq_u32 s85, s82
	v_cmp_gt_u32_e64 s31, s40, v76
	s_cselect_b32 s86, -1, 0
	s_or_b32 s28, s81, vcc_lo
	v_cmp_gt_u32_e32 vcc_lo, s40, v74
	v_cmp_gt_u32_e64 s33, s40, v77
	v_cmp_gt_u32_e64 s34, s40, v78
	;; [unrolled: 1-line block ×4, first 2 shown]
	s_or_b32 s29, s81, vcc_lo
	v_cmp_gt_u32_e32 vcc_lo, s40, v79
	v_cmp_gt_u32_e64 s38, s40, v82
	v_cmp_gt_u32_e64 s39, s40, v83
	;; [unrolled: 1-line block ×4, first 2 shown]
	s_or_b32 s35, s81, vcc_lo
	v_cmp_gt_u32_e32 vcc_lo, s40, v84
	v_cmp_gt_u32_e64 s43, s40, v87
	v_cmp_gt_u32_e64 s44, s40, v88
	v_dual_mul_f32 v128, v103, v9 :: v_dual_mul_f32 v129, v102, v6
	v_dual_mul_f32 v130, v101, v10 :: v_dual_mul_f32 v131, v100, v5
	;; [unrolled: 1-line block ×7, first 2 shown]
	s_mov_b32 s64, 0
	s_or_b32 s30, s81, s30
	s_or_b32 s31, s81, s31
	;; [unrolled: 1-line block ×8, first 2 shown]
	s_or_b32 s40, s81, vcc_lo
	s_or_b32 s41, s81, s41
	s_or_b32 s42, s81, s42
	;; [unrolled: 1-line block ×4, first 2 shown]
	s_mov_b32 s54, s64
	s_mov_b32 s58, s64
	;; [unrolled: 1-line block ×5, first 2 shown]
	s_branch .LBB18_109
.LBB18_108:                             ;   in Loop: Header=BB18_109 Depth=2
	s_or_b32 exec_lo, exec_lo, s45
	v_cndmask_b32_e64 v9, v171, v11, s11
	v_cndmask_b32_e64 v10, v170, v10, s11
	s_add_i32 s87, s87, -1
	s_add_i32 s88, s88, 8
	s_add_i32 s60, s60, s62
	v_fma_f32 v9, v9, v145, v144
	v_mul_f32_e32 v10, v10, v145
	s_add_i32 s58, s58, s56
	s_add_i32 s54, s54, s52
	;; [unrolled: 1-line block ×3, first 2 shown]
	v_cndmask_b32_e64 v9, v9, v144, s10
	v_cndmask_b32_e64 v10, v10, v145, s10
	s_cmp_eq_u32 s87, 0
	s_waitcnt lgkmcnt(0)
	s_delay_alu instid0(VALU_DEP_1) | instskip(NEXT) | instid1(VALU_DEP_1)
	v_dual_fmac_f32 v9, v8, v10 :: v_dual_and_b32 v10, 0xffff0000, v5
	v_dual_fmac_f32 v12, v9, v147 :: v_dual_lshlrev_b32 v5, 16, v5
	s_delay_alu instid0(VALU_DEP_1) | instskip(NEXT) | instid1(VALU_DEP_1)
	v_fmac_f32_e32 v13, v12, v148
	v_dual_fmac_f32 v118, v13, v5 :: v_dual_and_b32 v17, 0xffff0000, v0
	v_fmac_f32_e32 v14, v13, v150
	s_delay_alu instid0(VALU_DEP_1) | instskip(NEXT) | instid1(VALU_DEP_1)
	v_fmac_f32_e32 v15, v14, v153
	v_fmac_f32_e32 v142, v15, v154
	s_delay_alu instid0(VALU_DEP_1) | instskip(NEXT) | instid1(VALU_DEP_1)
	v_fmac_f32_e32 v143, v142, v155
	v_fmac_f32_e32 v146, v143, v156
	s_delay_alu instid0(VALU_DEP_1) | instskip(SKIP_1) | instid1(VALU_DEP_2)
	v_dual_fmac_f32 v149, v146, v158 :: v_dual_and_b32 v8, 0xffff0000, v4
	v_lshlrev_b32_e32 v4, 16, v4
	v_dual_fmac_f32 v119, v12, v8 :: v_dual_and_b32 v16, 0xffff0000, v7
	s_delay_alu instid0(VALU_DEP_3) | instskip(SKIP_1) | instid1(VALU_DEP_4)
	v_fmac_f32_e32 v151, v149, v159
	v_and_b32_e32 v11, 0xffff0000, v6
	v_dual_fmac_f32 v120, v9, v4 :: v_dual_lshlrev_b32 v7, 16, v7
	s_delay_alu instid0(VALU_DEP_4) | instskip(NEXT) | instid1(VALU_DEP_4)
	v_fmac_f32_e32 v115, v146, v16
	v_fmac_f32_e32 v152, v151, v160
	s_delay_alu instid0(VALU_DEP_4) | instskip(NEXT) | instid1(VALU_DEP_2)
	v_fmac_f32_e32 v114, v142, v11
	v_dual_fmac_f32 v108, v151, v17 :: v_dual_fmac_f32 v157, v152, v168
	v_lshlrev_b32_e32 v6, 16, v6
	v_dual_fmac_f32 v113, v14, v10 :: v_dual_lshlrev_b32 v0, 16, v0
	v_and_b32_e32 v147, 0xffff0000, v3
	s_delay_alu instid0(VALU_DEP_4) | instskip(SKIP_3) | instid1(VALU_DEP_4)
	v_fmac_f32_e32 v161, v157, v163
	v_and_b32_e32 v145, 0xffff0000, v2
	v_lshlrev_b32_e32 v2, 16, v2
	v_dual_fmac_f32 v117, v15, v6 :: v_dual_and_b32 v144, 0xffff0000, v1
	v_fmac_f32_e32 v162, v161, v165
	v_lshlrev_b32_e32 v1, 16, v1
	v_lshlrev_b32_e32 v3, 16, v3
	v_dual_fmac_f32 v107, v161, v2 :: v_dual_fmac_f32 v116, v143, v7
	s_delay_alu instid0(VALU_DEP_4) | instskip(SKIP_1) | instid1(VALU_DEP_2)
	v_dual_fmac_f32 v109, v157, v144 :: v_dual_fmac_f32 v164, v162, v167
	v_dual_fmac_f32 v112, v149, v0 :: v_dual_fmac_f32 v105, v162, v145
	v_fmac_f32_e32 v106, v164, v3
	v_fmac_f32_e32 v166, v164, v169
	s_delay_alu instid0(VALU_DEP_1)
	v_dual_fmac_f32 v110, v152, v1 :: v_dual_fmac_f32 v111, v166, v147
	s_cbranch_scc1 .LBB18_202
.LBB18_109:                             ;   Parent Loop BB18_12 Depth=1
                                        ; =>  This Inner Loop Header: Depth=2
	s_lshl_b64 s[90:91], s[64:65], 2
	s_mov_b32 s55, s65
	s_add_u32 s90, s72, s90
	s_addc_u32 s91, s63, s91
	v_dual_mov_b32 v2, 0 :: v_dual_mov_b32 v3, 0
	global_load_b32 v142, v21, s[90:91]
	s_lshl_b64 s[90:91], s[54:55], 1
	s_delay_alu instid0(SALU_CYCLE_1)
	v_add_co_u32 v0, vcc_lo, v123, s90
	v_add_co_ci_u32_e32 v1, vcc_lo, s91, v124, vcc_lo
	s_and_saveexec_b32 s45, s12
	s_cbranch_execz .LBB18_111
; %bb.110:                              ;   in Loop: Header=BB18_109 Depth=2
	global_load_u16 v3, v[0:1], off
.LBB18_111:                             ;   in Loop: Header=BB18_109 Depth=2
	s_or_b32 exec_lo, exec_lo, s45
	s_and_saveexec_b32 s45, s13
	s_cbranch_execz .LBB18_113
; %bb.112:                              ;   in Loop: Header=BB18_109 Depth=2
	global_load_u16 v2, v[0:1], off offset:64
.LBB18_113:                             ;   in Loop: Header=BB18_109 Depth=2
	s_or_b32 exec_lo, exec_lo, s45
	v_dual_mov_b32 v4, 0 :: v_dual_mov_b32 v5, 0
	s_and_saveexec_b32 s45, s14
	s_cbranch_execz .LBB18_115
; %bb.114:                              ;   in Loop: Header=BB18_109 Depth=2
	global_load_u16 v5, v[0:1], off offset:128
.LBB18_115:                             ;   in Loop: Header=BB18_109 Depth=2
	s_or_b32 exec_lo, exec_lo, s45
	s_and_saveexec_b32 s45, s15
	s_cbranch_execz .LBB18_117
; %bb.116:                              ;   in Loop: Header=BB18_109 Depth=2
	global_load_u16 v4, v[0:1], off offset:192
.LBB18_117:                             ;   in Loop: Header=BB18_109 Depth=2
	s_or_b32 exec_lo, exec_lo, s45
	v_dual_mov_b32 v6, 0 :: v_dual_mov_b32 v7, 0
	s_and_saveexec_b32 s45, s16
	s_cbranch_execz .LBB18_119
; %bb.118:                              ;   in Loop: Header=BB18_109 Depth=2
	global_load_u16 v7, v[0:1], off offset:256
.LBB18_119:                             ;   in Loop: Header=BB18_109 Depth=2
	;; [unrolled: 13-line block ×7, first 2 shown]
	s_or_b32 exec_lo, exec_lo, s45
	s_and_saveexec_b32 s45, s27
	s_cbranch_execz .LBB18_141
; %bb.140:                              ;   in Loop: Header=BB18_109 Depth=2
	global_load_u16 v16, v[0:1], off offset:960
.LBB18_141:                             ;   in Loop: Header=BB18_109 Depth=2
	s_or_b32 exec_lo, exec_lo, s45
	s_waitcnt vmcnt(0)
	ds_store_b16 v37, v3
	ds_store_b16 v37, v2 offset:64
	ds_store_b16 v38, v5 offset:128
	;; [unrolled: 1-line block ×15, first 2 shown]
	; wave barrier
	ds_load_b128 v[12:15], v52
	ds_load_b128 v[8:11], v52 offset:16
	s_mov_b32 s59, s65
	v_dual_mov_b32 v2, 0 :: v_dual_mov_b32 v3, 0
	s_lshl_b64 s[90:91], s[58:59], 1
	s_delay_alu instid0(SALU_CYCLE_1)
	v_add_co_u32 v0, vcc_lo, v125, s90
	v_add_co_ci_u32_e32 v1, vcc_lo, s91, v126, vcc_lo
	s_and_saveexec_b32 s45, s12
	s_cbranch_execz .LBB18_143
; %bb.142:                              ;   in Loop: Header=BB18_109 Depth=2
	global_load_u16 v3, v[0:1], off
.LBB18_143:                             ;   in Loop: Header=BB18_109 Depth=2
	s_or_b32 exec_lo, exec_lo, s45
	s_and_saveexec_b32 s45, s13
	s_cbranch_execz .LBB18_145
; %bb.144:                              ;   in Loop: Header=BB18_109 Depth=2
	global_load_u16 v2, v[0:1], off offset:64
.LBB18_145:                             ;   in Loop: Header=BB18_109 Depth=2
	s_or_b32 exec_lo, exec_lo, s45
	v_dual_mov_b32 v4, 0 :: v_dual_mov_b32 v5, 0
	s_and_saveexec_b32 s45, s14
	s_cbranch_execz .LBB18_147
; %bb.146:                              ;   in Loop: Header=BB18_109 Depth=2
	global_load_u16 v5, v[0:1], off offset:128
.LBB18_147:                             ;   in Loop: Header=BB18_109 Depth=2
	s_or_b32 exec_lo, exec_lo, s45
	s_and_saveexec_b32 s45, s15
	s_cbranch_execz .LBB18_149
; %bb.148:                              ;   in Loop: Header=BB18_109 Depth=2
	global_load_u16 v4, v[0:1], off offset:192
.LBB18_149:                             ;   in Loop: Header=BB18_109 Depth=2
	s_or_b32 exec_lo, exec_lo, s45
	v_dual_mov_b32 v6, 0 :: v_dual_mov_b32 v7, 0
	s_and_saveexec_b32 s45, s16
	s_cbranch_execz .LBB18_151
; %bb.150:                              ;   in Loop: Header=BB18_109 Depth=2
	global_load_u16 v7, v[0:1], off offset:256
.LBB18_151:                             ;   in Loop: Header=BB18_109 Depth=2
	;; [unrolled: 13-line block ×7, first 2 shown]
	s_or_b32 exec_lo, exec_lo, s45
	s_and_saveexec_b32 s45, s27
	s_cbranch_execz .LBB18_173
; %bb.172:                              ;   in Loop: Header=BB18_109 Depth=2
	global_load_u16 v149, v[0:1], off offset:960
.LBB18_173:                             ;   in Loop: Header=BB18_109 Depth=2
	s_or_b32 exec_lo, exec_lo, s45
	s_waitcnt vmcnt(0)
	ds_store_b16 v37, v3 offset:2112
	ds_store_b16 v53, v2 offset:64
	;; [unrolled: 1-line block ×16, first 2 shown]
	; wave barrier
	ds_load_b128 v[4:7], v52 offset:2112
	ds_load_b128 v[0:3], v68 offset:16
	s_and_not1_b32 vcc_lo, exec_lo, s51
	s_cbranch_vccnz .LBB18_175
; %bb.174:                              ;   in Loop: Header=BB18_109 Depth=2
	v_mov_b32_e32 v16, s88
	ds_load_b64 v[16:17], v16
	s_cbranch_execz .LBB18_176
	s_branch .LBB18_179
.LBB18_175:                             ;   in Loop: Header=BB18_109 Depth=2
                                        ; implicit-def: $vgpr16
.LBB18_176:                             ;   in Loop: Header=BB18_109 Depth=2
	s_waitcnt lgkmcnt(0)
	v_mov_b32_e32 v17, 0
	s_and_not1_b32 vcc_lo, exec_lo, s47
	s_cbranch_vccnz .LBB18_178
; %bb.177:                              ;   in Loop: Header=BB18_109 Depth=2
	s_mov_b32 s61, s65
	s_delay_alu instid0(SALU_CYCLE_1) | instskip(NEXT) | instid1(SALU_CYCLE_1)
	s_lshl_b64 s[90:91], s[60:61], 1
	s_add_u32 s90, s75, s90
	s_addc_u32 s91, s76, s91
	global_load_u16 v16, v21, s[90:91]
	s_waitcnt vmcnt(0)
	v_lshlrev_b32_e32 v17, 16, v16
.LBB18_178:                             ;   in Loop: Header=BB18_109 Depth=2
	v_mov_b32_e32 v16, 1.0
.LBB18_179:                             ;   in Loop: Header=BB18_109 Depth=2
	s_waitcnt lgkmcnt(19)
	v_dual_mul_f32 v164, 0x3fb8aa3b, v142 :: v_dual_lshlrev_b32 v143, 16, v12
	v_and_b32_e32 v12, 0xffff0000, v12
	v_lshlrev_b32_e32 v142, 16, v13
	v_and_b32_e32 v146, 0xffff0000, v13
	v_lshlrev_b32_e32 v149, 16, v14
	v_mul_f32_e32 v13, v164, v90
	v_dual_mul_f32 v14, v164, v91 :: v_dual_and_b32 v151, 0xffff0000, v14
	v_dual_mul_f32 v145, v164, v93 :: v_dual_lshlrev_b32 v152, 16, v15
	s_delay_alu instid0(VALU_DEP_3) | instskip(SKIP_1) | instid1(VALU_DEP_4)
	v_cmp_gt_f32_e32 vcc_lo, 0xc2fc0000, v13
	v_dual_mul_f32 v12, v140, v12 :: v_dual_and_b32 v155, 0xffff0000, v15
	v_cmp_gt_f32_e64 s45, 0xc2fc0000, v14
	v_mul_f32_e32 v15, v164, v92
	v_cndmask_b32_e64 v13, 0, 0x42800000, vcc_lo
	v_cndmask_b32_e64 v144, 1.0, 0x1f800000, vcc_lo
	s_waitcnt lgkmcnt(18)
	v_lshlrev_b32_e32 v161, 16, v10
	v_cndmask_b32_e64 v14, 0, 0x42800000, s45
	v_mul_f32_e32 v143, v141, v143
	v_fmac_f32_e32 v13, v164, v90
	v_dual_mul_f32 v142, v139, v142 :: v_dual_lshlrev_b32 v157, 16, v8
	v_and_b32_e32 v8, 0xffff0000, v8
	v_fmac_f32_e32 v14, v164, v91
	s_delay_alu instid0(VALU_DEP_4) | instskip(SKIP_2) | instid1(VALU_DEP_3)
	v_exp_f32_e32 v13, v13
	v_cmp_gt_f32_e32 vcc_lo, 0xc2fc0000, v15
	v_dual_mul_f32 v151, v136, v151 :: v_dual_and_b32 v10, 0xffff0000, v10
	v_exp_f32_e32 v14, v14
	v_dual_mul_f32 v157, v133, v157 :: v_dual_mul_f32 v8, v132, v8
	v_cndmask_b32_e64 v15, 0, 0x42800000, vcc_lo
	v_lshlrev_b32_e32 v166, 16, v11
	v_and_b32_e32 v11, 0xffff0000, v11
	s_delay_alu instid0(TRANS32_DEP_2)
	v_mul_f32_e32 v13, v13, v144
	v_cndmask_b32_e64 v144, 0, v143, s28
	v_cndmask_b32_e64 v143, 1.0, 0x1f800000, s45
	v_cmp_gt_f32_e64 s45, 0xc2fc0000, v145
	v_fmac_f32_e32 v15, v164, v92
	v_cndmask_b32_e64 v145, 1.0, v13, s28
	v_cndmask_b32_e64 v12, 0, v12, s29
	v_mul_f32_e32 v13, v14, v143
	v_cndmask_b32_e64 v147, 0, 0x42800000, s45
	v_exp_f32_e32 v14, v15
	v_cndmask_b32_e64 v143, 1.0, 0x1f800000, vcc_lo
	v_lshlrev_b32_e32 v159, 16, v9
	v_mul_f32_e32 v15, v164, v94
	v_fmac_f32_e32 v147, v164, v93
	v_and_b32_e32 v9, 0xffff0000, v9
	v_mul_f32_e32 v167, v164, v103
	v_mul_f32_e32 v169, v164, v121
	v_cmp_gt_f32_e32 vcc_lo, 0xc2fc0000, v15
	v_exp_f32_e32 v150, v147
	v_mul_f32_e32 v14, v14, v143
	v_cndmask_b32_e64 v143, 1.0, 0x1f800000, s45
	v_mul_f32_e32 v153, v164, v97
	v_cndmask_b32_e64 v15, 0, 0x42800000, vcc_lo
	v_mul_f32_e32 v156, v164, v98
	v_cndmask_b32_e64 v148, 1.0, v14, s30
	v_mul_f32_e32 v14, v138, v146
	v_mul_f32_e32 v146, v164, v96
	v_fmac_f32_e32 v15, v164, v94
	v_mul_f32_e32 v143, v150, v143
	v_cmp_gt_f32_e64 s46, 0xc2fc0000, v153
	v_cndmask_b32_e64 v14, 0, v14, s31
	v_mul_f32_e32 v158, v164, v100
	v_exp_f32_e32 v15, v15
	v_cndmask_b32_e64 v150, 1.0, v143, s31
	v_cndmask_b32_e64 v143, 1.0, 0x1f800000, vcc_lo
	v_cmp_gt_f32_e32 vcc_lo, 0xc2fc0000, v146
	v_mul_f32_e32 v166, v127, v166
	v_dual_mul_f32 v10, v128, v10 :: v_dual_mul_f32 v11, v122, v11
	v_cndmask_b32_e64 v146, 0, 0x42800000, vcc_lo
	s_delay_alu instid0(TRANS32_DEP_1) | instskip(SKIP_2) | instid1(VALU_DEP_4)
	v_mul_f32_e32 v143, v15, v143
	v_mul_f32_e32 v15, v137, v149
	v_cndmask_b32_e64 v149, 0, 0x42800000, s46
	v_fmac_f32_e32 v146, v164, v96
	v_cndmask_b32_e64 v147, 1.0, v13, s29
	v_cndmask_b32_e64 v13, 0, v142, s30
	v_mul_f32_e32 v142, v164, v95
	v_cndmask_b32_e64 v153, 1.0, v143, s33
	v_exp_f32_e32 v146, v146
	v_fma_f32 v165, v147, v144, v12
	v_cndmask_b32_e64 v15, 0, v15, s33
	v_cmp_gt_f32_e64 s45, 0xc2fc0000, v142
	s_delay_alu instid0(VALU_DEP_1) | instskip(SKIP_1) | instid1(VALU_DEP_2)
	v_cndmask_b32_e64 v142, 0, 0x42800000, s45
	v_cndmask_b32_e64 v154, 1.0, 0x1f800000, s45
	v_fmac_f32_e32 v142, v164, v95
	s_delay_alu instid0(VALU_DEP_1)
	v_exp_f32_e32 v142, v142
	s_waitcnt_depctr 0xfff
	v_mul_f32_e32 v143, v142, v154
	v_cndmask_b32_e64 v142, 0, v151, s34
	v_cndmask_b32_e64 v151, 1.0, 0x1f800000, vcc_lo
	v_cmp_gt_f32_e32 vcc_lo, 0xc2fc0000, v156
	v_mul_f32_e32 v156, v134, v155
	v_cndmask_b32_e64 v154, 1.0, v143, s34
	s_delay_alu instid0(VALU_DEP_4)
	v_dual_mul_f32 v143, v135, v152 :: v_dual_mul_f32 v146, v146, v151
	v_cndmask_b32_e64 v151, 1.0, 0x1f800000, s46
	v_cmp_gt_f32_e64 s46, 0xc2fc0000, v158
	v_mul_f32_e32 v158, v164, v101
	v_cndmask_b32_e64 v152, 0, 0x42800000, vcc_lo
	v_cndmask_b32_e64 v160, 1.0, 0x1f800000, vcc_lo
	v_cndmask_b32_e64 v155, 1.0, v146, s35
	v_cndmask_b32_e64 v146, 0, v156, s36
	v_cmp_gt_f32_e32 vcc_lo, 0xc2fc0000, v158
	v_fmac_f32_e32 v152, v164, v98
	v_cndmask_b32_e64 v143, 0, v143, s35
	v_cndmask_b32_e64 v162, 0, 0x42800000, vcc_lo
	v_cndmask_b32_e64 v163, 1.0, 0x1f800000, vcc_lo
	s_delay_alu instid0(VALU_DEP_2) | instskip(NEXT) | instid1(VALU_DEP_1)
	v_fmac_f32_e32 v162, v164, v101
	v_exp_f32_e32 v162, v162
	v_fmac_f32_e32 v149, v164, v97
	s_delay_alu instid0(VALU_DEP_1) | instskip(SKIP_3) | instid1(VALU_DEP_2)
	v_exp_f32_e32 v149, v149
	s_waitcnt_depctr 0xfff
	v_mul_f32_e32 v149, v149, v151
	v_mul_f32_e32 v151, v164, v99
	v_cndmask_b32_e64 v156, 1.0, v149, s36
	s_delay_alu instid0(VALU_DEP_2) | instskip(SKIP_2) | instid1(VALU_DEP_2)
	v_cmp_gt_f32_e64 s45, 0xc2fc0000, v151
	v_exp_f32_e32 v149, v152
	v_cndmask_b32_e64 v152, 0, 0x42800000, s46
	v_cndmask_b32_e64 v151, 0, 0x42800000, s45
	s_delay_alu instid0(VALU_DEP_2)
	v_fmac_f32_e32 v152, v164, v100
	s_waitcnt_depctr 0xfff
	v_dual_fmac_f32 v151, v164, v99 :: v_dual_mul_f32 v158, v149, v160
	v_cndmask_b32_e64 v149, 0, v157, s37
	v_exp_f32_e32 v152, v152
	v_cndmask_b32_e64 v157, 1.0, 0x1f800000, s45
	s_delay_alu instid0(VALU_DEP_3) | instskip(SKIP_3) | instid1(VALU_DEP_2)
	v_exp_f32_e32 v151, v151
	v_cndmask_b32_e64 v160, 1.0, 0x1f800000, s46
	v_cmp_gt_f32_e64 s45, 0xc2fc0000, v167
	v_cndmask_b32_e64 v158, 1.0, v158, s37
	v_cndmask_b32_e64 v167, 1.0, 0x1f800000, s45
	s_waitcnt_depctr 0xfff
	v_dual_mul_f32 v160, v152, v160 :: v_dual_mul_f32 v157, v151, v157
	v_cndmask_b32_e64 v151, 0, v8, s38
	v_mul_f32_e32 v8, v131, v159
	s_delay_alu instid0(VALU_DEP_3) | instskip(NEXT) | instid1(VALU_DEP_4)
	v_cndmask_b32_e64 v160, 1.0, v160, s39
	v_cndmask_b32_e64 v159, 1.0, v157, s38
	v_mul_f32_e32 v157, v164, v102
	s_delay_alu instid0(VALU_DEP_4) | instskip(SKIP_1) | instid1(VALU_DEP_3)
	v_cndmask_b32_e64 v152, 0, v8, s39
	v_dual_mul_f32 v8, v162, v163 :: v_dual_mul_f32 v163, v147, v145
	v_cmp_gt_f32_e32 vcc_lo, 0xc2fc0000, v157
	s_delay_alu instid0(VALU_DEP_2) | instskip(SKIP_3) | instid1(VALU_DEP_3)
	v_cndmask_b32_e64 v168, 1.0, v8, s40
	v_cndmask_b32_e64 v162, 0, 0x42800000, vcc_lo
	v_mul_f32_e32 v9, v130, v9
	v_cndmask_b32_e64 v8, 1.0, 0x1f800000, vcc_lo
	v_fmac_f32_e32 v162, v164, v102
	s_delay_alu instid0(VALU_DEP_3)
	v_cndmask_b32_e64 v157, 0, v9, s40
	v_mul_f32_e32 v9, v163, v148
	v_fma_f32 v163, v165, v148, v13
	v_cndmask_b32_e64 v165, 0, 0x42800000, s45
	v_exp_f32_e32 v162, v162
	v_cmp_gt_f32_e64 s45, 0xc2fc0000, v169
	v_mul_f32_e32 v9, v9, v150
	v_fma_f32 v163, v163, v150, v14
	v_fmac_f32_e32 v165, v164, v103
	s_delay_alu instid0(VALU_DEP_3) | instskip(NEXT) | instid1(VALU_DEP_3)
	v_mul_f32_e32 v9, v9, v153
	v_fma_f32 v163, v163, v153, v15
	s_delay_alu instid0(VALU_DEP_3)
	v_exp_f32_e32 v165, v165
	s_delay_alu instid0(TRANS32_DEP_2) | instid1(VALU_DEP_2)
	v_dual_mul_f32 v8, v162, v8 :: v_dual_mul_f32 v9, v9, v154
	s_delay_alu instid0(VALU_DEP_2) | instskip(NEXT) | instid1(VALU_DEP_2)
	v_fma_f32 v162, v163, v154, v142
	v_cndmask_b32_e64 v163, 1.0, v8, s41
	s_delay_alu instid0(VALU_DEP_3) | instskip(NEXT) | instid1(VALU_DEP_3)
	v_mul_f32_e32 v8, v9, v155
	v_fma_f32 v9, v162, v155, v143
	v_mul_f32_e32 v162, v164, v104
	s_delay_alu instid0(VALU_DEP_3) | instskip(NEXT) | instid1(VALU_DEP_3)
	v_mul_f32_e32 v8, v8, v156
	v_fma_f32 v9, v9, v156, v146
	s_delay_alu instid0(VALU_DEP_3)
	v_cmp_gt_f32_e32 vcc_lo, 0xc2fc0000, v162
	v_mul_f32_e32 v161, v129, v161
	v_cndmask_b32_e64 v162, 0, v10, s42
	v_mul_f32_e32 v8, v8, v158
	v_fma_f32 v9, v9, v158, v149
	v_cndmask_b32_e64 v10, 0, 0x42800000, s45
	v_mul_f32_e32 v165, v165, v167
	v_cndmask_b32_e64 v167, 0, 0x42800000, vcc_lo
	v_mul_f32_e32 v8, v8, v159
	v_fma_f32 v9, v9, v159, v151
	v_fmac_f32_e32 v10, v164, v121
	v_cndmask_b32_e64 v161, 0, v161, s41
	v_fmac_f32_e32 v167, v164, v104
	v_mul_f32_e32 v8, v8, v160
	v_fma_f32 v9, v9, v160, v152
	v_cndmask_b32_e64 v164, 1.0, 0x1f800000, vcc_lo
	v_exp_f32_e32 v10, v10
	v_exp_f32_e32 v167, v167
	v_mul_f32_e32 v8, v8, v168
	v_fma_f32 v9, v9, v168, v157
	v_cndmask_b32_e64 v165, 1.0, v165, s42
	s_delay_alu instid0(VALU_DEP_3) | instskip(NEXT) | instid1(VALU_DEP_3)
	v_mul_f32_e32 v8, v8, v163
	v_fma_f32 v9, v9, v163, v161
	s_waitcnt_depctr 0xfff
	v_mul_f32_e32 v167, v167, v164
	v_cndmask_b32_e64 v164, 0, v166, s43
	v_cndmask_b32_e64 v166, 1.0, 0x1f800000, s45
	v_mul_f32_e32 v8, v8, v165
	v_fma_f32 v9, v9, v165, v162
	v_cndmask_b32_e64 v167, 1.0, v167, s43
	s_delay_alu instid0(VALU_DEP_4) | instskip(SKIP_1) | instid1(VALU_DEP_3)
	v_mul_f32_e32 v10, v10, v166
	v_cndmask_b32_e64 v166, 0, v11, s44
	v_mul_f32_e32 v8, v8, v167
	v_fma_f32 v9, v9, v167, v164
	s_delay_alu instid0(VALU_DEP_4) | instskip(NEXT) | instid1(VALU_DEP_1)
	v_cndmask_b32_e64 v169, 1.0, v10, s44
	v_mul_f32_e32 v8, v8, v169
	s_delay_alu instid0(VALU_DEP_3) | instskip(NEXT) | instid1(VALU_DEP_2)
	v_fma_f32 v9, v9, v169, v166
	v_mov_b32_dpp v11, v8 row_shr:1 row_mask:0xf bank_mask:0xf
	s_delay_alu instid0(VALU_DEP_2)
	v_mov_b32_dpp v10, v9 row_shr:1 row_mask:0xf bank_mask:0xf
	s_and_saveexec_b32 s45, s0
; %bb.180:                              ;   in Loop: Header=BB18_109 Depth=2
	s_delay_alu instid0(VALU_DEP_2) | instskip(NEXT) | instid1(VALU_DEP_1)
	v_mul_f32_e32 v11, v8, v11
	v_dual_fmac_f32 v9, v8, v10 :: v_dual_mov_b32 v8, v11
; %bb.181:                              ;   in Loop: Header=BB18_109 Depth=2
	s_or_b32 exec_lo, exec_lo, s45
	s_delay_alu instid0(VALU_DEP_1) | instskip(NEXT) | instid1(VALU_DEP_2)
	v_mov_b32_dpp v10, v8 row_shr:2 row_mask:0xf bank_mask:0xf
	v_mov_b32_dpp v11, v9 row_shr:2 row_mask:0xf bank_mask:0xf
	s_and_saveexec_b32 s45, s1
; %bb.182:                              ;   in Loop: Header=BB18_109 Depth=2
	s_delay_alu instid0(VALU_DEP_1) | instskip(NEXT) | instid1(VALU_DEP_3)
	v_fmac_f32_e32 v9, v8, v11
	v_mul_f32_e32 v8, v8, v10
; %bb.183:                              ;   in Loop: Header=BB18_109 Depth=2
	s_or_b32 exec_lo, exec_lo, s45
	s_delay_alu instid0(VALU_DEP_1) | instskip(NEXT) | instid1(VALU_DEP_3)
	v_mov_b32_dpp v10, v8 row_shr:4 row_mask:0xf bank_mask:0xf
	v_mov_b32_dpp v11, v9 row_shr:4 row_mask:0xf bank_mask:0xf
	s_and_saveexec_b32 s45, s2
; %bb.184:                              ;   in Loop: Header=BB18_109 Depth=2
	s_delay_alu instid0(VALU_DEP_1) | instskip(NEXT) | instid1(VALU_DEP_3)
	v_fmac_f32_e32 v9, v8, v11
	v_mul_f32_e32 v8, v8, v10
; %bb.185:                              ;   in Loop: Header=BB18_109 Depth=2
	s_or_b32 exec_lo, exec_lo, s45
	s_delay_alu instid0(VALU_DEP_1) | instskip(NEXT) | instid1(VALU_DEP_3)
	v_mov_b32_dpp v10, v8 row_shr:8 row_mask:0xf bank_mask:0xf
	v_mov_b32_dpp v11, v9 row_shr:8 row_mask:0xf bank_mask:0xf
	s_and_saveexec_b32 s45, s3
; %bb.186:                              ;   in Loop: Header=BB18_109 Depth=2
	s_delay_alu instid0(VALU_DEP_1) | instskip(NEXT) | instid1(VALU_DEP_3)
	v_fmac_f32_e32 v9, v8, v11
	v_mul_f32_e32 v8, v8, v10
; %bb.187:                              ;   in Loop: Header=BB18_109 Depth=2
	s_or_b32 exec_lo, exec_lo, s45
	ds_swizzle_b32 v11, v8 offset:swizzle(BROADCAST,32,15)
	ds_swizzle_b32 v10, v9 offset:swizzle(BROADCAST,32,15)
	s_and_saveexec_b32 s45, s4
	s_cbranch_execz .LBB18_189
; %bb.188:                              ;   in Loop: Header=BB18_109 Depth=2
	s_waitcnt lgkmcnt(1)
	v_mul_f32_e32 v11, v8, v11
	s_waitcnt lgkmcnt(0)
	s_delay_alu instid0(VALU_DEP_1)
	v_dual_fmac_f32 v9, v8, v10 :: v_dual_mov_b32 v8, v11
.LBB18_189:                             ;   in Loop: Header=BB18_109 Depth=2
	s_or_b32 exec_lo, exec_lo, s45
	s_and_saveexec_b32 s45, s5
	s_cbranch_execz .LBB18_191
; %bb.190:                              ;   in Loop: Header=BB18_109 Depth=2
	ds_store_b64 v69, v[8:9] offset:4224
.LBB18_191:                             ;   in Loop: Header=BB18_109 Depth=2
	s_or_b32 exec_lo, exec_lo, s45
	s_waitcnt lgkmcnt(0)
	s_waitcnt_vscnt null, 0x0
	s_barrier
	buffer_gl0_inv
	s_and_saveexec_b32 s45, s6
	s_cbranch_execz .LBB18_193
; %bb.192:                              ;   in Loop: Header=BB18_109 Depth=2
	ds_load_b64 v[10:11], v70 offset:4224
	s_waitcnt lgkmcnt(0)
	v_mov_b32_dpp v170, v10 row_shr:1 row_mask:0xf bank_mask:0xf
	v_mov_b32_dpp v171, v11 row_shr:1 row_mask:0xf bank_mask:0xf
	s_delay_alu instid0(VALU_DEP_2) | instskip(NEXT) | instid1(VALU_DEP_2)
	v_mul_f32_e32 v170, v10, v170
	v_fma_f32 v171, v10, v171, v11
	s_delay_alu instid0(VALU_DEP_2) | instskip(NEXT) | instid1(VALU_DEP_2)
	v_cndmask_b32_e64 v10, v170, v10, s7
	v_cndmask_b32_e64 v11, v171, v11, s7
	ds_store_b64 v70, v[10:11] offset:4224
.LBB18_193:                             ;   in Loop: Header=BB18_109 Depth=2
	s_or_b32 exec_lo, exec_lo, s45
	s_waitcnt lgkmcnt(0)
	s_barrier
	buffer_gl0_inv
                                        ; implicit-def: $vgpr11
	s_and_saveexec_b32 s45, s9
	s_cbranch_execz .LBB18_195
; %bb.194:                              ;   in Loop: Header=BB18_109 Depth=2
	ds_load_b64 v[10:11], v69 offset:4216
	s_waitcnt lgkmcnt(0)
	v_mul_f32_e32 v170, v8, v10
	s_delay_alu instid0(VALU_DEP_1)
	v_dual_fmac_f32 v9, v8, v11 :: v_dual_mov_b32 v8, v170
.LBB18_195:                             ;   in Loop: Header=BB18_109 Depth=2
	s_or_b32 exec_lo, exec_lo, s45
	ds_bpermute_b32 v170, v71, v8
	ds_bpermute_b32 v171, v71, v9
	s_and_saveexec_b32 s45, s8
	s_cbranch_execz .LBB18_199
; %bb.196:                              ;   in Loop: Header=BB18_109 Depth=2
	ds_load_b64 v[8:9], v21 offset:4232
	s_and_saveexec_b32 s46, s10
	s_cbranch_execz .LBB18_198
; %bb.197:                              ;   in Loop: Header=BB18_109 Depth=2
	ds_store_b64 v21, v[16:17] offset:4232
.LBB18_198:                             ;   in Loop: Header=BB18_109 Depth=2
	s_or_b32 exec_lo, exec_lo, s46
	s_waitcnt lgkmcnt(0)
	v_fmac_f32_e32 v9, v8, v17
	s_delay_alu instid0(VALU_DEP_1)
	v_dual_mul_f32 v16, v16, v8 :: v_dual_mov_b32 v17, v9
.LBB18_199:                             ;   in Loop: Header=BB18_109 Depth=2
	s_or_b32 exec_lo, exec_lo, s45
	s_waitcnt lgkmcnt(0)
	s_barrier
	buffer_gl0_inv
	ds_load_b32 v8, v21 offset:4236
	s_and_saveexec_b32 s45, s10
	s_cbranch_execz .LBB18_108
; %bb.200:                              ;   in Loop: Header=BB18_109 Depth=2
	v_mov_b32_e32 v9, s88
	s_and_not1_b32 vcc_lo, exec_lo, s86
	ds_store_b64 v9, v[16:17]
	s_cbranch_vccnz .LBB18_108
; %bb.201:                              ;   in Loop: Header=BB18_109 Depth=2
	v_bfe_u32 v9, v17, 16, 1
	v_cmp_o_f32_e32 vcc_lo, v17, v17
	s_mov_b32 s61, s65
	s_delay_alu instid0(SALU_CYCLE_1) | instskip(NEXT) | instid1(VALU_DEP_2)
	s_lshl_b64 s[90:91], s[60:61], 1
	v_add3_u32 v9, v17, v9, 0x7fff
	s_add_u32 s90, s75, s90
	s_addc_u32 s91, s76, s91
	s_delay_alu instid0(VALU_DEP_1) | instskip(NEXT) | instid1(VALU_DEP_1)
	v_lshrrev_b32_e32 v9, 16, v9
	v_cndmask_b32_e32 v9, 0x7fc0, v9, vcc_lo
	global_store_b16 v21, v9, s[90:91]
	s_branch .LBB18_108
.LBB18_202:                             ;   in Loop: Header=BB18_12 Depth=1
	v_bfe_u32 v0, v120, 16, 1
	v_bfe_u32 v1, v119, 16, 1
	v_cmp_o_f32_e32 vcc_lo, v120, v120
	v_bfe_u32 v2, v118, 16, 1
	v_bfe_u32 v4, v114, 16, 1
	v_add3_u32 v0, v120, v0, 0x7fff
	v_add3_u32 v1, v119, v1, 0x7fff
	v_bfe_u32 v7, v116, 16, 1
	v_add3_u32 v2, v118, v2, 0x7fff
	v_bfe_u32 v6, v115, 16, 1
	v_lshrrev_b32_e32 v0, 16, v0
	v_lshrrev_b32_e32 v1, 16, v1
	v_add3_u32 v4, v114, v4, 0x7fff
	v_lshrrev_b32_e32 v2, 16, v2
	v_add3_u32 v7, v116, v7, 0x7fff
	v_cndmask_b32_e32 v0, 0x7fc0, v0, vcc_lo
	v_cmp_o_f32_e32 vcc_lo, v119, v119
	v_add3_u32 v6, v115, v6, 0x7fff
	v_bfe_u32 v3, v113, 16, 1
	v_bfe_u32 v10, v109, 16, 1
	v_bfe_u32 v11, v106, 16, 1
	v_cndmask_b32_e32 v5, 0x7fc0, v1, vcc_lo
	v_bfe_u32 v1, v117, 16, 1
	v_cmp_o_f32_e32 vcc_lo, v118, v118
	v_lshrrev_b32_e32 v6, 16, v6
	v_add3_u32 v3, v113, v3, 0x7fff
	v_bfe_u32 v12, v111, 16, 1
	v_add3_u32 v1, v117, v1, 0x7fff
	v_cndmask_b32_e32 v8, 0x7fc0, v2, vcc_lo
	v_cmp_o_f32_e32 vcc_lo, v117, v117
	v_lshrrev_b32_e32 v2, 16, v4
	v_lshrrev_b32_e32 v4, 16, v7
	v_lshrrev_b32_e32 v1, 16, v1
	v_lshrrev_b32_e32 v3, 16, v3
	v_bfe_u32 v7, v112, 16, 1
	v_add3_u32 v11, v106, v11, 0x7fff
	v_perm_b32 v0, v5, v0, 0x5040100
	v_cndmask_b32_e32 v1, 0x7fc0, v1, vcc_lo
	v_cmp_o_f32_e32 vcc_lo, v116, v116
	s_waitcnt_vscnt null, 0x0
	s_barrier
	buffer_gl0_inv
	s_mov_b32 s51, s65
	v_cndmask_b32_e32 v4, 0x7fc0, v4, vcc_lo
	v_cmp_o_f32_e32 vcc_lo, v115, v115
	s_lshl_b64 s[28:29], s[50:51], 1
	v_cndmask_b32_e32 v6, 0x7fc0, v6, vcc_lo
	v_cmp_o_f32_e32 vcc_lo, v114, v114
	v_cndmask_b32_e32 v2, 0x7fc0, v2, vcc_lo
	v_cmp_o_f32_e32 vcc_lo, v113, v113
	s_delay_alu instid0(VALU_DEP_2)
	v_perm_b32 v2, v2, v1, 0x5040100
	v_cndmask_b32_e32 v9, 0x7fc0, v3, vcc_lo
	v_perm_b32 v3, v6, v4, 0x5040100
	v_add3_u32 v6, v112, v7, 0x7fff
	v_bfe_u32 v7, v110, 16, 1
	v_cmp_o_f32_e32 vcc_lo, v112, v112
	v_perm_b32 v1, v9, v8, 0x5040100
	v_add3_u32 v8, v109, v10, 0x7fff
	v_lshrrev_b32_e32 v6, 16, v6
	v_add3_u32 v7, v110, v7, 0x7fff
	v_bfe_u32 v10, v105, 16, 1
	v_bfe_u32 v4, v108, 16, 1
	s_delay_alu instid0(VALU_DEP_4) | instskip(NEXT) | instid1(VALU_DEP_4)
	v_cndmask_b32_e32 v9, 0x7fc0, v6, vcc_lo
	v_lshrrev_b32_e32 v6, 16, v7
	v_lshrrev_b32_e32 v7, 16, v8
	v_bfe_u32 v8, v107, 16, 1
	v_cmp_o_f32_e32 vcc_lo, v110, v110
	v_add3_u32 v4, v108, v4, 0x7fff
	s_delay_alu instid0(VALU_DEP_3)
	v_add3_u32 v8, v107, v8, 0x7fff
	v_cndmask_b32_e32 v13, 0x7fc0, v6, vcc_lo
	v_cmp_o_f32_e32 vcc_lo, v109, v109
	v_add3_u32 v6, v105, v10, 0x7fff
	v_add3_u32 v10, v111, v12, 0x7fff
	v_lshrrev_b32_e32 v4, 16, v4
	v_cndmask_b32_e32 v12, 0x7fc0, v7, vcc_lo
	v_lshrrev_b32_e32 v7, 16, v8
	v_cmp_o_f32_e32 vcc_lo, v107, v107
	v_lshrrev_b32_e32 v8, 16, v11
	v_lshrrev_b32_e32 v10, 16, v10
	;; [unrolled: 1-line block ×3, first 2 shown]
	v_perm_b32 v5, v12, v13, 0x5040100
	v_cndmask_b32_e32 v11, 0x7fc0, v7, vcc_lo
	v_cmp_o_f32_e32 vcc_lo, v106, v106
	v_cndmask_b32_e32 v7, 0x7fc0, v8, vcc_lo
	v_cmp_o_f32_e32 vcc_lo, v111, v111
	v_cndmask_b32_e32 v8, 0x7fc0, v10, vcc_lo
	v_cmp_o_f32_e32 vcc_lo, v105, v105
	s_delay_alu instid0(VALU_DEP_2) | instskip(SKIP_2) | instid1(VALU_DEP_2)
	v_perm_b32 v7, v8, v7, 0x5040100
	v_cndmask_b32_e32 v6, 0x7fc0, v6, vcc_lo
	v_cmp_o_f32_e32 vcc_lo, v108, v108
	v_perm_b32 v6, v6, v11, 0x5040100
	v_cndmask_b32_e32 v4, 0x7fc0, v4, vcc_lo
	s_delay_alu instid0(VALU_DEP_1)
	v_perm_b32 v4, v4, v9, 0x5040100
	ds_store_b128 v52, v[0:3]
	ds_store_b128 v52, v[4:7] offset:16
	; wave barrier
	ds_load_u16 v16, v37 offset:64
	ds_load_u16 v15, v38 offset:128
	;; [unrolled: 1-line block ×15, first 2 shown]
	v_add_co_u32 v0, vcc_lo, v72, s28
	v_add_co_ci_u32_e32 v1, vcc_lo, s29, v73, vcc_lo
	s_and_saveexec_b32 s28, s12
	s_cbranch_execnz .LBB18_220
; %bb.203:                              ;   in Loop: Header=BB18_12 Depth=1
	s_or_b32 exec_lo, exec_lo, s28
	s_and_saveexec_b32 s12, s13
	s_cbranch_execnz .LBB18_221
.LBB18_204:                             ;   in Loop: Header=BB18_12 Depth=1
	s_or_b32 exec_lo, exec_lo, s12
	s_and_saveexec_b32 s12, s14
	s_cbranch_execnz .LBB18_222
.LBB18_205:                             ;   in Loop: Header=BB18_12 Depth=1
	s_or_b32 exec_lo, exec_lo, s12
	s_and_saveexec_b32 s12, s15
	s_cbranch_execnz .LBB18_223
.LBB18_206:                             ;   in Loop: Header=BB18_12 Depth=1
	s_or_b32 exec_lo, exec_lo, s12
	s_and_saveexec_b32 s12, s16
	s_cbranch_execnz .LBB18_224
.LBB18_207:                             ;   in Loop: Header=BB18_12 Depth=1
	s_or_b32 exec_lo, exec_lo, s12
	s_and_saveexec_b32 s12, s17
	s_cbranch_execnz .LBB18_225
.LBB18_208:                             ;   in Loop: Header=BB18_12 Depth=1
	s_or_b32 exec_lo, exec_lo, s12
	s_and_saveexec_b32 s12, s18
	s_cbranch_execnz .LBB18_226
.LBB18_209:                             ;   in Loop: Header=BB18_12 Depth=1
	s_or_b32 exec_lo, exec_lo, s12
	s_and_saveexec_b32 s12, s19
	s_cbranch_execnz .LBB18_227
.LBB18_210:                             ;   in Loop: Header=BB18_12 Depth=1
	s_or_b32 exec_lo, exec_lo, s12
	s_and_saveexec_b32 s12, s20
	s_cbranch_execnz .LBB18_228
.LBB18_211:                             ;   in Loop: Header=BB18_12 Depth=1
	s_or_b32 exec_lo, exec_lo, s12
	s_and_saveexec_b32 s12, s21
	s_cbranch_execnz .LBB18_229
.LBB18_212:                             ;   in Loop: Header=BB18_12 Depth=1
	s_or_b32 exec_lo, exec_lo, s12
	s_and_saveexec_b32 s12, s22
	s_cbranch_execnz .LBB18_230
.LBB18_213:                             ;   in Loop: Header=BB18_12 Depth=1
	s_or_b32 exec_lo, exec_lo, s12
	s_and_saveexec_b32 s12, s23
	s_cbranch_execnz .LBB18_231
.LBB18_214:                             ;   in Loop: Header=BB18_12 Depth=1
	s_or_b32 exec_lo, exec_lo, s12
	s_and_saveexec_b32 s12, s24
	s_cbranch_execnz .LBB18_232
.LBB18_215:                             ;   in Loop: Header=BB18_12 Depth=1
	s_or_b32 exec_lo, exec_lo, s12
	s_and_saveexec_b32 s12, s25
	s_cbranch_execnz .LBB18_233
.LBB18_216:                             ;   in Loop: Header=BB18_12 Depth=1
	s_or_b32 exec_lo, exec_lo, s12
	s_and_saveexec_b32 s12, s26
	s_cbranch_execnz .LBB18_234
.LBB18_217:                             ;   in Loop: Header=BB18_12 Depth=1
	s_or_b32 exec_lo, exec_lo, s12
	s_and_saveexec_b32 s12, s27
	s_cbranch_execz .LBB18_11
	s_branch .LBB18_235
.LBB18_218:                             ;   in Loop: Header=BB18_12 Depth=1
	global_load_u16 v97, v[8:9], off offset:832
	s_or_b32 exec_lo, exec_lo, s28
	s_and_saveexec_b32 s28, s26
	s_cbranch_execz .LBB18_72
.LBB18_219:                             ;   in Loop: Header=BB18_12 Depth=1
	global_load_u16 v96, v[8:9], off offset:896
	s_or_b32 exec_lo, exec_lo, s28
	v_mov_b32_e32 v98, 0
	s_and_saveexec_b32 s28, s27
	s_cbranch_execnz .LBB18_73
	s_branch .LBB18_74
.LBB18_220:                             ;   in Loop: Header=BB18_12 Depth=1
	ds_load_u16 v17, v37
	s_waitcnt lgkmcnt(0)
	global_store_b16 v[0:1], v17, off
	s_or_b32 exec_lo, exec_lo, s28
	s_and_saveexec_b32 s12, s13
	s_cbranch_execz .LBB18_204
.LBB18_221:                             ;   in Loop: Header=BB18_12 Depth=1
	s_waitcnt lgkmcnt(14)
	global_store_b16 v[0:1], v16, off offset:64
	s_or_b32 exec_lo, exec_lo, s12
	s_and_saveexec_b32 s12, s14
	s_cbranch_execz .LBB18_205
.LBB18_222:                             ;   in Loop: Header=BB18_12 Depth=1
	s_waitcnt lgkmcnt(13)
	global_store_b16 v[0:1], v15, off offset:128
	s_or_b32 exec_lo, exec_lo, s12
	s_and_saveexec_b32 s12, s15
	s_cbranch_execz .LBB18_206
.LBB18_223:                             ;   in Loop: Header=BB18_12 Depth=1
	s_waitcnt lgkmcnt(12)
	global_store_b16 v[0:1], v14, off offset:192
	s_or_b32 exec_lo, exec_lo, s12
	s_and_saveexec_b32 s12, s16
	s_cbranch_execz .LBB18_207
.LBB18_224:                             ;   in Loop: Header=BB18_12 Depth=1
	s_waitcnt lgkmcnt(11)
	global_store_b16 v[0:1], v13, off offset:256
	s_or_b32 exec_lo, exec_lo, s12
	s_and_saveexec_b32 s12, s17
	s_cbranch_execz .LBB18_208
.LBB18_225:                             ;   in Loop: Header=BB18_12 Depth=1
	s_waitcnt lgkmcnt(10)
	global_store_b16 v[0:1], v12, off offset:320
	s_or_b32 exec_lo, exec_lo, s12
	s_and_saveexec_b32 s12, s18
	s_cbranch_execz .LBB18_209
.LBB18_226:                             ;   in Loop: Header=BB18_12 Depth=1
	s_waitcnt lgkmcnt(9)
	global_store_b16 v[0:1], v11, off offset:384
	s_or_b32 exec_lo, exec_lo, s12
	s_and_saveexec_b32 s12, s19
	s_cbranch_execz .LBB18_210
.LBB18_227:                             ;   in Loop: Header=BB18_12 Depth=1
	s_waitcnt lgkmcnt(8)
	global_store_b16 v[0:1], v10, off offset:448
	s_or_b32 exec_lo, exec_lo, s12
	s_and_saveexec_b32 s12, s20
	s_cbranch_execz .LBB18_211
.LBB18_228:                             ;   in Loop: Header=BB18_12 Depth=1
	s_waitcnt lgkmcnt(7)
	global_store_b16 v[0:1], v9, off offset:512
	s_or_b32 exec_lo, exec_lo, s12
	s_and_saveexec_b32 s12, s21
	s_cbranch_execz .LBB18_212
.LBB18_229:                             ;   in Loop: Header=BB18_12 Depth=1
	s_waitcnt lgkmcnt(6)
	global_store_b16 v[0:1], v8, off offset:576
	s_or_b32 exec_lo, exec_lo, s12
	s_and_saveexec_b32 s12, s22
	s_cbranch_execz .LBB18_213
.LBB18_230:                             ;   in Loop: Header=BB18_12 Depth=1
	s_waitcnt lgkmcnt(5)
	global_store_b16 v[0:1], v7, off offset:640
	s_or_b32 exec_lo, exec_lo, s12
	s_and_saveexec_b32 s12, s23
	s_cbranch_execz .LBB18_214
.LBB18_231:                             ;   in Loop: Header=BB18_12 Depth=1
	s_waitcnt lgkmcnt(4)
	global_store_b16 v[0:1], v6, off offset:704
	s_or_b32 exec_lo, exec_lo, s12
	s_and_saveexec_b32 s12, s24
	s_cbranch_execz .LBB18_215
.LBB18_232:                             ;   in Loop: Header=BB18_12 Depth=1
	s_waitcnt lgkmcnt(3)
	global_store_b16 v[0:1], v5, off offset:768
	s_or_b32 exec_lo, exec_lo, s12
	s_and_saveexec_b32 s12, s25
	s_cbranch_execz .LBB18_216
.LBB18_233:                             ;   in Loop: Header=BB18_12 Depth=1
	s_waitcnt lgkmcnt(2)
	global_store_b16 v[0:1], v4, off offset:832
	s_or_b32 exec_lo, exec_lo, s12
	s_and_saveexec_b32 s12, s26
	s_cbranch_execz .LBB18_217
.LBB18_234:                             ;   in Loop: Header=BB18_12 Depth=1
	s_waitcnt lgkmcnt(1)
	global_store_b16 v[0:1], v3, off offset:896
	s_or_b32 exec_lo, exec_lo, s12
	s_and_saveexec_b32 s12, s27
	s_cbranch_execz .LBB18_11
.LBB18_235:                             ;   in Loop: Header=BB18_12 Depth=1
	s_waitcnt lgkmcnt(0)
	global_store_b16 v[0:1], v2, off offset:960
	s_branch .LBB18_11
.LBB18_236:
	s_nop 0
	s_sendmsg sendmsg(MSG_DEALLOC_VGPRS)
	s_endpgm
	.section	.rodata,"a",@progbits
	.p2align	6, 0x0
	.amdhsa_kernel _Z25selective_scan_fwd_kernelI32Selective_Scan_fwd_kernel_traitsILi64ELi16ELi1ELb1ELb1ELb1ELb0ELb1EN3c108BFloat16EfS2_EEv13SSMParamsBase
		.amdhsa_group_segment_fixed_size 0
		.amdhsa_private_segment_fixed_size 0
		.amdhsa_kernarg_size 248
		.amdhsa_user_sgpr_count 14
		.amdhsa_user_sgpr_dispatch_ptr 0
		.amdhsa_user_sgpr_queue_ptr 0
		.amdhsa_user_sgpr_kernarg_segment_ptr 1
		.amdhsa_user_sgpr_dispatch_id 0
		.amdhsa_user_sgpr_private_segment_size 0
		.amdhsa_wavefront_size32 1
		.amdhsa_uses_dynamic_stack 0
		.amdhsa_enable_private_segment 0
		.amdhsa_system_sgpr_workgroup_id_x 1
		.amdhsa_system_sgpr_workgroup_id_y 1
		.amdhsa_system_sgpr_workgroup_id_z 0
		.amdhsa_system_sgpr_workgroup_info 0
		.amdhsa_system_vgpr_workitem_id 0
		.amdhsa_next_free_vgpr 172
		.amdhsa_next_free_sgpr 92
		.amdhsa_reserve_vcc 1
		.amdhsa_float_round_mode_32 0
		.amdhsa_float_round_mode_16_64 0
		.amdhsa_float_denorm_mode_32 3
		.amdhsa_float_denorm_mode_16_64 3
		.amdhsa_dx10_clamp 1
		.amdhsa_ieee_mode 1
		.amdhsa_fp16_overflow 0
		.amdhsa_workgroup_processor_mode 1
		.amdhsa_memory_ordered 1
		.amdhsa_forward_progress 0
		.amdhsa_shared_vgpr_count 0
		.amdhsa_exception_fp_ieee_invalid_op 0
		.amdhsa_exception_fp_denorm_src 0
		.amdhsa_exception_fp_ieee_div_zero 0
		.amdhsa_exception_fp_ieee_overflow 0
		.amdhsa_exception_fp_ieee_underflow 0
		.amdhsa_exception_fp_ieee_inexact 0
		.amdhsa_exception_int_div_zero 0
	.end_amdhsa_kernel
	.section	.text._Z25selective_scan_fwd_kernelI32Selective_Scan_fwd_kernel_traitsILi64ELi16ELi1ELb1ELb1ELb1ELb0ELb1EN3c108BFloat16EfS2_EEv13SSMParamsBase,"axG",@progbits,_Z25selective_scan_fwd_kernelI32Selective_Scan_fwd_kernel_traitsILi64ELi16ELi1ELb1ELb1ELb1ELb0ELb1EN3c108BFloat16EfS2_EEv13SSMParamsBase,comdat
.Lfunc_end18:
	.size	_Z25selective_scan_fwd_kernelI32Selective_Scan_fwd_kernel_traitsILi64ELi16ELi1ELb1ELb1ELb1ELb0ELb1EN3c108BFloat16EfS2_EEv13SSMParamsBase, .Lfunc_end18-_Z25selective_scan_fwd_kernelI32Selective_Scan_fwd_kernel_traitsILi64ELi16ELi1ELb1ELb1ELb1ELb0ELb1EN3c108BFloat16EfS2_EEv13SSMParamsBase
                                        ; -- End function
	.section	.AMDGPU.csdata,"",@progbits
; Kernel info:
; codeLenInByte = 21492
; NumSgprs: 94
; NumVgprs: 172
; ScratchSize: 0
; MemoryBound: 0
; FloatMode: 240
; IeeeMode: 1
; LDSByteSize: 0 bytes/workgroup (compile time only)
; SGPRBlocks: 11
; VGPRBlocks: 21
; NumSGPRsForWavesPerEU: 94
; NumVGPRsForWavesPerEU: 172
; Occupancy: 8
; WaveLimiterHint : 1
; COMPUTE_PGM_RSRC2:SCRATCH_EN: 0
; COMPUTE_PGM_RSRC2:USER_SGPR: 14
; COMPUTE_PGM_RSRC2:TRAP_HANDLER: 0
; COMPUTE_PGM_RSRC2:TGID_X_EN: 1
; COMPUTE_PGM_RSRC2:TGID_Y_EN: 1
; COMPUTE_PGM_RSRC2:TGID_Z_EN: 0
; COMPUTE_PGM_RSRC2:TIDIG_COMP_CNT: 0
	.section	.text._Z25selective_scan_fwd_kernelI32Selective_Scan_fwd_kernel_traitsILi64ELi16ELi1ELb1ELb1ELb1ELb0ELb0EN3c108BFloat16EfS2_EEv13SSMParamsBase,"axG",@progbits,_Z25selective_scan_fwd_kernelI32Selective_Scan_fwd_kernel_traitsILi64ELi16ELi1ELb1ELb1ELb1ELb0ELb0EN3c108BFloat16EfS2_EEv13SSMParamsBase,comdat
	.protected	_Z25selective_scan_fwd_kernelI32Selective_Scan_fwd_kernel_traitsILi64ELi16ELi1ELb1ELb1ELb1ELb0ELb0EN3c108BFloat16EfS2_EEv13SSMParamsBase ; -- Begin function _Z25selective_scan_fwd_kernelI32Selective_Scan_fwd_kernel_traitsILi64ELi16ELi1ELb1ELb1ELb1ELb0ELb0EN3c108BFloat16EfS2_EEv13SSMParamsBase
	.globl	_Z25selective_scan_fwd_kernelI32Selective_Scan_fwd_kernel_traitsILi64ELi16ELi1ELb1ELb1ELb1ELb0ELb0EN3c108BFloat16EfS2_EEv13SSMParamsBase
	.p2align	8
	.type	_Z25selective_scan_fwd_kernelI32Selective_Scan_fwd_kernel_traitsILi64ELi16ELi1ELb1ELb1ELb1ELb0ELb0EN3c108BFloat16EfS2_EEv13SSMParamsBase,@function
_Z25selective_scan_fwd_kernelI32Selective_Scan_fwd_kernel_traitsILi64ELi16ELi1ELb1ELb1ELb1ELb0ELb0EN3c108BFloat16EfS2_EEv13SSMParamsBase: ; @_Z25selective_scan_fwd_kernelI32Selective_Scan_fwd_kernel_traitsILi64ELi16ELi1ELb1ELb1ELb1ELb0ELb0EN3c108BFloat16EfS2_EEv13SSMParamsBase
; %bb.0:
	s_clause 0x1
	s_load_b32 s9, s[0:1], 0x18
	s_load_b128 s[4:7], s[0:1], 0xe8
	s_mov_b32 s54, s15
	s_mov_b32 s33, 0
	s_waitcnt lgkmcnt(0)
	s_abs_i32 s8, s9
	s_cmp_eq_u64 s[6:7], 0
	v_cvt_f32_u32_e32 v1, s8
	s_delay_alu instid0(VALU_DEP_1) | instskip(SKIP_2) | instid1(VALU_DEP_1)
	v_rcp_iflag_f32_e32 v1, v1
	s_waitcnt_depctr 0xfff
	v_mul_f32_e32 v1, 0x4f7ffffe, v1
	v_cvt_u32_f32_e32 v1, v1
	s_delay_alu instid0(VALU_DEP_1)
	v_readfirstlane_b32 s10, v1
	s_cbranch_scc1 .LBB19_2
; %bb.1:
	v_mov_b32_e32 v1, 0
	s_ashr_i32 s3, s14, 31
	s_add_u32 s2, s6, s14
	s_addc_u32 s3, s7, s3
	global_load_u8 v1, v1, s[2:3]
	s_waitcnt vmcnt(0)
	v_and_b32_e32 v1, 1, v1
	s_delay_alu instid0(VALU_DEP_1)
	v_cmp_eq_u32_e64 s33, 1, v1
.LBB19_2:
	s_load_b64 s[6:7], s[0:1], 0x20
	s_cmp_eq_u64 s[4:5], 0
	s_cbranch_scc1 .LBB19_4
; %bb.3:
	s_ashr_i32 s15, s14, 31
	s_delay_alu instid0(SALU_CYCLE_1) | instskip(NEXT) | instid1(SALU_CYCLE_1)
	s_lshl_b64 s[2:3], s[14:15], 2
	s_add_u32 s2, s4, s2
	s_addc_u32 s3, s5, s3
	s_load_b32 s2, s[2:3], 0x0
	s_waitcnt lgkmcnt(0)
	s_ashr_i32 s3, s2, 31
	s_delay_alu instid0(SALU_CYCLE_1)
	s_cmp_eq_u64 s[6:7], s[2:3]
	s_cbranch_scc0 .LBB19_5
	s_branch .LBB19_84
.LBB19_4:
	s_mov_b32 s2, s14
	s_delay_alu instid0(SALU_CYCLE_1)
	s_ashr_i32 s3, s2, 31
	s_waitcnt lgkmcnt(0)
	s_cmp_eq_u64 s[6:7], s[2:3]
	s_cbranch_scc1 .LBB19_84
.LBB19_5:
	s_clause 0x1
	s_load_b512 s[16:31], s[0:1], 0x88
	s_load_b64 s[34:35], s[0:1], 0x8
	s_mov_b32 s56, 0
	s_mov_b32 s57, 0
	s_waitcnt lgkmcnt(0)
	s_cmp_eq_u64 s[22:23], 0
	s_cbranch_scc1 .LBB19_7
; %bb.6:
	s_ashr_i32 s55, s54, 31
	s_delay_alu instid0(SALU_CYCLE_1) | instskip(NEXT) | instid1(SALU_CYCLE_1)
	s_lshl_b64 s[4:5], s[54:55], 2
	s_add_u32 s4, s22, s4
	s_addc_u32 s5, s23, s5
	s_load_b32 s57, s[4:5], 0x0
.LBB19_7:
	s_cmp_eq_u64 s[28:29], 0
	s_cbranch_scc1 .LBB19_9
; %bb.8:
	s_ashr_i32 s55, s54, 31
	s_delay_alu instid0(SALU_CYCLE_1) | instskip(NEXT) | instid1(SALU_CYCLE_1)
	s_lshl_b64 s[4:5], s[54:55], 2
	s_add_u32 s4, s28, s4
	s_addc_u32 s5, s29, s5
	s_load_b32 s56, s[4:5], 0x0
.LBB19_9:
	s_cmp_lt_i32 s34, 1
	s_cbranch_scc1 .LBB19_84
; %bb.10:
	s_sub_i32 s3, 0, s8
	s_clause 0x1
	s_load_b64 s[4:5], s[0:1], 0x5c
	s_load_b128 s[44:47], s[0:1], 0x4c
	s_mul_i32 s3, s3, s10
	s_abs_i32 s6, s54
	s_mul_hi_u32 s3, s10, s3
	s_ashr_i32 s9, s9, 31
	s_add_i32 s10, s10, s3
	s_ashr_i32 s3, s54, 31
	s_mul_hi_u32 s7, s6, s10
	s_xor_b32 s3, s3, s9
	s_mul_i32 s10, s7, s8
	s_add_i32 s9, s7, 1
	s_sub_i32 s6, s6, s10
	s_load_b256 s[36:43], s[0:1], 0x2c
	s_sub_i32 s10, s6, s8
	s_cmp_ge_u32 s6, s8
	s_mov_b32 s53, 0
	s_cselect_b32 s7, s9, s7
	s_cselect_b32 s6, s10, s6
	s_add_i32 s9, s7, 1
	s_cmp_ge_u32 s6, s8
	s_waitcnt lgkmcnt(0)
	s_mul_i32 s52, s46, s14
	s_cselect_b32 s6, s9, s7
	s_load_b128 s[48:51], s[0:1], 0x7c
	s_xor_b32 s8, s6, s3
	s_lshl_b64 s[6:7], s[52:53], 1
	s_sub_i32 s3, s8, s3
	s_mul_i32 s52, s47, s54
	s_add_u32 s8, s24, s6
	s_addc_u32 s9, s25, s7
	s_lshl_b64 s[6:7], s[52:53], 1
	s_mul_i32 s52, s4, s14
	s_add_u32 s55, s8, s6
	s_addc_u32 s58, s9, s7
	s_lshl_b64 s[6:7], s[52:53], 1
	;; [unrolled: 4-line block ×3, first 2 shown]
	s_mul_i32 s52, s36, s54
	s_add_u32 s59, s6, s4
	s_addc_u32 s36, s7, s5
	s_load_b64 s[6:7], s[0:1], 0xc8
	s_lshl_b64 s[4:5], s[52:53], 2
	s_mul_i32 s52, s38, s14
	s_add_u32 s60, s16, s4
	s_waitcnt lgkmcnt(0)
	s_addc_u32 s51, s17, s5
	s_lshl_b64 s[4:5], s[52:53], 1
	s_mul_i32 s52, s3, s41
	s_add_u32 s8, s18, s4
	s_addc_u32 s9, s19, s5
	s_lshl_b64 s[4:5], s[52:53], 1
	s_mul_i32 s52, s42, s14
	s_add_u32 s41, s8, s4
	;; [unrolled: 4-line block ×3, first 2 shown]
	s_addc_u32 s3, s21, s5
	s_lshl_b64 s[4:5], s[52:53], 1
	s_mul_i32 s52, s2, s48
	v_dual_mov_b32 v34, 0 :: v_dual_lshlrev_b32 v1, 1, v0
	s_add_u32 s45, s8, s4
	s_addc_u32 s62, s3, s5
	s_lshl_b64 s[2:3], s[52:53], 1
	s_load_b64 s[12:13], s[0:1], 0x6c
	s_add_u32 s4, s6, s2
	s_load_b32 s6, s[0:1], 0x28
	v_mbcnt_lo_u32_b32 v2, -1, 0
	v_and_b32_e32 v1, 64, v1
	v_and_b32_e32 v4, 32, v0
	s_mul_i32 s52, s49, s54
	s_addc_u32 s5, s7, s3
	s_lshl_b64 s[2:3], s[52:53], 1
	v_or_b32_e32 v3, v2, v1
	s_add_u32 s63, s4, s2
	v_lshrrev_b32_e32 v5, 5, v1
	v_or_b32_e32 v7, v2, v4
	s_addc_u32 s64, s5, s3
	v_or_b32_e32 v6, 32, v3
	s_add_i32 s0, s34, 0x7ff
	v_add_nc_u32_e32 v5, v5, v3
	s_lshr_b32 s65, s0, 11
	v_cmp_gt_u32_e64 s0, 0x80, v3
	v_lshrrev_b32_e32 v8, 5, v6
	v_lshlrev_b32_e32 v9, 1, v7
	v_bfe_u32 v7, v7, 4, 27
	s_waitcnt lgkmcnt(0)
	s_bitcmp1_b32 s6, 0
	v_lshl_add_u32 v35, v5, 4, 0
	v_add_lshl_u32 v3, v8, v3, 4
	s_cselect_b32 s66, -1, 0
	s_cmp_gt_i32 s35, 0
	v_add_lshl_u32 v5, v7, v9, 4
	s_cselect_b32 s67, -1, 0
	s_add_i32 s2, 0, 0x840
	v_add_nc_u32_e32 v36, 0, v3
	v_add_nc_u32_e32 v38, s2, v3
	v_and_b32_e32 v3, 15, v2
	s_and_b32 s3, s34, 0x3ff
	v_add_nc_u32_e32 v39, s2, v5
	s_cmp_eq_u32 s3, 0
	s_mul_i32 s52, s12, s14
	v_cmp_ne_u32_e64 s2, 0, v3
	v_cmp_lt_u32_e64 s3, 1, v3
	v_cmp_lt_u32_e64 s4, 3, v3
	;; [unrolled: 1-line block ×3, first 2 shown]
	v_add_nc_u32_e32 v3, -1, v2
	s_cselect_b32 s68, -1, 0
	s_lshl_b64 s[14:15], s[52:53], 1
	s_add_i32 s69, s65, -1
	s_mul_i32 s52, s13, s54
	v_cmp_gt_i32_e32 vcc_lo, 0, v3
	v_add_nc_u32_e32 v37, 0, v5
	v_lshlrev_b32_e32 v40, 4, v0
	v_lshrrev_b32_e32 v5, 2, v0
	v_cmp_gt_u32_e64 s8, 2, v0
	v_cndmask_b32_e32 v3, v3, v2, vcc_lo
	v_or_b32_e32 v4, 31, v4
	v_lshl_add_u32 v42, v0, 3, 0
	v_cmp_gt_u32_e64 s10, 32, v0
	v_cmp_lt_u32_e64 s11, 31, v0
	v_cmp_eq_u32_e64 s12, 0, v0
	v_cmp_eq_u32_e64 s7, v4, v0
	s_add_u32 s16, s30, s14
	v_lshlrev_b32_e32 v0, 4, v2
	s_addc_u32 s13, s31, s15
	s_lshl_b64 s[14:15], s[52:53], 1
	v_and_b32_e32 v4, 1, v2
	s_add_u32 s14, s16, s14
	v_lshlrev_b32_e32 v43, 2, v3
	s_addc_u32 s13, s13, s15
	v_lshlrev_b32_e32 v3, 4, v1
	v_add_co_u32 v0, s14, s14, v0
	v_cmp_gt_u32_e64 s1, 0x80, v6
	v_and_b32_e32 v6, 16, v2
	v_and_b32_e32 v5, 8, v5
	v_cmp_eq_u32_e64 s9, 0, v4
	v_add_co_ci_u32_e64 v4, null, s13, 0, s14
	v_add_co_u32 v44, vcc_lo, v0, v3
	v_cmp_ne_u32_e64 s6, 0, v6
	v_add_nc_u32_e32 v41, 0, v5
	v_cmp_eq_u32_e64 s13, 0, v2
	v_add_co_ci_u32_e32 v45, vcc_lo, 0, v4, vcc_lo
	v_or_b32_e32 v46, 1, v40
	v_or_b32_e32 v47, 2, v40
	;; [unrolled: 1-line block ×15, first 2 shown]
	v_lshlrev_b32_e32 v61, 4, v2
	v_lshlrev_b32_e32 v62, 4, v1
	s_mov_b32 s54, 0x3e9b6dac
	s_add_i32 s70, 0, 0x1090
	s_mov_b32 s71, 0
                                        ; implicit-def: $vgpr4
                                        ; implicit-def: $vgpr0
                                        ; implicit-def: $vgpr12
                                        ; implicit-def: $vgpr8
	s_branch .LBB19_12
.LBB19_11:                              ;   in Loop: Header=BB19_12 Depth=1
	v_bfe_u32 v16, v93, 16, 1
	v_bfe_u32 v17, v92, 16, 1
	v_cmp_o_f32_e32 vcc_lo, v93, v93
	v_bfe_u32 v18, v91, 16, 1
	v_bfe_u32 v20, v87, 16, 1
	v_add3_u32 v16, v93, v16, 0x7fff
	v_add3_u32 v17, v92, v17, 0x7fff
	v_bfe_u32 v23, v89, 16, 1
	v_add3_u32 v18, v91, v18, 0x7fff
	v_bfe_u32 v22, v88, 16, 1
	v_lshrrev_b32_e32 v16, 16, v16
	v_lshrrev_b32_e32 v17, 16, v17
	v_add3_u32 v20, v87, v20, 0x7fff
	v_lshrrev_b32_e32 v18, 16, v18
	v_add3_u32 v23, v89, v23, 0x7fff
	v_cndmask_b32_e32 v16, 0x7fc0, v16, vcc_lo
	v_cmp_o_f32_e32 vcc_lo, v92, v92
	v_add3_u32 v22, v88, v22, 0x7fff
	v_bfe_u32 v19, v86, 16, 1
	v_bfe_u32 v26, v81, 16, 1
	v_bfe_u32 v27, v79, 16, 1
	v_cndmask_b32_e32 v21, 0x7fc0, v17, vcc_lo
	v_bfe_u32 v17, v90, 16, 1
	v_cmp_o_f32_e32 vcc_lo, v91, v91
	v_lshrrev_b32_e32 v22, 16, v22
	v_add3_u32 v19, v86, v19, 0x7fff
	v_bfe_u32 v28, v84, 16, 1
	v_add3_u32 v17, v90, v17, 0x7fff
	v_cndmask_b32_e32 v24, 0x7fc0, v18, vcc_lo
	v_cmp_o_f32_e32 vcc_lo, v90, v90
	v_lshrrev_b32_e32 v18, 16, v20
	v_lshrrev_b32_e32 v20, 16, v23
	;; [unrolled: 1-line block ×4, first 2 shown]
	v_bfe_u32 v23, v85, 16, 1
	v_add3_u32 v27, v79, v27, 0x7fff
	v_perm_b32 v16, v21, v16, 0x5040100
	v_cndmask_b32_e32 v17, 0x7fc0, v17, vcc_lo
	v_cmp_o_f32_e32 vcc_lo, v89, v89
	s_waitcnt_vscnt null, 0x0
	s_barrier
	buffer_gl0_inv
	s_add_u32 s59, s59, 0x800
	v_cndmask_b32_e32 v20, 0x7fc0, v20, vcc_lo
	v_cmp_o_f32_e32 vcc_lo, v88, v88
	s_addc_u32 s36, s36, 0
	s_mov_b32 s39, s53
	s_add_u32 s55, s55, 0x800
	s_addc_u32 s58, s58, 0
	v_cndmask_b32_e32 v22, 0x7fc0, v22, vcc_lo
	v_cmp_o_f32_e32 vcc_lo, v87, v87
	s_lshl_b64 s[14:15], s[38:39], 1
	s_add_u32 s41, s41, 0x800
	s_addc_u32 s61, s61, 0
	s_add_u32 s45, s45, 0x800
	v_cndmask_b32_e32 v18, 0x7fc0, v18, vcc_lo
	v_cmp_o_f32_e32 vcc_lo, v86, v86
	s_addc_u32 s62, s62, 0
	s_add_i32 s71, s71, 1
	s_delay_alu instid0(VALU_DEP_2)
	v_perm_b32 v18, v18, v17, 0x5040100
	v_cndmask_b32_e32 v25, 0x7fc0, v19, vcc_lo
	v_perm_b32 v19, v22, v20, 0x5040100
	v_add3_u32 v22, v85, v23, 0x7fff
	v_bfe_u32 v23, v83, 16, 1
	v_cmp_o_f32_e32 vcc_lo, v85, v85
	v_perm_b32 v17, v25, v24, 0x5040100
	v_add3_u32 v24, v81, v26, 0x7fff
	v_lshrrev_b32_e32 v22, 16, v22
	v_add3_u32 v23, v83, v23, 0x7fff
	v_bfe_u32 v26, v78, 16, 1
	v_bfe_u32 v20, v82, 16, 1
	s_cmp_eq_u32 s71, s65
	v_cndmask_b32_e32 v25, 0x7fc0, v22, vcc_lo
	v_lshrrev_b32_e32 v22, 16, v23
	v_lshrrev_b32_e32 v23, 16, v24
	v_bfe_u32 v24, v80, 16, 1
	v_cmp_o_f32_e32 vcc_lo, v83, v83
	v_add3_u32 v20, v82, v20, 0x7fff
	s_delay_alu instid0(VALU_DEP_3)
	v_add3_u32 v24, v80, v24, 0x7fff
	v_cndmask_b32_e32 v29, 0x7fc0, v22, vcc_lo
	v_cmp_o_f32_e32 vcc_lo, v81, v81
	v_add3_u32 v22, v78, v26, 0x7fff
	v_add3_u32 v26, v84, v28, 0x7fff
	v_lshrrev_b32_e32 v20, 16, v20
	v_cndmask_b32_e32 v28, 0x7fc0, v23, vcc_lo
	v_lshrrev_b32_e32 v23, 16, v24
	v_cmp_o_f32_e32 vcc_lo, v80, v80
	v_lshrrev_b32_e32 v24, 16, v27
	v_lshrrev_b32_e32 v26, 16, v26
	;; [unrolled: 1-line block ×3, first 2 shown]
	v_perm_b32 v21, v28, v29, 0x5040100
	v_cndmask_b32_e32 v27, 0x7fc0, v23, vcc_lo
	v_cmp_o_f32_e32 vcc_lo, v79, v79
	v_cndmask_b32_e32 v23, 0x7fc0, v24, vcc_lo
	v_cmp_o_f32_e32 vcc_lo, v84, v84
	;; [unrolled: 2-line block ×3, first 2 shown]
	s_delay_alu instid0(VALU_DEP_2) | instskip(SKIP_2) | instid1(VALU_DEP_2)
	v_perm_b32 v23, v24, v23, 0x5040100
	v_cndmask_b32_e32 v22, 0x7fc0, v22, vcc_lo
	v_cmp_o_f32_e32 vcc_lo, v82, v82
	v_perm_b32 v22, v22, v27, 0x5040100
	v_cndmask_b32_e32 v20, 0x7fc0, v20, vcc_lo
	v_add_co_u32 v24, vcc_lo, v44, s14
	s_delay_alu instid0(VALU_DEP_2)
	v_perm_b32 v20, v20, v25, 0x5040100
	ds_store_b128 v37, v[16:19]
	ds_store_b128 v37, v[20:23] offset:16
	; wave barrier
	ds_load_b128 v[16:19], v35
	ds_load_b128 v[20:23], v36 offset:512
	v_add_co_ci_u32_e32 v25, vcc_lo, s15, v45, vcc_lo
	s_waitcnt lgkmcnt(1)
	v_alignbit_b32 v27, v18, v17, 16
	v_alignbit_b32 v26, v17, v16, 16
	;; [unrolled: 1-line block ×3, first 2 shown]
	s_clause 0x3
	global_store_b16 v[24:25], v16, off
	global_store_d16_hi_b16 v[24:25], v19, off offset:14
	global_store_b32 v[24:25], v17, off offset:10
	global_store_b64 v[24:25], v[26:27], off offset:2
	s_waitcnt lgkmcnt(0)
	global_store_b128 v[24:25], v[20:23], off offset:512
	s_cbranch_scc1 .LBB19_84
.LBB19_12:                              ; =>This Loop Header: Depth=1
                                        ;     Child Loop BB19_55 Depth 2
	v_add_co_u32 v16, s14, s55, v61
	s_delay_alu instid0(VALU_DEP_1) | instskip(NEXT) | instid1(VALU_DEP_2)
	v_add_co_ci_u32_e64 v17, null, s58, 0, s14
	v_add_co_u32 v16, vcc_lo, v16, v62
	s_delay_alu instid0(VALU_DEP_2)
	v_add_co_ci_u32_e32 v17, vcc_lo, 0, v17, vcc_lo
	s_waitcnt_vscnt null, 0x0
	s_barrier
	buffer_gl0_inv
	s_and_saveexec_b32 s14, s0
	s_cbranch_execz .LBB19_14
; %bb.13:                               ;   in Loop: Header=BB19_12 Depth=1
	global_load_b128 v[12:15], v[16:17], off
.LBB19_14:                              ;   in Loop: Header=BB19_12 Depth=1
	s_or_b32 exec_lo, exec_lo, s14
	s_and_saveexec_b32 s14, s1
	s_cbranch_execz .LBB19_16
; %bb.15:                               ;   in Loop: Header=BB19_12 Depth=1
	global_load_b128 v[8:11], v[16:17], off offset:512
.LBB19_16:                              ;   in Loop: Header=BB19_12 Depth=1
	s_or_b32 exec_lo, exec_lo, s14
	s_waitcnt vmcnt(0)
	ds_store_b128 v35, v[12:15]
	ds_store_b128 v36, v[8:11] offset:512
	; wave barrier
	ds_load_b128 v[12:15], v37
	ds_load_b128 v[8:11], v37 offset:16
	v_add_co_u32 v16, s14, s59, v61
	s_delay_alu instid0(VALU_DEP_1) | instskip(SKIP_1) | instid1(VALU_DEP_2)
	v_add_co_ci_u32_e64 v17, null, s36, 0, s14
	s_waitcnt lgkmcnt(0)
	v_add_co_u32 v16, vcc_lo, v16, v62
	s_delay_alu instid0(VALU_DEP_2)
	v_add_co_ci_u32_e32 v17, vcc_lo, 0, v17, vcc_lo
	s_barrier
	buffer_gl0_inv
	s_and_saveexec_b32 s14, s0
	s_cbranch_execz .LBB19_18
; %bb.17:                               ;   in Loop: Header=BB19_12 Depth=1
	global_load_b128 v[4:7], v[16:17], off
.LBB19_18:                              ;   in Loop: Header=BB19_12 Depth=1
	s_or_b32 exec_lo, exec_lo, s14
	s_and_saveexec_b32 s14, s1
	s_cbranch_execz .LBB19_20
; %bb.19:                               ;   in Loop: Header=BB19_12 Depth=1
	global_load_b128 v[0:3], v[16:17], off offset:512
.LBB19_20:                              ;   in Loop: Header=BB19_12 Depth=1
	s_or_b32 exec_lo, exec_lo, s14
	s_waitcnt vmcnt(0)
	ds_store_b128 v35, v[4:7]
	ds_store_b128 v36, v[0:3] offset:512
	; wave barrier
	ds_load_b128 v[4:7], v37
	ds_load_b128 v[0:3], v37 offset:16
	s_waitcnt lgkmcnt(1)
	v_lshlrev_b32_e32 v16, 16, v4
	s_delay_alu instid0(VALU_DEP_1) | instskip(NEXT) | instid1(VALU_DEP_1)
	v_add_f32_e32 v63, s56, v16
	v_cmp_ge_f32_e32 vcc_lo, 0x41a00000, v63
	s_and_b32 s14, s66, vcc_lo
	s_delay_alu instid0(SALU_CYCLE_1)
	s_and_saveexec_b32 s15, s14
	s_cbranch_execz .LBB19_22
; %bb.21:                               ;   in Loop: Header=BB19_12 Depth=1
	v_mul_f32_e32 v16, 0x3fb8aa3b, v63
	v_cmp_ngt_f32_e32 vcc_lo, 0xc2ce8ed0, v63
	s_delay_alu instid0(VALU_DEP_2) | instskip(SKIP_1) | instid1(VALU_DEP_2)
	v_rndne_f32_e32 v17, v16
	v_fma_f32 v18, 0x3fb8aa3b, v63, -v16
	v_sub_f32_e32 v16, v16, v17
	s_delay_alu instid0(VALU_DEP_2) | instskip(SKIP_1) | instid1(VALU_DEP_2)
	v_fmac_f32_e32 v18, 0x32a5705f, v63
	v_cvt_i32_f32_e32 v17, v17
	v_add_f32_e32 v16, v16, v18
	s_delay_alu instid0(VALU_DEP_1) | instskip(SKIP_2) | instid1(VALU_DEP_1)
	v_exp_f32_e32 v16, v16
	s_waitcnt_depctr 0xfff
	v_ldexp_f32 v16, v16, v17
	v_cndmask_b32_e32 v16, 0, v16, vcc_lo
	v_cmp_nlt_f32_e32 vcc_lo, 0x42b17218, v63
	s_delay_alu instid0(VALU_DEP_2) | instskip(NEXT) | instid1(VALU_DEP_1)
	v_cndmask_b32_e32 v18, 0x7f800000, v16, vcc_lo
	v_add_f32_e32 v19, 1.0, v18
	s_delay_alu instid0(VALU_DEP_1) | instskip(NEXT) | instid1(VALU_DEP_1)
	v_cvt_f64_f32_e32 v[16:17], v19
	v_frexp_exp_i32_f64_e32 v16, v[16:17]
	v_frexp_mant_f32_e32 v17, v19
	s_delay_alu instid0(VALU_DEP_1) | instskip(SKIP_1) | instid1(VALU_DEP_1)
	v_cmp_gt_f32_e32 vcc_lo, 0x3f2aaaab, v17
	v_add_f32_e32 v17, -1.0, v19
	v_sub_f32_e32 v21, v17, v19
	v_sub_f32_e32 v17, v18, v17
	s_delay_alu instid0(VALU_DEP_2) | instskip(NEXT) | instid1(VALU_DEP_1)
	v_add_f32_e32 v21, 1.0, v21
	v_add_f32_e32 v17, v17, v21
	v_cmp_gt_f32_e64 s14, 0x33800000, v18
	v_subrev_co_ci_u32_e32 v16, vcc_lo, 0, v16, vcc_lo
	v_cmp_eq_f32_e32 vcc_lo, 0x7f800000, v18
	s_delay_alu instid0(VALU_DEP_2) | instskip(SKIP_2) | instid1(VALU_DEP_2)
	v_sub_nc_u32_e32 v20, 0, v16
	v_cvt_f32_i32_e32 v16, v16
	s_or_b32 vcc_lo, s14, vcc_lo
	v_ldexp_f32 v19, v19, v20
	v_ldexp_f32 v17, v17, v20
	s_delay_alu instid0(VALU_DEP_2) | instskip(NEXT) | instid1(VALU_DEP_1)
	v_add_f32_e32 v22, 1.0, v19
	v_dual_add_f32 v20, -1.0, v19 :: v_dual_add_f32 v21, -1.0, v22
	s_delay_alu instid0(VALU_DEP_1) | instskip(NEXT) | instid1(VALU_DEP_2)
	v_add_f32_e32 v23, 1.0, v20
	v_sub_f32_e32 v21, v19, v21
	s_delay_alu instid0(VALU_DEP_2) | instskip(NEXT) | instid1(VALU_DEP_2)
	v_sub_f32_e32 v19, v19, v23
	v_add_f32_e32 v21, v17, v21
	s_delay_alu instid0(VALU_DEP_2) | instskip(NEXT) | instid1(VALU_DEP_1)
	v_add_f32_e32 v17, v17, v19
	v_add_f32_e32 v24, v20, v17
	s_delay_alu instid0(VALU_DEP_1) | instskip(NEXT) | instid1(VALU_DEP_1)
	v_dual_add_f32 v23, v22, v21 :: v_dual_sub_f32 v20, v20, v24
	v_rcp_f32_e32 v19, v23
	v_sub_f32_e32 v22, v22, v23
	s_delay_alu instid0(VALU_DEP_1) | instskip(SKIP_2) | instid1(VALU_DEP_1)
	v_add_f32_e32 v21, v21, v22
	s_waitcnt_depctr 0xfff
	v_mul_f32_e32 v25, v24, v19
	v_mul_f32_e32 v26, v23, v25
	s_delay_alu instid0(VALU_DEP_1) | instskip(NEXT) | instid1(VALU_DEP_1)
	v_fma_f32 v22, v25, v23, -v26
	v_fmac_f32_e32 v22, v25, v21
	s_delay_alu instid0(VALU_DEP_1) | instskip(NEXT) | instid1(VALU_DEP_1)
	v_add_f32_e32 v27, v26, v22
	v_sub_f32_e32 v28, v24, v27
	s_delay_alu instid0(VALU_DEP_1) | instskip(SKIP_1) | instid1(VALU_DEP_2)
	v_sub_f32_e32 v24, v24, v28
	v_dual_add_f32 v17, v17, v20 :: v_dual_sub_f32 v20, v27, v26
	v_sub_f32_e32 v24, v24, v27
	s_delay_alu instid0(VALU_DEP_1) | instskip(NEXT) | instid1(VALU_DEP_1)
	v_dual_sub_f32 v20, v20, v22 :: v_dual_add_f32 v17, v17, v24
	v_add_f32_e32 v17, v20, v17
	s_delay_alu instid0(VALU_DEP_1) | instskip(NEXT) | instid1(VALU_DEP_1)
	v_add_f32_e32 v20, v28, v17
	v_mul_f32_e32 v22, v19, v20
	s_delay_alu instid0(VALU_DEP_1) | instskip(NEXT) | instid1(VALU_DEP_1)
	v_dual_sub_f32 v27, v28, v20 :: v_dual_mul_f32 v24, v23, v22
	v_add_f32_e32 v17, v17, v27
	s_delay_alu instid0(VALU_DEP_2) | instskip(NEXT) | instid1(VALU_DEP_1)
	v_fma_f32 v23, v22, v23, -v24
	v_fmac_f32_e32 v23, v22, v21
	s_delay_alu instid0(VALU_DEP_1) | instskip(NEXT) | instid1(VALU_DEP_1)
	v_add_f32_e32 v21, v24, v23
	v_sub_f32_e32 v26, v20, v21
	s_delay_alu instid0(VALU_DEP_1) | instskip(NEXT) | instid1(VALU_DEP_1)
	v_sub_f32_e32 v20, v20, v26
	v_sub_f32_e32 v20, v20, v21
	s_delay_alu instid0(VALU_DEP_1) | instskip(SKIP_2) | instid1(VALU_DEP_1)
	v_add_f32_e32 v17, v17, v20
	v_add_f32_e32 v20, v25, v22
	v_sub_f32_e32 v24, v21, v24
	v_sub_f32_e32 v21, v24, v23
	s_delay_alu instid0(VALU_DEP_1) | instskip(NEXT) | instid1(VALU_DEP_4)
	v_add_f32_e32 v17, v21, v17
	v_sub_f32_e32 v21, v20, v25
	s_delay_alu instid0(VALU_DEP_2) | instskip(NEXT) | instid1(VALU_DEP_2)
	v_add_f32_e32 v17, v26, v17
	v_sub_f32_e32 v21, v22, v21
	s_delay_alu instid0(VALU_DEP_2) | instskip(NEXT) | instid1(VALU_DEP_1)
	v_mul_f32_e32 v17, v19, v17
	v_add_f32_e32 v17, v21, v17
	s_delay_alu instid0(VALU_DEP_1) | instskip(NEXT) | instid1(VALU_DEP_1)
	v_add_f32_e32 v19, v20, v17
	v_mul_f32_e32 v21, v19, v19
	s_delay_alu instid0(VALU_DEP_1) | instskip(SKIP_1) | instid1(VALU_DEP_2)
	v_fmaak_f32 v22, s54, v21, 0x3ecc95a3
	v_mul_f32_e32 v23, v19, v21
	v_fmaak_f32 v21, v21, v22, 0x3f2aaada
	v_ldexp_f32 v22, v19, 1
	s_delay_alu instid0(VALU_DEP_2) | instskip(SKIP_1) | instid1(VALU_DEP_2)
	v_mul_f32_e32 v21, v23, v21
	v_sub_f32_e32 v19, v19, v20
	v_dual_mul_f32 v23, 0x3f317218, v16 :: v_dual_add_f32 v20, v22, v21
	s_delay_alu instid0(VALU_DEP_2) | instskip(NEXT) | instid1(VALU_DEP_2)
	v_sub_f32_e32 v17, v17, v19
	v_sub_f32_e32 v19, v20, v22
	s_delay_alu instid0(VALU_DEP_3) | instskip(NEXT) | instid1(VALU_DEP_3)
	v_fma_f32 v22, 0x3f317218, v16, -v23
	v_ldexp_f32 v17, v17, 1
	s_delay_alu instid0(VALU_DEP_2) | instskip(NEXT) | instid1(VALU_DEP_1)
	v_dual_sub_f32 v19, v21, v19 :: v_dual_fmac_f32 v22, 0xb102e308, v16
	v_dual_add_f32 v16, v17, v19 :: v_dual_add_f32 v17, v23, v22
	s_delay_alu instid0(VALU_DEP_1) | instskip(NEXT) | instid1(VALU_DEP_1)
	v_add_f32_e32 v19, v20, v16
	v_dual_add_f32 v21, v17, v19 :: v_dual_sub_f32 v20, v19, v20
	s_delay_alu instid0(VALU_DEP_1) | instskip(NEXT) | instid1(VALU_DEP_2)
	v_sub_f32_e32 v24, v21, v17
	v_dual_sub_f32 v23, v17, v23 :: v_dual_sub_f32 v16, v16, v20
	s_delay_alu instid0(VALU_DEP_1) | instskip(SKIP_1) | instid1(VALU_DEP_2)
	v_dual_sub_f32 v25, v21, v24 :: v_dual_sub_f32 v22, v22, v23
	v_sub_f32_e32 v19, v19, v24
	v_dual_sub_f32 v17, v17, v25 :: v_dual_add_f32 v20, v22, v16
	s_delay_alu instid0(VALU_DEP_1) | instskip(NEXT) | instid1(VALU_DEP_2)
	v_add_f32_e32 v17, v19, v17
	v_sub_f32_e32 v19, v20, v22
	s_delay_alu instid0(VALU_DEP_2) | instskip(NEXT) | instid1(VALU_DEP_2)
	v_add_f32_e32 v17, v20, v17
	v_sub_f32_e32 v20, v20, v19
	s_delay_alu instid0(VALU_DEP_2) | instskip(NEXT) | instid1(VALU_DEP_1)
	v_dual_sub_f32 v16, v16, v19 :: v_dual_add_f32 v23, v21, v17
	v_dual_sub_f32 v20, v22, v20 :: v_dual_sub_f32 v19, v23, v21
	s_delay_alu instid0(VALU_DEP_1) | instskip(NEXT) | instid1(VALU_DEP_1)
	v_dual_add_f32 v16, v16, v20 :: v_dual_sub_f32 v17, v17, v19
	v_add_f32_e32 v16, v16, v17
	s_delay_alu instid0(VALU_DEP_1) | instskip(NEXT) | instid1(VALU_DEP_1)
	v_add_f32_e32 v16, v23, v16
	v_cndmask_b32_e32 v63, v16, v18, vcc_lo
.LBB19_22:                              ;   in Loop: Header=BB19_12 Depth=1
	s_or_b32 exec_lo, exec_lo, s15
	v_and_b32_e32 v16, 0xffff0000, v4
	s_delay_alu instid0(VALU_DEP_1) | instskip(NEXT) | instid1(VALU_DEP_1)
	v_add_f32_e32 v64, s56, v16
	v_cmp_ge_f32_e32 vcc_lo, 0x41a00000, v64
	s_and_b32 s14, s66, vcc_lo
	s_delay_alu instid0(SALU_CYCLE_1)
	s_and_saveexec_b32 s15, s14
	s_cbranch_execz .LBB19_24
; %bb.23:                               ;   in Loop: Header=BB19_12 Depth=1
	v_mul_f32_e32 v16, 0x3fb8aa3b, v64
	v_cmp_ngt_f32_e32 vcc_lo, 0xc2ce8ed0, v64
	s_delay_alu instid0(VALU_DEP_2) | instskip(SKIP_1) | instid1(VALU_DEP_2)
	v_rndne_f32_e32 v17, v16
	v_fma_f32 v18, 0x3fb8aa3b, v64, -v16
	v_sub_f32_e32 v16, v16, v17
	s_delay_alu instid0(VALU_DEP_2) | instskip(SKIP_1) | instid1(VALU_DEP_2)
	v_fmac_f32_e32 v18, 0x32a5705f, v64
	v_cvt_i32_f32_e32 v17, v17
	v_add_f32_e32 v16, v16, v18
	s_delay_alu instid0(VALU_DEP_1) | instskip(SKIP_2) | instid1(VALU_DEP_1)
	v_exp_f32_e32 v16, v16
	s_waitcnt_depctr 0xfff
	v_ldexp_f32 v16, v16, v17
	v_cndmask_b32_e32 v16, 0, v16, vcc_lo
	v_cmp_nlt_f32_e32 vcc_lo, 0x42b17218, v64
	s_delay_alu instid0(VALU_DEP_2) | instskip(NEXT) | instid1(VALU_DEP_1)
	v_cndmask_b32_e32 v18, 0x7f800000, v16, vcc_lo
	v_add_f32_e32 v19, 1.0, v18
	s_delay_alu instid0(VALU_DEP_1) | instskip(NEXT) | instid1(VALU_DEP_1)
	v_cvt_f64_f32_e32 v[16:17], v19
	v_frexp_exp_i32_f64_e32 v16, v[16:17]
	v_frexp_mant_f32_e32 v17, v19
	s_delay_alu instid0(VALU_DEP_1) | instskip(SKIP_1) | instid1(VALU_DEP_1)
	v_cmp_gt_f32_e32 vcc_lo, 0x3f2aaaab, v17
	v_add_f32_e32 v17, -1.0, v19
	v_sub_f32_e32 v21, v17, v19
	v_sub_f32_e32 v17, v18, v17
	s_delay_alu instid0(VALU_DEP_2) | instskip(NEXT) | instid1(VALU_DEP_1)
	v_add_f32_e32 v21, 1.0, v21
	v_add_f32_e32 v17, v17, v21
	v_cmp_gt_f32_e64 s14, 0x33800000, v18
	v_subrev_co_ci_u32_e32 v16, vcc_lo, 0, v16, vcc_lo
	v_cmp_eq_f32_e32 vcc_lo, 0x7f800000, v18
	s_delay_alu instid0(VALU_DEP_2) | instskip(SKIP_2) | instid1(VALU_DEP_2)
	v_sub_nc_u32_e32 v20, 0, v16
	v_cvt_f32_i32_e32 v16, v16
	s_or_b32 vcc_lo, s14, vcc_lo
	v_ldexp_f32 v19, v19, v20
	v_ldexp_f32 v17, v17, v20
	s_delay_alu instid0(VALU_DEP_2) | instskip(NEXT) | instid1(VALU_DEP_1)
	v_add_f32_e32 v22, 1.0, v19
	v_dual_add_f32 v20, -1.0, v19 :: v_dual_add_f32 v21, -1.0, v22
	s_delay_alu instid0(VALU_DEP_1) | instskip(NEXT) | instid1(VALU_DEP_2)
	v_add_f32_e32 v23, 1.0, v20
	v_sub_f32_e32 v21, v19, v21
	s_delay_alu instid0(VALU_DEP_2) | instskip(NEXT) | instid1(VALU_DEP_2)
	v_sub_f32_e32 v19, v19, v23
	v_add_f32_e32 v21, v17, v21
	s_delay_alu instid0(VALU_DEP_2) | instskip(NEXT) | instid1(VALU_DEP_1)
	v_add_f32_e32 v17, v17, v19
	v_add_f32_e32 v24, v20, v17
	s_delay_alu instid0(VALU_DEP_1) | instskip(NEXT) | instid1(VALU_DEP_1)
	v_dual_add_f32 v23, v22, v21 :: v_dual_sub_f32 v20, v20, v24
	v_rcp_f32_e32 v19, v23
	v_sub_f32_e32 v22, v22, v23
	s_delay_alu instid0(VALU_DEP_1) | instskip(SKIP_2) | instid1(VALU_DEP_1)
	v_add_f32_e32 v21, v21, v22
	s_waitcnt_depctr 0xfff
	v_mul_f32_e32 v25, v24, v19
	v_mul_f32_e32 v26, v23, v25
	s_delay_alu instid0(VALU_DEP_1) | instskip(NEXT) | instid1(VALU_DEP_1)
	v_fma_f32 v22, v25, v23, -v26
	v_fmac_f32_e32 v22, v25, v21
	s_delay_alu instid0(VALU_DEP_1) | instskip(NEXT) | instid1(VALU_DEP_1)
	v_add_f32_e32 v27, v26, v22
	v_sub_f32_e32 v28, v24, v27
	s_delay_alu instid0(VALU_DEP_1) | instskip(SKIP_1) | instid1(VALU_DEP_2)
	v_sub_f32_e32 v24, v24, v28
	v_dual_add_f32 v17, v17, v20 :: v_dual_sub_f32 v20, v27, v26
	v_sub_f32_e32 v24, v24, v27
	s_delay_alu instid0(VALU_DEP_1) | instskip(NEXT) | instid1(VALU_DEP_1)
	v_dual_sub_f32 v20, v20, v22 :: v_dual_add_f32 v17, v17, v24
	v_add_f32_e32 v17, v20, v17
	s_delay_alu instid0(VALU_DEP_1) | instskip(NEXT) | instid1(VALU_DEP_1)
	v_add_f32_e32 v20, v28, v17
	v_mul_f32_e32 v22, v19, v20
	s_delay_alu instid0(VALU_DEP_1) | instskip(NEXT) | instid1(VALU_DEP_1)
	v_dual_sub_f32 v27, v28, v20 :: v_dual_mul_f32 v24, v23, v22
	v_add_f32_e32 v17, v17, v27
	s_delay_alu instid0(VALU_DEP_2) | instskip(NEXT) | instid1(VALU_DEP_1)
	v_fma_f32 v23, v22, v23, -v24
	v_fmac_f32_e32 v23, v22, v21
	s_delay_alu instid0(VALU_DEP_1) | instskip(NEXT) | instid1(VALU_DEP_1)
	v_add_f32_e32 v21, v24, v23
	v_sub_f32_e32 v26, v20, v21
	s_delay_alu instid0(VALU_DEP_1) | instskip(NEXT) | instid1(VALU_DEP_1)
	v_sub_f32_e32 v20, v20, v26
	v_sub_f32_e32 v20, v20, v21
	s_delay_alu instid0(VALU_DEP_1) | instskip(SKIP_2) | instid1(VALU_DEP_1)
	v_add_f32_e32 v17, v17, v20
	v_add_f32_e32 v20, v25, v22
	v_sub_f32_e32 v24, v21, v24
	v_sub_f32_e32 v21, v24, v23
	s_delay_alu instid0(VALU_DEP_1) | instskip(NEXT) | instid1(VALU_DEP_4)
	v_add_f32_e32 v17, v21, v17
	v_sub_f32_e32 v21, v20, v25
	s_delay_alu instid0(VALU_DEP_2) | instskip(NEXT) | instid1(VALU_DEP_2)
	v_add_f32_e32 v17, v26, v17
	v_sub_f32_e32 v21, v22, v21
	s_delay_alu instid0(VALU_DEP_2) | instskip(NEXT) | instid1(VALU_DEP_1)
	v_mul_f32_e32 v17, v19, v17
	v_add_f32_e32 v17, v21, v17
	s_delay_alu instid0(VALU_DEP_1) | instskip(NEXT) | instid1(VALU_DEP_1)
	v_add_f32_e32 v19, v20, v17
	v_mul_f32_e32 v21, v19, v19
	s_delay_alu instid0(VALU_DEP_1) | instskip(SKIP_1) | instid1(VALU_DEP_2)
	v_fmaak_f32 v22, s54, v21, 0x3ecc95a3
	v_mul_f32_e32 v23, v19, v21
	v_fmaak_f32 v21, v21, v22, 0x3f2aaada
	v_ldexp_f32 v22, v19, 1
	s_delay_alu instid0(VALU_DEP_2) | instskip(SKIP_1) | instid1(VALU_DEP_2)
	v_mul_f32_e32 v21, v23, v21
	v_sub_f32_e32 v19, v19, v20
	v_dual_mul_f32 v23, 0x3f317218, v16 :: v_dual_add_f32 v20, v22, v21
	s_delay_alu instid0(VALU_DEP_2) | instskip(NEXT) | instid1(VALU_DEP_2)
	v_sub_f32_e32 v17, v17, v19
	v_sub_f32_e32 v19, v20, v22
	s_delay_alu instid0(VALU_DEP_3) | instskip(NEXT) | instid1(VALU_DEP_3)
	v_fma_f32 v22, 0x3f317218, v16, -v23
	v_ldexp_f32 v17, v17, 1
	s_delay_alu instid0(VALU_DEP_2) | instskip(NEXT) | instid1(VALU_DEP_1)
	v_dual_sub_f32 v19, v21, v19 :: v_dual_fmac_f32 v22, 0xb102e308, v16
	v_dual_add_f32 v16, v17, v19 :: v_dual_add_f32 v17, v23, v22
	s_delay_alu instid0(VALU_DEP_1) | instskip(NEXT) | instid1(VALU_DEP_1)
	v_add_f32_e32 v19, v20, v16
	v_dual_add_f32 v21, v17, v19 :: v_dual_sub_f32 v20, v19, v20
	s_delay_alu instid0(VALU_DEP_1) | instskip(NEXT) | instid1(VALU_DEP_2)
	v_sub_f32_e32 v24, v21, v17
	v_dual_sub_f32 v23, v17, v23 :: v_dual_sub_f32 v16, v16, v20
	s_delay_alu instid0(VALU_DEP_1) | instskip(SKIP_1) | instid1(VALU_DEP_2)
	v_dual_sub_f32 v25, v21, v24 :: v_dual_sub_f32 v22, v22, v23
	v_sub_f32_e32 v19, v19, v24
	v_dual_sub_f32 v17, v17, v25 :: v_dual_add_f32 v20, v22, v16
	s_delay_alu instid0(VALU_DEP_1) | instskip(NEXT) | instid1(VALU_DEP_2)
	v_add_f32_e32 v17, v19, v17
	v_sub_f32_e32 v19, v20, v22
	s_delay_alu instid0(VALU_DEP_2) | instskip(NEXT) | instid1(VALU_DEP_2)
	v_add_f32_e32 v17, v20, v17
	v_sub_f32_e32 v20, v20, v19
	s_delay_alu instid0(VALU_DEP_2) | instskip(NEXT) | instid1(VALU_DEP_1)
	v_dual_sub_f32 v16, v16, v19 :: v_dual_add_f32 v23, v21, v17
	v_dual_sub_f32 v20, v22, v20 :: v_dual_sub_f32 v19, v23, v21
	s_delay_alu instid0(VALU_DEP_1) | instskip(NEXT) | instid1(VALU_DEP_1)
	v_dual_add_f32 v16, v16, v20 :: v_dual_sub_f32 v17, v17, v19
	v_add_f32_e32 v16, v16, v17
	s_delay_alu instid0(VALU_DEP_1) | instskip(NEXT) | instid1(VALU_DEP_1)
	v_add_f32_e32 v16, v23, v16
	v_cndmask_b32_e32 v64, v16, v18, vcc_lo
.LBB19_24:                              ;   in Loop: Header=BB19_12 Depth=1
	s_or_b32 exec_lo, exec_lo, s15
	v_lshlrev_b32_e32 v16, 16, v5
	s_delay_alu instid0(VALU_DEP_1) | instskip(NEXT) | instid1(VALU_DEP_1)
	v_add_f32_e32 v65, s56, v16
	v_cmp_ge_f32_e32 vcc_lo, 0x41a00000, v65
	s_and_b32 s14, s66, vcc_lo
	s_delay_alu instid0(SALU_CYCLE_1)
	s_and_saveexec_b32 s15, s14
	s_cbranch_execz .LBB19_26
; %bb.25:                               ;   in Loop: Header=BB19_12 Depth=1
	v_mul_f32_e32 v16, 0x3fb8aa3b, v65
	v_cmp_ngt_f32_e32 vcc_lo, 0xc2ce8ed0, v65
	s_delay_alu instid0(VALU_DEP_2) | instskip(SKIP_1) | instid1(VALU_DEP_2)
	v_rndne_f32_e32 v17, v16
	v_fma_f32 v18, 0x3fb8aa3b, v65, -v16
	v_sub_f32_e32 v16, v16, v17
	s_delay_alu instid0(VALU_DEP_2) | instskip(SKIP_1) | instid1(VALU_DEP_2)
	v_fmac_f32_e32 v18, 0x32a5705f, v65
	v_cvt_i32_f32_e32 v17, v17
	v_add_f32_e32 v16, v16, v18
	s_delay_alu instid0(VALU_DEP_1) | instskip(SKIP_2) | instid1(VALU_DEP_1)
	v_exp_f32_e32 v16, v16
	s_waitcnt_depctr 0xfff
	v_ldexp_f32 v16, v16, v17
	v_cndmask_b32_e32 v16, 0, v16, vcc_lo
	v_cmp_nlt_f32_e32 vcc_lo, 0x42b17218, v65
	s_delay_alu instid0(VALU_DEP_2) | instskip(NEXT) | instid1(VALU_DEP_1)
	v_cndmask_b32_e32 v18, 0x7f800000, v16, vcc_lo
	v_add_f32_e32 v19, 1.0, v18
	s_delay_alu instid0(VALU_DEP_1) | instskip(NEXT) | instid1(VALU_DEP_1)
	v_cvt_f64_f32_e32 v[16:17], v19
	v_frexp_exp_i32_f64_e32 v16, v[16:17]
	v_frexp_mant_f32_e32 v17, v19
	s_delay_alu instid0(VALU_DEP_1) | instskip(SKIP_1) | instid1(VALU_DEP_1)
	v_cmp_gt_f32_e32 vcc_lo, 0x3f2aaaab, v17
	v_add_f32_e32 v17, -1.0, v19
	v_sub_f32_e32 v21, v17, v19
	v_sub_f32_e32 v17, v18, v17
	s_delay_alu instid0(VALU_DEP_2) | instskip(NEXT) | instid1(VALU_DEP_1)
	v_add_f32_e32 v21, 1.0, v21
	v_add_f32_e32 v17, v17, v21
	v_cmp_gt_f32_e64 s14, 0x33800000, v18
	v_subrev_co_ci_u32_e32 v16, vcc_lo, 0, v16, vcc_lo
	v_cmp_eq_f32_e32 vcc_lo, 0x7f800000, v18
	s_delay_alu instid0(VALU_DEP_2) | instskip(SKIP_2) | instid1(VALU_DEP_2)
	v_sub_nc_u32_e32 v20, 0, v16
	v_cvt_f32_i32_e32 v16, v16
	s_or_b32 vcc_lo, s14, vcc_lo
	v_ldexp_f32 v19, v19, v20
	v_ldexp_f32 v17, v17, v20
	s_delay_alu instid0(VALU_DEP_2) | instskip(NEXT) | instid1(VALU_DEP_1)
	v_add_f32_e32 v22, 1.0, v19
	v_dual_add_f32 v20, -1.0, v19 :: v_dual_add_f32 v21, -1.0, v22
	s_delay_alu instid0(VALU_DEP_1) | instskip(NEXT) | instid1(VALU_DEP_2)
	v_add_f32_e32 v23, 1.0, v20
	v_sub_f32_e32 v21, v19, v21
	s_delay_alu instid0(VALU_DEP_2) | instskip(NEXT) | instid1(VALU_DEP_2)
	v_sub_f32_e32 v19, v19, v23
	v_add_f32_e32 v21, v17, v21
	s_delay_alu instid0(VALU_DEP_2) | instskip(NEXT) | instid1(VALU_DEP_1)
	v_add_f32_e32 v17, v17, v19
	v_add_f32_e32 v24, v20, v17
	s_delay_alu instid0(VALU_DEP_1) | instskip(NEXT) | instid1(VALU_DEP_1)
	v_dual_add_f32 v23, v22, v21 :: v_dual_sub_f32 v20, v20, v24
	v_rcp_f32_e32 v19, v23
	v_sub_f32_e32 v22, v22, v23
	s_delay_alu instid0(VALU_DEP_1) | instskip(SKIP_2) | instid1(VALU_DEP_1)
	v_add_f32_e32 v21, v21, v22
	s_waitcnt_depctr 0xfff
	v_mul_f32_e32 v25, v24, v19
	v_mul_f32_e32 v26, v23, v25
	s_delay_alu instid0(VALU_DEP_1) | instskip(NEXT) | instid1(VALU_DEP_1)
	v_fma_f32 v22, v25, v23, -v26
	v_fmac_f32_e32 v22, v25, v21
	s_delay_alu instid0(VALU_DEP_1) | instskip(NEXT) | instid1(VALU_DEP_1)
	v_add_f32_e32 v27, v26, v22
	v_sub_f32_e32 v28, v24, v27
	s_delay_alu instid0(VALU_DEP_1) | instskip(SKIP_1) | instid1(VALU_DEP_2)
	v_sub_f32_e32 v24, v24, v28
	v_dual_add_f32 v17, v17, v20 :: v_dual_sub_f32 v20, v27, v26
	v_sub_f32_e32 v24, v24, v27
	s_delay_alu instid0(VALU_DEP_1) | instskip(NEXT) | instid1(VALU_DEP_1)
	v_dual_sub_f32 v20, v20, v22 :: v_dual_add_f32 v17, v17, v24
	v_add_f32_e32 v17, v20, v17
	s_delay_alu instid0(VALU_DEP_1) | instskip(NEXT) | instid1(VALU_DEP_1)
	v_add_f32_e32 v20, v28, v17
	v_mul_f32_e32 v22, v19, v20
	s_delay_alu instid0(VALU_DEP_1) | instskip(NEXT) | instid1(VALU_DEP_1)
	v_dual_sub_f32 v27, v28, v20 :: v_dual_mul_f32 v24, v23, v22
	v_add_f32_e32 v17, v17, v27
	s_delay_alu instid0(VALU_DEP_2) | instskip(NEXT) | instid1(VALU_DEP_1)
	v_fma_f32 v23, v22, v23, -v24
	v_fmac_f32_e32 v23, v22, v21
	s_delay_alu instid0(VALU_DEP_1) | instskip(NEXT) | instid1(VALU_DEP_1)
	v_add_f32_e32 v21, v24, v23
	v_sub_f32_e32 v26, v20, v21
	s_delay_alu instid0(VALU_DEP_1) | instskip(NEXT) | instid1(VALU_DEP_1)
	v_sub_f32_e32 v20, v20, v26
	v_sub_f32_e32 v20, v20, v21
	s_delay_alu instid0(VALU_DEP_1) | instskip(SKIP_2) | instid1(VALU_DEP_1)
	v_add_f32_e32 v17, v17, v20
	v_add_f32_e32 v20, v25, v22
	v_sub_f32_e32 v24, v21, v24
	v_sub_f32_e32 v21, v24, v23
	s_delay_alu instid0(VALU_DEP_1) | instskip(NEXT) | instid1(VALU_DEP_4)
	v_add_f32_e32 v17, v21, v17
	v_sub_f32_e32 v21, v20, v25
	s_delay_alu instid0(VALU_DEP_2) | instskip(NEXT) | instid1(VALU_DEP_2)
	v_add_f32_e32 v17, v26, v17
	v_sub_f32_e32 v21, v22, v21
	s_delay_alu instid0(VALU_DEP_2) | instskip(NEXT) | instid1(VALU_DEP_1)
	v_mul_f32_e32 v17, v19, v17
	v_add_f32_e32 v17, v21, v17
	s_delay_alu instid0(VALU_DEP_1) | instskip(NEXT) | instid1(VALU_DEP_1)
	v_add_f32_e32 v19, v20, v17
	v_mul_f32_e32 v21, v19, v19
	s_delay_alu instid0(VALU_DEP_1) | instskip(SKIP_1) | instid1(VALU_DEP_2)
	v_fmaak_f32 v22, s54, v21, 0x3ecc95a3
	v_mul_f32_e32 v23, v19, v21
	v_fmaak_f32 v21, v21, v22, 0x3f2aaada
	v_ldexp_f32 v22, v19, 1
	s_delay_alu instid0(VALU_DEP_2) | instskip(SKIP_1) | instid1(VALU_DEP_2)
	v_mul_f32_e32 v21, v23, v21
	v_sub_f32_e32 v19, v19, v20
	v_dual_mul_f32 v23, 0x3f317218, v16 :: v_dual_add_f32 v20, v22, v21
	s_delay_alu instid0(VALU_DEP_2) | instskip(NEXT) | instid1(VALU_DEP_2)
	v_sub_f32_e32 v17, v17, v19
	v_sub_f32_e32 v19, v20, v22
	s_delay_alu instid0(VALU_DEP_3) | instskip(NEXT) | instid1(VALU_DEP_3)
	v_fma_f32 v22, 0x3f317218, v16, -v23
	v_ldexp_f32 v17, v17, 1
	s_delay_alu instid0(VALU_DEP_2) | instskip(NEXT) | instid1(VALU_DEP_1)
	v_dual_sub_f32 v19, v21, v19 :: v_dual_fmac_f32 v22, 0xb102e308, v16
	v_dual_add_f32 v16, v17, v19 :: v_dual_add_f32 v17, v23, v22
	s_delay_alu instid0(VALU_DEP_1) | instskip(NEXT) | instid1(VALU_DEP_1)
	v_add_f32_e32 v19, v20, v16
	v_dual_add_f32 v21, v17, v19 :: v_dual_sub_f32 v20, v19, v20
	s_delay_alu instid0(VALU_DEP_1) | instskip(NEXT) | instid1(VALU_DEP_2)
	v_sub_f32_e32 v24, v21, v17
	v_dual_sub_f32 v23, v17, v23 :: v_dual_sub_f32 v16, v16, v20
	s_delay_alu instid0(VALU_DEP_1) | instskip(SKIP_1) | instid1(VALU_DEP_2)
	v_dual_sub_f32 v25, v21, v24 :: v_dual_sub_f32 v22, v22, v23
	v_sub_f32_e32 v19, v19, v24
	v_dual_sub_f32 v17, v17, v25 :: v_dual_add_f32 v20, v22, v16
	s_delay_alu instid0(VALU_DEP_1) | instskip(NEXT) | instid1(VALU_DEP_2)
	v_add_f32_e32 v17, v19, v17
	v_sub_f32_e32 v19, v20, v22
	s_delay_alu instid0(VALU_DEP_2) | instskip(NEXT) | instid1(VALU_DEP_2)
	v_add_f32_e32 v17, v20, v17
	v_sub_f32_e32 v20, v20, v19
	s_delay_alu instid0(VALU_DEP_2) | instskip(NEXT) | instid1(VALU_DEP_1)
	v_dual_sub_f32 v16, v16, v19 :: v_dual_add_f32 v23, v21, v17
	v_dual_sub_f32 v20, v22, v20 :: v_dual_sub_f32 v19, v23, v21
	s_delay_alu instid0(VALU_DEP_1) | instskip(NEXT) | instid1(VALU_DEP_1)
	v_dual_add_f32 v16, v16, v20 :: v_dual_sub_f32 v17, v17, v19
	v_add_f32_e32 v16, v16, v17
	s_delay_alu instid0(VALU_DEP_1) | instskip(NEXT) | instid1(VALU_DEP_1)
	v_add_f32_e32 v16, v23, v16
	v_cndmask_b32_e32 v65, v16, v18, vcc_lo
.LBB19_26:                              ;   in Loop: Header=BB19_12 Depth=1
	s_or_b32 exec_lo, exec_lo, s15
	v_and_b32_e32 v16, 0xffff0000, v5
	s_delay_alu instid0(VALU_DEP_1) | instskip(NEXT) | instid1(VALU_DEP_1)
	v_add_f32_e32 v66, s56, v16
	v_cmp_ge_f32_e32 vcc_lo, 0x41a00000, v66
	s_and_b32 s14, s66, vcc_lo
	s_delay_alu instid0(SALU_CYCLE_1)
	s_and_saveexec_b32 s15, s14
	s_cbranch_execz .LBB19_28
; %bb.27:                               ;   in Loop: Header=BB19_12 Depth=1
	v_mul_f32_e32 v16, 0x3fb8aa3b, v66
	v_cmp_ngt_f32_e32 vcc_lo, 0xc2ce8ed0, v66
	s_delay_alu instid0(VALU_DEP_2) | instskip(SKIP_1) | instid1(VALU_DEP_2)
	v_rndne_f32_e32 v17, v16
	v_fma_f32 v18, 0x3fb8aa3b, v66, -v16
	v_sub_f32_e32 v16, v16, v17
	s_delay_alu instid0(VALU_DEP_2) | instskip(SKIP_1) | instid1(VALU_DEP_2)
	v_fmac_f32_e32 v18, 0x32a5705f, v66
	v_cvt_i32_f32_e32 v17, v17
	v_add_f32_e32 v16, v16, v18
	s_delay_alu instid0(VALU_DEP_1) | instskip(SKIP_2) | instid1(VALU_DEP_1)
	v_exp_f32_e32 v16, v16
	s_waitcnt_depctr 0xfff
	v_ldexp_f32 v16, v16, v17
	v_cndmask_b32_e32 v16, 0, v16, vcc_lo
	v_cmp_nlt_f32_e32 vcc_lo, 0x42b17218, v66
	s_delay_alu instid0(VALU_DEP_2) | instskip(NEXT) | instid1(VALU_DEP_1)
	v_cndmask_b32_e32 v18, 0x7f800000, v16, vcc_lo
	v_add_f32_e32 v19, 1.0, v18
	s_delay_alu instid0(VALU_DEP_1) | instskip(NEXT) | instid1(VALU_DEP_1)
	v_cvt_f64_f32_e32 v[16:17], v19
	v_frexp_exp_i32_f64_e32 v16, v[16:17]
	v_frexp_mant_f32_e32 v17, v19
	s_delay_alu instid0(VALU_DEP_1) | instskip(SKIP_1) | instid1(VALU_DEP_1)
	v_cmp_gt_f32_e32 vcc_lo, 0x3f2aaaab, v17
	v_add_f32_e32 v17, -1.0, v19
	v_sub_f32_e32 v21, v17, v19
	v_sub_f32_e32 v17, v18, v17
	s_delay_alu instid0(VALU_DEP_2) | instskip(NEXT) | instid1(VALU_DEP_1)
	v_add_f32_e32 v21, 1.0, v21
	v_add_f32_e32 v17, v17, v21
	v_cmp_gt_f32_e64 s14, 0x33800000, v18
	v_subrev_co_ci_u32_e32 v16, vcc_lo, 0, v16, vcc_lo
	v_cmp_eq_f32_e32 vcc_lo, 0x7f800000, v18
	s_delay_alu instid0(VALU_DEP_2) | instskip(SKIP_2) | instid1(VALU_DEP_2)
	v_sub_nc_u32_e32 v20, 0, v16
	v_cvt_f32_i32_e32 v16, v16
	s_or_b32 vcc_lo, s14, vcc_lo
	v_ldexp_f32 v19, v19, v20
	v_ldexp_f32 v17, v17, v20
	s_delay_alu instid0(VALU_DEP_2) | instskip(NEXT) | instid1(VALU_DEP_1)
	v_add_f32_e32 v22, 1.0, v19
	v_dual_add_f32 v20, -1.0, v19 :: v_dual_add_f32 v21, -1.0, v22
	s_delay_alu instid0(VALU_DEP_1) | instskip(NEXT) | instid1(VALU_DEP_2)
	v_add_f32_e32 v23, 1.0, v20
	v_sub_f32_e32 v21, v19, v21
	s_delay_alu instid0(VALU_DEP_2) | instskip(NEXT) | instid1(VALU_DEP_2)
	v_sub_f32_e32 v19, v19, v23
	v_add_f32_e32 v21, v17, v21
	s_delay_alu instid0(VALU_DEP_2) | instskip(NEXT) | instid1(VALU_DEP_1)
	v_add_f32_e32 v17, v17, v19
	v_add_f32_e32 v24, v20, v17
	s_delay_alu instid0(VALU_DEP_1) | instskip(NEXT) | instid1(VALU_DEP_1)
	v_dual_add_f32 v23, v22, v21 :: v_dual_sub_f32 v20, v20, v24
	v_rcp_f32_e32 v19, v23
	v_sub_f32_e32 v22, v22, v23
	s_delay_alu instid0(VALU_DEP_1) | instskip(SKIP_2) | instid1(VALU_DEP_1)
	v_add_f32_e32 v21, v21, v22
	s_waitcnt_depctr 0xfff
	v_mul_f32_e32 v25, v24, v19
	v_mul_f32_e32 v26, v23, v25
	s_delay_alu instid0(VALU_DEP_1) | instskip(NEXT) | instid1(VALU_DEP_1)
	v_fma_f32 v22, v25, v23, -v26
	v_fmac_f32_e32 v22, v25, v21
	s_delay_alu instid0(VALU_DEP_1) | instskip(NEXT) | instid1(VALU_DEP_1)
	v_add_f32_e32 v27, v26, v22
	v_sub_f32_e32 v28, v24, v27
	s_delay_alu instid0(VALU_DEP_1) | instskip(SKIP_1) | instid1(VALU_DEP_2)
	v_sub_f32_e32 v24, v24, v28
	v_dual_add_f32 v17, v17, v20 :: v_dual_sub_f32 v20, v27, v26
	v_sub_f32_e32 v24, v24, v27
	s_delay_alu instid0(VALU_DEP_1) | instskip(NEXT) | instid1(VALU_DEP_1)
	v_dual_sub_f32 v20, v20, v22 :: v_dual_add_f32 v17, v17, v24
	v_add_f32_e32 v17, v20, v17
	s_delay_alu instid0(VALU_DEP_1) | instskip(NEXT) | instid1(VALU_DEP_1)
	v_add_f32_e32 v20, v28, v17
	v_mul_f32_e32 v22, v19, v20
	s_delay_alu instid0(VALU_DEP_1) | instskip(NEXT) | instid1(VALU_DEP_1)
	v_dual_sub_f32 v27, v28, v20 :: v_dual_mul_f32 v24, v23, v22
	v_add_f32_e32 v17, v17, v27
	s_delay_alu instid0(VALU_DEP_2) | instskip(NEXT) | instid1(VALU_DEP_1)
	v_fma_f32 v23, v22, v23, -v24
	v_fmac_f32_e32 v23, v22, v21
	s_delay_alu instid0(VALU_DEP_1) | instskip(NEXT) | instid1(VALU_DEP_1)
	v_add_f32_e32 v21, v24, v23
	v_sub_f32_e32 v26, v20, v21
	s_delay_alu instid0(VALU_DEP_1) | instskip(NEXT) | instid1(VALU_DEP_1)
	v_sub_f32_e32 v20, v20, v26
	v_sub_f32_e32 v20, v20, v21
	s_delay_alu instid0(VALU_DEP_1) | instskip(SKIP_2) | instid1(VALU_DEP_1)
	v_add_f32_e32 v17, v17, v20
	v_add_f32_e32 v20, v25, v22
	v_sub_f32_e32 v24, v21, v24
	v_sub_f32_e32 v21, v24, v23
	s_delay_alu instid0(VALU_DEP_1) | instskip(NEXT) | instid1(VALU_DEP_4)
	v_add_f32_e32 v17, v21, v17
	v_sub_f32_e32 v21, v20, v25
	s_delay_alu instid0(VALU_DEP_2) | instskip(NEXT) | instid1(VALU_DEP_2)
	v_add_f32_e32 v17, v26, v17
	v_sub_f32_e32 v21, v22, v21
	s_delay_alu instid0(VALU_DEP_2) | instskip(NEXT) | instid1(VALU_DEP_1)
	v_mul_f32_e32 v17, v19, v17
	v_add_f32_e32 v17, v21, v17
	s_delay_alu instid0(VALU_DEP_1) | instskip(NEXT) | instid1(VALU_DEP_1)
	v_add_f32_e32 v19, v20, v17
	v_mul_f32_e32 v21, v19, v19
	s_delay_alu instid0(VALU_DEP_1) | instskip(SKIP_1) | instid1(VALU_DEP_2)
	v_fmaak_f32 v22, s54, v21, 0x3ecc95a3
	v_mul_f32_e32 v23, v19, v21
	v_fmaak_f32 v21, v21, v22, 0x3f2aaada
	v_ldexp_f32 v22, v19, 1
	s_delay_alu instid0(VALU_DEP_2) | instskip(SKIP_1) | instid1(VALU_DEP_2)
	v_mul_f32_e32 v21, v23, v21
	v_sub_f32_e32 v19, v19, v20
	v_dual_mul_f32 v23, 0x3f317218, v16 :: v_dual_add_f32 v20, v22, v21
	s_delay_alu instid0(VALU_DEP_2) | instskip(NEXT) | instid1(VALU_DEP_2)
	v_sub_f32_e32 v17, v17, v19
	v_sub_f32_e32 v19, v20, v22
	s_delay_alu instid0(VALU_DEP_3) | instskip(NEXT) | instid1(VALU_DEP_3)
	v_fma_f32 v22, 0x3f317218, v16, -v23
	v_ldexp_f32 v17, v17, 1
	s_delay_alu instid0(VALU_DEP_2) | instskip(NEXT) | instid1(VALU_DEP_1)
	v_dual_sub_f32 v19, v21, v19 :: v_dual_fmac_f32 v22, 0xb102e308, v16
	v_dual_add_f32 v16, v17, v19 :: v_dual_add_f32 v17, v23, v22
	s_delay_alu instid0(VALU_DEP_1) | instskip(NEXT) | instid1(VALU_DEP_1)
	v_add_f32_e32 v19, v20, v16
	v_dual_add_f32 v21, v17, v19 :: v_dual_sub_f32 v20, v19, v20
	s_delay_alu instid0(VALU_DEP_1) | instskip(NEXT) | instid1(VALU_DEP_2)
	v_sub_f32_e32 v24, v21, v17
	v_dual_sub_f32 v23, v17, v23 :: v_dual_sub_f32 v16, v16, v20
	s_delay_alu instid0(VALU_DEP_1) | instskip(SKIP_1) | instid1(VALU_DEP_2)
	v_dual_sub_f32 v25, v21, v24 :: v_dual_sub_f32 v22, v22, v23
	v_sub_f32_e32 v19, v19, v24
	v_dual_sub_f32 v17, v17, v25 :: v_dual_add_f32 v20, v22, v16
	s_delay_alu instid0(VALU_DEP_1) | instskip(NEXT) | instid1(VALU_DEP_2)
	v_add_f32_e32 v17, v19, v17
	v_sub_f32_e32 v19, v20, v22
	s_delay_alu instid0(VALU_DEP_2) | instskip(NEXT) | instid1(VALU_DEP_2)
	v_add_f32_e32 v17, v20, v17
	v_sub_f32_e32 v20, v20, v19
	s_delay_alu instid0(VALU_DEP_2) | instskip(NEXT) | instid1(VALU_DEP_1)
	v_dual_sub_f32 v16, v16, v19 :: v_dual_add_f32 v23, v21, v17
	v_dual_sub_f32 v20, v22, v20 :: v_dual_sub_f32 v19, v23, v21
	s_delay_alu instid0(VALU_DEP_1) | instskip(NEXT) | instid1(VALU_DEP_1)
	v_dual_add_f32 v16, v16, v20 :: v_dual_sub_f32 v17, v17, v19
	v_add_f32_e32 v16, v16, v17
	s_delay_alu instid0(VALU_DEP_1) | instskip(NEXT) | instid1(VALU_DEP_1)
	v_add_f32_e32 v16, v23, v16
	v_cndmask_b32_e32 v66, v16, v18, vcc_lo
.LBB19_28:                              ;   in Loop: Header=BB19_12 Depth=1
	s_or_b32 exec_lo, exec_lo, s15
	v_lshlrev_b32_e32 v16, 16, v6
	s_delay_alu instid0(VALU_DEP_1) | instskip(NEXT) | instid1(VALU_DEP_1)
	v_add_f32_e32 v67, s56, v16
	v_cmp_ge_f32_e32 vcc_lo, 0x41a00000, v67
	s_and_b32 s14, s66, vcc_lo
	s_delay_alu instid0(SALU_CYCLE_1)
	s_and_saveexec_b32 s15, s14
	s_cbranch_execz .LBB19_30
; %bb.29:                               ;   in Loop: Header=BB19_12 Depth=1
	v_mul_f32_e32 v16, 0x3fb8aa3b, v67
	v_cmp_ngt_f32_e32 vcc_lo, 0xc2ce8ed0, v67
	s_delay_alu instid0(VALU_DEP_2) | instskip(SKIP_1) | instid1(VALU_DEP_2)
	v_rndne_f32_e32 v17, v16
	v_fma_f32 v18, 0x3fb8aa3b, v67, -v16
	v_sub_f32_e32 v16, v16, v17
	s_delay_alu instid0(VALU_DEP_2) | instskip(SKIP_1) | instid1(VALU_DEP_2)
	v_fmac_f32_e32 v18, 0x32a5705f, v67
	v_cvt_i32_f32_e32 v17, v17
	v_add_f32_e32 v16, v16, v18
	s_delay_alu instid0(VALU_DEP_1) | instskip(SKIP_2) | instid1(VALU_DEP_1)
	v_exp_f32_e32 v16, v16
	s_waitcnt_depctr 0xfff
	v_ldexp_f32 v16, v16, v17
	v_cndmask_b32_e32 v16, 0, v16, vcc_lo
	v_cmp_nlt_f32_e32 vcc_lo, 0x42b17218, v67
	s_delay_alu instid0(VALU_DEP_2) | instskip(NEXT) | instid1(VALU_DEP_1)
	v_cndmask_b32_e32 v18, 0x7f800000, v16, vcc_lo
	v_add_f32_e32 v19, 1.0, v18
	s_delay_alu instid0(VALU_DEP_1) | instskip(NEXT) | instid1(VALU_DEP_1)
	v_cvt_f64_f32_e32 v[16:17], v19
	v_frexp_exp_i32_f64_e32 v16, v[16:17]
	v_frexp_mant_f32_e32 v17, v19
	s_delay_alu instid0(VALU_DEP_1) | instskip(SKIP_1) | instid1(VALU_DEP_1)
	v_cmp_gt_f32_e32 vcc_lo, 0x3f2aaaab, v17
	v_add_f32_e32 v17, -1.0, v19
	v_sub_f32_e32 v21, v17, v19
	v_sub_f32_e32 v17, v18, v17
	s_delay_alu instid0(VALU_DEP_2) | instskip(NEXT) | instid1(VALU_DEP_1)
	v_add_f32_e32 v21, 1.0, v21
	v_add_f32_e32 v17, v17, v21
	v_cmp_gt_f32_e64 s14, 0x33800000, v18
	v_subrev_co_ci_u32_e32 v16, vcc_lo, 0, v16, vcc_lo
	v_cmp_eq_f32_e32 vcc_lo, 0x7f800000, v18
	s_delay_alu instid0(VALU_DEP_2) | instskip(SKIP_2) | instid1(VALU_DEP_2)
	v_sub_nc_u32_e32 v20, 0, v16
	v_cvt_f32_i32_e32 v16, v16
	s_or_b32 vcc_lo, s14, vcc_lo
	v_ldexp_f32 v19, v19, v20
	v_ldexp_f32 v17, v17, v20
	s_delay_alu instid0(VALU_DEP_2) | instskip(NEXT) | instid1(VALU_DEP_1)
	v_add_f32_e32 v22, 1.0, v19
	v_dual_add_f32 v20, -1.0, v19 :: v_dual_add_f32 v21, -1.0, v22
	s_delay_alu instid0(VALU_DEP_1) | instskip(NEXT) | instid1(VALU_DEP_2)
	v_add_f32_e32 v23, 1.0, v20
	v_sub_f32_e32 v21, v19, v21
	s_delay_alu instid0(VALU_DEP_2) | instskip(NEXT) | instid1(VALU_DEP_2)
	v_sub_f32_e32 v19, v19, v23
	v_add_f32_e32 v21, v17, v21
	s_delay_alu instid0(VALU_DEP_2) | instskip(NEXT) | instid1(VALU_DEP_1)
	v_add_f32_e32 v17, v17, v19
	v_add_f32_e32 v24, v20, v17
	s_delay_alu instid0(VALU_DEP_1) | instskip(NEXT) | instid1(VALU_DEP_1)
	v_dual_add_f32 v23, v22, v21 :: v_dual_sub_f32 v20, v20, v24
	v_rcp_f32_e32 v19, v23
	v_sub_f32_e32 v22, v22, v23
	s_delay_alu instid0(VALU_DEP_1) | instskip(SKIP_2) | instid1(VALU_DEP_1)
	v_add_f32_e32 v21, v21, v22
	s_waitcnt_depctr 0xfff
	v_mul_f32_e32 v25, v24, v19
	v_mul_f32_e32 v26, v23, v25
	s_delay_alu instid0(VALU_DEP_1) | instskip(NEXT) | instid1(VALU_DEP_1)
	v_fma_f32 v22, v25, v23, -v26
	v_fmac_f32_e32 v22, v25, v21
	s_delay_alu instid0(VALU_DEP_1) | instskip(NEXT) | instid1(VALU_DEP_1)
	v_add_f32_e32 v27, v26, v22
	v_sub_f32_e32 v28, v24, v27
	s_delay_alu instid0(VALU_DEP_1) | instskip(SKIP_1) | instid1(VALU_DEP_2)
	v_sub_f32_e32 v24, v24, v28
	v_dual_add_f32 v17, v17, v20 :: v_dual_sub_f32 v20, v27, v26
	v_sub_f32_e32 v24, v24, v27
	s_delay_alu instid0(VALU_DEP_1) | instskip(NEXT) | instid1(VALU_DEP_1)
	v_dual_sub_f32 v20, v20, v22 :: v_dual_add_f32 v17, v17, v24
	v_add_f32_e32 v17, v20, v17
	s_delay_alu instid0(VALU_DEP_1) | instskip(NEXT) | instid1(VALU_DEP_1)
	v_add_f32_e32 v20, v28, v17
	v_mul_f32_e32 v22, v19, v20
	s_delay_alu instid0(VALU_DEP_1) | instskip(NEXT) | instid1(VALU_DEP_1)
	v_dual_sub_f32 v27, v28, v20 :: v_dual_mul_f32 v24, v23, v22
	v_add_f32_e32 v17, v17, v27
	s_delay_alu instid0(VALU_DEP_2) | instskip(NEXT) | instid1(VALU_DEP_1)
	v_fma_f32 v23, v22, v23, -v24
	v_fmac_f32_e32 v23, v22, v21
	s_delay_alu instid0(VALU_DEP_1) | instskip(NEXT) | instid1(VALU_DEP_1)
	v_add_f32_e32 v21, v24, v23
	v_sub_f32_e32 v26, v20, v21
	s_delay_alu instid0(VALU_DEP_1) | instskip(NEXT) | instid1(VALU_DEP_1)
	v_sub_f32_e32 v20, v20, v26
	v_sub_f32_e32 v20, v20, v21
	s_delay_alu instid0(VALU_DEP_1) | instskip(SKIP_2) | instid1(VALU_DEP_1)
	v_add_f32_e32 v17, v17, v20
	v_add_f32_e32 v20, v25, v22
	v_sub_f32_e32 v24, v21, v24
	v_sub_f32_e32 v21, v24, v23
	s_delay_alu instid0(VALU_DEP_1) | instskip(NEXT) | instid1(VALU_DEP_4)
	v_add_f32_e32 v17, v21, v17
	v_sub_f32_e32 v21, v20, v25
	s_delay_alu instid0(VALU_DEP_2) | instskip(NEXT) | instid1(VALU_DEP_2)
	v_add_f32_e32 v17, v26, v17
	v_sub_f32_e32 v21, v22, v21
	s_delay_alu instid0(VALU_DEP_2) | instskip(NEXT) | instid1(VALU_DEP_1)
	v_mul_f32_e32 v17, v19, v17
	v_add_f32_e32 v17, v21, v17
	s_delay_alu instid0(VALU_DEP_1) | instskip(NEXT) | instid1(VALU_DEP_1)
	v_add_f32_e32 v19, v20, v17
	v_mul_f32_e32 v21, v19, v19
	s_delay_alu instid0(VALU_DEP_1) | instskip(SKIP_1) | instid1(VALU_DEP_2)
	v_fmaak_f32 v22, s54, v21, 0x3ecc95a3
	v_mul_f32_e32 v23, v19, v21
	v_fmaak_f32 v21, v21, v22, 0x3f2aaada
	v_ldexp_f32 v22, v19, 1
	s_delay_alu instid0(VALU_DEP_2) | instskip(SKIP_1) | instid1(VALU_DEP_2)
	v_mul_f32_e32 v21, v23, v21
	v_sub_f32_e32 v19, v19, v20
	v_dual_mul_f32 v23, 0x3f317218, v16 :: v_dual_add_f32 v20, v22, v21
	s_delay_alu instid0(VALU_DEP_2) | instskip(NEXT) | instid1(VALU_DEP_2)
	v_sub_f32_e32 v17, v17, v19
	v_sub_f32_e32 v19, v20, v22
	s_delay_alu instid0(VALU_DEP_3) | instskip(NEXT) | instid1(VALU_DEP_3)
	v_fma_f32 v22, 0x3f317218, v16, -v23
	v_ldexp_f32 v17, v17, 1
	s_delay_alu instid0(VALU_DEP_2) | instskip(NEXT) | instid1(VALU_DEP_1)
	v_dual_sub_f32 v19, v21, v19 :: v_dual_fmac_f32 v22, 0xb102e308, v16
	v_dual_add_f32 v16, v17, v19 :: v_dual_add_f32 v17, v23, v22
	s_delay_alu instid0(VALU_DEP_1) | instskip(NEXT) | instid1(VALU_DEP_1)
	v_add_f32_e32 v19, v20, v16
	v_dual_add_f32 v21, v17, v19 :: v_dual_sub_f32 v20, v19, v20
	s_delay_alu instid0(VALU_DEP_1) | instskip(NEXT) | instid1(VALU_DEP_2)
	v_sub_f32_e32 v24, v21, v17
	v_dual_sub_f32 v23, v17, v23 :: v_dual_sub_f32 v16, v16, v20
	s_delay_alu instid0(VALU_DEP_1) | instskip(SKIP_1) | instid1(VALU_DEP_2)
	v_dual_sub_f32 v25, v21, v24 :: v_dual_sub_f32 v22, v22, v23
	v_sub_f32_e32 v19, v19, v24
	v_dual_sub_f32 v17, v17, v25 :: v_dual_add_f32 v20, v22, v16
	s_delay_alu instid0(VALU_DEP_1) | instskip(NEXT) | instid1(VALU_DEP_2)
	v_add_f32_e32 v17, v19, v17
	v_sub_f32_e32 v19, v20, v22
	s_delay_alu instid0(VALU_DEP_2) | instskip(NEXT) | instid1(VALU_DEP_2)
	v_add_f32_e32 v17, v20, v17
	v_sub_f32_e32 v20, v20, v19
	s_delay_alu instid0(VALU_DEP_2) | instskip(NEXT) | instid1(VALU_DEP_1)
	v_dual_sub_f32 v16, v16, v19 :: v_dual_add_f32 v23, v21, v17
	v_dual_sub_f32 v20, v22, v20 :: v_dual_sub_f32 v19, v23, v21
	s_delay_alu instid0(VALU_DEP_1) | instskip(NEXT) | instid1(VALU_DEP_1)
	v_dual_add_f32 v16, v16, v20 :: v_dual_sub_f32 v17, v17, v19
	v_add_f32_e32 v16, v16, v17
	s_delay_alu instid0(VALU_DEP_1) | instskip(NEXT) | instid1(VALU_DEP_1)
	v_add_f32_e32 v16, v23, v16
	v_cndmask_b32_e32 v67, v16, v18, vcc_lo
.LBB19_30:                              ;   in Loop: Header=BB19_12 Depth=1
	s_or_b32 exec_lo, exec_lo, s15
	v_and_b32_e32 v16, 0xffff0000, v6
	s_delay_alu instid0(VALU_DEP_1) | instskip(NEXT) | instid1(VALU_DEP_1)
	v_add_f32_e32 v68, s56, v16
	v_cmp_ge_f32_e32 vcc_lo, 0x41a00000, v68
	s_and_b32 s14, s66, vcc_lo
	s_delay_alu instid0(SALU_CYCLE_1)
	s_and_saveexec_b32 s15, s14
	s_cbranch_execz .LBB19_32
; %bb.31:                               ;   in Loop: Header=BB19_12 Depth=1
	v_mul_f32_e32 v16, 0x3fb8aa3b, v68
	v_cmp_ngt_f32_e32 vcc_lo, 0xc2ce8ed0, v68
	s_delay_alu instid0(VALU_DEP_2) | instskip(SKIP_1) | instid1(VALU_DEP_2)
	v_rndne_f32_e32 v17, v16
	v_fma_f32 v18, 0x3fb8aa3b, v68, -v16
	v_sub_f32_e32 v16, v16, v17
	s_delay_alu instid0(VALU_DEP_2) | instskip(SKIP_1) | instid1(VALU_DEP_2)
	v_fmac_f32_e32 v18, 0x32a5705f, v68
	v_cvt_i32_f32_e32 v17, v17
	v_add_f32_e32 v16, v16, v18
	s_delay_alu instid0(VALU_DEP_1) | instskip(SKIP_2) | instid1(VALU_DEP_1)
	v_exp_f32_e32 v16, v16
	s_waitcnt_depctr 0xfff
	v_ldexp_f32 v16, v16, v17
	v_cndmask_b32_e32 v16, 0, v16, vcc_lo
	v_cmp_nlt_f32_e32 vcc_lo, 0x42b17218, v68
	s_delay_alu instid0(VALU_DEP_2) | instskip(NEXT) | instid1(VALU_DEP_1)
	v_cndmask_b32_e32 v18, 0x7f800000, v16, vcc_lo
	v_add_f32_e32 v19, 1.0, v18
	s_delay_alu instid0(VALU_DEP_1) | instskip(NEXT) | instid1(VALU_DEP_1)
	v_cvt_f64_f32_e32 v[16:17], v19
	v_frexp_exp_i32_f64_e32 v16, v[16:17]
	v_frexp_mant_f32_e32 v17, v19
	s_delay_alu instid0(VALU_DEP_1) | instskip(SKIP_1) | instid1(VALU_DEP_1)
	v_cmp_gt_f32_e32 vcc_lo, 0x3f2aaaab, v17
	v_add_f32_e32 v17, -1.0, v19
	v_sub_f32_e32 v21, v17, v19
	v_sub_f32_e32 v17, v18, v17
	s_delay_alu instid0(VALU_DEP_2) | instskip(NEXT) | instid1(VALU_DEP_1)
	v_add_f32_e32 v21, 1.0, v21
	v_add_f32_e32 v17, v17, v21
	v_cmp_gt_f32_e64 s14, 0x33800000, v18
	v_subrev_co_ci_u32_e32 v16, vcc_lo, 0, v16, vcc_lo
	v_cmp_eq_f32_e32 vcc_lo, 0x7f800000, v18
	s_delay_alu instid0(VALU_DEP_2) | instskip(SKIP_2) | instid1(VALU_DEP_2)
	v_sub_nc_u32_e32 v20, 0, v16
	v_cvt_f32_i32_e32 v16, v16
	s_or_b32 vcc_lo, s14, vcc_lo
	v_ldexp_f32 v19, v19, v20
	v_ldexp_f32 v17, v17, v20
	s_delay_alu instid0(VALU_DEP_2) | instskip(NEXT) | instid1(VALU_DEP_1)
	v_add_f32_e32 v22, 1.0, v19
	v_dual_add_f32 v20, -1.0, v19 :: v_dual_add_f32 v21, -1.0, v22
	s_delay_alu instid0(VALU_DEP_1) | instskip(NEXT) | instid1(VALU_DEP_2)
	v_add_f32_e32 v23, 1.0, v20
	v_sub_f32_e32 v21, v19, v21
	s_delay_alu instid0(VALU_DEP_2) | instskip(NEXT) | instid1(VALU_DEP_2)
	v_sub_f32_e32 v19, v19, v23
	v_add_f32_e32 v21, v17, v21
	s_delay_alu instid0(VALU_DEP_2) | instskip(NEXT) | instid1(VALU_DEP_1)
	v_add_f32_e32 v17, v17, v19
	v_add_f32_e32 v24, v20, v17
	s_delay_alu instid0(VALU_DEP_1) | instskip(NEXT) | instid1(VALU_DEP_1)
	v_dual_add_f32 v23, v22, v21 :: v_dual_sub_f32 v20, v20, v24
	v_rcp_f32_e32 v19, v23
	v_sub_f32_e32 v22, v22, v23
	s_delay_alu instid0(VALU_DEP_1) | instskip(SKIP_2) | instid1(VALU_DEP_1)
	v_add_f32_e32 v21, v21, v22
	s_waitcnt_depctr 0xfff
	v_mul_f32_e32 v25, v24, v19
	v_mul_f32_e32 v26, v23, v25
	s_delay_alu instid0(VALU_DEP_1) | instskip(NEXT) | instid1(VALU_DEP_1)
	v_fma_f32 v22, v25, v23, -v26
	v_fmac_f32_e32 v22, v25, v21
	s_delay_alu instid0(VALU_DEP_1) | instskip(NEXT) | instid1(VALU_DEP_1)
	v_add_f32_e32 v27, v26, v22
	v_sub_f32_e32 v28, v24, v27
	s_delay_alu instid0(VALU_DEP_1) | instskip(SKIP_1) | instid1(VALU_DEP_2)
	v_sub_f32_e32 v24, v24, v28
	v_dual_add_f32 v17, v17, v20 :: v_dual_sub_f32 v20, v27, v26
	v_sub_f32_e32 v24, v24, v27
	s_delay_alu instid0(VALU_DEP_1) | instskip(NEXT) | instid1(VALU_DEP_1)
	v_dual_sub_f32 v20, v20, v22 :: v_dual_add_f32 v17, v17, v24
	v_add_f32_e32 v17, v20, v17
	s_delay_alu instid0(VALU_DEP_1) | instskip(NEXT) | instid1(VALU_DEP_1)
	v_add_f32_e32 v20, v28, v17
	v_mul_f32_e32 v22, v19, v20
	s_delay_alu instid0(VALU_DEP_1) | instskip(NEXT) | instid1(VALU_DEP_1)
	v_dual_sub_f32 v27, v28, v20 :: v_dual_mul_f32 v24, v23, v22
	v_add_f32_e32 v17, v17, v27
	s_delay_alu instid0(VALU_DEP_2) | instskip(NEXT) | instid1(VALU_DEP_1)
	v_fma_f32 v23, v22, v23, -v24
	v_fmac_f32_e32 v23, v22, v21
	s_delay_alu instid0(VALU_DEP_1) | instskip(NEXT) | instid1(VALU_DEP_1)
	v_add_f32_e32 v21, v24, v23
	v_sub_f32_e32 v26, v20, v21
	s_delay_alu instid0(VALU_DEP_1) | instskip(NEXT) | instid1(VALU_DEP_1)
	v_sub_f32_e32 v20, v20, v26
	v_sub_f32_e32 v20, v20, v21
	s_delay_alu instid0(VALU_DEP_1) | instskip(SKIP_2) | instid1(VALU_DEP_1)
	v_add_f32_e32 v17, v17, v20
	v_add_f32_e32 v20, v25, v22
	v_sub_f32_e32 v24, v21, v24
	v_sub_f32_e32 v21, v24, v23
	s_delay_alu instid0(VALU_DEP_1) | instskip(NEXT) | instid1(VALU_DEP_4)
	v_add_f32_e32 v17, v21, v17
	v_sub_f32_e32 v21, v20, v25
	s_delay_alu instid0(VALU_DEP_2) | instskip(NEXT) | instid1(VALU_DEP_2)
	v_add_f32_e32 v17, v26, v17
	v_sub_f32_e32 v21, v22, v21
	s_delay_alu instid0(VALU_DEP_2) | instskip(NEXT) | instid1(VALU_DEP_1)
	v_mul_f32_e32 v17, v19, v17
	v_add_f32_e32 v17, v21, v17
	s_delay_alu instid0(VALU_DEP_1) | instskip(NEXT) | instid1(VALU_DEP_1)
	v_add_f32_e32 v19, v20, v17
	v_mul_f32_e32 v21, v19, v19
	s_delay_alu instid0(VALU_DEP_1) | instskip(SKIP_1) | instid1(VALU_DEP_2)
	v_fmaak_f32 v22, s54, v21, 0x3ecc95a3
	v_mul_f32_e32 v23, v19, v21
	v_fmaak_f32 v21, v21, v22, 0x3f2aaada
	v_ldexp_f32 v22, v19, 1
	s_delay_alu instid0(VALU_DEP_2) | instskip(SKIP_1) | instid1(VALU_DEP_2)
	v_mul_f32_e32 v21, v23, v21
	v_sub_f32_e32 v19, v19, v20
	v_dual_mul_f32 v23, 0x3f317218, v16 :: v_dual_add_f32 v20, v22, v21
	s_delay_alu instid0(VALU_DEP_2) | instskip(NEXT) | instid1(VALU_DEP_2)
	v_sub_f32_e32 v17, v17, v19
	v_sub_f32_e32 v19, v20, v22
	s_delay_alu instid0(VALU_DEP_3) | instskip(NEXT) | instid1(VALU_DEP_3)
	v_fma_f32 v22, 0x3f317218, v16, -v23
	v_ldexp_f32 v17, v17, 1
	s_delay_alu instid0(VALU_DEP_2) | instskip(NEXT) | instid1(VALU_DEP_1)
	v_dual_sub_f32 v19, v21, v19 :: v_dual_fmac_f32 v22, 0xb102e308, v16
	v_dual_add_f32 v16, v17, v19 :: v_dual_add_f32 v17, v23, v22
	s_delay_alu instid0(VALU_DEP_1) | instskip(NEXT) | instid1(VALU_DEP_1)
	v_add_f32_e32 v19, v20, v16
	v_dual_add_f32 v21, v17, v19 :: v_dual_sub_f32 v20, v19, v20
	s_delay_alu instid0(VALU_DEP_1) | instskip(NEXT) | instid1(VALU_DEP_2)
	v_sub_f32_e32 v24, v21, v17
	v_dual_sub_f32 v23, v17, v23 :: v_dual_sub_f32 v16, v16, v20
	s_delay_alu instid0(VALU_DEP_1) | instskip(SKIP_1) | instid1(VALU_DEP_2)
	v_dual_sub_f32 v25, v21, v24 :: v_dual_sub_f32 v22, v22, v23
	v_sub_f32_e32 v19, v19, v24
	v_dual_sub_f32 v17, v17, v25 :: v_dual_add_f32 v20, v22, v16
	s_delay_alu instid0(VALU_DEP_1) | instskip(NEXT) | instid1(VALU_DEP_2)
	v_add_f32_e32 v17, v19, v17
	v_sub_f32_e32 v19, v20, v22
	s_delay_alu instid0(VALU_DEP_2) | instskip(NEXT) | instid1(VALU_DEP_2)
	v_add_f32_e32 v17, v20, v17
	v_sub_f32_e32 v20, v20, v19
	s_delay_alu instid0(VALU_DEP_2) | instskip(NEXT) | instid1(VALU_DEP_1)
	v_dual_sub_f32 v16, v16, v19 :: v_dual_add_f32 v23, v21, v17
	v_dual_sub_f32 v20, v22, v20 :: v_dual_sub_f32 v19, v23, v21
	s_delay_alu instid0(VALU_DEP_1) | instskip(NEXT) | instid1(VALU_DEP_1)
	v_dual_add_f32 v16, v16, v20 :: v_dual_sub_f32 v17, v17, v19
	v_add_f32_e32 v16, v16, v17
	s_delay_alu instid0(VALU_DEP_1) | instskip(NEXT) | instid1(VALU_DEP_1)
	v_add_f32_e32 v16, v23, v16
	v_cndmask_b32_e32 v68, v16, v18, vcc_lo
.LBB19_32:                              ;   in Loop: Header=BB19_12 Depth=1
	s_or_b32 exec_lo, exec_lo, s15
	v_lshlrev_b32_e32 v16, 16, v7
	s_delay_alu instid0(VALU_DEP_1) | instskip(NEXT) | instid1(VALU_DEP_1)
	v_add_f32_e32 v69, s56, v16
	v_cmp_ge_f32_e32 vcc_lo, 0x41a00000, v69
	s_and_b32 s14, s66, vcc_lo
	s_delay_alu instid0(SALU_CYCLE_1)
	s_and_saveexec_b32 s15, s14
	s_cbranch_execz .LBB19_34
; %bb.33:                               ;   in Loop: Header=BB19_12 Depth=1
	v_mul_f32_e32 v16, 0x3fb8aa3b, v69
	v_cmp_ngt_f32_e32 vcc_lo, 0xc2ce8ed0, v69
	s_delay_alu instid0(VALU_DEP_2) | instskip(SKIP_1) | instid1(VALU_DEP_2)
	v_rndne_f32_e32 v17, v16
	v_fma_f32 v18, 0x3fb8aa3b, v69, -v16
	v_sub_f32_e32 v16, v16, v17
	s_delay_alu instid0(VALU_DEP_2) | instskip(SKIP_1) | instid1(VALU_DEP_2)
	v_fmac_f32_e32 v18, 0x32a5705f, v69
	v_cvt_i32_f32_e32 v17, v17
	v_add_f32_e32 v16, v16, v18
	s_delay_alu instid0(VALU_DEP_1) | instskip(SKIP_2) | instid1(VALU_DEP_1)
	v_exp_f32_e32 v16, v16
	s_waitcnt_depctr 0xfff
	v_ldexp_f32 v16, v16, v17
	v_cndmask_b32_e32 v16, 0, v16, vcc_lo
	v_cmp_nlt_f32_e32 vcc_lo, 0x42b17218, v69
	s_delay_alu instid0(VALU_DEP_2) | instskip(NEXT) | instid1(VALU_DEP_1)
	v_cndmask_b32_e32 v18, 0x7f800000, v16, vcc_lo
	v_add_f32_e32 v19, 1.0, v18
	s_delay_alu instid0(VALU_DEP_1) | instskip(NEXT) | instid1(VALU_DEP_1)
	v_cvt_f64_f32_e32 v[16:17], v19
	v_frexp_exp_i32_f64_e32 v16, v[16:17]
	v_frexp_mant_f32_e32 v17, v19
	s_delay_alu instid0(VALU_DEP_1) | instskip(SKIP_1) | instid1(VALU_DEP_1)
	v_cmp_gt_f32_e32 vcc_lo, 0x3f2aaaab, v17
	v_add_f32_e32 v17, -1.0, v19
	v_sub_f32_e32 v21, v17, v19
	v_sub_f32_e32 v17, v18, v17
	s_delay_alu instid0(VALU_DEP_2) | instskip(NEXT) | instid1(VALU_DEP_1)
	v_add_f32_e32 v21, 1.0, v21
	v_add_f32_e32 v17, v17, v21
	v_cmp_gt_f32_e64 s14, 0x33800000, v18
	v_subrev_co_ci_u32_e32 v16, vcc_lo, 0, v16, vcc_lo
	v_cmp_eq_f32_e32 vcc_lo, 0x7f800000, v18
	s_delay_alu instid0(VALU_DEP_2) | instskip(SKIP_2) | instid1(VALU_DEP_2)
	v_sub_nc_u32_e32 v20, 0, v16
	v_cvt_f32_i32_e32 v16, v16
	s_or_b32 vcc_lo, s14, vcc_lo
	v_ldexp_f32 v19, v19, v20
	v_ldexp_f32 v17, v17, v20
	s_delay_alu instid0(VALU_DEP_2) | instskip(NEXT) | instid1(VALU_DEP_1)
	v_add_f32_e32 v22, 1.0, v19
	v_dual_add_f32 v20, -1.0, v19 :: v_dual_add_f32 v21, -1.0, v22
	s_delay_alu instid0(VALU_DEP_1) | instskip(NEXT) | instid1(VALU_DEP_2)
	v_add_f32_e32 v23, 1.0, v20
	v_sub_f32_e32 v21, v19, v21
	s_delay_alu instid0(VALU_DEP_2) | instskip(NEXT) | instid1(VALU_DEP_2)
	v_sub_f32_e32 v19, v19, v23
	v_add_f32_e32 v21, v17, v21
	s_delay_alu instid0(VALU_DEP_2) | instskip(NEXT) | instid1(VALU_DEP_1)
	v_add_f32_e32 v17, v17, v19
	v_add_f32_e32 v24, v20, v17
	s_delay_alu instid0(VALU_DEP_1) | instskip(NEXT) | instid1(VALU_DEP_1)
	v_dual_add_f32 v23, v22, v21 :: v_dual_sub_f32 v20, v20, v24
	v_rcp_f32_e32 v19, v23
	v_sub_f32_e32 v22, v22, v23
	s_delay_alu instid0(VALU_DEP_1) | instskip(SKIP_2) | instid1(VALU_DEP_1)
	v_add_f32_e32 v21, v21, v22
	s_waitcnt_depctr 0xfff
	v_mul_f32_e32 v25, v24, v19
	v_mul_f32_e32 v26, v23, v25
	s_delay_alu instid0(VALU_DEP_1) | instskip(NEXT) | instid1(VALU_DEP_1)
	v_fma_f32 v22, v25, v23, -v26
	v_fmac_f32_e32 v22, v25, v21
	s_delay_alu instid0(VALU_DEP_1) | instskip(NEXT) | instid1(VALU_DEP_1)
	v_add_f32_e32 v27, v26, v22
	v_sub_f32_e32 v28, v24, v27
	s_delay_alu instid0(VALU_DEP_1) | instskip(SKIP_1) | instid1(VALU_DEP_2)
	v_sub_f32_e32 v24, v24, v28
	v_dual_add_f32 v17, v17, v20 :: v_dual_sub_f32 v20, v27, v26
	v_sub_f32_e32 v24, v24, v27
	s_delay_alu instid0(VALU_DEP_1) | instskip(NEXT) | instid1(VALU_DEP_1)
	v_dual_sub_f32 v20, v20, v22 :: v_dual_add_f32 v17, v17, v24
	v_add_f32_e32 v17, v20, v17
	s_delay_alu instid0(VALU_DEP_1) | instskip(NEXT) | instid1(VALU_DEP_1)
	v_add_f32_e32 v20, v28, v17
	v_mul_f32_e32 v22, v19, v20
	s_delay_alu instid0(VALU_DEP_1) | instskip(NEXT) | instid1(VALU_DEP_1)
	v_dual_sub_f32 v27, v28, v20 :: v_dual_mul_f32 v24, v23, v22
	v_add_f32_e32 v17, v17, v27
	s_delay_alu instid0(VALU_DEP_2) | instskip(NEXT) | instid1(VALU_DEP_1)
	v_fma_f32 v23, v22, v23, -v24
	v_fmac_f32_e32 v23, v22, v21
	s_delay_alu instid0(VALU_DEP_1) | instskip(NEXT) | instid1(VALU_DEP_1)
	v_add_f32_e32 v21, v24, v23
	v_sub_f32_e32 v26, v20, v21
	s_delay_alu instid0(VALU_DEP_1) | instskip(NEXT) | instid1(VALU_DEP_1)
	v_sub_f32_e32 v20, v20, v26
	v_sub_f32_e32 v20, v20, v21
	s_delay_alu instid0(VALU_DEP_1) | instskip(SKIP_2) | instid1(VALU_DEP_1)
	v_add_f32_e32 v17, v17, v20
	v_add_f32_e32 v20, v25, v22
	v_sub_f32_e32 v24, v21, v24
	v_sub_f32_e32 v21, v24, v23
	s_delay_alu instid0(VALU_DEP_1) | instskip(NEXT) | instid1(VALU_DEP_4)
	v_add_f32_e32 v17, v21, v17
	v_sub_f32_e32 v21, v20, v25
	s_delay_alu instid0(VALU_DEP_2) | instskip(NEXT) | instid1(VALU_DEP_2)
	v_add_f32_e32 v17, v26, v17
	v_sub_f32_e32 v21, v22, v21
	s_delay_alu instid0(VALU_DEP_2) | instskip(NEXT) | instid1(VALU_DEP_1)
	v_mul_f32_e32 v17, v19, v17
	v_add_f32_e32 v17, v21, v17
	s_delay_alu instid0(VALU_DEP_1) | instskip(NEXT) | instid1(VALU_DEP_1)
	v_add_f32_e32 v19, v20, v17
	v_mul_f32_e32 v21, v19, v19
	s_delay_alu instid0(VALU_DEP_1) | instskip(SKIP_1) | instid1(VALU_DEP_2)
	v_fmaak_f32 v22, s54, v21, 0x3ecc95a3
	v_mul_f32_e32 v23, v19, v21
	v_fmaak_f32 v21, v21, v22, 0x3f2aaada
	v_ldexp_f32 v22, v19, 1
	s_delay_alu instid0(VALU_DEP_2) | instskip(SKIP_1) | instid1(VALU_DEP_2)
	v_mul_f32_e32 v21, v23, v21
	v_sub_f32_e32 v19, v19, v20
	v_dual_mul_f32 v23, 0x3f317218, v16 :: v_dual_add_f32 v20, v22, v21
	s_delay_alu instid0(VALU_DEP_2) | instskip(NEXT) | instid1(VALU_DEP_2)
	v_sub_f32_e32 v17, v17, v19
	v_sub_f32_e32 v19, v20, v22
	s_delay_alu instid0(VALU_DEP_3) | instskip(NEXT) | instid1(VALU_DEP_3)
	v_fma_f32 v22, 0x3f317218, v16, -v23
	v_ldexp_f32 v17, v17, 1
	s_delay_alu instid0(VALU_DEP_2) | instskip(NEXT) | instid1(VALU_DEP_1)
	v_dual_sub_f32 v19, v21, v19 :: v_dual_fmac_f32 v22, 0xb102e308, v16
	v_dual_add_f32 v16, v17, v19 :: v_dual_add_f32 v17, v23, v22
	s_delay_alu instid0(VALU_DEP_1) | instskip(NEXT) | instid1(VALU_DEP_1)
	v_add_f32_e32 v19, v20, v16
	v_dual_add_f32 v21, v17, v19 :: v_dual_sub_f32 v20, v19, v20
	s_delay_alu instid0(VALU_DEP_1) | instskip(NEXT) | instid1(VALU_DEP_2)
	v_sub_f32_e32 v24, v21, v17
	v_dual_sub_f32 v23, v17, v23 :: v_dual_sub_f32 v16, v16, v20
	s_delay_alu instid0(VALU_DEP_1) | instskip(SKIP_1) | instid1(VALU_DEP_2)
	v_dual_sub_f32 v25, v21, v24 :: v_dual_sub_f32 v22, v22, v23
	v_sub_f32_e32 v19, v19, v24
	v_dual_sub_f32 v17, v17, v25 :: v_dual_add_f32 v20, v22, v16
	s_delay_alu instid0(VALU_DEP_1) | instskip(NEXT) | instid1(VALU_DEP_2)
	v_add_f32_e32 v17, v19, v17
	v_sub_f32_e32 v19, v20, v22
	s_delay_alu instid0(VALU_DEP_2) | instskip(NEXT) | instid1(VALU_DEP_2)
	v_add_f32_e32 v17, v20, v17
	v_sub_f32_e32 v20, v20, v19
	s_delay_alu instid0(VALU_DEP_2) | instskip(NEXT) | instid1(VALU_DEP_1)
	v_dual_sub_f32 v16, v16, v19 :: v_dual_add_f32 v23, v21, v17
	v_dual_sub_f32 v20, v22, v20 :: v_dual_sub_f32 v19, v23, v21
	s_delay_alu instid0(VALU_DEP_1) | instskip(NEXT) | instid1(VALU_DEP_1)
	v_dual_add_f32 v16, v16, v20 :: v_dual_sub_f32 v17, v17, v19
	v_add_f32_e32 v16, v16, v17
	s_delay_alu instid0(VALU_DEP_1) | instskip(NEXT) | instid1(VALU_DEP_1)
	v_add_f32_e32 v16, v23, v16
	v_cndmask_b32_e32 v69, v16, v18, vcc_lo
.LBB19_34:                              ;   in Loop: Header=BB19_12 Depth=1
	s_or_b32 exec_lo, exec_lo, s15
	v_and_b32_e32 v16, 0xffff0000, v7
	s_delay_alu instid0(VALU_DEP_1) | instskip(NEXT) | instid1(VALU_DEP_1)
	v_add_f32_e32 v70, s56, v16
	v_cmp_ge_f32_e32 vcc_lo, 0x41a00000, v70
	s_and_b32 s14, s66, vcc_lo
	s_delay_alu instid0(SALU_CYCLE_1)
	s_and_saveexec_b32 s15, s14
	s_cbranch_execz .LBB19_36
; %bb.35:                               ;   in Loop: Header=BB19_12 Depth=1
	v_mul_f32_e32 v16, 0x3fb8aa3b, v70
	v_cmp_ngt_f32_e32 vcc_lo, 0xc2ce8ed0, v70
	s_delay_alu instid0(VALU_DEP_2) | instskip(SKIP_1) | instid1(VALU_DEP_2)
	v_rndne_f32_e32 v17, v16
	v_fma_f32 v18, 0x3fb8aa3b, v70, -v16
	v_sub_f32_e32 v16, v16, v17
	s_delay_alu instid0(VALU_DEP_2) | instskip(SKIP_1) | instid1(VALU_DEP_2)
	v_fmac_f32_e32 v18, 0x32a5705f, v70
	v_cvt_i32_f32_e32 v17, v17
	v_add_f32_e32 v16, v16, v18
	s_delay_alu instid0(VALU_DEP_1) | instskip(SKIP_2) | instid1(VALU_DEP_1)
	v_exp_f32_e32 v16, v16
	s_waitcnt_depctr 0xfff
	v_ldexp_f32 v16, v16, v17
	v_cndmask_b32_e32 v16, 0, v16, vcc_lo
	v_cmp_nlt_f32_e32 vcc_lo, 0x42b17218, v70
	s_delay_alu instid0(VALU_DEP_2) | instskip(NEXT) | instid1(VALU_DEP_1)
	v_cndmask_b32_e32 v18, 0x7f800000, v16, vcc_lo
	v_add_f32_e32 v19, 1.0, v18
	s_delay_alu instid0(VALU_DEP_1) | instskip(NEXT) | instid1(VALU_DEP_1)
	v_cvt_f64_f32_e32 v[16:17], v19
	v_frexp_exp_i32_f64_e32 v16, v[16:17]
	v_frexp_mant_f32_e32 v17, v19
	s_delay_alu instid0(VALU_DEP_1) | instskip(SKIP_1) | instid1(VALU_DEP_1)
	v_cmp_gt_f32_e32 vcc_lo, 0x3f2aaaab, v17
	v_add_f32_e32 v17, -1.0, v19
	v_sub_f32_e32 v21, v17, v19
	v_sub_f32_e32 v17, v18, v17
	s_delay_alu instid0(VALU_DEP_2) | instskip(NEXT) | instid1(VALU_DEP_1)
	v_add_f32_e32 v21, 1.0, v21
	v_add_f32_e32 v17, v17, v21
	v_cmp_gt_f32_e64 s14, 0x33800000, v18
	v_subrev_co_ci_u32_e32 v16, vcc_lo, 0, v16, vcc_lo
	v_cmp_eq_f32_e32 vcc_lo, 0x7f800000, v18
	s_delay_alu instid0(VALU_DEP_2) | instskip(SKIP_2) | instid1(VALU_DEP_2)
	v_sub_nc_u32_e32 v20, 0, v16
	v_cvt_f32_i32_e32 v16, v16
	s_or_b32 vcc_lo, s14, vcc_lo
	v_ldexp_f32 v19, v19, v20
	v_ldexp_f32 v17, v17, v20
	s_delay_alu instid0(VALU_DEP_2) | instskip(NEXT) | instid1(VALU_DEP_1)
	v_add_f32_e32 v22, 1.0, v19
	v_dual_add_f32 v20, -1.0, v19 :: v_dual_add_f32 v21, -1.0, v22
	s_delay_alu instid0(VALU_DEP_1) | instskip(NEXT) | instid1(VALU_DEP_2)
	v_add_f32_e32 v23, 1.0, v20
	v_sub_f32_e32 v21, v19, v21
	s_delay_alu instid0(VALU_DEP_2) | instskip(NEXT) | instid1(VALU_DEP_2)
	v_sub_f32_e32 v19, v19, v23
	v_add_f32_e32 v21, v17, v21
	s_delay_alu instid0(VALU_DEP_2) | instskip(NEXT) | instid1(VALU_DEP_1)
	v_add_f32_e32 v17, v17, v19
	v_add_f32_e32 v24, v20, v17
	s_delay_alu instid0(VALU_DEP_1) | instskip(NEXT) | instid1(VALU_DEP_1)
	v_dual_add_f32 v23, v22, v21 :: v_dual_sub_f32 v20, v20, v24
	v_rcp_f32_e32 v19, v23
	v_sub_f32_e32 v22, v22, v23
	s_delay_alu instid0(VALU_DEP_1) | instskip(SKIP_2) | instid1(VALU_DEP_1)
	v_add_f32_e32 v21, v21, v22
	s_waitcnt_depctr 0xfff
	v_mul_f32_e32 v25, v24, v19
	v_mul_f32_e32 v26, v23, v25
	s_delay_alu instid0(VALU_DEP_1) | instskip(NEXT) | instid1(VALU_DEP_1)
	v_fma_f32 v22, v25, v23, -v26
	v_fmac_f32_e32 v22, v25, v21
	s_delay_alu instid0(VALU_DEP_1) | instskip(NEXT) | instid1(VALU_DEP_1)
	v_add_f32_e32 v27, v26, v22
	v_sub_f32_e32 v28, v24, v27
	s_delay_alu instid0(VALU_DEP_1) | instskip(SKIP_1) | instid1(VALU_DEP_2)
	v_sub_f32_e32 v24, v24, v28
	v_dual_add_f32 v17, v17, v20 :: v_dual_sub_f32 v20, v27, v26
	v_sub_f32_e32 v24, v24, v27
	s_delay_alu instid0(VALU_DEP_1) | instskip(NEXT) | instid1(VALU_DEP_1)
	v_dual_sub_f32 v20, v20, v22 :: v_dual_add_f32 v17, v17, v24
	v_add_f32_e32 v17, v20, v17
	s_delay_alu instid0(VALU_DEP_1) | instskip(NEXT) | instid1(VALU_DEP_1)
	v_add_f32_e32 v20, v28, v17
	v_mul_f32_e32 v22, v19, v20
	s_delay_alu instid0(VALU_DEP_1) | instskip(NEXT) | instid1(VALU_DEP_1)
	v_dual_sub_f32 v27, v28, v20 :: v_dual_mul_f32 v24, v23, v22
	v_add_f32_e32 v17, v17, v27
	s_delay_alu instid0(VALU_DEP_2) | instskip(NEXT) | instid1(VALU_DEP_1)
	v_fma_f32 v23, v22, v23, -v24
	v_fmac_f32_e32 v23, v22, v21
	s_delay_alu instid0(VALU_DEP_1) | instskip(NEXT) | instid1(VALU_DEP_1)
	v_add_f32_e32 v21, v24, v23
	v_sub_f32_e32 v26, v20, v21
	s_delay_alu instid0(VALU_DEP_1) | instskip(NEXT) | instid1(VALU_DEP_1)
	v_sub_f32_e32 v20, v20, v26
	v_sub_f32_e32 v20, v20, v21
	s_delay_alu instid0(VALU_DEP_1) | instskip(SKIP_2) | instid1(VALU_DEP_1)
	v_add_f32_e32 v17, v17, v20
	v_add_f32_e32 v20, v25, v22
	v_sub_f32_e32 v24, v21, v24
	v_sub_f32_e32 v21, v24, v23
	s_delay_alu instid0(VALU_DEP_1) | instskip(NEXT) | instid1(VALU_DEP_4)
	v_add_f32_e32 v17, v21, v17
	v_sub_f32_e32 v21, v20, v25
	s_delay_alu instid0(VALU_DEP_2) | instskip(NEXT) | instid1(VALU_DEP_2)
	v_add_f32_e32 v17, v26, v17
	v_sub_f32_e32 v21, v22, v21
	s_delay_alu instid0(VALU_DEP_2) | instskip(NEXT) | instid1(VALU_DEP_1)
	v_mul_f32_e32 v17, v19, v17
	v_add_f32_e32 v17, v21, v17
	s_delay_alu instid0(VALU_DEP_1) | instskip(NEXT) | instid1(VALU_DEP_1)
	v_add_f32_e32 v19, v20, v17
	v_mul_f32_e32 v21, v19, v19
	s_delay_alu instid0(VALU_DEP_1) | instskip(SKIP_1) | instid1(VALU_DEP_2)
	v_fmaak_f32 v22, s54, v21, 0x3ecc95a3
	v_mul_f32_e32 v23, v19, v21
	v_fmaak_f32 v21, v21, v22, 0x3f2aaada
	v_ldexp_f32 v22, v19, 1
	s_delay_alu instid0(VALU_DEP_2) | instskip(SKIP_1) | instid1(VALU_DEP_2)
	v_mul_f32_e32 v21, v23, v21
	v_sub_f32_e32 v19, v19, v20
	v_dual_mul_f32 v23, 0x3f317218, v16 :: v_dual_add_f32 v20, v22, v21
	s_delay_alu instid0(VALU_DEP_2) | instskip(NEXT) | instid1(VALU_DEP_2)
	v_sub_f32_e32 v17, v17, v19
	v_sub_f32_e32 v19, v20, v22
	s_delay_alu instid0(VALU_DEP_3) | instskip(NEXT) | instid1(VALU_DEP_3)
	v_fma_f32 v22, 0x3f317218, v16, -v23
	v_ldexp_f32 v17, v17, 1
	s_delay_alu instid0(VALU_DEP_2) | instskip(NEXT) | instid1(VALU_DEP_1)
	v_dual_sub_f32 v19, v21, v19 :: v_dual_fmac_f32 v22, 0xb102e308, v16
	v_dual_add_f32 v16, v17, v19 :: v_dual_add_f32 v17, v23, v22
	s_delay_alu instid0(VALU_DEP_1) | instskip(NEXT) | instid1(VALU_DEP_1)
	v_add_f32_e32 v19, v20, v16
	v_dual_add_f32 v21, v17, v19 :: v_dual_sub_f32 v20, v19, v20
	s_delay_alu instid0(VALU_DEP_1) | instskip(NEXT) | instid1(VALU_DEP_2)
	v_sub_f32_e32 v24, v21, v17
	v_dual_sub_f32 v23, v17, v23 :: v_dual_sub_f32 v16, v16, v20
	s_delay_alu instid0(VALU_DEP_1) | instskip(SKIP_1) | instid1(VALU_DEP_2)
	v_dual_sub_f32 v25, v21, v24 :: v_dual_sub_f32 v22, v22, v23
	v_sub_f32_e32 v19, v19, v24
	v_dual_sub_f32 v17, v17, v25 :: v_dual_add_f32 v20, v22, v16
	s_delay_alu instid0(VALU_DEP_1) | instskip(NEXT) | instid1(VALU_DEP_2)
	v_add_f32_e32 v17, v19, v17
	v_sub_f32_e32 v19, v20, v22
	s_delay_alu instid0(VALU_DEP_2) | instskip(NEXT) | instid1(VALU_DEP_2)
	v_add_f32_e32 v17, v20, v17
	v_sub_f32_e32 v20, v20, v19
	s_delay_alu instid0(VALU_DEP_2) | instskip(NEXT) | instid1(VALU_DEP_1)
	v_dual_sub_f32 v16, v16, v19 :: v_dual_add_f32 v23, v21, v17
	v_dual_sub_f32 v20, v22, v20 :: v_dual_sub_f32 v19, v23, v21
	s_delay_alu instid0(VALU_DEP_1) | instskip(NEXT) | instid1(VALU_DEP_1)
	v_dual_add_f32 v16, v16, v20 :: v_dual_sub_f32 v17, v17, v19
	v_add_f32_e32 v16, v16, v17
	s_delay_alu instid0(VALU_DEP_1) | instskip(NEXT) | instid1(VALU_DEP_1)
	v_add_f32_e32 v16, v23, v16
	v_cndmask_b32_e32 v70, v16, v18, vcc_lo
.LBB19_36:                              ;   in Loop: Header=BB19_12 Depth=1
	s_or_b32 exec_lo, exec_lo, s15
	s_waitcnt lgkmcnt(0)
	v_lshlrev_b32_e32 v16, 16, v0
	s_delay_alu instid0(VALU_DEP_1) | instskip(NEXT) | instid1(VALU_DEP_1)
	v_add_f32_e32 v71, s56, v16
	v_cmp_ge_f32_e32 vcc_lo, 0x41a00000, v71
	s_and_b32 s14, s66, vcc_lo
	s_delay_alu instid0(SALU_CYCLE_1)
	s_and_saveexec_b32 s15, s14
	s_cbranch_execz .LBB19_38
; %bb.37:                               ;   in Loop: Header=BB19_12 Depth=1
	v_mul_f32_e32 v16, 0x3fb8aa3b, v71
	v_cmp_ngt_f32_e32 vcc_lo, 0xc2ce8ed0, v71
	s_delay_alu instid0(VALU_DEP_2) | instskip(SKIP_1) | instid1(VALU_DEP_2)
	v_rndne_f32_e32 v17, v16
	v_fma_f32 v18, 0x3fb8aa3b, v71, -v16
	v_sub_f32_e32 v16, v16, v17
	s_delay_alu instid0(VALU_DEP_2) | instskip(SKIP_1) | instid1(VALU_DEP_2)
	v_fmac_f32_e32 v18, 0x32a5705f, v71
	v_cvt_i32_f32_e32 v17, v17
	v_add_f32_e32 v16, v16, v18
	s_delay_alu instid0(VALU_DEP_1) | instskip(SKIP_2) | instid1(VALU_DEP_1)
	v_exp_f32_e32 v16, v16
	s_waitcnt_depctr 0xfff
	v_ldexp_f32 v16, v16, v17
	v_cndmask_b32_e32 v16, 0, v16, vcc_lo
	v_cmp_nlt_f32_e32 vcc_lo, 0x42b17218, v71
	s_delay_alu instid0(VALU_DEP_2) | instskip(NEXT) | instid1(VALU_DEP_1)
	v_cndmask_b32_e32 v18, 0x7f800000, v16, vcc_lo
	v_add_f32_e32 v19, 1.0, v18
	s_delay_alu instid0(VALU_DEP_1) | instskip(NEXT) | instid1(VALU_DEP_1)
	v_cvt_f64_f32_e32 v[16:17], v19
	v_frexp_exp_i32_f64_e32 v16, v[16:17]
	v_frexp_mant_f32_e32 v17, v19
	s_delay_alu instid0(VALU_DEP_1) | instskip(SKIP_1) | instid1(VALU_DEP_1)
	v_cmp_gt_f32_e32 vcc_lo, 0x3f2aaaab, v17
	v_add_f32_e32 v17, -1.0, v19
	v_sub_f32_e32 v21, v17, v19
	v_sub_f32_e32 v17, v18, v17
	s_delay_alu instid0(VALU_DEP_2) | instskip(NEXT) | instid1(VALU_DEP_1)
	v_add_f32_e32 v21, 1.0, v21
	v_add_f32_e32 v17, v17, v21
	v_cmp_gt_f32_e64 s14, 0x33800000, v18
	v_subrev_co_ci_u32_e32 v16, vcc_lo, 0, v16, vcc_lo
	v_cmp_eq_f32_e32 vcc_lo, 0x7f800000, v18
	s_delay_alu instid0(VALU_DEP_2) | instskip(SKIP_2) | instid1(VALU_DEP_2)
	v_sub_nc_u32_e32 v20, 0, v16
	v_cvt_f32_i32_e32 v16, v16
	s_or_b32 vcc_lo, s14, vcc_lo
	v_ldexp_f32 v19, v19, v20
	v_ldexp_f32 v17, v17, v20
	s_delay_alu instid0(VALU_DEP_2) | instskip(NEXT) | instid1(VALU_DEP_1)
	v_add_f32_e32 v22, 1.0, v19
	v_dual_add_f32 v20, -1.0, v19 :: v_dual_add_f32 v21, -1.0, v22
	s_delay_alu instid0(VALU_DEP_1) | instskip(NEXT) | instid1(VALU_DEP_2)
	v_add_f32_e32 v23, 1.0, v20
	v_sub_f32_e32 v21, v19, v21
	s_delay_alu instid0(VALU_DEP_2) | instskip(NEXT) | instid1(VALU_DEP_2)
	v_sub_f32_e32 v19, v19, v23
	v_add_f32_e32 v21, v17, v21
	s_delay_alu instid0(VALU_DEP_2) | instskip(NEXT) | instid1(VALU_DEP_1)
	v_add_f32_e32 v17, v17, v19
	v_add_f32_e32 v24, v20, v17
	s_delay_alu instid0(VALU_DEP_1) | instskip(NEXT) | instid1(VALU_DEP_1)
	v_dual_add_f32 v23, v22, v21 :: v_dual_sub_f32 v20, v20, v24
	v_rcp_f32_e32 v19, v23
	v_sub_f32_e32 v22, v22, v23
	s_delay_alu instid0(VALU_DEP_1) | instskip(SKIP_2) | instid1(VALU_DEP_1)
	v_add_f32_e32 v21, v21, v22
	s_waitcnt_depctr 0xfff
	v_mul_f32_e32 v25, v24, v19
	v_mul_f32_e32 v26, v23, v25
	s_delay_alu instid0(VALU_DEP_1) | instskip(NEXT) | instid1(VALU_DEP_1)
	v_fma_f32 v22, v25, v23, -v26
	v_fmac_f32_e32 v22, v25, v21
	s_delay_alu instid0(VALU_DEP_1) | instskip(NEXT) | instid1(VALU_DEP_1)
	v_add_f32_e32 v27, v26, v22
	v_sub_f32_e32 v28, v24, v27
	s_delay_alu instid0(VALU_DEP_1) | instskip(SKIP_1) | instid1(VALU_DEP_2)
	v_sub_f32_e32 v24, v24, v28
	v_dual_add_f32 v17, v17, v20 :: v_dual_sub_f32 v20, v27, v26
	v_sub_f32_e32 v24, v24, v27
	s_delay_alu instid0(VALU_DEP_1) | instskip(NEXT) | instid1(VALU_DEP_1)
	v_dual_sub_f32 v20, v20, v22 :: v_dual_add_f32 v17, v17, v24
	v_add_f32_e32 v17, v20, v17
	s_delay_alu instid0(VALU_DEP_1) | instskip(NEXT) | instid1(VALU_DEP_1)
	v_add_f32_e32 v20, v28, v17
	v_mul_f32_e32 v22, v19, v20
	s_delay_alu instid0(VALU_DEP_1) | instskip(NEXT) | instid1(VALU_DEP_1)
	v_dual_sub_f32 v27, v28, v20 :: v_dual_mul_f32 v24, v23, v22
	v_add_f32_e32 v17, v17, v27
	s_delay_alu instid0(VALU_DEP_2) | instskip(NEXT) | instid1(VALU_DEP_1)
	v_fma_f32 v23, v22, v23, -v24
	v_fmac_f32_e32 v23, v22, v21
	s_delay_alu instid0(VALU_DEP_1) | instskip(NEXT) | instid1(VALU_DEP_1)
	v_add_f32_e32 v21, v24, v23
	v_sub_f32_e32 v26, v20, v21
	s_delay_alu instid0(VALU_DEP_1) | instskip(NEXT) | instid1(VALU_DEP_1)
	v_sub_f32_e32 v20, v20, v26
	v_sub_f32_e32 v20, v20, v21
	s_delay_alu instid0(VALU_DEP_1) | instskip(SKIP_2) | instid1(VALU_DEP_1)
	v_add_f32_e32 v17, v17, v20
	v_add_f32_e32 v20, v25, v22
	v_sub_f32_e32 v24, v21, v24
	v_sub_f32_e32 v21, v24, v23
	s_delay_alu instid0(VALU_DEP_1) | instskip(NEXT) | instid1(VALU_DEP_4)
	v_add_f32_e32 v17, v21, v17
	v_sub_f32_e32 v21, v20, v25
	s_delay_alu instid0(VALU_DEP_2) | instskip(NEXT) | instid1(VALU_DEP_2)
	v_add_f32_e32 v17, v26, v17
	v_sub_f32_e32 v21, v22, v21
	s_delay_alu instid0(VALU_DEP_2) | instskip(NEXT) | instid1(VALU_DEP_1)
	v_mul_f32_e32 v17, v19, v17
	v_add_f32_e32 v17, v21, v17
	s_delay_alu instid0(VALU_DEP_1) | instskip(NEXT) | instid1(VALU_DEP_1)
	v_add_f32_e32 v19, v20, v17
	v_mul_f32_e32 v21, v19, v19
	s_delay_alu instid0(VALU_DEP_1) | instskip(SKIP_1) | instid1(VALU_DEP_2)
	v_fmaak_f32 v22, s54, v21, 0x3ecc95a3
	v_mul_f32_e32 v23, v19, v21
	v_fmaak_f32 v21, v21, v22, 0x3f2aaada
	v_ldexp_f32 v22, v19, 1
	s_delay_alu instid0(VALU_DEP_2) | instskip(SKIP_1) | instid1(VALU_DEP_2)
	v_mul_f32_e32 v21, v23, v21
	v_sub_f32_e32 v19, v19, v20
	v_dual_mul_f32 v23, 0x3f317218, v16 :: v_dual_add_f32 v20, v22, v21
	s_delay_alu instid0(VALU_DEP_2) | instskip(NEXT) | instid1(VALU_DEP_2)
	v_sub_f32_e32 v17, v17, v19
	v_sub_f32_e32 v19, v20, v22
	s_delay_alu instid0(VALU_DEP_3) | instskip(NEXT) | instid1(VALU_DEP_3)
	v_fma_f32 v22, 0x3f317218, v16, -v23
	v_ldexp_f32 v17, v17, 1
	s_delay_alu instid0(VALU_DEP_2) | instskip(NEXT) | instid1(VALU_DEP_1)
	v_dual_sub_f32 v19, v21, v19 :: v_dual_fmac_f32 v22, 0xb102e308, v16
	v_dual_add_f32 v16, v17, v19 :: v_dual_add_f32 v17, v23, v22
	s_delay_alu instid0(VALU_DEP_1) | instskip(NEXT) | instid1(VALU_DEP_1)
	v_add_f32_e32 v19, v20, v16
	v_dual_add_f32 v21, v17, v19 :: v_dual_sub_f32 v20, v19, v20
	s_delay_alu instid0(VALU_DEP_1) | instskip(NEXT) | instid1(VALU_DEP_2)
	v_sub_f32_e32 v24, v21, v17
	v_dual_sub_f32 v23, v17, v23 :: v_dual_sub_f32 v16, v16, v20
	s_delay_alu instid0(VALU_DEP_1) | instskip(SKIP_1) | instid1(VALU_DEP_2)
	v_dual_sub_f32 v25, v21, v24 :: v_dual_sub_f32 v22, v22, v23
	v_sub_f32_e32 v19, v19, v24
	v_dual_sub_f32 v17, v17, v25 :: v_dual_add_f32 v20, v22, v16
	s_delay_alu instid0(VALU_DEP_1) | instskip(NEXT) | instid1(VALU_DEP_2)
	v_add_f32_e32 v17, v19, v17
	v_sub_f32_e32 v19, v20, v22
	s_delay_alu instid0(VALU_DEP_2) | instskip(NEXT) | instid1(VALU_DEP_2)
	v_add_f32_e32 v17, v20, v17
	v_sub_f32_e32 v20, v20, v19
	s_delay_alu instid0(VALU_DEP_2) | instskip(NEXT) | instid1(VALU_DEP_1)
	v_dual_sub_f32 v16, v16, v19 :: v_dual_add_f32 v23, v21, v17
	v_dual_sub_f32 v20, v22, v20 :: v_dual_sub_f32 v19, v23, v21
	s_delay_alu instid0(VALU_DEP_1) | instskip(NEXT) | instid1(VALU_DEP_1)
	v_dual_add_f32 v16, v16, v20 :: v_dual_sub_f32 v17, v17, v19
	v_add_f32_e32 v16, v16, v17
	s_delay_alu instid0(VALU_DEP_1) | instskip(NEXT) | instid1(VALU_DEP_1)
	v_add_f32_e32 v16, v23, v16
	v_cndmask_b32_e32 v71, v16, v18, vcc_lo
.LBB19_38:                              ;   in Loop: Header=BB19_12 Depth=1
	s_or_b32 exec_lo, exec_lo, s15
	v_and_b32_e32 v16, 0xffff0000, v0
	s_delay_alu instid0(VALU_DEP_1) | instskip(NEXT) | instid1(VALU_DEP_1)
	v_add_f32_e32 v72, s56, v16
	v_cmp_ge_f32_e32 vcc_lo, 0x41a00000, v72
	s_and_b32 s14, s66, vcc_lo
	s_delay_alu instid0(SALU_CYCLE_1)
	s_and_saveexec_b32 s15, s14
	s_cbranch_execz .LBB19_40
; %bb.39:                               ;   in Loop: Header=BB19_12 Depth=1
	v_mul_f32_e32 v16, 0x3fb8aa3b, v72
	v_cmp_ngt_f32_e32 vcc_lo, 0xc2ce8ed0, v72
	s_delay_alu instid0(VALU_DEP_2) | instskip(SKIP_1) | instid1(VALU_DEP_2)
	v_rndne_f32_e32 v17, v16
	v_fma_f32 v18, 0x3fb8aa3b, v72, -v16
	v_sub_f32_e32 v16, v16, v17
	s_delay_alu instid0(VALU_DEP_2) | instskip(SKIP_1) | instid1(VALU_DEP_2)
	v_fmac_f32_e32 v18, 0x32a5705f, v72
	v_cvt_i32_f32_e32 v17, v17
	v_add_f32_e32 v16, v16, v18
	s_delay_alu instid0(VALU_DEP_1) | instskip(SKIP_2) | instid1(VALU_DEP_1)
	v_exp_f32_e32 v16, v16
	s_waitcnt_depctr 0xfff
	v_ldexp_f32 v16, v16, v17
	v_cndmask_b32_e32 v16, 0, v16, vcc_lo
	v_cmp_nlt_f32_e32 vcc_lo, 0x42b17218, v72
	s_delay_alu instid0(VALU_DEP_2) | instskip(NEXT) | instid1(VALU_DEP_1)
	v_cndmask_b32_e32 v18, 0x7f800000, v16, vcc_lo
	v_add_f32_e32 v19, 1.0, v18
	s_delay_alu instid0(VALU_DEP_1) | instskip(NEXT) | instid1(VALU_DEP_1)
	v_cvt_f64_f32_e32 v[16:17], v19
	v_frexp_exp_i32_f64_e32 v16, v[16:17]
	v_frexp_mant_f32_e32 v17, v19
	s_delay_alu instid0(VALU_DEP_1) | instskip(SKIP_1) | instid1(VALU_DEP_1)
	v_cmp_gt_f32_e32 vcc_lo, 0x3f2aaaab, v17
	v_add_f32_e32 v17, -1.0, v19
	v_sub_f32_e32 v21, v17, v19
	v_sub_f32_e32 v17, v18, v17
	s_delay_alu instid0(VALU_DEP_2) | instskip(NEXT) | instid1(VALU_DEP_1)
	v_add_f32_e32 v21, 1.0, v21
	v_add_f32_e32 v17, v17, v21
	v_cmp_gt_f32_e64 s14, 0x33800000, v18
	v_subrev_co_ci_u32_e32 v16, vcc_lo, 0, v16, vcc_lo
	v_cmp_eq_f32_e32 vcc_lo, 0x7f800000, v18
	s_delay_alu instid0(VALU_DEP_2) | instskip(SKIP_2) | instid1(VALU_DEP_2)
	v_sub_nc_u32_e32 v20, 0, v16
	v_cvt_f32_i32_e32 v16, v16
	s_or_b32 vcc_lo, s14, vcc_lo
	v_ldexp_f32 v19, v19, v20
	v_ldexp_f32 v17, v17, v20
	s_delay_alu instid0(VALU_DEP_2) | instskip(NEXT) | instid1(VALU_DEP_1)
	v_add_f32_e32 v22, 1.0, v19
	v_dual_add_f32 v20, -1.0, v19 :: v_dual_add_f32 v21, -1.0, v22
	s_delay_alu instid0(VALU_DEP_1) | instskip(NEXT) | instid1(VALU_DEP_2)
	v_add_f32_e32 v23, 1.0, v20
	v_sub_f32_e32 v21, v19, v21
	s_delay_alu instid0(VALU_DEP_2) | instskip(NEXT) | instid1(VALU_DEP_2)
	v_sub_f32_e32 v19, v19, v23
	v_add_f32_e32 v21, v17, v21
	s_delay_alu instid0(VALU_DEP_2) | instskip(NEXT) | instid1(VALU_DEP_1)
	v_add_f32_e32 v17, v17, v19
	v_add_f32_e32 v24, v20, v17
	s_delay_alu instid0(VALU_DEP_1) | instskip(NEXT) | instid1(VALU_DEP_1)
	v_dual_add_f32 v23, v22, v21 :: v_dual_sub_f32 v20, v20, v24
	v_rcp_f32_e32 v19, v23
	v_sub_f32_e32 v22, v22, v23
	s_delay_alu instid0(VALU_DEP_1) | instskip(SKIP_2) | instid1(VALU_DEP_1)
	v_add_f32_e32 v21, v21, v22
	s_waitcnt_depctr 0xfff
	v_mul_f32_e32 v25, v24, v19
	v_mul_f32_e32 v26, v23, v25
	s_delay_alu instid0(VALU_DEP_1) | instskip(NEXT) | instid1(VALU_DEP_1)
	v_fma_f32 v22, v25, v23, -v26
	v_fmac_f32_e32 v22, v25, v21
	s_delay_alu instid0(VALU_DEP_1) | instskip(NEXT) | instid1(VALU_DEP_1)
	v_add_f32_e32 v27, v26, v22
	v_sub_f32_e32 v28, v24, v27
	s_delay_alu instid0(VALU_DEP_1) | instskip(SKIP_1) | instid1(VALU_DEP_2)
	v_sub_f32_e32 v24, v24, v28
	v_dual_add_f32 v17, v17, v20 :: v_dual_sub_f32 v20, v27, v26
	v_sub_f32_e32 v24, v24, v27
	s_delay_alu instid0(VALU_DEP_1) | instskip(NEXT) | instid1(VALU_DEP_1)
	v_dual_sub_f32 v20, v20, v22 :: v_dual_add_f32 v17, v17, v24
	v_add_f32_e32 v17, v20, v17
	s_delay_alu instid0(VALU_DEP_1) | instskip(NEXT) | instid1(VALU_DEP_1)
	v_add_f32_e32 v20, v28, v17
	v_mul_f32_e32 v22, v19, v20
	s_delay_alu instid0(VALU_DEP_1) | instskip(NEXT) | instid1(VALU_DEP_1)
	v_dual_sub_f32 v27, v28, v20 :: v_dual_mul_f32 v24, v23, v22
	v_add_f32_e32 v17, v17, v27
	s_delay_alu instid0(VALU_DEP_2) | instskip(NEXT) | instid1(VALU_DEP_1)
	v_fma_f32 v23, v22, v23, -v24
	v_fmac_f32_e32 v23, v22, v21
	s_delay_alu instid0(VALU_DEP_1) | instskip(NEXT) | instid1(VALU_DEP_1)
	v_add_f32_e32 v21, v24, v23
	v_sub_f32_e32 v26, v20, v21
	s_delay_alu instid0(VALU_DEP_1) | instskip(NEXT) | instid1(VALU_DEP_1)
	v_sub_f32_e32 v20, v20, v26
	v_sub_f32_e32 v20, v20, v21
	s_delay_alu instid0(VALU_DEP_1) | instskip(SKIP_2) | instid1(VALU_DEP_1)
	v_add_f32_e32 v17, v17, v20
	v_add_f32_e32 v20, v25, v22
	v_sub_f32_e32 v24, v21, v24
	v_sub_f32_e32 v21, v24, v23
	s_delay_alu instid0(VALU_DEP_1) | instskip(NEXT) | instid1(VALU_DEP_4)
	v_add_f32_e32 v17, v21, v17
	v_sub_f32_e32 v21, v20, v25
	s_delay_alu instid0(VALU_DEP_2) | instskip(NEXT) | instid1(VALU_DEP_2)
	v_add_f32_e32 v17, v26, v17
	v_sub_f32_e32 v21, v22, v21
	s_delay_alu instid0(VALU_DEP_2) | instskip(NEXT) | instid1(VALU_DEP_1)
	v_mul_f32_e32 v17, v19, v17
	v_add_f32_e32 v17, v21, v17
	s_delay_alu instid0(VALU_DEP_1) | instskip(NEXT) | instid1(VALU_DEP_1)
	v_add_f32_e32 v19, v20, v17
	v_mul_f32_e32 v21, v19, v19
	s_delay_alu instid0(VALU_DEP_1) | instskip(SKIP_1) | instid1(VALU_DEP_2)
	v_fmaak_f32 v22, s54, v21, 0x3ecc95a3
	v_mul_f32_e32 v23, v19, v21
	v_fmaak_f32 v21, v21, v22, 0x3f2aaada
	v_ldexp_f32 v22, v19, 1
	s_delay_alu instid0(VALU_DEP_2) | instskip(SKIP_1) | instid1(VALU_DEP_2)
	v_mul_f32_e32 v21, v23, v21
	v_sub_f32_e32 v19, v19, v20
	v_dual_mul_f32 v23, 0x3f317218, v16 :: v_dual_add_f32 v20, v22, v21
	s_delay_alu instid0(VALU_DEP_2) | instskip(NEXT) | instid1(VALU_DEP_2)
	v_sub_f32_e32 v17, v17, v19
	v_sub_f32_e32 v19, v20, v22
	s_delay_alu instid0(VALU_DEP_3) | instskip(NEXT) | instid1(VALU_DEP_3)
	v_fma_f32 v22, 0x3f317218, v16, -v23
	v_ldexp_f32 v17, v17, 1
	s_delay_alu instid0(VALU_DEP_2) | instskip(NEXT) | instid1(VALU_DEP_1)
	v_dual_sub_f32 v19, v21, v19 :: v_dual_fmac_f32 v22, 0xb102e308, v16
	v_dual_add_f32 v16, v17, v19 :: v_dual_add_f32 v17, v23, v22
	s_delay_alu instid0(VALU_DEP_1) | instskip(NEXT) | instid1(VALU_DEP_1)
	v_add_f32_e32 v19, v20, v16
	v_dual_add_f32 v21, v17, v19 :: v_dual_sub_f32 v20, v19, v20
	s_delay_alu instid0(VALU_DEP_1) | instskip(NEXT) | instid1(VALU_DEP_2)
	v_sub_f32_e32 v24, v21, v17
	v_dual_sub_f32 v23, v17, v23 :: v_dual_sub_f32 v16, v16, v20
	s_delay_alu instid0(VALU_DEP_1) | instskip(SKIP_1) | instid1(VALU_DEP_2)
	v_dual_sub_f32 v25, v21, v24 :: v_dual_sub_f32 v22, v22, v23
	v_sub_f32_e32 v19, v19, v24
	v_dual_sub_f32 v17, v17, v25 :: v_dual_add_f32 v20, v22, v16
	s_delay_alu instid0(VALU_DEP_1) | instskip(NEXT) | instid1(VALU_DEP_2)
	v_add_f32_e32 v17, v19, v17
	v_sub_f32_e32 v19, v20, v22
	s_delay_alu instid0(VALU_DEP_2) | instskip(NEXT) | instid1(VALU_DEP_2)
	v_add_f32_e32 v17, v20, v17
	v_sub_f32_e32 v20, v20, v19
	s_delay_alu instid0(VALU_DEP_2) | instskip(NEXT) | instid1(VALU_DEP_1)
	v_dual_sub_f32 v16, v16, v19 :: v_dual_add_f32 v23, v21, v17
	v_dual_sub_f32 v20, v22, v20 :: v_dual_sub_f32 v19, v23, v21
	s_delay_alu instid0(VALU_DEP_1) | instskip(NEXT) | instid1(VALU_DEP_1)
	v_dual_add_f32 v16, v16, v20 :: v_dual_sub_f32 v17, v17, v19
	v_add_f32_e32 v16, v16, v17
	s_delay_alu instid0(VALU_DEP_1) | instskip(NEXT) | instid1(VALU_DEP_1)
	v_add_f32_e32 v16, v23, v16
	v_cndmask_b32_e32 v72, v16, v18, vcc_lo
.LBB19_40:                              ;   in Loop: Header=BB19_12 Depth=1
	s_or_b32 exec_lo, exec_lo, s15
	v_lshlrev_b32_e32 v16, 16, v1
	s_delay_alu instid0(VALU_DEP_1) | instskip(NEXT) | instid1(VALU_DEP_1)
	v_add_f32_e32 v73, s56, v16
	v_cmp_ge_f32_e32 vcc_lo, 0x41a00000, v73
	s_and_b32 s14, s66, vcc_lo
	s_delay_alu instid0(SALU_CYCLE_1)
	s_and_saveexec_b32 s15, s14
	s_cbranch_execz .LBB19_42
; %bb.41:                               ;   in Loop: Header=BB19_12 Depth=1
	v_mul_f32_e32 v16, 0x3fb8aa3b, v73
	v_cmp_ngt_f32_e32 vcc_lo, 0xc2ce8ed0, v73
	s_delay_alu instid0(VALU_DEP_2) | instskip(SKIP_1) | instid1(VALU_DEP_2)
	v_rndne_f32_e32 v17, v16
	v_fma_f32 v18, 0x3fb8aa3b, v73, -v16
	v_sub_f32_e32 v16, v16, v17
	s_delay_alu instid0(VALU_DEP_2) | instskip(SKIP_1) | instid1(VALU_DEP_2)
	v_fmac_f32_e32 v18, 0x32a5705f, v73
	v_cvt_i32_f32_e32 v17, v17
	v_add_f32_e32 v16, v16, v18
	s_delay_alu instid0(VALU_DEP_1) | instskip(SKIP_2) | instid1(VALU_DEP_1)
	v_exp_f32_e32 v16, v16
	s_waitcnt_depctr 0xfff
	v_ldexp_f32 v16, v16, v17
	v_cndmask_b32_e32 v16, 0, v16, vcc_lo
	v_cmp_nlt_f32_e32 vcc_lo, 0x42b17218, v73
	s_delay_alu instid0(VALU_DEP_2) | instskip(NEXT) | instid1(VALU_DEP_1)
	v_cndmask_b32_e32 v18, 0x7f800000, v16, vcc_lo
	v_add_f32_e32 v19, 1.0, v18
	s_delay_alu instid0(VALU_DEP_1) | instskip(NEXT) | instid1(VALU_DEP_1)
	v_cvt_f64_f32_e32 v[16:17], v19
	v_frexp_exp_i32_f64_e32 v16, v[16:17]
	v_frexp_mant_f32_e32 v17, v19
	s_delay_alu instid0(VALU_DEP_1) | instskip(SKIP_1) | instid1(VALU_DEP_1)
	v_cmp_gt_f32_e32 vcc_lo, 0x3f2aaaab, v17
	v_add_f32_e32 v17, -1.0, v19
	v_sub_f32_e32 v21, v17, v19
	v_sub_f32_e32 v17, v18, v17
	s_delay_alu instid0(VALU_DEP_2) | instskip(NEXT) | instid1(VALU_DEP_1)
	v_add_f32_e32 v21, 1.0, v21
	v_add_f32_e32 v17, v17, v21
	v_cmp_gt_f32_e64 s14, 0x33800000, v18
	v_subrev_co_ci_u32_e32 v16, vcc_lo, 0, v16, vcc_lo
	v_cmp_eq_f32_e32 vcc_lo, 0x7f800000, v18
	s_delay_alu instid0(VALU_DEP_2) | instskip(SKIP_2) | instid1(VALU_DEP_2)
	v_sub_nc_u32_e32 v20, 0, v16
	v_cvt_f32_i32_e32 v16, v16
	s_or_b32 vcc_lo, s14, vcc_lo
	v_ldexp_f32 v19, v19, v20
	v_ldexp_f32 v17, v17, v20
	s_delay_alu instid0(VALU_DEP_2) | instskip(NEXT) | instid1(VALU_DEP_1)
	v_add_f32_e32 v22, 1.0, v19
	v_dual_add_f32 v20, -1.0, v19 :: v_dual_add_f32 v21, -1.0, v22
	s_delay_alu instid0(VALU_DEP_1) | instskip(NEXT) | instid1(VALU_DEP_2)
	v_add_f32_e32 v23, 1.0, v20
	v_sub_f32_e32 v21, v19, v21
	s_delay_alu instid0(VALU_DEP_2) | instskip(NEXT) | instid1(VALU_DEP_2)
	v_sub_f32_e32 v19, v19, v23
	v_add_f32_e32 v21, v17, v21
	s_delay_alu instid0(VALU_DEP_2) | instskip(NEXT) | instid1(VALU_DEP_1)
	v_add_f32_e32 v17, v17, v19
	v_add_f32_e32 v24, v20, v17
	s_delay_alu instid0(VALU_DEP_1) | instskip(NEXT) | instid1(VALU_DEP_1)
	v_dual_add_f32 v23, v22, v21 :: v_dual_sub_f32 v20, v20, v24
	v_rcp_f32_e32 v19, v23
	v_sub_f32_e32 v22, v22, v23
	s_delay_alu instid0(VALU_DEP_1) | instskip(SKIP_2) | instid1(VALU_DEP_1)
	v_add_f32_e32 v21, v21, v22
	s_waitcnt_depctr 0xfff
	v_mul_f32_e32 v25, v24, v19
	v_mul_f32_e32 v26, v23, v25
	s_delay_alu instid0(VALU_DEP_1) | instskip(NEXT) | instid1(VALU_DEP_1)
	v_fma_f32 v22, v25, v23, -v26
	v_fmac_f32_e32 v22, v25, v21
	s_delay_alu instid0(VALU_DEP_1) | instskip(NEXT) | instid1(VALU_DEP_1)
	v_add_f32_e32 v27, v26, v22
	v_sub_f32_e32 v28, v24, v27
	s_delay_alu instid0(VALU_DEP_1) | instskip(SKIP_1) | instid1(VALU_DEP_2)
	v_sub_f32_e32 v24, v24, v28
	v_dual_add_f32 v17, v17, v20 :: v_dual_sub_f32 v20, v27, v26
	v_sub_f32_e32 v24, v24, v27
	s_delay_alu instid0(VALU_DEP_1) | instskip(NEXT) | instid1(VALU_DEP_1)
	v_dual_sub_f32 v20, v20, v22 :: v_dual_add_f32 v17, v17, v24
	v_add_f32_e32 v17, v20, v17
	s_delay_alu instid0(VALU_DEP_1) | instskip(NEXT) | instid1(VALU_DEP_1)
	v_add_f32_e32 v20, v28, v17
	v_mul_f32_e32 v22, v19, v20
	s_delay_alu instid0(VALU_DEP_1) | instskip(NEXT) | instid1(VALU_DEP_1)
	v_dual_sub_f32 v27, v28, v20 :: v_dual_mul_f32 v24, v23, v22
	v_add_f32_e32 v17, v17, v27
	s_delay_alu instid0(VALU_DEP_2) | instskip(NEXT) | instid1(VALU_DEP_1)
	v_fma_f32 v23, v22, v23, -v24
	v_fmac_f32_e32 v23, v22, v21
	s_delay_alu instid0(VALU_DEP_1) | instskip(NEXT) | instid1(VALU_DEP_1)
	v_add_f32_e32 v21, v24, v23
	v_sub_f32_e32 v26, v20, v21
	s_delay_alu instid0(VALU_DEP_1) | instskip(NEXT) | instid1(VALU_DEP_1)
	v_sub_f32_e32 v20, v20, v26
	v_sub_f32_e32 v20, v20, v21
	s_delay_alu instid0(VALU_DEP_1) | instskip(SKIP_2) | instid1(VALU_DEP_1)
	v_add_f32_e32 v17, v17, v20
	v_add_f32_e32 v20, v25, v22
	v_sub_f32_e32 v24, v21, v24
	v_sub_f32_e32 v21, v24, v23
	s_delay_alu instid0(VALU_DEP_1) | instskip(NEXT) | instid1(VALU_DEP_4)
	v_add_f32_e32 v17, v21, v17
	v_sub_f32_e32 v21, v20, v25
	s_delay_alu instid0(VALU_DEP_2) | instskip(NEXT) | instid1(VALU_DEP_2)
	v_add_f32_e32 v17, v26, v17
	v_sub_f32_e32 v21, v22, v21
	s_delay_alu instid0(VALU_DEP_2) | instskip(NEXT) | instid1(VALU_DEP_1)
	v_mul_f32_e32 v17, v19, v17
	v_add_f32_e32 v17, v21, v17
	s_delay_alu instid0(VALU_DEP_1) | instskip(NEXT) | instid1(VALU_DEP_1)
	v_add_f32_e32 v19, v20, v17
	v_mul_f32_e32 v21, v19, v19
	s_delay_alu instid0(VALU_DEP_1) | instskip(SKIP_1) | instid1(VALU_DEP_2)
	v_fmaak_f32 v22, s54, v21, 0x3ecc95a3
	v_mul_f32_e32 v23, v19, v21
	v_fmaak_f32 v21, v21, v22, 0x3f2aaada
	v_ldexp_f32 v22, v19, 1
	s_delay_alu instid0(VALU_DEP_2) | instskip(SKIP_1) | instid1(VALU_DEP_2)
	v_mul_f32_e32 v21, v23, v21
	v_sub_f32_e32 v19, v19, v20
	v_dual_mul_f32 v23, 0x3f317218, v16 :: v_dual_add_f32 v20, v22, v21
	s_delay_alu instid0(VALU_DEP_2) | instskip(NEXT) | instid1(VALU_DEP_2)
	v_sub_f32_e32 v17, v17, v19
	v_sub_f32_e32 v19, v20, v22
	s_delay_alu instid0(VALU_DEP_3) | instskip(NEXT) | instid1(VALU_DEP_3)
	v_fma_f32 v22, 0x3f317218, v16, -v23
	v_ldexp_f32 v17, v17, 1
	s_delay_alu instid0(VALU_DEP_2) | instskip(NEXT) | instid1(VALU_DEP_1)
	v_dual_sub_f32 v19, v21, v19 :: v_dual_fmac_f32 v22, 0xb102e308, v16
	v_dual_add_f32 v16, v17, v19 :: v_dual_add_f32 v17, v23, v22
	s_delay_alu instid0(VALU_DEP_1) | instskip(NEXT) | instid1(VALU_DEP_1)
	v_add_f32_e32 v19, v20, v16
	v_dual_add_f32 v21, v17, v19 :: v_dual_sub_f32 v20, v19, v20
	s_delay_alu instid0(VALU_DEP_1) | instskip(NEXT) | instid1(VALU_DEP_2)
	v_sub_f32_e32 v24, v21, v17
	v_dual_sub_f32 v23, v17, v23 :: v_dual_sub_f32 v16, v16, v20
	s_delay_alu instid0(VALU_DEP_1) | instskip(SKIP_1) | instid1(VALU_DEP_2)
	v_dual_sub_f32 v25, v21, v24 :: v_dual_sub_f32 v22, v22, v23
	v_sub_f32_e32 v19, v19, v24
	v_dual_sub_f32 v17, v17, v25 :: v_dual_add_f32 v20, v22, v16
	s_delay_alu instid0(VALU_DEP_1) | instskip(NEXT) | instid1(VALU_DEP_2)
	v_add_f32_e32 v17, v19, v17
	v_sub_f32_e32 v19, v20, v22
	s_delay_alu instid0(VALU_DEP_2) | instskip(NEXT) | instid1(VALU_DEP_2)
	v_add_f32_e32 v17, v20, v17
	v_sub_f32_e32 v20, v20, v19
	s_delay_alu instid0(VALU_DEP_2) | instskip(NEXT) | instid1(VALU_DEP_1)
	v_dual_sub_f32 v16, v16, v19 :: v_dual_add_f32 v23, v21, v17
	v_dual_sub_f32 v20, v22, v20 :: v_dual_sub_f32 v19, v23, v21
	s_delay_alu instid0(VALU_DEP_1) | instskip(NEXT) | instid1(VALU_DEP_1)
	v_dual_add_f32 v16, v16, v20 :: v_dual_sub_f32 v17, v17, v19
	v_add_f32_e32 v16, v16, v17
	s_delay_alu instid0(VALU_DEP_1) | instskip(NEXT) | instid1(VALU_DEP_1)
	v_add_f32_e32 v16, v23, v16
	v_cndmask_b32_e32 v73, v16, v18, vcc_lo
.LBB19_42:                              ;   in Loop: Header=BB19_12 Depth=1
	s_or_b32 exec_lo, exec_lo, s15
	v_and_b32_e32 v16, 0xffff0000, v1
	s_delay_alu instid0(VALU_DEP_1) | instskip(NEXT) | instid1(VALU_DEP_1)
	v_add_f32_e32 v74, s56, v16
	v_cmp_ge_f32_e32 vcc_lo, 0x41a00000, v74
	s_and_b32 s14, s66, vcc_lo
	s_delay_alu instid0(SALU_CYCLE_1)
	s_and_saveexec_b32 s15, s14
	s_cbranch_execz .LBB19_44
; %bb.43:                               ;   in Loop: Header=BB19_12 Depth=1
	v_mul_f32_e32 v16, 0x3fb8aa3b, v74
	v_cmp_ngt_f32_e32 vcc_lo, 0xc2ce8ed0, v74
	s_delay_alu instid0(VALU_DEP_2) | instskip(SKIP_1) | instid1(VALU_DEP_2)
	v_rndne_f32_e32 v17, v16
	v_fma_f32 v18, 0x3fb8aa3b, v74, -v16
	v_sub_f32_e32 v16, v16, v17
	s_delay_alu instid0(VALU_DEP_2) | instskip(SKIP_1) | instid1(VALU_DEP_2)
	v_fmac_f32_e32 v18, 0x32a5705f, v74
	v_cvt_i32_f32_e32 v17, v17
	v_add_f32_e32 v16, v16, v18
	s_delay_alu instid0(VALU_DEP_1) | instskip(SKIP_2) | instid1(VALU_DEP_1)
	v_exp_f32_e32 v16, v16
	s_waitcnt_depctr 0xfff
	v_ldexp_f32 v16, v16, v17
	v_cndmask_b32_e32 v16, 0, v16, vcc_lo
	v_cmp_nlt_f32_e32 vcc_lo, 0x42b17218, v74
	s_delay_alu instid0(VALU_DEP_2) | instskip(NEXT) | instid1(VALU_DEP_1)
	v_cndmask_b32_e32 v18, 0x7f800000, v16, vcc_lo
	v_add_f32_e32 v19, 1.0, v18
	s_delay_alu instid0(VALU_DEP_1) | instskip(NEXT) | instid1(VALU_DEP_1)
	v_cvt_f64_f32_e32 v[16:17], v19
	v_frexp_exp_i32_f64_e32 v16, v[16:17]
	v_frexp_mant_f32_e32 v17, v19
	s_delay_alu instid0(VALU_DEP_1) | instskip(SKIP_1) | instid1(VALU_DEP_1)
	v_cmp_gt_f32_e32 vcc_lo, 0x3f2aaaab, v17
	v_add_f32_e32 v17, -1.0, v19
	v_sub_f32_e32 v21, v17, v19
	v_sub_f32_e32 v17, v18, v17
	s_delay_alu instid0(VALU_DEP_2) | instskip(NEXT) | instid1(VALU_DEP_1)
	v_add_f32_e32 v21, 1.0, v21
	v_add_f32_e32 v17, v17, v21
	v_cmp_gt_f32_e64 s14, 0x33800000, v18
	v_subrev_co_ci_u32_e32 v16, vcc_lo, 0, v16, vcc_lo
	v_cmp_eq_f32_e32 vcc_lo, 0x7f800000, v18
	s_delay_alu instid0(VALU_DEP_2) | instskip(SKIP_2) | instid1(VALU_DEP_2)
	v_sub_nc_u32_e32 v20, 0, v16
	v_cvt_f32_i32_e32 v16, v16
	s_or_b32 vcc_lo, s14, vcc_lo
	v_ldexp_f32 v19, v19, v20
	v_ldexp_f32 v17, v17, v20
	s_delay_alu instid0(VALU_DEP_2) | instskip(NEXT) | instid1(VALU_DEP_1)
	v_add_f32_e32 v22, 1.0, v19
	v_dual_add_f32 v20, -1.0, v19 :: v_dual_add_f32 v21, -1.0, v22
	s_delay_alu instid0(VALU_DEP_1) | instskip(NEXT) | instid1(VALU_DEP_2)
	v_add_f32_e32 v23, 1.0, v20
	v_sub_f32_e32 v21, v19, v21
	s_delay_alu instid0(VALU_DEP_2) | instskip(NEXT) | instid1(VALU_DEP_2)
	v_sub_f32_e32 v19, v19, v23
	v_add_f32_e32 v21, v17, v21
	s_delay_alu instid0(VALU_DEP_2) | instskip(NEXT) | instid1(VALU_DEP_1)
	v_add_f32_e32 v17, v17, v19
	v_add_f32_e32 v24, v20, v17
	s_delay_alu instid0(VALU_DEP_1) | instskip(NEXT) | instid1(VALU_DEP_1)
	v_dual_add_f32 v23, v22, v21 :: v_dual_sub_f32 v20, v20, v24
	v_rcp_f32_e32 v19, v23
	v_sub_f32_e32 v22, v22, v23
	s_delay_alu instid0(VALU_DEP_1) | instskip(SKIP_2) | instid1(VALU_DEP_1)
	v_add_f32_e32 v21, v21, v22
	s_waitcnt_depctr 0xfff
	v_mul_f32_e32 v25, v24, v19
	v_mul_f32_e32 v26, v23, v25
	s_delay_alu instid0(VALU_DEP_1) | instskip(NEXT) | instid1(VALU_DEP_1)
	v_fma_f32 v22, v25, v23, -v26
	v_fmac_f32_e32 v22, v25, v21
	s_delay_alu instid0(VALU_DEP_1) | instskip(NEXT) | instid1(VALU_DEP_1)
	v_add_f32_e32 v27, v26, v22
	v_sub_f32_e32 v28, v24, v27
	s_delay_alu instid0(VALU_DEP_1) | instskip(SKIP_1) | instid1(VALU_DEP_2)
	v_sub_f32_e32 v24, v24, v28
	v_dual_add_f32 v17, v17, v20 :: v_dual_sub_f32 v20, v27, v26
	v_sub_f32_e32 v24, v24, v27
	s_delay_alu instid0(VALU_DEP_1) | instskip(NEXT) | instid1(VALU_DEP_1)
	v_dual_sub_f32 v20, v20, v22 :: v_dual_add_f32 v17, v17, v24
	v_add_f32_e32 v17, v20, v17
	s_delay_alu instid0(VALU_DEP_1) | instskip(NEXT) | instid1(VALU_DEP_1)
	v_add_f32_e32 v20, v28, v17
	v_mul_f32_e32 v22, v19, v20
	s_delay_alu instid0(VALU_DEP_1) | instskip(NEXT) | instid1(VALU_DEP_1)
	v_dual_sub_f32 v27, v28, v20 :: v_dual_mul_f32 v24, v23, v22
	v_add_f32_e32 v17, v17, v27
	s_delay_alu instid0(VALU_DEP_2) | instskip(NEXT) | instid1(VALU_DEP_1)
	v_fma_f32 v23, v22, v23, -v24
	v_fmac_f32_e32 v23, v22, v21
	s_delay_alu instid0(VALU_DEP_1) | instskip(NEXT) | instid1(VALU_DEP_1)
	v_add_f32_e32 v21, v24, v23
	v_sub_f32_e32 v26, v20, v21
	s_delay_alu instid0(VALU_DEP_1) | instskip(NEXT) | instid1(VALU_DEP_1)
	v_sub_f32_e32 v20, v20, v26
	v_sub_f32_e32 v20, v20, v21
	s_delay_alu instid0(VALU_DEP_1) | instskip(SKIP_2) | instid1(VALU_DEP_1)
	v_add_f32_e32 v17, v17, v20
	v_add_f32_e32 v20, v25, v22
	v_sub_f32_e32 v24, v21, v24
	v_sub_f32_e32 v21, v24, v23
	s_delay_alu instid0(VALU_DEP_1) | instskip(NEXT) | instid1(VALU_DEP_4)
	v_add_f32_e32 v17, v21, v17
	v_sub_f32_e32 v21, v20, v25
	s_delay_alu instid0(VALU_DEP_2) | instskip(NEXT) | instid1(VALU_DEP_2)
	v_add_f32_e32 v17, v26, v17
	v_sub_f32_e32 v21, v22, v21
	s_delay_alu instid0(VALU_DEP_2) | instskip(NEXT) | instid1(VALU_DEP_1)
	v_mul_f32_e32 v17, v19, v17
	v_add_f32_e32 v17, v21, v17
	s_delay_alu instid0(VALU_DEP_1) | instskip(NEXT) | instid1(VALU_DEP_1)
	v_add_f32_e32 v19, v20, v17
	v_mul_f32_e32 v21, v19, v19
	s_delay_alu instid0(VALU_DEP_1) | instskip(SKIP_1) | instid1(VALU_DEP_2)
	v_fmaak_f32 v22, s54, v21, 0x3ecc95a3
	v_mul_f32_e32 v23, v19, v21
	v_fmaak_f32 v21, v21, v22, 0x3f2aaada
	v_ldexp_f32 v22, v19, 1
	s_delay_alu instid0(VALU_DEP_2) | instskip(SKIP_1) | instid1(VALU_DEP_2)
	v_mul_f32_e32 v21, v23, v21
	v_sub_f32_e32 v19, v19, v20
	v_dual_mul_f32 v23, 0x3f317218, v16 :: v_dual_add_f32 v20, v22, v21
	s_delay_alu instid0(VALU_DEP_2) | instskip(NEXT) | instid1(VALU_DEP_2)
	v_sub_f32_e32 v17, v17, v19
	v_sub_f32_e32 v19, v20, v22
	s_delay_alu instid0(VALU_DEP_3) | instskip(NEXT) | instid1(VALU_DEP_3)
	v_fma_f32 v22, 0x3f317218, v16, -v23
	v_ldexp_f32 v17, v17, 1
	s_delay_alu instid0(VALU_DEP_2) | instskip(NEXT) | instid1(VALU_DEP_1)
	v_dual_sub_f32 v19, v21, v19 :: v_dual_fmac_f32 v22, 0xb102e308, v16
	v_dual_add_f32 v16, v17, v19 :: v_dual_add_f32 v17, v23, v22
	s_delay_alu instid0(VALU_DEP_1) | instskip(NEXT) | instid1(VALU_DEP_1)
	v_add_f32_e32 v19, v20, v16
	v_dual_add_f32 v21, v17, v19 :: v_dual_sub_f32 v20, v19, v20
	s_delay_alu instid0(VALU_DEP_1) | instskip(NEXT) | instid1(VALU_DEP_2)
	v_sub_f32_e32 v24, v21, v17
	v_dual_sub_f32 v23, v17, v23 :: v_dual_sub_f32 v16, v16, v20
	s_delay_alu instid0(VALU_DEP_1) | instskip(SKIP_1) | instid1(VALU_DEP_2)
	v_dual_sub_f32 v25, v21, v24 :: v_dual_sub_f32 v22, v22, v23
	v_sub_f32_e32 v19, v19, v24
	v_dual_sub_f32 v17, v17, v25 :: v_dual_add_f32 v20, v22, v16
	s_delay_alu instid0(VALU_DEP_1) | instskip(NEXT) | instid1(VALU_DEP_2)
	v_add_f32_e32 v17, v19, v17
	v_sub_f32_e32 v19, v20, v22
	s_delay_alu instid0(VALU_DEP_2) | instskip(NEXT) | instid1(VALU_DEP_2)
	v_add_f32_e32 v17, v20, v17
	v_sub_f32_e32 v20, v20, v19
	s_delay_alu instid0(VALU_DEP_2) | instskip(NEXT) | instid1(VALU_DEP_1)
	v_dual_sub_f32 v16, v16, v19 :: v_dual_add_f32 v23, v21, v17
	v_dual_sub_f32 v20, v22, v20 :: v_dual_sub_f32 v19, v23, v21
	s_delay_alu instid0(VALU_DEP_1) | instskip(NEXT) | instid1(VALU_DEP_1)
	v_dual_add_f32 v16, v16, v20 :: v_dual_sub_f32 v17, v17, v19
	v_add_f32_e32 v16, v16, v17
	s_delay_alu instid0(VALU_DEP_1) | instskip(NEXT) | instid1(VALU_DEP_1)
	v_add_f32_e32 v16, v23, v16
	v_cndmask_b32_e32 v74, v16, v18, vcc_lo
.LBB19_44:                              ;   in Loop: Header=BB19_12 Depth=1
	s_or_b32 exec_lo, exec_lo, s15
	v_lshlrev_b32_e32 v16, 16, v2
	s_delay_alu instid0(VALU_DEP_1) | instskip(NEXT) | instid1(VALU_DEP_1)
	v_add_f32_e32 v75, s56, v16
	v_cmp_ge_f32_e32 vcc_lo, 0x41a00000, v75
	s_and_b32 s14, s66, vcc_lo
	s_delay_alu instid0(SALU_CYCLE_1)
	s_and_saveexec_b32 s15, s14
	s_cbranch_execz .LBB19_46
; %bb.45:                               ;   in Loop: Header=BB19_12 Depth=1
	v_mul_f32_e32 v16, 0x3fb8aa3b, v75
	v_cmp_ngt_f32_e32 vcc_lo, 0xc2ce8ed0, v75
	s_delay_alu instid0(VALU_DEP_2) | instskip(SKIP_1) | instid1(VALU_DEP_2)
	v_rndne_f32_e32 v17, v16
	v_fma_f32 v18, 0x3fb8aa3b, v75, -v16
	v_sub_f32_e32 v16, v16, v17
	s_delay_alu instid0(VALU_DEP_2) | instskip(SKIP_1) | instid1(VALU_DEP_2)
	v_fmac_f32_e32 v18, 0x32a5705f, v75
	v_cvt_i32_f32_e32 v17, v17
	v_add_f32_e32 v16, v16, v18
	s_delay_alu instid0(VALU_DEP_1) | instskip(SKIP_2) | instid1(VALU_DEP_1)
	v_exp_f32_e32 v16, v16
	s_waitcnt_depctr 0xfff
	v_ldexp_f32 v16, v16, v17
	v_cndmask_b32_e32 v16, 0, v16, vcc_lo
	v_cmp_nlt_f32_e32 vcc_lo, 0x42b17218, v75
	s_delay_alu instid0(VALU_DEP_2) | instskip(NEXT) | instid1(VALU_DEP_1)
	v_cndmask_b32_e32 v18, 0x7f800000, v16, vcc_lo
	v_add_f32_e32 v19, 1.0, v18
	s_delay_alu instid0(VALU_DEP_1) | instskip(NEXT) | instid1(VALU_DEP_1)
	v_cvt_f64_f32_e32 v[16:17], v19
	v_frexp_exp_i32_f64_e32 v16, v[16:17]
	v_frexp_mant_f32_e32 v17, v19
	s_delay_alu instid0(VALU_DEP_1) | instskip(SKIP_1) | instid1(VALU_DEP_1)
	v_cmp_gt_f32_e32 vcc_lo, 0x3f2aaaab, v17
	v_add_f32_e32 v17, -1.0, v19
	v_sub_f32_e32 v21, v17, v19
	v_sub_f32_e32 v17, v18, v17
	s_delay_alu instid0(VALU_DEP_2) | instskip(NEXT) | instid1(VALU_DEP_1)
	v_add_f32_e32 v21, 1.0, v21
	v_add_f32_e32 v17, v17, v21
	v_cmp_gt_f32_e64 s14, 0x33800000, v18
	v_subrev_co_ci_u32_e32 v16, vcc_lo, 0, v16, vcc_lo
	v_cmp_eq_f32_e32 vcc_lo, 0x7f800000, v18
	s_delay_alu instid0(VALU_DEP_2) | instskip(SKIP_2) | instid1(VALU_DEP_2)
	v_sub_nc_u32_e32 v20, 0, v16
	v_cvt_f32_i32_e32 v16, v16
	s_or_b32 vcc_lo, s14, vcc_lo
	v_ldexp_f32 v19, v19, v20
	v_ldexp_f32 v17, v17, v20
	s_delay_alu instid0(VALU_DEP_2) | instskip(NEXT) | instid1(VALU_DEP_1)
	v_add_f32_e32 v22, 1.0, v19
	v_dual_add_f32 v20, -1.0, v19 :: v_dual_add_f32 v21, -1.0, v22
	s_delay_alu instid0(VALU_DEP_1) | instskip(NEXT) | instid1(VALU_DEP_2)
	v_add_f32_e32 v23, 1.0, v20
	v_sub_f32_e32 v21, v19, v21
	s_delay_alu instid0(VALU_DEP_2) | instskip(NEXT) | instid1(VALU_DEP_2)
	v_sub_f32_e32 v19, v19, v23
	v_add_f32_e32 v21, v17, v21
	s_delay_alu instid0(VALU_DEP_2) | instskip(NEXT) | instid1(VALU_DEP_1)
	v_add_f32_e32 v17, v17, v19
	v_add_f32_e32 v24, v20, v17
	s_delay_alu instid0(VALU_DEP_1) | instskip(NEXT) | instid1(VALU_DEP_1)
	v_dual_add_f32 v23, v22, v21 :: v_dual_sub_f32 v20, v20, v24
	v_rcp_f32_e32 v19, v23
	v_sub_f32_e32 v22, v22, v23
	s_delay_alu instid0(VALU_DEP_1) | instskip(SKIP_2) | instid1(VALU_DEP_1)
	v_add_f32_e32 v21, v21, v22
	s_waitcnt_depctr 0xfff
	v_mul_f32_e32 v25, v24, v19
	v_mul_f32_e32 v26, v23, v25
	s_delay_alu instid0(VALU_DEP_1) | instskip(NEXT) | instid1(VALU_DEP_1)
	v_fma_f32 v22, v25, v23, -v26
	v_fmac_f32_e32 v22, v25, v21
	s_delay_alu instid0(VALU_DEP_1) | instskip(NEXT) | instid1(VALU_DEP_1)
	v_add_f32_e32 v27, v26, v22
	v_sub_f32_e32 v28, v24, v27
	s_delay_alu instid0(VALU_DEP_1) | instskip(SKIP_1) | instid1(VALU_DEP_2)
	v_sub_f32_e32 v24, v24, v28
	v_dual_add_f32 v17, v17, v20 :: v_dual_sub_f32 v20, v27, v26
	v_sub_f32_e32 v24, v24, v27
	s_delay_alu instid0(VALU_DEP_1) | instskip(NEXT) | instid1(VALU_DEP_1)
	v_dual_sub_f32 v20, v20, v22 :: v_dual_add_f32 v17, v17, v24
	v_add_f32_e32 v17, v20, v17
	s_delay_alu instid0(VALU_DEP_1) | instskip(NEXT) | instid1(VALU_DEP_1)
	v_add_f32_e32 v20, v28, v17
	v_mul_f32_e32 v22, v19, v20
	s_delay_alu instid0(VALU_DEP_1) | instskip(NEXT) | instid1(VALU_DEP_1)
	v_dual_sub_f32 v27, v28, v20 :: v_dual_mul_f32 v24, v23, v22
	v_add_f32_e32 v17, v17, v27
	s_delay_alu instid0(VALU_DEP_2) | instskip(NEXT) | instid1(VALU_DEP_1)
	v_fma_f32 v23, v22, v23, -v24
	v_fmac_f32_e32 v23, v22, v21
	s_delay_alu instid0(VALU_DEP_1) | instskip(NEXT) | instid1(VALU_DEP_1)
	v_add_f32_e32 v21, v24, v23
	v_sub_f32_e32 v26, v20, v21
	s_delay_alu instid0(VALU_DEP_1) | instskip(NEXT) | instid1(VALU_DEP_1)
	v_sub_f32_e32 v20, v20, v26
	v_sub_f32_e32 v20, v20, v21
	s_delay_alu instid0(VALU_DEP_1) | instskip(SKIP_2) | instid1(VALU_DEP_1)
	v_add_f32_e32 v17, v17, v20
	v_add_f32_e32 v20, v25, v22
	v_sub_f32_e32 v24, v21, v24
	v_sub_f32_e32 v21, v24, v23
	s_delay_alu instid0(VALU_DEP_1) | instskip(NEXT) | instid1(VALU_DEP_4)
	v_add_f32_e32 v17, v21, v17
	v_sub_f32_e32 v21, v20, v25
	s_delay_alu instid0(VALU_DEP_2) | instskip(NEXT) | instid1(VALU_DEP_2)
	v_add_f32_e32 v17, v26, v17
	v_sub_f32_e32 v21, v22, v21
	s_delay_alu instid0(VALU_DEP_2) | instskip(NEXT) | instid1(VALU_DEP_1)
	v_mul_f32_e32 v17, v19, v17
	v_add_f32_e32 v17, v21, v17
	s_delay_alu instid0(VALU_DEP_1) | instskip(NEXT) | instid1(VALU_DEP_1)
	v_add_f32_e32 v19, v20, v17
	v_mul_f32_e32 v21, v19, v19
	s_delay_alu instid0(VALU_DEP_1) | instskip(SKIP_1) | instid1(VALU_DEP_2)
	v_fmaak_f32 v22, s54, v21, 0x3ecc95a3
	v_mul_f32_e32 v23, v19, v21
	v_fmaak_f32 v21, v21, v22, 0x3f2aaada
	v_ldexp_f32 v22, v19, 1
	s_delay_alu instid0(VALU_DEP_2) | instskip(SKIP_1) | instid1(VALU_DEP_2)
	v_mul_f32_e32 v21, v23, v21
	v_sub_f32_e32 v19, v19, v20
	v_dual_mul_f32 v23, 0x3f317218, v16 :: v_dual_add_f32 v20, v22, v21
	s_delay_alu instid0(VALU_DEP_2) | instskip(NEXT) | instid1(VALU_DEP_2)
	v_sub_f32_e32 v17, v17, v19
	v_sub_f32_e32 v19, v20, v22
	s_delay_alu instid0(VALU_DEP_3) | instskip(NEXT) | instid1(VALU_DEP_3)
	v_fma_f32 v22, 0x3f317218, v16, -v23
	v_ldexp_f32 v17, v17, 1
	s_delay_alu instid0(VALU_DEP_2) | instskip(NEXT) | instid1(VALU_DEP_1)
	v_dual_sub_f32 v19, v21, v19 :: v_dual_fmac_f32 v22, 0xb102e308, v16
	v_dual_add_f32 v16, v17, v19 :: v_dual_add_f32 v17, v23, v22
	s_delay_alu instid0(VALU_DEP_1) | instskip(NEXT) | instid1(VALU_DEP_1)
	v_add_f32_e32 v19, v20, v16
	v_dual_add_f32 v21, v17, v19 :: v_dual_sub_f32 v20, v19, v20
	s_delay_alu instid0(VALU_DEP_1) | instskip(NEXT) | instid1(VALU_DEP_2)
	v_sub_f32_e32 v24, v21, v17
	v_dual_sub_f32 v23, v17, v23 :: v_dual_sub_f32 v16, v16, v20
	s_delay_alu instid0(VALU_DEP_1) | instskip(SKIP_1) | instid1(VALU_DEP_2)
	v_dual_sub_f32 v25, v21, v24 :: v_dual_sub_f32 v22, v22, v23
	v_sub_f32_e32 v19, v19, v24
	v_dual_sub_f32 v17, v17, v25 :: v_dual_add_f32 v20, v22, v16
	s_delay_alu instid0(VALU_DEP_1) | instskip(NEXT) | instid1(VALU_DEP_2)
	v_add_f32_e32 v17, v19, v17
	v_sub_f32_e32 v19, v20, v22
	s_delay_alu instid0(VALU_DEP_2) | instskip(NEXT) | instid1(VALU_DEP_2)
	v_add_f32_e32 v17, v20, v17
	v_sub_f32_e32 v20, v20, v19
	s_delay_alu instid0(VALU_DEP_2) | instskip(NEXT) | instid1(VALU_DEP_1)
	v_dual_sub_f32 v16, v16, v19 :: v_dual_add_f32 v23, v21, v17
	v_dual_sub_f32 v20, v22, v20 :: v_dual_sub_f32 v19, v23, v21
	s_delay_alu instid0(VALU_DEP_1) | instskip(NEXT) | instid1(VALU_DEP_1)
	v_dual_add_f32 v16, v16, v20 :: v_dual_sub_f32 v17, v17, v19
	v_add_f32_e32 v16, v16, v17
	s_delay_alu instid0(VALU_DEP_1) | instskip(NEXT) | instid1(VALU_DEP_1)
	v_add_f32_e32 v16, v23, v16
	v_cndmask_b32_e32 v75, v16, v18, vcc_lo
.LBB19_46:                              ;   in Loop: Header=BB19_12 Depth=1
	s_or_b32 exec_lo, exec_lo, s15
	v_and_b32_e32 v16, 0xffff0000, v2
	s_delay_alu instid0(VALU_DEP_1) | instskip(NEXT) | instid1(VALU_DEP_1)
	v_add_f32_e32 v76, s56, v16
	v_cmp_ge_f32_e32 vcc_lo, 0x41a00000, v76
	s_and_b32 s14, s66, vcc_lo
	s_delay_alu instid0(SALU_CYCLE_1)
	s_and_saveexec_b32 s15, s14
	s_cbranch_execz .LBB19_48
; %bb.47:                               ;   in Loop: Header=BB19_12 Depth=1
	v_mul_f32_e32 v16, 0x3fb8aa3b, v76
	v_cmp_ngt_f32_e32 vcc_lo, 0xc2ce8ed0, v76
	s_delay_alu instid0(VALU_DEP_2) | instskip(SKIP_1) | instid1(VALU_DEP_2)
	v_rndne_f32_e32 v17, v16
	v_fma_f32 v18, 0x3fb8aa3b, v76, -v16
	v_sub_f32_e32 v16, v16, v17
	s_delay_alu instid0(VALU_DEP_2) | instskip(SKIP_1) | instid1(VALU_DEP_2)
	v_fmac_f32_e32 v18, 0x32a5705f, v76
	v_cvt_i32_f32_e32 v17, v17
	v_add_f32_e32 v16, v16, v18
	s_delay_alu instid0(VALU_DEP_1) | instskip(SKIP_2) | instid1(VALU_DEP_1)
	v_exp_f32_e32 v16, v16
	s_waitcnt_depctr 0xfff
	v_ldexp_f32 v16, v16, v17
	v_cndmask_b32_e32 v16, 0, v16, vcc_lo
	v_cmp_nlt_f32_e32 vcc_lo, 0x42b17218, v76
	s_delay_alu instid0(VALU_DEP_2) | instskip(NEXT) | instid1(VALU_DEP_1)
	v_cndmask_b32_e32 v18, 0x7f800000, v16, vcc_lo
	v_add_f32_e32 v19, 1.0, v18
	s_delay_alu instid0(VALU_DEP_1) | instskip(NEXT) | instid1(VALU_DEP_1)
	v_cvt_f64_f32_e32 v[16:17], v19
	v_frexp_exp_i32_f64_e32 v16, v[16:17]
	v_frexp_mant_f32_e32 v17, v19
	s_delay_alu instid0(VALU_DEP_1) | instskip(SKIP_1) | instid1(VALU_DEP_1)
	v_cmp_gt_f32_e32 vcc_lo, 0x3f2aaaab, v17
	v_add_f32_e32 v17, -1.0, v19
	v_sub_f32_e32 v21, v17, v19
	v_sub_f32_e32 v17, v18, v17
	s_delay_alu instid0(VALU_DEP_2) | instskip(NEXT) | instid1(VALU_DEP_1)
	v_add_f32_e32 v21, 1.0, v21
	v_add_f32_e32 v17, v17, v21
	v_cmp_gt_f32_e64 s14, 0x33800000, v18
	v_subrev_co_ci_u32_e32 v16, vcc_lo, 0, v16, vcc_lo
	v_cmp_eq_f32_e32 vcc_lo, 0x7f800000, v18
	s_delay_alu instid0(VALU_DEP_2) | instskip(SKIP_2) | instid1(VALU_DEP_2)
	v_sub_nc_u32_e32 v20, 0, v16
	v_cvt_f32_i32_e32 v16, v16
	s_or_b32 vcc_lo, s14, vcc_lo
	v_ldexp_f32 v19, v19, v20
	v_ldexp_f32 v17, v17, v20
	s_delay_alu instid0(VALU_DEP_2) | instskip(NEXT) | instid1(VALU_DEP_1)
	v_add_f32_e32 v22, 1.0, v19
	v_dual_add_f32 v20, -1.0, v19 :: v_dual_add_f32 v21, -1.0, v22
	s_delay_alu instid0(VALU_DEP_1) | instskip(NEXT) | instid1(VALU_DEP_2)
	v_add_f32_e32 v23, 1.0, v20
	v_sub_f32_e32 v21, v19, v21
	s_delay_alu instid0(VALU_DEP_2) | instskip(NEXT) | instid1(VALU_DEP_2)
	v_sub_f32_e32 v19, v19, v23
	v_add_f32_e32 v21, v17, v21
	s_delay_alu instid0(VALU_DEP_2) | instskip(NEXT) | instid1(VALU_DEP_1)
	v_add_f32_e32 v17, v17, v19
	v_add_f32_e32 v24, v20, v17
	s_delay_alu instid0(VALU_DEP_1) | instskip(NEXT) | instid1(VALU_DEP_1)
	v_dual_add_f32 v23, v22, v21 :: v_dual_sub_f32 v20, v20, v24
	v_rcp_f32_e32 v19, v23
	v_sub_f32_e32 v22, v22, v23
	s_delay_alu instid0(VALU_DEP_1) | instskip(SKIP_2) | instid1(VALU_DEP_1)
	v_add_f32_e32 v21, v21, v22
	s_waitcnt_depctr 0xfff
	v_mul_f32_e32 v25, v24, v19
	v_mul_f32_e32 v26, v23, v25
	s_delay_alu instid0(VALU_DEP_1) | instskip(NEXT) | instid1(VALU_DEP_1)
	v_fma_f32 v22, v25, v23, -v26
	v_fmac_f32_e32 v22, v25, v21
	s_delay_alu instid0(VALU_DEP_1) | instskip(NEXT) | instid1(VALU_DEP_1)
	v_add_f32_e32 v27, v26, v22
	v_sub_f32_e32 v28, v24, v27
	s_delay_alu instid0(VALU_DEP_1) | instskip(SKIP_1) | instid1(VALU_DEP_2)
	v_sub_f32_e32 v24, v24, v28
	v_dual_add_f32 v17, v17, v20 :: v_dual_sub_f32 v20, v27, v26
	v_sub_f32_e32 v24, v24, v27
	s_delay_alu instid0(VALU_DEP_1) | instskip(NEXT) | instid1(VALU_DEP_1)
	v_dual_sub_f32 v20, v20, v22 :: v_dual_add_f32 v17, v17, v24
	v_add_f32_e32 v17, v20, v17
	s_delay_alu instid0(VALU_DEP_1) | instskip(NEXT) | instid1(VALU_DEP_1)
	v_add_f32_e32 v20, v28, v17
	v_mul_f32_e32 v22, v19, v20
	s_delay_alu instid0(VALU_DEP_1) | instskip(NEXT) | instid1(VALU_DEP_1)
	v_dual_sub_f32 v27, v28, v20 :: v_dual_mul_f32 v24, v23, v22
	v_add_f32_e32 v17, v17, v27
	s_delay_alu instid0(VALU_DEP_2) | instskip(NEXT) | instid1(VALU_DEP_1)
	v_fma_f32 v23, v22, v23, -v24
	v_fmac_f32_e32 v23, v22, v21
	s_delay_alu instid0(VALU_DEP_1) | instskip(NEXT) | instid1(VALU_DEP_1)
	v_add_f32_e32 v21, v24, v23
	v_sub_f32_e32 v26, v20, v21
	s_delay_alu instid0(VALU_DEP_1) | instskip(NEXT) | instid1(VALU_DEP_1)
	v_sub_f32_e32 v20, v20, v26
	v_sub_f32_e32 v20, v20, v21
	s_delay_alu instid0(VALU_DEP_1) | instskip(SKIP_2) | instid1(VALU_DEP_1)
	v_add_f32_e32 v17, v17, v20
	v_add_f32_e32 v20, v25, v22
	v_sub_f32_e32 v24, v21, v24
	v_sub_f32_e32 v21, v24, v23
	s_delay_alu instid0(VALU_DEP_1) | instskip(NEXT) | instid1(VALU_DEP_4)
	v_add_f32_e32 v17, v21, v17
	v_sub_f32_e32 v21, v20, v25
	s_delay_alu instid0(VALU_DEP_2) | instskip(NEXT) | instid1(VALU_DEP_2)
	v_add_f32_e32 v17, v26, v17
	v_sub_f32_e32 v21, v22, v21
	s_delay_alu instid0(VALU_DEP_2) | instskip(NEXT) | instid1(VALU_DEP_1)
	v_mul_f32_e32 v17, v19, v17
	v_add_f32_e32 v17, v21, v17
	s_delay_alu instid0(VALU_DEP_1) | instskip(NEXT) | instid1(VALU_DEP_1)
	v_add_f32_e32 v19, v20, v17
	v_mul_f32_e32 v21, v19, v19
	s_delay_alu instid0(VALU_DEP_1) | instskip(SKIP_1) | instid1(VALU_DEP_2)
	v_fmaak_f32 v22, s54, v21, 0x3ecc95a3
	v_mul_f32_e32 v23, v19, v21
	v_fmaak_f32 v21, v21, v22, 0x3f2aaada
	v_ldexp_f32 v22, v19, 1
	s_delay_alu instid0(VALU_DEP_2) | instskip(SKIP_1) | instid1(VALU_DEP_2)
	v_mul_f32_e32 v21, v23, v21
	v_sub_f32_e32 v19, v19, v20
	v_dual_mul_f32 v23, 0x3f317218, v16 :: v_dual_add_f32 v20, v22, v21
	s_delay_alu instid0(VALU_DEP_2) | instskip(NEXT) | instid1(VALU_DEP_2)
	v_sub_f32_e32 v17, v17, v19
	v_sub_f32_e32 v19, v20, v22
	s_delay_alu instid0(VALU_DEP_3) | instskip(NEXT) | instid1(VALU_DEP_3)
	v_fma_f32 v22, 0x3f317218, v16, -v23
	v_ldexp_f32 v17, v17, 1
	s_delay_alu instid0(VALU_DEP_2) | instskip(NEXT) | instid1(VALU_DEP_1)
	v_dual_sub_f32 v19, v21, v19 :: v_dual_fmac_f32 v22, 0xb102e308, v16
	v_dual_add_f32 v16, v17, v19 :: v_dual_add_f32 v17, v23, v22
	s_delay_alu instid0(VALU_DEP_1) | instskip(NEXT) | instid1(VALU_DEP_1)
	v_add_f32_e32 v19, v20, v16
	v_dual_add_f32 v21, v17, v19 :: v_dual_sub_f32 v20, v19, v20
	s_delay_alu instid0(VALU_DEP_1) | instskip(NEXT) | instid1(VALU_DEP_2)
	v_sub_f32_e32 v24, v21, v17
	v_dual_sub_f32 v23, v17, v23 :: v_dual_sub_f32 v16, v16, v20
	s_delay_alu instid0(VALU_DEP_1) | instskip(SKIP_1) | instid1(VALU_DEP_2)
	v_dual_sub_f32 v25, v21, v24 :: v_dual_sub_f32 v22, v22, v23
	v_sub_f32_e32 v19, v19, v24
	v_dual_sub_f32 v17, v17, v25 :: v_dual_add_f32 v20, v22, v16
	s_delay_alu instid0(VALU_DEP_1) | instskip(NEXT) | instid1(VALU_DEP_2)
	v_add_f32_e32 v17, v19, v17
	v_sub_f32_e32 v19, v20, v22
	s_delay_alu instid0(VALU_DEP_2) | instskip(NEXT) | instid1(VALU_DEP_2)
	v_add_f32_e32 v17, v20, v17
	v_sub_f32_e32 v20, v20, v19
	s_delay_alu instid0(VALU_DEP_2) | instskip(NEXT) | instid1(VALU_DEP_1)
	v_dual_sub_f32 v16, v16, v19 :: v_dual_add_f32 v23, v21, v17
	v_dual_sub_f32 v20, v22, v20 :: v_dual_sub_f32 v19, v23, v21
	s_delay_alu instid0(VALU_DEP_1) | instskip(NEXT) | instid1(VALU_DEP_1)
	v_dual_add_f32 v16, v16, v20 :: v_dual_sub_f32 v17, v17, v19
	v_add_f32_e32 v16, v16, v17
	s_delay_alu instid0(VALU_DEP_1) | instskip(NEXT) | instid1(VALU_DEP_1)
	v_add_f32_e32 v16, v23, v16
	v_cndmask_b32_e32 v76, v16, v18, vcc_lo
.LBB19_48:                              ;   in Loop: Header=BB19_12 Depth=1
	s_or_b32 exec_lo, exec_lo, s15
	v_lshlrev_b32_e32 v16, 16, v3
	s_delay_alu instid0(VALU_DEP_1) | instskip(NEXT) | instid1(VALU_DEP_1)
	v_add_f32_e32 v77, s56, v16
	v_cmp_ge_f32_e32 vcc_lo, 0x41a00000, v77
	s_and_b32 s14, s66, vcc_lo
	s_delay_alu instid0(SALU_CYCLE_1)
	s_and_saveexec_b32 s15, s14
	s_cbranch_execz .LBB19_50
; %bb.49:                               ;   in Loop: Header=BB19_12 Depth=1
	v_mul_f32_e32 v16, 0x3fb8aa3b, v77
	v_cmp_ngt_f32_e32 vcc_lo, 0xc2ce8ed0, v77
	s_delay_alu instid0(VALU_DEP_2) | instskip(SKIP_1) | instid1(VALU_DEP_2)
	v_rndne_f32_e32 v17, v16
	v_fma_f32 v18, 0x3fb8aa3b, v77, -v16
	v_sub_f32_e32 v16, v16, v17
	s_delay_alu instid0(VALU_DEP_2) | instskip(SKIP_1) | instid1(VALU_DEP_2)
	v_fmac_f32_e32 v18, 0x32a5705f, v77
	v_cvt_i32_f32_e32 v17, v17
	v_add_f32_e32 v16, v16, v18
	s_delay_alu instid0(VALU_DEP_1) | instskip(SKIP_2) | instid1(VALU_DEP_1)
	v_exp_f32_e32 v16, v16
	s_waitcnt_depctr 0xfff
	v_ldexp_f32 v16, v16, v17
	v_cndmask_b32_e32 v16, 0, v16, vcc_lo
	v_cmp_nlt_f32_e32 vcc_lo, 0x42b17218, v77
	s_delay_alu instid0(VALU_DEP_2) | instskip(NEXT) | instid1(VALU_DEP_1)
	v_cndmask_b32_e32 v18, 0x7f800000, v16, vcc_lo
	v_add_f32_e32 v19, 1.0, v18
	s_delay_alu instid0(VALU_DEP_1) | instskip(NEXT) | instid1(VALU_DEP_1)
	v_cvt_f64_f32_e32 v[16:17], v19
	v_frexp_exp_i32_f64_e32 v16, v[16:17]
	v_frexp_mant_f32_e32 v17, v19
	s_delay_alu instid0(VALU_DEP_1) | instskip(SKIP_1) | instid1(VALU_DEP_1)
	v_cmp_gt_f32_e32 vcc_lo, 0x3f2aaaab, v17
	v_add_f32_e32 v17, -1.0, v19
	v_sub_f32_e32 v21, v17, v19
	v_sub_f32_e32 v17, v18, v17
	s_delay_alu instid0(VALU_DEP_2) | instskip(NEXT) | instid1(VALU_DEP_1)
	v_add_f32_e32 v21, 1.0, v21
	v_add_f32_e32 v17, v17, v21
	v_cmp_gt_f32_e64 s14, 0x33800000, v18
	v_subrev_co_ci_u32_e32 v16, vcc_lo, 0, v16, vcc_lo
	v_cmp_eq_f32_e32 vcc_lo, 0x7f800000, v18
	s_delay_alu instid0(VALU_DEP_2) | instskip(SKIP_2) | instid1(VALU_DEP_2)
	v_sub_nc_u32_e32 v20, 0, v16
	v_cvt_f32_i32_e32 v16, v16
	s_or_b32 vcc_lo, s14, vcc_lo
	v_ldexp_f32 v19, v19, v20
	v_ldexp_f32 v17, v17, v20
	s_delay_alu instid0(VALU_DEP_2) | instskip(NEXT) | instid1(VALU_DEP_1)
	v_add_f32_e32 v22, 1.0, v19
	v_dual_add_f32 v20, -1.0, v19 :: v_dual_add_f32 v21, -1.0, v22
	s_delay_alu instid0(VALU_DEP_1) | instskip(NEXT) | instid1(VALU_DEP_2)
	v_add_f32_e32 v23, 1.0, v20
	v_sub_f32_e32 v21, v19, v21
	s_delay_alu instid0(VALU_DEP_2) | instskip(NEXT) | instid1(VALU_DEP_2)
	v_sub_f32_e32 v19, v19, v23
	v_add_f32_e32 v21, v17, v21
	s_delay_alu instid0(VALU_DEP_2) | instskip(NEXT) | instid1(VALU_DEP_1)
	v_add_f32_e32 v17, v17, v19
	v_add_f32_e32 v24, v20, v17
	s_delay_alu instid0(VALU_DEP_1) | instskip(NEXT) | instid1(VALU_DEP_1)
	v_dual_add_f32 v23, v22, v21 :: v_dual_sub_f32 v20, v20, v24
	v_rcp_f32_e32 v19, v23
	v_sub_f32_e32 v22, v22, v23
	s_delay_alu instid0(VALU_DEP_1) | instskip(SKIP_2) | instid1(VALU_DEP_1)
	v_add_f32_e32 v21, v21, v22
	s_waitcnt_depctr 0xfff
	v_mul_f32_e32 v25, v24, v19
	v_mul_f32_e32 v26, v23, v25
	s_delay_alu instid0(VALU_DEP_1) | instskip(NEXT) | instid1(VALU_DEP_1)
	v_fma_f32 v22, v25, v23, -v26
	v_fmac_f32_e32 v22, v25, v21
	s_delay_alu instid0(VALU_DEP_1) | instskip(NEXT) | instid1(VALU_DEP_1)
	v_add_f32_e32 v27, v26, v22
	v_sub_f32_e32 v28, v24, v27
	s_delay_alu instid0(VALU_DEP_1) | instskip(SKIP_1) | instid1(VALU_DEP_2)
	v_sub_f32_e32 v24, v24, v28
	v_dual_add_f32 v17, v17, v20 :: v_dual_sub_f32 v20, v27, v26
	v_sub_f32_e32 v24, v24, v27
	s_delay_alu instid0(VALU_DEP_1) | instskip(NEXT) | instid1(VALU_DEP_1)
	v_dual_sub_f32 v20, v20, v22 :: v_dual_add_f32 v17, v17, v24
	v_add_f32_e32 v17, v20, v17
	s_delay_alu instid0(VALU_DEP_1) | instskip(NEXT) | instid1(VALU_DEP_1)
	v_add_f32_e32 v20, v28, v17
	v_mul_f32_e32 v22, v19, v20
	s_delay_alu instid0(VALU_DEP_1) | instskip(NEXT) | instid1(VALU_DEP_1)
	v_dual_sub_f32 v27, v28, v20 :: v_dual_mul_f32 v24, v23, v22
	v_add_f32_e32 v17, v17, v27
	s_delay_alu instid0(VALU_DEP_2) | instskip(NEXT) | instid1(VALU_DEP_1)
	v_fma_f32 v23, v22, v23, -v24
	v_fmac_f32_e32 v23, v22, v21
	s_delay_alu instid0(VALU_DEP_1) | instskip(NEXT) | instid1(VALU_DEP_1)
	v_add_f32_e32 v21, v24, v23
	v_sub_f32_e32 v26, v20, v21
	s_delay_alu instid0(VALU_DEP_1) | instskip(NEXT) | instid1(VALU_DEP_1)
	v_sub_f32_e32 v20, v20, v26
	v_sub_f32_e32 v20, v20, v21
	s_delay_alu instid0(VALU_DEP_1) | instskip(SKIP_2) | instid1(VALU_DEP_1)
	v_add_f32_e32 v17, v17, v20
	v_add_f32_e32 v20, v25, v22
	v_sub_f32_e32 v24, v21, v24
	v_sub_f32_e32 v21, v24, v23
	s_delay_alu instid0(VALU_DEP_1) | instskip(NEXT) | instid1(VALU_DEP_4)
	v_add_f32_e32 v17, v21, v17
	v_sub_f32_e32 v21, v20, v25
	s_delay_alu instid0(VALU_DEP_2) | instskip(NEXT) | instid1(VALU_DEP_2)
	v_add_f32_e32 v17, v26, v17
	v_sub_f32_e32 v21, v22, v21
	s_delay_alu instid0(VALU_DEP_2) | instskip(NEXT) | instid1(VALU_DEP_1)
	v_mul_f32_e32 v17, v19, v17
	v_add_f32_e32 v17, v21, v17
	s_delay_alu instid0(VALU_DEP_1) | instskip(NEXT) | instid1(VALU_DEP_1)
	v_add_f32_e32 v19, v20, v17
	v_mul_f32_e32 v21, v19, v19
	s_delay_alu instid0(VALU_DEP_1) | instskip(SKIP_1) | instid1(VALU_DEP_2)
	v_fmaak_f32 v22, s54, v21, 0x3ecc95a3
	v_mul_f32_e32 v23, v19, v21
	v_fmaak_f32 v21, v21, v22, 0x3f2aaada
	v_ldexp_f32 v22, v19, 1
	s_delay_alu instid0(VALU_DEP_2) | instskip(SKIP_1) | instid1(VALU_DEP_2)
	v_mul_f32_e32 v21, v23, v21
	v_sub_f32_e32 v19, v19, v20
	v_dual_mul_f32 v23, 0x3f317218, v16 :: v_dual_add_f32 v20, v22, v21
	s_delay_alu instid0(VALU_DEP_2) | instskip(NEXT) | instid1(VALU_DEP_2)
	v_sub_f32_e32 v17, v17, v19
	v_sub_f32_e32 v19, v20, v22
	s_delay_alu instid0(VALU_DEP_3) | instskip(NEXT) | instid1(VALU_DEP_3)
	v_fma_f32 v22, 0x3f317218, v16, -v23
	v_ldexp_f32 v17, v17, 1
	s_delay_alu instid0(VALU_DEP_2) | instskip(NEXT) | instid1(VALU_DEP_1)
	v_dual_sub_f32 v19, v21, v19 :: v_dual_fmac_f32 v22, 0xb102e308, v16
	v_dual_add_f32 v16, v17, v19 :: v_dual_add_f32 v17, v23, v22
	s_delay_alu instid0(VALU_DEP_1) | instskip(NEXT) | instid1(VALU_DEP_1)
	v_add_f32_e32 v19, v20, v16
	v_dual_add_f32 v21, v17, v19 :: v_dual_sub_f32 v20, v19, v20
	s_delay_alu instid0(VALU_DEP_1) | instskip(NEXT) | instid1(VALU_DEP_2)
	v_sub_f32_e32 v24, v21, v17
	v_dual_sub_f32 v23, v17, v23 :: v_dual_sub_f32 v16, v16, v20
	s_delay_alu instid0(VALU_DEP_1) | instskip(SKIP_1) | instid1(VALU_DEP_2)
	v_dual_sub_f32 v25, v21, v24 :: v_dual_sub_f32 v22, v22, v23
	v_sub_f32_e32 v19, v19, v24
	v_dual_sub_f32 v17, v17, v25 :: v_dual_add_f32 v20, v22, v16
	s_delay_alu instid0(VALU_DEP_1) | instskip(NEXT) | instid1(VALU_DEP_2)
	v_add_f32_e32 v17, v19, v17
	v_sub_f32_e32 v19, v20, v22
	s_delay_alu instid0(VALU_DEP_2) | instskip(NEXT) | instid1(VALU_DEP_2)
	v_add_f32_e32 v17, v20, v17
	v_sub_f32_e32 v20, v20, v19
	s_delay_alu instid0(VALU_DEP_2) | instskip(NEXT) | instid1(VALU_DEP_1)
	v_dual_sub_f32 v16, v16, v19 :: v_dual_add_f32 v23, v21, v17
	v_dual_sub_f32 v20, v22, v20 :: v_dual_sub_f32 v19, v23, v21
	s_delay_alu instid0(VALU_DEP_1) | instskip(NEXT) | instid1(VALU_DEP_1)
	v_dual_add_f32 v16, v16, v20 :: v_dual_sub_f32 v17, v17, v19
	v_add_f32_e32 v16, v16, v17
	s_delay_alu instid0(VALU_DEP_1) | instskip(NEXT) | instid1(VALU_DEP_1)
	v_add_f32_e32 v16, v23, v16
	v_cndmask_b32_e32 v77, v16, v18, vcc_lo
.LBB19_50:                              ;   in Loop: Header=BB19_12 Depth=1
	s_or_b32 exec_lo, exec_lo, s15
	v_and_b32_e32 v16, 0xffff0000, v3
	s_delay_alu instid0(VALU_DEP_1) | instskip(NEXT) | instid1(VALU_DEP_1)
	v_add_f32_e32 v94, s56, v16
	v_cmp_ge_f32_e32 vcc_lo, 0x41a00000, v94
	s_and_b32 s14, s66, vcc_lo
	s_delay_alu instid0(SALU_CYCLE_1)
	s_and_saveexec_b32 s15, s14
	s_cbranch_execz .LBB19_52
; %bb.51:                               ;   in Loop: Header=BB19_12 Depth=1
	v_mul_f32_e32 v16, 0x3fb8aa3b, v94
	v_cmp_ngt_f32_e32 vcc_lo, 0xc2ce8ed0, v94
	s_delay_alu instid0(VALU_DEP_2) | instskip(SKIP_1) | instid1(VALU_DEP_2)
	v_rndne_f32_e32 v17, v16
	v_fma_f32 v18, 0x3fb8aa3b, v94, -v16
	v_sub_f32_e32 v16, v16, v17
	s_delay_alu instid0(VALU_DEP_2) | instskip(SKIP_1) | instid1(VALU_DEP_2)
	v_fmac_f32_e32 v18, 0x32a5705f, v94
	v_cvt_i32_f32_e32 v17, v17
	v_add_f32_e32 v16, v16, v18
	s_delay_alu instid0(VALU_DEP_1) | instskip(SKIP_2) | instid1(VALU_DEP_1)
	v_exp_f32_e32 v16, v16
	s_waitcnt_depctr 0xfff
	v_ldexp_f32 v16, v16, v17
	v_cndmask_b32_e32 v16, 0, v16, vcc_lo
	v_cmp_nlt_f32_e32 vcc_lo, 0x42b17218, v94
	s_delay_alu instid0(VALU_DEP_2) | instskip(NEXT) | instid1(VALU_DEP_1)
	v_cndmask_b32_e32 v18, 0x7f800000, v16, vcc_lo
	v_add_f32_e32 v19, 1.0, v18
	s_delay_alu instid0(VALU_DEP_1) | instskip(NEXT) | instid1(VALU_DEP_1)
	v_cvt_f64_f32_e32 v[16:17], v19
	v_frexp_exp_i32_f64_e32 v16, v[16:17]
	v_frexp_mant_f32_e32 v17, v19
	s_delay_alu instid0(VALU_DEP_1) | instskip(SKIP_1) | instid1(VALU_DEP_1)
	v_cmp_gt_f32_e32 vcc_lo, 0x3f2aaaab, v17
	v_add_f32_e32 v17, -1.0, v19
	v_sub_f32_e32 v21, v17, v19
	v_sub_f32_e32 v17, v18, v17
	s_delay_alu instid0(VALU_DEP_2) | instskip(NEXT) | instid1(VALU_DEP_1)
	v_add_f32_e32 v21, 1.0, v21
	v_add_f32_e32 v17, v17, v21
	v_cmp_gt_f32_e64 s14, 0x33800000, v18
	v_subrev_co_ci_u32_e32 v16, vcc_lo, 0, v16, vcc_lo
	v_cmp_eq_f32_e32 vcc_lo, 0x7f800000, v18
	s_delay_alu instid0(VALU_DEP_2) | instskip(SKIP_2) | instid1(VALU_DEP_2)
	v_sub_nc_u32_e32 v20, 0, v16
	v_cvt_f32_i32_e32 v16, v16
	s_or_b32 vcc_lo, s14, vcc_lo
	v_ldexp_f32 v19, v19, v20
	v_ldexp_f32 v17, v17, v20
	s_delay_alu instid0(VALU_DEP_2) | instskip(NEXT) | instid1(VALU_DEP_1)
	v_add_f32_e32 v22, 1.0, v19
	v_dual_add_f32 v20, -1.0, v19 :: v_dual_add_f32 v21, -1.0, v22
	s_delay_alu instid0(VALU_DEP_1) | instskip(NEXT) | instid1(VALU_DEP_2)
	v_add_f32_e32 v23, 1.0, v20
	v_sub_f32_e32 v21, v19, v21
	s_delay_alu instid0(VALU_DEP_2) | instskip(NEXT) | instid1(VALU_DEP_2)
	v_sub_f32_e32 v19, v19, v23
	v_add_f32_e32 v21, v17, v21
	s_delay_alu instid0(VALU_DEP_2) | instskip(NEXT) | instid1(VALU_DEP_1)
	v_add_f32_e32 v17, v17, v19
	v_add_f32_e32 v24, v20, v17
	s_delay_alu instid0(VALU_DEP_1) | instskip(NEXT) | instid1(VALU_DEP_1)
	v_dual_add_f32 v23, v22, v21 :: v_dual_sub_f32 v20, v20, v24
	v_rcp_f32_e32 v19, v23
	v_sub_f32_e32 v22, v22, v23
	s_delay_alu instid0(VALU_DEP_1) | instskip(SKIP_2) | instid1(VALU_DEP_1)
	v_add_f32_e32 v21, v21, v22
	s_waitcnt_depctr 0xfff
	v_mul_f32_e32 v25, v24, v19
	v_mul_f32_e32 v26, v23, v25
	s_delay_alu instid0(VALU_DEP_1) | instskip(NEXT) | instid1(VALU_DEP_1)
	v_fma_f32 v22, v25, v23, -v26
	v_fmac_f32_e32 v22, v25, v21
	s_delay_alu instid0(VALU_DEP_1) | instskip(NEXT) | instid1(VALU_DEP_1)
	v_add_f32_e32 v27, v26, v22
	v_sub_f32_e32 v28, v24, v27
	s_delay_alu instid0(VALU_DEP_1) | instskip(SKIP_1) | instid1(VALU_DEP_2)
	v_sub_f32_e32 v24, v24, v28
	v_dual_add_f32 v17, v17, v20 :: v_dual_sub_f32 v20, v27, v26
	v_sub_f32_e32 v24, v24, v27
	s_delay_alu instid0(VALU_DEP_1) | instskip(NEXT) | instid1(VALU_DEP_1)
	v_dual_sub_f32 v20, v20, v22 :: v_dual_add_f32 v17, v17, v24
	v_add_f32_e32 v17, v20, v17
	s_delay_alu instid0(VALU_DEP_1) | instskip(NEXT) | instid1(VALU_DEP_1)
	v_add_f32_e32 v20, v28, v17
	v_mul_f32_e32 v22, v19, v20
	s_delay_alu instid0(VALU_DEP_1) | instskip(NEXT) | instid1(VALU_DEP_1)
	v_dual_sub_f32 v27, v28, v20 :: v_dual_mul_f32 v24, v23, v22
	v_add_f32_e32 v17, v17, v27
	s_delay_alu instid0(VALU_DEP_2) | instskip(NEXT) | instid1(VALU_DEP_1)
	v_fma_f32 v23, v22, v23, -v24
	v_fmac_f32_e32 v23, v22, v21
	s_delay_alu instid0(VALU_DEP_1) | instskip(NEXT) | instid1(VALU_DEP_1)
	v_add_f32_e32 v21, v24, v23
	v_sub_f32_e32 v26, v20, v21
	s_delay_alu instid0(VALU_DEP_1) | instskip(NEXT) | instid1(VALU_DEP_1)
	v_sub_f32_e32 v20, v20, v26
	v_sub_f32_e32 v20, v20, v21
	s_delay_alu instid0(VALU_DEP_1) | instskip(SKIP_2) | instid1(VALU_DEP_1)
	v_add_f32_e32 v17, v17, v20
	v_add_f32_e32 v20, v25, v22
	v_sub_f32_e32 v24, v21, v24
	v_sub_f32_e32 v21, v24, v23
	s_delay_alu instid0(VALU_DEP_1) | instskip(NEXT) | instid1(VALU_DEP_4)
	v_add_f32_e32 v17, v21, v17
	v_sub_f32_e32 v21, v20, v25
	s_delay_alu instid0(VALU_DEP_2) | instskip(NEXT) | instid1(VALU_DEP_2)
	v_add_f32_e32 v17, v26, v17
	v_sub_f32_e32 v21, v22, v21
	s_delay_alu instid0(VALU_DEP_2) | instskip(NEXT) | instid1(VALU_DEP_1)
	v_mul_f32_e32 v17, v19, v17
	v_add_f32_e32 v17, v21, v17
	s_delay_alu instid0(VALU_DEP_1) | instskip(NEXT) | instid1(VALU_DEP_1)
	v_add_f32_e32 v19, v20, v17
	v_mul_f32_e32 v21, v19, v19
	s_delay_alu instid0(VALU_DEP_1) | instskip(SKIP_1) | instid1(VALU_DEP_2)
	v_fmaak_f32 v22, s54, v21, 0x3ecc95a3
	v_mul_f32_e32 v23, v19, v21
	v_fmaak_f32 v21, v21, v22, 0x3f2aaada
	v_ldexp_f32 v22, v19, 1
	s_delay_alu instid0(VALU_DEP_2) | instskip(SKIP_1) | instid1(VALU_DEP_2)
	v_mul_f32_e32 v21, v23, v21
	v_sub_f32_e32 v19, v19, v20
	v_dual_mul_f32 v23, 0x3f317218, v16 :: v_dual_add_f32 v20, v22, v21
	s_delay_alu instid0(VALU_DEP_2) | instskip(NEXT) | instid1(VALU_DEP_2)
	v_sub_f32_e32 v17, v17, v19
	v_sub_f32_e32 v19, v20, v22
	s_delay_alu instid0(VALU_DEP_3) | instskip(NEXT) | instid1(VALU_DEP_3)
	v_fma_f32 v22, 0x3f317218, v16, -v23
	v_ldexp_f32 v17, v17, 1
	s_delay_alu instid0(VALU_DEP_2) | instskip(NEXT) | instid1(VALU_DEP_1)
	v_dual_sub_f32 v19, v21, v19 :: v_dual_fmac_f32 v22, 0xb102e308, v16
	v_dual_add_f32 v16, v17, v19 :: v_dual_add_f32 v17, v23, v22
	s_delay_alu instid0(VALU_DEP_1) | instskip(NEXT) | instid1(VALU_DEP_1)
	v_add_f32_e32 v19, v20, v16
	v_dual_add_f32 v21, v17, v19 :: v_dual_sub_f32 v20, v19, v20
	s_delay_alu instid0(VALU_DEP_1) | instskip(NEXT) | instid1(VALU_DEP_2)
	v_sub_f32_e32 v24, v21, v17
	v_dual_sub_f32 v23, v17, v23 :: v_dual_sub_f32 v16, v16, v20
	s_delay_alu instid0(VALU_DEP_1) | instskip(SKIP_1) | instid1(VALU_DEP_2)
	v_dual_sub_f32 v25, v21, v24 :: v_dual_sub_f32 v22, v22, v23
	v_sub_f32_e32 v19, v19, v24
	v_dual_sub_f32 v17, v17, v25 :: v_dual_add_f32 v20, v22, v16
	s_delay_alu instid0(VALU_DEP_1) | instskip(NEXT) | instid1(VALU_DEP_2)
	v_add_f32_e32 v17, v19, v17
	v_sub_f32_e32 v19, v20, v22
	s_delay_alu instid0(VALU_DEP_2) | instskip(NEXT) | instid1(VALU_DEP_2)
	v_add_f32_e32 v17, v20, v17
	v_sub_f32_e32 v20, v20, v19
	s_delay_alu instid0(VALU_DEP_2) | instskip(NEXT) | instid1(VALU_DEP_1)
	v_dual_sub_f32 v16, v16, v19 :: v_dual_add_f32 v23, v21, v17
	v_dual_sub_f32 v20, v22, v20 :: v_dual_sub_f32 v19, v23, v21
	s_delay_alu instid0(VALU_DEP_1) | instskip(NEXT) | instid1(VALU_DEP_1)
	v_dual_add_f32 v16, v16, v20 :: v_dual_sub_f32 v17, v17, v19
	v_add_f32_e32 v16, v16, v17
	s_delay_alu instid0(VALU_DEP_1) | instskip(NEXT) | instid1(VALU_DEP_1)
	v_add_f32_e32 v16, v23, v16
	v_cndmask_b32_e32 v94, v16, v18, vcc_lo
.LBB19_52:                              ;   in Loop: Header=BB19_12 Depth=1
	s_or_b32 exec_lo, exec_lo, s15
	v_lshlrev_b32_e32 v31, 16, v12
	v_and_b32_e32 v30, 0xffff0000, v12
	v_lshlrev_b32_e32 v20, 16, v9
	v_lshlrev_b32_e32 v16, 16, v11
	v_and_b32_e32 v21, 0xffff0000, v8
	v_mul_f32_e32 v93, s57, v31
	v_dual_mul_f32 v92, s57, v30 :: v_dual_lshlrev_b32 v29, 16, v13
	v_lshlrev_b32_e32 v24, 16, v15
	s_delay_alu instid0(VALU_DEP_4) | instskip(SKIP_1) | instid1(VALU_DEP_4)
	v_dual_mul_f32 v82, s57, v21 :: v_dual_and_b32 v17, 0xffff0000, v10
	v_and_b32_e32 v28, 0xffff0000, v13
	v_mul_f32_e32 v91, s57, v29
	s_delay_alu instid0(VALU_DEP_4) | instskip(NEXT) | instid1(VALU_DEP_4)
	v_mul_f32_e32 v89, s57, v24
	v_dual_mul_f32 v78, s57, v17 :: v_dual_lshlrev_b32 v27, 16, v14
	s_delay_alu instid0(VALU_DEP_4) | instskip(NEXT) | instid1(VALU_DEP_2)
	v_dual_mul_f32 v86, s57, v28 :: v_dual_and_b32 v23, 0xffff0000, v15
	v_dual_mul_f32 v90, s57, v27 :: v_dual_and_b32 v25, 0xffff0000, v14
	v_dual_mul_f32 v83, s57, v20 :: v_dual_lshlrev_b32 v18, 16, v10
	v_mul_f32_e32 v79, s57, v16
	v_and_b32_e32 v19, 0xffff0000, v9
	s_delay_alu instid0(VALU_DEP_4) | instskip(SKIP_1) | instid1(VALU_DEP_3)
	v_dual_mul_f32 v87, s57, v25 :: v_dual_lshlrev_b32 v22, 16, v8
	v_and_b32_e32 v26, 0xffff0000, v11
	v_dual_mul_f32 v80, s57, v18 :: v_dual_mul_f32 v81, s57, v19
	s_delay_alu instid0(VALU_DEP_3) | instskip(NEXT) | instid1(VALU_DEP_3)
	v_dual_mul_f32 v85, s57, v22 :: v_dual_mul_f32 v88, s57, v23
	v_mul_f32_e32 v84, s57, v26
	s_lshl_b32 s38, s71, 10
	s_and_b32 vcc_lo, exec_lo, s67
	s_barrier
	buffer_gl0_inv
	s_cbranch_vccz .LBB19_11
; %bb.53:                               ;   in Loop: Header=BB19_12 Depth=1
	v_dual_mul_f32 v95, v94, v26 :: v_dual_mul_f32 v100, v77, v16
	v_add_co_u32 v26, s14, s41, v61
	s_delay_alu instid0(VALU_DEP_1) | instskip(SKIP_1) | instid1(VALU_DEP_1)
	v_add_co_ci_u32_e64 v32, null, s61, 0, s14
	v_add_co_u32 v33, s14, s45, v61
	v_add_co_ci_u32_e64 v99, null, s62, 0, s14
	s_delay_alu instid0(VALU_DEP_4) | instskip(NEXT) | instid1(VALU_DEP_4)
	v_add_co_u32 v96, vcc_lo, v26, v62
	v_add_co_ci_u32_e32 v97, vcc_lo, 0, v32, vcc_lo
	s_delay_alu instid0(VALU_DEP_4)
	v_add_co_u32 v98, vcc_lo, v33, v62
	s_sub_i32 s25, s34, s38
	v_add_co_ci_u32_e32 v99, vcc_lo, 0, v99, vcc_lo
	v_cmp_gt_u32_e32 vcc_lo, s25, v40
	s_cmp_lg_u32 s71, 0
	v_cmp_gt_u32_e64 s16, s25, v47
	s_cselect_b32 s39, -1, 0
	s_cmp_eq_u32 s71, s69
	v_cmp_gt_u32_e64 s17, s25, v48
	s_cselect_b32 s72, -1, 0
	s_or_b32 s14, s68, vcc_lo
	v_cmp_gt_u32_e32 vcc_lo, s25, v46
	v_cmp_gt_u32_e64 s18, s25, v49
	v_cmp_gt_u32_e64 s19, s25, v50
	;; [unrolled: 1-line block ×4, first 2 shown]
	s_or_b32 s15, s68, vcc_lo
	v_cmp_gt_u32_e32 vcc_lo, s25, v51
	v_cmp_gt_u32_e64 s23, s25, v54
	v_cmp_gt_u32_e64 s24, s25, v55
	;; [unrolled: 1-line block ×4, first 2 shown]
	s_or_b32 s20, s68, vcc_lo
	v_cmp_gt_u32_e32 vcc_lo, s25, v56
	v_cmp_gt_u32_e64 s28, s25, v59
	v_cmp_gt_u32_e64 s29, s25, v60
	v_dual_mul_f32 v101, v76, v17 :: v_dual_mul_f32 v102, v75, v18
	v_dual_mul_f32 v103, v74, v19 :: v_dual_mul_f32 v104, v73, v20
	;; [unrolled: 1-line block ×7, first 2 shown]
	s_mov_b32 s52, 0
	s_or_b32 s16, s68, s16
	s_or_b32 s17, s68, s17
	;; [unrolled: 1-line block ×8, first 2 shown]
	s_or_b32 s25, s68, vcc_lo
	s_or_b32 s26, s68, s26
	s_or_b32 s27, s68, s27
	;; [unrolled: 1-line block ×4, first 2 shown]
	s_mov_b32 s42, s52
	s_mov_b32 s46, s52
	;; [unrolled: 1-line block ×5, first 2 shown]
	s_branch .LBB19_55
.LBB19_54:                              ;   in Loop: Header=BB19_55 Depth=2
	s_or_b32 exec_lo, exec_lo, s30
	v_cndmask_b32_e64 v25, v144, v27, s13
	v_cndmask_b32_e64 v26, v143, v26, s13
	s_add_i32 s73, s73, -1
	s_add_i32 s74, s74, 8
	s_add_i32 s48, s48, s50
	v_fma_f32 v25, v25, v118, v117
	v_mul_f32_e32 v26, v26, v118
	s_add_i32 s46, s46, s44
	s_add_i32 s42, s42, s40
	;; [unrolled: 1-line block ×3, first 2 shown]
	v_cndmask_b32_e64 v25, v25, v117, s12
	v_cndmask_b32_e64 v26, v26, v118, s12
	s_cmp_eq_u32 s73, 0
	v_and_b32_e32 v27, 0xffff0000, v22
	s_waitcnt lgkmcnt(0)
	s_delay_alu instid0(VALU_DEP_2) | instskip(SKIP_1) | instid1(VALU_DEP_2)
	v_dual_fmac_f32 v25, v24, v26 :: v_dual_and_b32 v24, 0xffff0000, v20
	v_lshlrev_b32_e32 v20, 16, v20
	v_fmac_f32_e32 v28, v25, v120
	s_delay_alu instid0(VALU_DEP_1) | instskip(NEXT) | instid1(VALU_DEP_1)
	v_fmac_f32_e32 v29, v28, v121
	v_fmac_f32_e32 v30, v29, v123
	s_delay_alu instid0(VALU_DEP_4) | instskip(SKIP_1) | instid1(VALU_DEP_3)
	v_dual_fmac_f32 v93, v25, v20 :: v_dual_and_b32 v26, 0xffff0000, v21
	v_lshlrev_b32_e32 v21, 16, v21
	v_dual_fmac_f32 v31, v30, v126 :: v_dual_and_b32 v32, 0xffff0000, v23
	v_dual_fmac_f32 v92, v28, v24 :: v_dual_lshlrev_b32 v23, 16, v23
	s_delay_alu instid0(VALU_DEP_3) | instskip(NEXT) | instid1(VALU_DEP_3)
	v_dual_fmac_f32 v91, v29, v21 :: v_dual_fmac_f32 v86, v30, v26
	v_dual_fmac_f32 v115, v31, v127 :: v_dual_and_b32 v118, 0xffff0000, v18
	s_delay_alu instid0(VALU_DEP_1) | instskip(SKIP_1) | instid1(VALU_DEP_1)
	v_fmac_f32_e32 v87, v115, v27
	v_fmac_f32_e32 v116, v115, v128
	v_dual_fmac_f32 v89, v116, v23 :: v_dual_lshlrev_b32 v18, 16, v18
	v_fmac_f32_e32 v119, v116, v129
	s_delay_alu instid0(VALU_DEP_1) | instskip(NEXT) | instid1(VALU_DEP_1)
	v_fmac_f32_e32 v122, v119, v131
	v_fmac_f32_e32 v124, v122, v132
	s_delay_alu instid0(VALU_DEP_1) | instskip(NEXT) | instid1(VALU_DEP_1)
	v_dual_fmac_f32 v125, v124, v133 :: v_dual_lshlrev_b32 v22, 16, v22
	v_dual_fmac_f32 v130, v125, v141 :: v_dual_and_b32 v33, 0xffff0000, v16
	v_and_b32_e32 v117, 0xffff0000, v17
	v_dual_fmac_f32 v88, v119, v32 :: v_dual_lshlrev_b32 v17, 16, v17
	s_delay_alu instid0(VALU_DEP_3) | instskip(NEXT) | instid1(VALU_DEP_2)
	v_fmac_f32_e32 v134, v130, v136
	v_dual_fmac_f32 v83, v125, v17 :: v_dual_lshlrev_b32 v16, 16, v16
	s_delay_alu instid0(VALU_DEP_2) | instskip(SKIP_1) | instid1(VALU_DEP_3)
	v_dual_fmac_f32 v135, v134, v138 :: v_dual_and_b32 v120, 0xffff0000, v19
	v_dual_fmac_f32 v90, v31, v22 :: v_dual_lshlrev_b32 v19, 16, v19
	v_fmac_f32_e32 v85, v122, v16
	s_delay_alu instid0(VALU_DEP_3) | instskip(SKIP_1) | instid1(VALU_DEP_2)
	v_dual_fmac_f32 v137, v135, v140 :: v_dual_fmac_f32 v82, v124, v33
	v_dual_fmac_f32 v81, v130, v117 :: v_dual_fmac_f32 v78, v135, v118
	;; [unrolled: 1-line block ×3, first 2 shown]
	v_fmac_f32_e32 v139, v137, v142
	s_delay_alu instid0(VALU_DEP_1)
	v_fmac_f32_e32 v84, v139, v120
	s_cbranch_scc1 .LBB19_11
.LBB19_55:                              ;   Parent Loop BB19_12 Depth=1
                                        ; =>  This Inner Loop Header: Depth=2
	s_lshl_b64 s[30:31], s[52:53], 2
	s_mov_b32 s43, s53
	s_add_u32 s30, s60, s30
	s_addc_u32 s31, s51, s31
	s_lshl_b64 s[76:77], s[42:43], 1
	s_mov_b32 s47, s53
	v_add_co_u32 v20, vcc_lo, v96, s76
	v_add_co_ci_u32_e32 v21, vcc_lo, s77, v97, vcc_lo
	s_lshl_b64 s[76:77], s[46:47], 1
	s_clause 0x1
	global_load_b128 v[16:19], v[20:21], off
	global_load_b128 v[20:23], v[20:21], off offset:512
	v_add_co_u32 v24, vcc_lo, v98, s76
	v_add_co_ci_u32_e32 v25, vcc_lo, s77, v99, vcc_lo
	global_load_b32 v115, v34, s[30:31]
	s_and_not1_b32 vcc_lo, exec_lo, s39
	s_waitcnt vmcnt(2)
	ds_store_b128 v35, v[16:19]
	s_waitcnt vmcnt(1)
	ds_store_b128 v36, v[20:23] offset:512
	; wave barrier
	s_clause 0x1
	global_load_b128 v[16:19], v[24:25], off
	global_load_b128 v[20:23], v[24:25], off offset:512
	ds_load_b128 v[28:31], v37
	ds_load_b128 v[24:27], v37 offset:16
	s_waitcnt vmcnt(1)
	ds_store_b128 v35, v[16:19] offset:2112
	s_waitcnt vmcnt(0)
	ds_store_b128 v38, v[20:23] offset:512
	; wave barrier
	ds_load_b128 v[20:23], v37 offset:2112
	ds_load_b128 v[16:19], v39 offset:16
	s_cbranch_vccnz .LBB19_57
; %bb.56:                               ;   in Loop: Header=BB19_55 Depth=2
	v_mov_b32_e32 v32, s74
	ds_load_b64 v[32:33], v32
	s_cbranch_execz .LBB19_58
	s_branch .LBB19_61
.LBB19_57:                              ;   in Loop: Header=BB19_55 Depth=2
                                        ; implicit-def: $vgpr32
.LBB19_58:                              ;   in Loop: Header=BB19_55 Depth=2
	s_waitcnt lgkmcnt(0)
	v_mov_b32_e32 v33, 0
	s_and_not1_b32 vcc_lo, exec_lo, s33
	s_cbranch_vccnz .LBB19_60
; %bb.59:                               ;   in Loop: Header=BB19_55 Depth=2
	s_mov_b32 s49, s53
	s_delay_alu instid0(SALU_CYCLE_1) | instskip(NEXT) | instid1(SALU_CYCLE_1)
	s_lshl_b64 s[30:31], s[48:49], 1
	s_add_u32 s30, s63, s30
	s_addc_u32 s31, s64, s31
	global_load_u16 v32, v34, s[30:31]
	s_waitcnt vmcnt(0)
	v_lshlrev_b32_e32 v33, 16, v32
.LBB19_60:                              ;   in Loop: Header=BB19_55 Depth=2
	v_mov_b32_e32 v32, 1.0
.LBB19_61:                              ;   in Loop: Header=BB19_55 Depth=2
	s_waitcnt lgkmcnt(5)
	v_dual_mul_f32 v137, 0x3fb8aa3b, v115 :: v_dual_lshlrev_b32 v116, 16, v29
	v_lshlrev_b32_e32 v115, 16, v28
	v_and_b32_e32 v28, 0xffff0000, v28
	v_and_b32_e32 v119, 0xffff0000, v29
	s_delay_alu instid0(VALU_DEP_4) | instskip(SKIP_3) | instid1(VALU_DEP_3)
	v_dual_mul_f32 v29, v137, v63 :: v_dual_and_b32 v124, 0xffff0000, v30
	v_mul_f32_e32 v118, v137, v66
	s_waitcnt lgkmcnt(4)
	v_dual_mul_f32 v115, v114, v115 :: v_dual_lshlrev_b32 v130, 16, v24
	v_cmp_gt_f32_e32 vcc_lo, 0xc2fc0000, v29
	v_dual_mul_f32 v131, v137, v73 :: v_dual_lshlrev_b32 v134, 16, v26
	s_delay_alu instid0(VALU_DEP_3)
	v_mul_f32_e32 v130, v106, v130
	v_mul_f32_e32 v142, v137, v94
	v_cndmask_b32_e64 v29, 0, 0x42800000, vcc_lo
	v_lshlrev_b32_e32 v122, 16, v30
	v_mul_f32_e32 v30, v137, v64
	v_cndmask_b32_e64 v117, 1.0, 0x1f800000, vcc_lo
	v_mul_f32_e32 v28, v113, v28
	v_dual_fmac_f32 v29, v137, v63 :: v_dual_mul_f32 v116, v112, v116
	s_delay_alu instid0(VALU_DEP_4) | instskip(NEXT) | instid1(VALU_DEP_3)
	v_cmp_gt_f32_e64 s30, 0xc2fc0000, v30
	v_cndmask_b32_e64 v28, 0, v28, s15
	s_delay_alu instid0(VALU_DEP_3) | instskip(SKIP_1) | instid1(VALU_DEP_3)
	v_exp_f32_e32 v29, v29
	v_and_b32_e32 v128, 0xffff0000, v31
	v_cndmask_b32_e64 v30, 0, 0x42800000, s30
	v_lshlrev_b32_e32 v125, 16, v31
	v_mul_f32_e32 v31, v137, v65
	v_mul_f32_e32 v124, v109, v124
	s_delay_alu instid0(VALU_DEP_4) | instskip(SKIP_1) | instid1(VALU_DEP_4)
	v_fmac_f32_e32 v30, v137, v64
	v_mul_f32_e32 v129, v137, v71
	v_cmp_gt_f32_e32 vcc_lo, 0xc2fc0000, v31
	s_delay_alu instid0(TRANS32_DEP_1)
	v_mul_f32_e32 v29, v29, v117
	v_cndmask_b32_e64 v117, 0, v115, s14
	v_exp_f32_e32 v30, v30
	v_cndmask_b32_e64 v115, 1.0, 0x1f800000, s30
	v_cndmask_b32_e64 v31, 0, 0x42800000, vcc_lo
	v_cmp_gt_f32_e64 s30, 0xc2fc0000, v118
	v_and_b32_e32 v24, 0xffff0000, v24
	v_lshlrev_b32_e32 v132, 16, v25
	v_cndmask_b32_e64 v118, 1.0, v29, s14
	v_fmac_f32_e32 v31, v137, v65
	v_cndmask_b32_e64 v120, 0, 0x42800000, s30
	v_lshlrev_b32_e32 v139, 16, v27
	v_mul_f32_e32 v29, v30, v115
	v_and_b32_e32 v27, 0xffff0000, v27
	v_exp_f32_e32 v30, v31
	v_fmac_f32_e32 v120, v137, v66
	v_mul_f32_e32 v31, v137, v67
	v_cndmask_b32_e64 v115, 1.0, 0x1f800000, vcc_lo
	v_dual_mul_f32 v140, v137, v76 :: v_dual_and_b32 v25, 0xffff0000, v25
	v_mul_f32_e32 v27, v95, v27
	v_exp_f32_e32 v123, v120
	v_cmp_gt_f32_e32 vcc_lo, 0xc2fc0000, v31
	v_cndmask_b32_e64 v120, 1.0, v29, s15
	s_delay_alu instid0(TRANS32_DEP_2)
	v_mul_f32_e32 v30, v30, v115
	v_cndmask_b32_e64 v115, 1.0, 0x1f800000, s30
	v_cndmask_b32_e64 v29, 0, v116, s16
	v_cndmask_b32_e64 v31, 0, 0x42800000, vcc_lo
	v_mul_f32_e32 v116, v137, v68
	v_and_b32_e32 v26, 0xffff0000, v26
	v_cndmask_b32_e64 v121, 1.0, v30, s16
	v_mul_f32_e32 v115, v123, v115
	v_fmac_f32_e32 v31, v137, v67
	v_cmp_gt_f32_e64 s30, 0xc2fc0000, v116
	v_dual_mul_f32 v30, v111, v119 :: v_dual_mul_f32 v119, v137, v69
	s_delay_alu instid0(VALU_DEP_4) | instskip(NEXT) | instid1(VALU_DEP_4)
	v_cndmask_b32_e64 v123, 1.0, v115, s17
	v_exp_f32_e32 v31, v31
	s_delay_alu instid0(VALU_DEP_3)
	v_cndmask_b32_e64 v116, 0, 0x42800000, s30
	v_cndmask_b32_e64 v115, 1.0, 0x1f800000, vcc_lo
	v_cmp_gt_f32_e32 vcc_lo, 0xc2fc0000, v119
	v_cndmask_b32_e64 v127, 1.0, 0x1f800000, s30
	v_dual_mul_f32 v24, v105, v24 :: v_dual_mul_f32 v139, v100, v139
	v_fmac_f32_e32 v116, v137, v68
	v_cndmask_b32_e64 v119, 0, 0x42800000, vcc_lo
	v_fma_f32 v138, v120, v117, v28
	s_delay_alu instid0(TRANS32_DEP_1)
	v_mul_f32_e32 v115, v31, v115
	v_mul_f32_e32 v31, v110, v122
	v_exp_f32_e32 v116, v116
	v_fmac_f32_e32 v119, v137, v69
	v_cndmask_b32_e64 v30, 0, v30, s17
	v_mul_f32_e32 v26, v101, v26
	v_cndmask_b32_e64 v31, 0, v31, s18
	v_dual_mul_f32 v25, v103, v25 :: v_dual_mul_f32 v134, v102, v134
	s_waitcnt_depctr 0xfff
	v_mul_f32_e32 v116, v116, v127
	v_exp_f32_e32 v119, v119
	v_mul_f32_e32 v126, v137, v70
	v_cndmask_b32_e64 v134, 0, v134, s26
	s_delay_alu instid0(VALU_DEP_3) | instskip(SKIP_1) | instid1(VALU_DEP_4)
	v_cndmask_b32_e64 v127, 1.0, v116, s19
	v_mul_f32_e32 v116, v108, v125
	v_cmp_gt_f32_e64 s31, 0xc2fc0000, v126
	v_cndmask_b32_e64 v126, 1.0, v115, s18
	v_cndmask_b32_e64 v115, 0, v124, s19
	v_cndmask_b32_e64 v124, 1.0, 0x1f800000, vcc_lo
	v_cmp_gt_f32_e32 vcc_lo, 0xc2fc0000, v129
	v_cndmask_b32_e64 v122, 0, 0x42800000, s31
	v_mul_f32_e32 v129, v107, v128
	v_cndmask_b32_e64 v116, 0, v116, s20
	v_mul_f32_e32 v119, v119, v124
	v_cndmask_b32_e64 v124, 1.0, 0x1f800000, s31
	v_fmac_f32_e32 v122, v137, v70
	v_cndmask_b32_e64 v125, 0, 0x42800000, vcc_lo
	v_cmp_gt_f32_e64 s31, 0xc2fc0000, v131
	v_cndmask_b32_e64 v128, 1.0, v119, s20
	v_cndmask_b32_e64 v119, 0, v129, s21
	v_exp_f32_e32 v122, v122
	v_fmac_f32_e32 v125, v137, v71
	v_mul_f32_e32 v131, v137, v74
	v_cndmask_b32_e64 v133, 1.0, 0x1f800000, vcc_lo
	s_delay_alu instid0(VALU_DEP_2)
	v_cmp_gt_f32_e32 vcc_lo, 0xc2fc0000, v131
	s_waitcnt_depctr 0xfff
	v_mul_f32_e32 v122, v122, v124
	v_mul_f32_e32 v124, v137, v72
	v_cndmask_b32_e64 v135, 0, 0x42800000, vcc_lo
	v_cndmask_b32_e64 v136, 1.0, 0x1f800000, vcc_lo
	s_delay_alu instid0(VALU_DEP_4) | instskip(NEXT) | instid1(VALU_DEP_4)
	v_cndmask_b32_e64 v129, 1.0, v122, s21
	v_cmp_gt_f32_e64 s30, 0xc2fc0000, v124
	v_exp_f32_e32 v122, v125
	v_cndmask_b32_e64 v125, 0, 0x42800000, s31
	s_delay_alu instid0(VALU_DEP_2)
	v_cndmask_b32_e64 v124, 0, 0x42800000, s30
	s_waitcnt_depctr 0xfff
	v_dual_fmac_f32 v124, v137, v72 :: v_dual_mul_f32 v131, v122, v133
	v_cndmask_b32_e64 v122, 0, v130, s22
	v_cndmask_b32_e64 v130, 1.0, 0x1f800000, s30
	v_cmp_gt_f32_e64 s30, 0xc2fc0000, v140
	s_delay_alu instid0(VALU_DEP_4)
	v_exp_f32_e32 v124, v124
	v_fmac_f32_e32 v125, v137, v73
	v_cndmask_b32_e64 v133, 1.0, 0x1f800000, s31
	v_cndmask_b32_e64 v131, 1.0, v131, s22
	;; [unrolled: 1-line block ×3, first 2 shown]
	v_fmac_f32_e32 v135, v137, v74
	s_waitcnt_depctr 0xfff
	v_mul_f32_e32 v130, v124, v130
	v_exp_f32_e32 v125, v125
	v_exp_f32_e32 v135, v135
	v_cndmask_b32_e64 v124, 0, v24, s23
	v_mul_f32_e32 v24, v104, v132
	v_cndmask_b32_e64 v132, 1.0, v130, s23
	v_mul_f32_e32 v130, v137, v75
	s_delay_alu instid0(VALU_DEP_1) | instskip(NEXT) | instid1(TRANS32_DEP_2)
	v_cmp_gt_f32_e32 vcc_lo, 0xc2fc0000, v130
	v_mul_f32_e32 v133, v125, v133
	v_cndmask_b32_e64 v125, 0, v24, s24
	s_delay_alu instid0(TRANS32_DEP_1)
	v_mul_f32_e32 v24, v135, v136
	v_cndmask_b32_e64 v130, 0, v25, s25
	v_cndmask_b32_e64 v135, 0, 0x42800000, vcc_lo
	v_mul_f32_e32 v136, v120, v118
	v_cndmask_b32_e64 v133, 1.0, v133, s24
	v_cndmask_b32_e64 v141, 1.0, v24, s25
	v_cndmask_b32_e64 v24, 1.0, 0x1f800000, vcc_lo
	v_fmac_f32_e32 v135, v137, v75
	v_mul_f32_e32 v25, v136, v121
	v_fma_f32 v136, v138, v121, v29
	v_cndmask_b32_e64 v138, 0, 0x42800000, s30
	v_cmp_gt_f32_e64 s30, 0xc2fc0000, v142
	v_exp_f32_e32 v135, v135
	v_mul_f32_e32 v25, v25, v123
	v_fma_f32 v136, v136, v123, v30
	v_fmac_f32_e32 v138, v137, v76
	s_delay_alu instid0(VALU_DEP_3) | instskip(NEXT) | instid1(VALU_DEP_3)
	v_mul_f32_e32 v25, v25, v126
	v_fma_f32 v136, v136, v126, v31
	s_delay_alu instid0(VALU_DEP_3)
	v_exp_f32_e32 v138, v138
	s_delay_alu instid0(TRANS32_DEP_2) | instid1(VALU_DEP_2)
	v_dual_mul_f32 v24, v135, v24 :: v_dual_mul_f32 v25, v25, v127
	s_delay_alu instid0(VALU_DEP_2) | instskip(NEXT) | instid1(VALU_DEP_2)
	v_fma_f32 v135, v136, v127, v115
	v_cndmask_b32_e64 v136, 1.0, v24, s26
	s_delay_alu instid0(VALU_DEP_3) | instskip(NEXT) | instid1(VALU_DEP_3)
	v_mul_f32_e32 v24, v25, v128
	v_fma_f32 v25, v135, v128, v116
	s_waitcnt_depctr 0xfff
	v_mul_f32_e32 v138, v138, v140
	v_mul_f32_e32 v24, v24, v129
	;; [unrolled: 1-line block ×3, first 2 shown]
	v_fma_f32 v25, v25, v129, v119
	s_delay_alu instid0(VALU_DEP_4) | instskip(NEXT) | instid1(VALU_DEP_4)
	v_cndmask_b32_e64 v138, 1.0, v138, s27
	v_mul_f32_e32 v24, v24, v131
	s_delay_alu instid0(VALU_DEP_4) | instskip(NEXT) | instid1(VALU_DEP_4)
	v_cmp_gt_f32_e32 vcc_lo, 0xc2fc0000, v135
	v_fma_f32 v25, v25, v131, v122
	v_cndmask_b32_e64 v135, 0, v26, s27
	v_cndmask_b32_e64 v26, 0, 0x42800000, s30
	v_mul_f32_e32 v24, v24, v132
	v_cndmask_b32_e64 v140, 0, 0x42800000, vcc_lo
	v_fma_f32 v25, v25, v132, v124
	s_delay_alu instid0(VALU_DEP_4) | instskip(NEXT) | instid1(VALU_DEP_4)
	v_fmac_f32_e32 v26, v137, v94
	v_mul_f32_e32 v24, v24, v133
	s_delay_alu instid0(VALU_DEP_4) | instskip(NEXT) | instid1(VALU_DEP_4)
	v_fmac_f32_e32 v140, v137, v77
	v_fma_f32 v25, v25, v133, v125
	v_cndmask_b32_e64 v137, 1.0, 0x1f800000, vcc_lo
	v_exp_f32_e32 v26, v26
	v_mul_f32_e32 v24, v24, v141
	v_exp_f32_e32 v140, v140
	v_fma_f32 v25, v25, v141, v130
	s_delay_alu instid0(VALU_DEP_2) | instskip(NEXT) | instid1(VALU_DEP_2)
	v_mul_f32_e32 v24, v24, v136
	v_fma_f32 v25, v25, v136, v134
	s_delay_alu instid0(VALU_DEP_2)
	v_mul_f32_e32 v24, v24, v138
	s_waitcnt_depctr 0xfff
	v_mul_f32_e32 v140, v140, v137
	v_cndmask_b32_e64 v137, 0, v139, s28
	v_cndmask_b32_e64 v139, 1.0, 0x1f800000, s30
	v_fma_f32 v25, v25, v138, v135
	s_delay_alu instid0(VALU_DEP_4) | instskip(NEXT) | instid1(VALU_DEP_3)
	v_cndmask_b32_e64 v140, 1.0, v140, s28
	v_mul_f32_e32 v26, v26, v139
	v_cndmask_b32_e64 v139, 0, v27, s29
	s_delay_alu instid0(VALU_DEP_3) | instskip(SKIP_1) | instid1(VALU_DEP_4)
	v_mul_f32_e32 v24, v24, v140
	v_fma_f32 v25, v25, v140, v137
	v_cndmask_b32_e64 v142, 1.0, v26, s29
	s_delay_alu instid0(VALU_DEP_1) | instskip(NEXT) | instid1(VALU_DEP_3)
	v_mul_f32_e32 v24, v24, v142
	v_fma_f32 v25, v25, v142, v139
	s_delay_alu instid0(VALU_DEP_2) | instskip(NEXT) | instid1(VALU_DEP_2)
	v_mov_b32_dpp v27, v24 row_shr:1 row_mask:0xf bank_mask:0xf
	v_mov_b32_dpp v26, v25 row_shr:1 row_mask:0xf bank_mask:0xf
	s_and_saveexec_b32 s30, s2
; %bb.62:                               ;   in Loop: Header=BB19_55 Depth=2
	s_delay_alu instid0(VALU_DEP_2) | instskip(NEXT) | instid1(VALU_DEP_1)
	v_mul_f32_e32 v27, v24, v27
	v_dual_fmac_f32 v25, v24, v26 :: v_dual_mov_b32 v24, v27
; %bb.63:                               ;   in Loop: Header=BB19_55 Depth=2
	s_or_b32 exec_lo, exec_lo, s30
	s_delay_alu instid0(VALU_DEP_1) | instskip(NEXT) | instid1(VALU_DEP_2)
	v_mov_b32_dpp v26, v24 row_shr:2 row_mask:0xf bank_mask:0xf
	v_mov_b32_dpp v27, v25 row_shr:2 row_mask:0xf bank_mask:0xf
	s_and_saveexec_b32 s30, s3
; %bb.64:                               ;   in Loop: Header=BB19_55 Depth=2
	s_delay_alu instid0(VALU_DEP_1) | instskip(NEXT) | instid1(VALU_DEP_3)
	v_fmac_f32_e32 v25, v24, v27
	v_mul_f32_e32 v24, v24, v26
; %bb.65:                               ;   in Loop: Header=BB19_55 Depth=2
	s_or_b32 exec_lo, exec_lo, s30
	s_delay_alu instid0(VALU_DEP_1) | instskip(NEXT) | instid1(VALU_DEP_3)
	v_mov_b32_dpp v26, v24 row_shr:4 row_mask:0xf bank_mask:0xf
	v_mov_b32_dpp v27, v25 row_shr:4 row_mask:0xf bank_mask:0xf
	s_and_saveexec_b32 s30, s4
; %bb.66:                               ;   in Loop: Header=BB19_55 Depth=2
	s_delay_alu instid0(VALU_DEP_1) | instskip(NEXT) | instid1(VALU_DEP_3)
	v_fmac_f32_e32 v25, v24, v27
	v_mul_f32_e32 v24, v24, v26
; %bb.67:                               ;   in Loop: Header=BB19_55 Depth=2
	s_or_b32 exec_lo, exec_lo, s30
	s_delay_alu instid0(VALU_DEP_1) | instskip(NEXT) | instid1(VALU_DEP_3)
	v_mov_b32_dpp v26, v24 row_shr:8 row_mask:0xf bank_mask:0xf
	v_mov_b32_dpp v27, v25 row_shr:8 row_mask:0xf bank_mask:0xf
	s_and_saveexec_b32 s30, s5
; %bb.68:                               ;   in Loop: Header=BB19_55 Depth=2
	s_delay_alu instid0(VALU_DEP_1) | instskip(NEXT) | instid1(VALU_DEP_3)
	v_fmac_f32_e32 v25, v24, v27
	v_mul_f32_e32 v24, v24, v26
; %bb.69:                               ;   in Loop: Header=BB19_55 Depth=2
	s_or_b32 exec_lo, exec_lo, s30
	ds_swizzle_b32 v27, v24 offset:swizzle(BROADCAST,32,15)
	ds_swizzle_b32 v26, v25 offset:swizzle(BROADCAST,32,15)
	s_and_saveexec_b32 s30, s6
	s_cbranch_execz .LBB19_71
; %bb.70:                               ;   in Loop: Header=BB19_55 Depth=2
	s_waitcnt lgkmcnt(1)
	v_mul_f32_e32 v27, v24, v27
	s_waitcnt lgkmcnt(0)
	s_delay_alu instid0(VALU_DEP_1)
	v_dual_fmac_f32 v25, v24, v26 :: v_dual_mov_b32 v24, v27
.LBB19_71:                              ;   in Loop: Header=BB19_55 Depth=2
	s_or_b32 exec_lo, exec_lo, s30
	s_and_saveexec_b32 s30, s7
	s_cbranch_execz .LBB19_73
; %bb.72:                               ;   in Loop: Header=BB19_55 Depth=2
	ds_store_b64 v41, v[24:25] offset:4224
.LBB19_73:                              ;   in Loop: Header=BB19_55 Depth=2
	s_or_b32 exec_lo, exec_lo, s30
	s_waitcnt lgkmcnt(0)
	s_waitcnt_vscnt null, 0x0
	s_barrier
	buffer_gl0_inv
	s_and_saveexec_b32 s30, s8
	s_cbranch_execz .LBB19_75
; %bb.74:                               ;   in Loop: Header=BB19_55 Depth=2
	ds_load_b64 v[26:27], v42 offset:4224
	s_waitcnt lgkmcnt(0)
	v_mov_b32_dpp v143, v26 row_shr:1 row_mask:0xf bank_mask:0xf
	v_mov_b32_dpp v144, v27 row_shr:1 row_mask:0xf bank_mask:0xf
	s_delay_alu instid0(VALU_DEP_2) | instskip(NEXT) | instid1(VALU_DEP_2)
	v_mul_f32_e32 v143, v26, v143
	v_fma_f32 v144, v26, v144, v27
	s_delay_alu instid0(VALU_DEP_2) | instskip(NEXT) | instid1(VALU_DEP_2)
	v_cndmask_b32_e64 v26, v143, v26, s9
	v_cndmask_b32_e64 v27, v144, v27, s9
	ds_store_b64 v42, v[26:27] offset:4224
.LBB19_75:                              ;   in Loop: Header=BB19_55 Depth=2
	s_or_b32 exec_lo, exec_lo, s30
	s_waitcnt lgkmcnt(0)
	s_barrier
	buffer_gl0_inv
                                        ; implicit-def: $vgpr27
	s_and_saveexec_b32 s30, s11
	s_cbranch_execz .LBB19_77
; %bb.76:                               ;   in Loop: Header=BB19_55 Depth=2
	ds_load_b64 v[26:27], v41 offset:4216
	s_waitcnt lgkmcnt(0)
	v_mul_f32_e32 v143, v24, v26
	s_delay_alu instid0(VALU_DEP_1)
	v_dual_fmac_f32 v25, v24, v27 :: v_dual_mov_b32 v24, v143
.LBB19_77:                              ;   in Loop: Header=BB19_55 Depth=2
	s_or_b32 exec_lo, exec_lo, s30
	ds_bpermute_b32 v143, v43, v24
	ds_bpermute_b32 v144, v43, v25
	s_and_saveexec_b32 s30, s10
	s_cbranch_execz .LBB19_81
; %bb.78:                               ;   in Loop: Header=BB19_55 Depth=2
	ds_load_b64 v[24:25], v34 offset:4232
	s_and_saveexec_b32 s31, s12
	s_cbranch_execz .LBB19_80
; %bb.79:                               ;   in Loop: Header=BB19_55 Depth=2
	ds_store_b64 v34, v[32:33] offset:4232
.LBB19_80:                              ;   in Loop: Header=BB19_55 Depth=2
	s_or_b32 exec_lo, exec_lo, s31
	s_waitcnt lgkmcnt(0)
	v_fmac_f32_e32 v25, v24, v33
	s_delay_alu instid0(VALU_DEP_1)
	v_dual_mul_f32 v32, v32, v24 :: v_dual_mov_b32 v33, v25
.LBB19_81:                              ;   in Loop: Header=BB19_55 Depth=2
	s_or_b32 exec_lo, exec_lo, s30
	s_waitcnt lgkmcnt(0)
	s_barrier
	buffer_gl0_inv
	ds_load_b32 v24, v34 offset:4236
	s_and_saveexec_b32 s30, s12
	s_cbranch_execz .LBB19_54
; %bb.82:                               ;   in Loop: Header=BB19_55 Depth=2
	v_mov_b32_e32 v25, s74
	s_and_not1_b32 vcc_lo, exec_lo, s72
	ds_store_b64 v25, v[32:33]
	s_cbranch_vccnz .LBB19_54
; %bb.83:                               ;   in Loop: Header=BB19_55 Depth=2
	v_bfe_u32 v25, v33, 16, 1
	v_cmp_o_f32_e32 vcc_lo, v33, v33
	s_mov_b32 s49, s53
	s_delay_alu instid0(SALU_CYCLE_1) | instskip(NEXT) | instid1(VALU_DEP_2)
	s_lshl_b64 s[76:77], s[48:49], 1
	v_add3_u32 v25, v33, v25, 0x7fff
	s_add_u32 s76, s63, s76
	s_addc_u32 s77, s64, s77
	s_delay_alu instid0(VALU_DEP_1) | instskip(NEXT) | instid1(VALU_DEP_1)
	v_lshrrev_b32_e32 v25, 16, v25
	v_cndmask_b32_e32 v25, 0x7fc0, v25, vcc_lo
	global_store_b16 v34, v25, s[76:77]
	s_branch .LBB19_54
.LBB19_84:
	s_nop 0
	s_sendmsg sendmsg(MSG_DEALLOC_VGPRS)
	s_endpgm
	.section	.rodata,"a",@progbits
	.p2align	6, 0x0
	.amdhsa_kernel _Z25selective_scan_fwd_kernelI32Selective_Scan_fwd_kernel_traitsILi64ELi16ELi1ELb1ELb1ELb1ELb0ELb0EN3c108BFloat16EfS2_EEv13SSMParamsBase
		.amdhsa_group_segment_fixed_size 0
		.amdhsa_private_segment_fixed_size 0
		.amdhsa_kernarg_size 248
		.amdhsa_user_sgpr_count 14
		.amdhsa_user_sgpr_dispatch_ptr 0
		.amdhsa_user_sgpr_queue_ptr 0
		.amdhsa_user_sgpr_kernarg_segment_ptr 1
		.amdhsa_user_sgpr_dispatch_id 0
		.amdhsa_user_sgpr_private_segment_size 0
		.amdhsa_wavefront_size32 1
		.amdhsa_uses_dynamic_stack 0
		.amdhsa_enable_private_segment 0
		.amdhsa_system_sgpr_workgroup_id_x 1
		.amdhsa_system_sgpr_workgroup_id_y 1
		.amdhsa_system_sgpr_workgroup_id_z 0
		.amdhsa_system_sgpr_workgroup_info 0
		.amdhsa_system_vgpr_workitem_id 0
		.amdhsa_next_free_vgpr 145
		.amdhsa_next_free_sgpr 78
		.amdhsa_reserve_vcc 1
		.amdhsa_float_round_mode_32 0
		.amdhsa_float_round_mode_16_64 0
		.amdhsa_float_denorm_mode_32 3
		.amdhsa_float_denorm_mode_16_64 3
		.amdhsa_dx10_clamp 1
		.amdhsa_ieee_mode 1
		.amdhsa_fp16_overflow 0
		.amdhsa_workgroup_processor_mode 1
		.amdhsa_memory_ordered 1
		.amdhsa_forward_progress 0
		.amdhsa_shared_vgpr_count 0
		.amdhsa_exception_fp_ieee_invalid_op 0
		.amdhsa_exception_fp_denorm_src 0
		.amdhsa_exception_fp_ieee_div_zero 0
		.amdhsa_exception_fp_ieee_overflow 0
		.amdhsa_exception_fp_ieee_underflow 0
		.amdhsa_exception_fp_ieee_inexact 0
		.amdhsa_exception_int_div_zero 0
	.end_amdhsa_kernel
	.section	.text._Z25selective_scan_fwd_kernelI32Selective_Scan_fwd_kernel_traitsILi64ELi16ELi1ELb1ELb1ELb1ELb0ELb0EN3c108BFloat16EfS2_EEv13SSMParamsBase,"axG",@progbits,_Z25selective_scan_fwd_kernelI32Selective_Scan_fwd_kernel_traitsILi64ELi16ELi1ELb1ELb1ELb1ELb0ELb0EN3c108BFloat16EfS2_EEv13SSMParamsBase,comdat
.Lfunc_end19:
	.size	_Z25selective_scan_fwd_kernelI32Selective_Scan_fwd_kernel_traitsILi64ELi16ELi1ELb1ELb1ELb1ELb0ELb0EN3c108BFloat16EfS2_EEv13SSMParamsBase, .Lfunc_end19-_Z25selective_scan_fwd_kernelI32Selective_Scan_fwd_kernel_traitsILi64ELi16ELi1ELb1ELb1ELb1ELb0ELb0EN3c108BFloat16EfS2_EEv13SSMParamsBase
                                        ; -- End function
	.section	.AMDGPU.csdata,"",@progbits
; Kernel info:
; codeLenInByte = 18360
; NumSgprs: 80
; NumVgprs: 145
; ScratchSize: 0
; MemoryBound: 1
; FloatMode: 240
; IeeeMode: 1
; LDSByteSize: 0 bytes/workgroup (compile time only)
; SGPRBlocks: 9
; VGPRBlocks: 18
; NumSGPRsForWavesPerEU: 80
; NumVGPRsForWavesPerEU: 145
; Occupancy: 9
; WaveLimiterHint : 1
; COMPUTE_PGM_RSRC2:SCRATCH_EN: 0
; COMPUTE_PGM_RSRC2:USER_SGPR: 14
; COMPUTE_PGM_RSRC2:TRAP_HANDLER: 0
; COMPUTE_PGM_RSRC2:TGID_X_EN: 1
; COMPUTE_PGM_RSRC2:TGID_Y_EN: 1
; COMPUTE_PGM_RSRC2:TGID_Z_EN: 0
; COMPUTE_PGM_RSRC2:TIDIG_COMP_CNT: 0
	.section	.text._Z25selective_scan_fwd_kernelI32Selective_Scan_fwd_kernel_traitsILi64ELi16ELi1ELb0ELb1ELb1ELb1ELb1EN3c108BFloat16EfS2_EEv13SSMParamsBase,"axG",@progbits,_Z25selective_scan_fwd_kernelI32Selective_Scan_fwd_kernel_traitsILi64ELi16ELi1ELb0ELb1ELb1ELb1ELb1EN3c108BFloat16EfS2_EEv13SSMParamsBase,comdat
	.protected	_Z25selective_scan_fwd_kernelI32Selective_Scan_fwd_kernel_traitsILi64ELi16ELi1ELb0ELb1ELb1ELb1ELb1EN3c108BFloat16EfS2_EEv13SSMParamsBase ; -- Begin function _Z25selective_scan_fwd_kernelI32Selective_Scan_fwd_kernel_traitsILi64ELi16ELi1ELb0ELb1ELb1ELb1ELb1EN3c108BFloat16EfS2_EEv13SSMParamsBase
	.globl	_Z25selective_scan_fwd_kernelI32Selective_Scan_fwd_kernel_traitsILi64ELi16ELi1ELb0ELb1ELb1ELb1ELb1EN3c108BFloat16EfS2_EEv13SSMParamsBase
	.p2align	8
	.type	_Z25selective_scan_fwd_kernelI32Selective_Scan_fwd_kernel_traitsILi64ELi16ELi1ELb0ELb1ELb1ELb1ELb1EN3c108BFloat16EfS2_EEv13SSMParamsBase,@function
_Z25selective_scan_fwd_kernelI32Selective_Scan_fwd_kernel_traitsILi64ELi16ELi1ELb0ELb1ELb1ELb1ELb1EN3c108BFloat16EfS2_EEv13SSMParamsBase: ; @_Z25selective_scan_fwd_kernelI32Selective_Scan_fwd_kernel_traitsILi64ELi16ELi1ELb0ELb1ELb1ELb1ELb1EN3c108BFloat16EfS2_EEv13SSMParamsBase
; %bb.0:
	s_clause 0x2
	s_load_b32 s11, s[0:1], 0x18
	s_load_b256 s[36:43], s[0:1], 0xc8
	s_load_b128 s[4:7], s[0:1], 0xe8
	s_mov_b32 s12, s15
	s_ashr_i32 s15, s14, 31
	s_mov_b32 s47, 0
	s_lshl_b64 s[8:9], s[14:15], 2
	s_waitcnt lgkmcnt(0)
	s_abs_i32 s10, s11
	s_add_u32 s2, s42, s8
	v_cvt_f32_u32_e32 v1, s10
	s_addc_u32 s3, s43, s9
	s_cmp_eq_u64 s[6:7], 0
	s_delay_alu instid0(VALU_DEP_1) | instskip(SKIP_2) | instid1(VALU_DEP_1)
	v_rcp_iflag_f32_e32 v1, v1
	s_waitcnt_depctr 0xfff
	v_mul_f32_e32 v1, 0x4f7ffffe, v1
	v_cvt_u32_f32_e32 v1, v1
	s_delay_alu instid0(VALU_DEP_1)
	v_readfirstlane_b32 s33, v1
	s_cbranch_scc1 .LBB20_2
; %bb.1:
	v_mov_b32_e32 v1, 0
	s_add_u32 s6, s6, s14
	s_addc_u32 s7, s7, s15
	global_load_u8 v1, v1, s[6:7]
	s_waitcnt vmcnt(0)
	v_and_b32_e32 v1, 1, v1
	s_delay_alu instid0(VALU_DEP_1)
	v_cmp_eq_u32_e64 s47, 1, v1
.LBB20_2:
	s_load_b64 s[6:7], s[0:1], 0x20
	s_cmp_eq_u64 s[4:5], 0
	s_cbranch_scc1 .LBB20_4
; %bb.3:
	s_add_u32 s4, s4, s8
	s_addc_u32 s5, s5, s9
	s_load_b32 s14, s[4:5], 0x0
	s_waitcnt lgkmcnt(0)
	s_ashr_i32 s15, s14, 31
.LBB20_4:
	s_waitcnt lgkmcnt(0)
	s_cmp_eq_u64 s[6:7], s[14:15]
	s_cbranch_scc1 .LBB20_300
; %bb.5:
	s_load_b512 s[16:31], s[0:1], 0x88
	s_load_b64 s[34:35], s[2:3], 0x0
	s_mov_b32 s66, 0
	s_mov_b32 s67, 0
	s_waitcnt lgkmcnt(0)
	s_cmp_eq_u64 s[22:23], 0
	s_cbranch_scc1 .LBB20_7
; %bb.6:
	s_ashr_i32 s13, s12, 31
	s_delay_alu instid0(SALU_CYCLE_1) | instskip(NEXT) | instid1(SALU_CYCLE_1)
	s_lshl_b64 s[2:3], s[12:13], 2
	s_add_u32 s2, s22, s2
	s_addc_u32 s3, s23, s3
	s_load_b32 s67, s[2:3], 0x0
.LBB20_7:
	s_cmp_eq_u64 s[28:29], 0
	s_cbranch_scc1 .LBB20_9
; %bb.8:
	s_ashr_i32 s13, s12, 31
	s_delay_alu instid0(SALU_CYCLE_1) | instskip(NEXT) | instid1(SALU_CYCLE_1)
	s_lshl_b64 s[2:3], s[12:13], 2
	s_add_u32 s2, s28, s2
	s_addc_u32 s3, s29, s3
	s_load_b32 s66, s[2:3], 0x0
.LBB20_9:
	s_sub_i32 s68, s35, s34
	s_delay_alu instid0(SALU_CYCLE_1)
	s_cmp_lt_i32 s68, 1
	s_cbranch_scc1 .LBB20_300
; %bb.10:
	s_sub_i32 s2, 0, s10
	s_load_b256 s[48:55], s[0:1], 0x4c
	s_mul_i32 s2, s2, s33
	s_abs_i32 s3, s12
	s_mul_hi_u32 s2, s33, s2
	s_ashr_i32 s5, s11, 31
	s_add_i32 s33, s33, s2
	s_ashr_i32 s2, s12, 31
	s_mul_hi_u32 s4, s3, s33
	s_xor_b32 s5, s2, s5
	s_mul_i32 s6, s4, s10
	s_load_b256 s[56:63], s[0:1], 0x2c
	s_sub_i32 s2, s3, s6
	s_add_i32 s3, s4, 1
	s_sub_i32 s6, s2, s10
	s_cmp_ge_u32 s2, s10
	s_mov_b32 s65, 0
	s_cselect_b32 s3, s3, s4
	s_cselect_b32 s2, s6, s2
	s_add_i32 s4, s3, 1
	s_cmp_ge_u32 s2, s10
	s_waitcnt lgkmcnt(0)
	s_mul_i32 s64, s34, s50
	s_cselect_b32 s4, s4, s3
	s_lshl_b64 s[2:3], s[64:65], 1
	s_xor_b32 s4, s4, s5
	s_mul_i32 s64, s51, s12
	s_sub_i32 s6, s4, s5
	s_add_u32 s4, s24, s2
	s_addc_u32 s5, s25, s3
	s_lshl_b64 s[2:3], s[64:65], 1
	s_mul_i32 s64, s34, s52
	s_add_u32 s63, s4, s2
	s_addc_u32 s69, s5, s3
	s_lshl_b64 s[2:3], s[64:65], 1
	s_mul_i32 s64, s53, s12
	;; [unrolled: 4-line block ×3, first 2 shown]
	s_add_u32 s70, s4, s2
	s_addc_u32 s56, s5, s3
	s_load_b64 s[4:5], s[0:1], 0x7c
	v_dual_mov_b32 v21, 0 :: v_dual_lshlrev_b32 v18, 4, v0
	s_lshl_b64 s[2:3], s[64:65], 2
	s_mul_i32 s64, s34, s58
	s_add_u32 s71, s16, s2
	v_mbcnt_lo_u32_b32 v19, -1, 0
	v_and_b32_e32 v1, 0x200, v18
	s_addc_u32 s72, s17, s3
	s_lshl_b64 s[2:3], s[64:65], 1
	s_mul_i32 s64, s6, s61
	s_add_u32 s7, s18, s2
	s_addc_u32 s8, s19, s3
	s_clause 0x3
	s_load_b128 s[16:19], s[0:1], 0x6c
	s_load_b32 s74, s[0:1], 0x84
	s_load_b32 s77, s[0:1], 0xc
	;; [unrolled: 1-line block ×3, first 2 shown]
	v_or_b32_e32 v20, v19, v1
	s_lshl_b64 s[2:3], s[64:65], 1
	s_mul_i32 s64, s34, s62
	s_add_u32 s61, s7, s2
	s_addc_u32 s62, s8, s3
	s_lshl_b64 s[2:3], s[64:65], 1
	s_mul_i32 s64, s6, s49
	v_or_b32_e32 v24, 0x60, v20
	v_and_b32_e32 v14, 32, v0
	s_add_u32 s7, s20, s2
	s_addc_u32 s6, s21, s3
	s_lshl_b64 s[2:3], s[64:65], 1
	s_waitcnt lgkmcnt(0)
	s_mul_i32 s64, s14, s4
	s_add_u32 s49, s7, s2
	s_addc_u32 s73, s6, s3
	s_lshl_b64 s[2:3], s[64:65], 1
	v_or_b32_e32 v26, 0xa0, v20
	v_or_b32_e32 v28, 0xe0, v20
	;; [unrolled: 1-line block ×5, first 2 shown]
	v_lshrrev_b32_e32 v2, 5, v24
	v_or_b32_e32 v36, 0x1e0, v20
	v_or_b32_e32 v16, v19, v14
	s_mul_i32 s64, s5, s12
	s_add_u32 s4, s36, s2
	s_addc_u32 s5, s37, s3
	s_lshl_b64 s[2:3], s[64:65], 1
	v_or_b32_e32 v23, 64, v20
	s_add_u32 s75, s4, s2
	v_or_b32_e32 v25, 0x80, v20
	v_or_b32_e32 v27, 0xc0, v20
	;; [unrolled: 1-line block ×6, first 2 shown]
	v_and_b32_e32 v2, 18, v2
	v_lshrrev_b32_e32 v5, 5, v26
	v_lshrrev_b32_e32 v8, 5, v28
	;; [unrolled: 1-line block ×6, first 2 shown]
	v_lshrrev_b16 v50, 1, v16
	s_addc_u32 s76, s5, s3
	s_add_i32 s2, s68, 0x7ff
	v_lshrrev_b32_e32 v3, 5, v1
	s_lshr_b32 s78, s2, 11
	s_bitcmp1_b32 s0, 0
	v_lshrrev_b32_e32 v4, 5, v23
	v_lshrrev_b32_e32 v6, 5, v25
	v_add_lshl_u32 v2, v2, v20, 1
	v_and_b32_e32 v5, 20, v5
	v_lshrrev_b32_e32 v7, 5, v27
	v_and_b32_e32 v8, 22, v8
	v_lshrrev_b32_e32 v10, 5, v29
	;; [unrolled: 2-line block ×5, first 2 shown]
	v_and_b32_e32 v51, 30, v49
	v_lshlrev_b32_e32 v16, 4, v16
	v_and_b32_e32 v52, 30, v50
	s_cselect_b32 s79, -1, 0
	s_cmp_gt_i32 s77, 0
	v_add_lshl_u32 v3, v3, v20, 1
	s_cselect_b32 s80, -1, 0
	s_add_i32 s0, 0, 0x840
	v_add_lshl_u32 v4, v4, v20, 1
	v_add_lshl_u32 v6, v6, v20, 1
	v_add_nc_u32_e32 v39, 0, v2
	v_add_lshl_u32 v5, v5, v20, 1
	v_add_lshl_u32 v7, v7, v20, 1
	;; [unrolled: 1-line block ×12, first 2 shown]
	v_add_nc_u32_e32 v55, s0, v2
	v_and_b32_e32 v2, 15, v19
	s_and_b32 s1, s68, 0x3ff
	v_add_nc_u32_e32 v51, 0, v67
	v_add_nc_u32_e32 v53, s0, v3
	;; [unrolled: 1-line block ×15, first 2 shown]
	s_cmp_eq_u32 s1, 0
	v_add_nc_u32_e32 v68, s0, v16
	v_cmp_ne_u32_e64 s0, 0, v2
	v_cmp_lt_u32_e64 s1, 1, v2
	v_cmp_lt_u32_e64 s2, 3, v2
	;; [unrolled: 1-line block ×3, first 2 shown]
	v_add_nc_u32_e32 v2, -1, v19
	v_add_nc_u32_e32 v37, 0, v3
	v_lshrrev_b32_e32 v3, 2, v0
	s_mul_i32 s64, s34, s16
	v_add_nc_u32_e32 v41, 0, v5
	v_or_b32_e32 v5, 31, v14
	v_cmp_gt_i32_e32 vcc_lo, 0, v2
	s_cselect_b32 s81, -1, 0
	s_lshl_b64 s[14:15], s[64:65], 1
	v_and_b32_e32 v3, 8, v3
	s_add_i32 s82, s78, -1
	v_cndmask_b32_e32 v2, v2, v19, vcc_lo
	s_mul_i32 s64, s17, s12
	s_add_u32 s13, s30, s14
	s_addc_u32 s16, s31, s15
	s_lshl_b64 s[14:15], s[64:65], 1
	v_cmp_eq_u32_e64 s5, v5, v0
	v_cmp_gt_u32_e64 s6, 2, v0
	v_lshl_add_u32 v70, v0, 3, 0
	v_cmp_gt_u32_e64 s8, 32, v0
	v_cmp_lt_u32_e64 s9, 31, v0
	v_cmp_eq_u32_e64 s10, 0, v0
	s_mul_i32 s64, s34, s54
	v_lshlrev_b32_e32 v0, 1, v19
	s_add_u32 s13, s13, s14
	v_add_nc_u32_e32 v69, 0, v3
	v_and_b32_e32 v3, 1, v19
	s_addc_u32 s16, s16, s15
	s_lshl_b64 s[14:15], s[64:65], 1
	v_add_nc_u32_e32 v38, 0, v4
	v_and_b32_e32 v4, 16, v19
	s_mul_i32 s64, s55, s12
	s_add_u32 s17, s38, s14
	v_lshlrev_b32_e32 v71, 2, v2
	s_addc_u32 s20, s39, s15
	s_lshl_b64 s[14:15], s[64:65], 1
	v_add_co_u32 v2, s13, s13, v0
	s_mul_i32 s64, s34, s18
	v_cmp_eq_u32_e64 s7, 0, v3
	v_add_co_ci_u32_e64 v3, null, s16, 0, s13
	s_add_u32 s16, s17, s14
	v_cmp_ne_u32_e64 s4, 0, v4
	s_addc_u32 s17, s20, s15
	s_lshl_b64 s[14:15], s[64:65], 1
	v_lshlrev_b32_e32 v4, 1, v1
	s_mul_i32 s64, s19, s12
	s_add_u32 s14, s40, s14
	s_addc_u32 s15, s41, s15
	s_lshl_b64 s[12:13], s[64:65], 1
	v_add_co_u32 v72, vcc_lo, v2, v4
	s_add_u32 s12, s14, s12
	v_add_co_u32 v2, s14, s16, v0
	v_add_co_ci_u32_e32 v73, vcc_lo, 0, v3, vcc_lo
	v_add_co_ci_u32_e64 v3, null, s17, 0, s14
	s_addc_u32 s13, s15, s13
	v_add_co_u32 v0, s12, s12, v0
	s_delay_alu instid0(VALU_DEP_1) | instskip(SKIP_2) | instid1(VALU_DEP_4)
	v_add_co_ci_u32_e64 v5, null, s13, 0, s12
	v_add_co_u32 v74, vcc_lo, v2, v4
	v_add_co_ci_u32_e32 v75, vcc_lo, 0, v3, vcc_lo
	v_add_co_u32 v76, vcc_lo, v0, v4
	v_or_b32_e32 v22, 32, v20
	v_add_nc_u32_e32 v40, 0, v6
	v_add_nc_u32_e32 v42, 0, v7
	;; [unrolled: 1-line block ×11, first 2 shown]
	v_cmp_eq_u32_e64 s11, 0, v19
	v_add_co_ci_u32_e32 v77, vcc_lo, 0, v5, vcc_lo
	v_or_b32_e32 v78, 1, v18
	v_or_b32_e32 v79, 2, v18
	;; [unrolled: 1-line block ×15, first 2 shown]
	v_lshlrev_b32_e32 v93, 1, v1
	s_mov_b32 s83, 0x3e9b6dac
	s_add_i32 s84, 0, 0x1090
	s_mov_b32 s85, 0
	s_branch .LBB20_12
.LBB20_11:                              ;   in Loop: Header=BB20_12 Depth=1
	s_or_b32 exec_lo, exec_lo, s12
	s_add_u32 s70, s70, 0x800
	s_addc_u32 s56, s56, 0
	s_add_u32 s63, s63, 0x800
	s_addc_u32 s69, s69, 0
	;; [unrolled: 2-line block ×4, first 2 shown]
	s_add_i32 s85, s85, 1
	s_delay_alu instid0(SALU_CYCLE_1)
	s_cmp_lg_u32 s85, s78
	s_cbranch_scc0 .LBB20_300
.LBB20_12:                              ; =>This Loop Header: Depth=1
                                        ;     Child Loop BB20_109 Depth 2
	s_waitcnt lgkmcnt(14)
	v_lshlrev_b32_e32 v16, 1, v19
	s_lshl_b32 s50, s85, 10
	s_waitcnt lgkmcnt(0)
	v_mov_b32_e32 v2, 0
	s_sub_i32 s40, s68, s50
	v_add_co_u32 v0, s12, s63, v16
	s_delay_alu instid0(VALU_DEP_1) | instskip(SKIP_1) | instid1(VALU_DEP_3)
	v_add_co_ci_u32_e64 v1, null, s69, 0, s12
	v_cmp_gt_u32_e64 s12, s40, v20
	v_add_co_u32 v0, vcc_lo, v0, v93
	s_delay_alu instid0(VALU_DEP_3)
	v_add_co_ci_u32_e32 v1, vcc_lo, 0, v1, vcc_lo
	s_waitcnt_vscnt null, 0x0
	s_barrier
	buffer_gl0_inv
	s_and_saveexec_b32 s13, s12
	s_cbranch_execz .LBB20_14
; %bb.13:                               ;   in Loop: Header=BB20_12 Depth=1
	global_load_u16 v2, v[0:1], off
.LBB20_14:                              ;   in Loop: Header=BB20_12 Depth=1
	s_or_b32 exec_lo, exec_lo, s13
	v_cmp_gt_u32_e64 s13, s40, v22
	v_dual_mov_b32 v3, 0 :: v_dual_mov_b32 v4, 0
	s_delay_alu instid0(VALU_DEP_2)
	s_and_saveexec_b32 s14, s13
	s_cbranch_execz .LBB20_16
; %bb.15:                               ;   in Loop: Header=BB20_12 Depth=1
	global_load_u16 v4, v[0:1], off offset:64
.LBB20_16:                              ;   in Loop: Header=BB20_12 Depth=1
	s_or_b32 exec_lo, exec_lo, s14
	v_cmp_gt_u32_e64 s14, s40, v23
	s_delay_alu instid0(VALU_DEP_1)
	s_and_saveexec_b32 s15, s14
	s_cbranch_execz .LBB20_18
; %bb.17:                               ;   in Loop: Header=BB20_12 Depth=1
	global_load_u16 v3, v[0:1], off offset:128
.LBB20_18:                              ;   in Loop: Header=BB20_12 Depth=1
	s_or_b32 exec_lo, exec_lo, s15
	v_cmp_gt_u32_e64 s15, s40, v24
	v_dual_mov_b32 v5, 0 :: v_dual_mov_b32 v6, 0
	s_delay_alu instid0(VALU_DEP_2)
	s_and_saveexec_b32 s16, s15
	s_cbranch_execz .LBB20_20
; %bb.19:                               ;   in Loop: Header=BB20_12 Depth=1
	global_load_u16 v6, v[0:1], off offset:192
.LBB20_20:                              ;   in Loop: Header=BB20_12 Depth=1
	s_or_b32 exec_lo, exec_lo, s16
	v_cmp_gt_u32_e64 s16, s40, v25
	s_delay_alu instid0(VALU_DEP_1)
	s_and_saveexec_b32 s17, s16
	s_cbranch_execz .LBB20_22
; %bb.21:                               ;   in Loop: Header=BB20_12 Depth=1
	global_load_u16 v5, v[0:1], off offset:256
.LBB20_22:                              ;   in Loop: Header=BB20_12 Depth=1
	;; [unrolled: 17-line block ×3, first 2 shown]
	s_or_b32 exec_lo, exec_lo, s19
	v_cmp_gt_u32_e64 s19, s40, v28
	v_mov_b32_e32 v9, 0
	v_mov_b32_e32 v11, 0
	s_delay_alu instid0(VALU_DEP_3)
	s_and_saveexec_b32 s20, s19
	s_cbranch_execz .LBB20_28
; %bb.27:                               ;   in Loop: Header=BB20_12 Depth=1
	global_load_u16 v11, v[0:1], off offset:448
.LBB20_28:                              ;   in Loop: Header=BB20_12 Depth=1
	s_or_b32 exec_lo, exec_lo, s20
	v_cmp_gt_u32_e64 s20, s40, v29
	s_delay_alu instid0(VALU_DEP_1)
	s_and_saveexec_b32 s21, s20
	s_cbranch_execz .LBB20_30
; %bb.29:                               ;   in Loop: Header=BB20_12 Depth=1
	global_load_u16 v9, v[0:1], off offset:512
.LBB20_30:                              ;   in Loop: Header=BB20_12 Depth=1
	s_or_b32 exec_lo, exec_lo, s21
	v_cmp_gt_u32_e64 s21, s40, v30
	v_dual_mov_b32 v12, 0 :: v_dual_mov_b32 v13, 0
	s_delay_alu instid0(VALU_DEP_2)
	s_and_saveexec_b32 s22, s21
	s_cbranch_execz .LBB20_32
; %bb.31:                               ;   in Loop: Header=BB20_12 Depth=1
	global_load_u16 v13, v[0:1], off offset:576
.LBB20_32:                              ;   in Loop: Header=BB20_12 Depth=1
	s_or_b32 exec_lo, exec_lo, s22
	v_cmp_gt_u32_e64 s22, s40, v31
	s_delay_alu instid0(VALU_DEP_1)
	s_and_saveexec_b32 s23, s22
	s_cbranch_execz .LBB20_34
; %bb.33:                               ;   in Loop: Header=BB20_12 Depth=1
	global_load_u16 v12, v[0:1], off offset:640
.LBB20_34:                              ;   in Loop: Header=BB20_12 Depth=1
	s_or_b32 exec_lo, exec_lo, s23
	v_cmp_gt_u32_e64 s23, s40, v32
	v_dual_mov_b32 v14, 0 :: v_dual_mov_b32 v15, 0
	s_delay_alu instid0(VALU_DEP_2)
	;; [unrolled: 17-line block ×4, first 2 shown]
	s_and_saveexec_b32 s28, s27
	s_cbranch_execz .LBB20_44
; %bb.43:                               ;   in Loop: Header=BB20_12 Depth=1
	global_load_u16 v95, v[0:1], off offset:960
.LBB20_44:                              ;   in Loop: Header=BB20_12 Depth=1
	s_or_b32 exec_lo, exec_lo, s28
	s_waitcnt vmcnt(0)
	ds_store_b16 v37, v2
	ds_store_b16 v37, v4 offset:64
	ds_store_b16 v38, v3 offset:128
	;; [unrolled: 1-line block ×15, first 2 shown]
	; wave barrier
	ds_load_b128 v[0:3], v52
	ds_load_b128 v[4:7], v52 offset:16
	v_add_co_u32 v8, s28, s70, v16
	s_delay_alu instid0(VALU_DEP_1) | instskip(SKIP_1) | instid1(VALU_DEP_2)
	v_add_co_ci_u32_e64 v9, null, s56, 0, s28
	s_waitcnt lgkmcnt(0)
	v_add_co_u32 v8, vcc_lo, v8, v93
	s_delay_alu instid0(VALU_DEP_2)
	v_add_co_ci_u32_e32 v9, vcc_lo, 0, v9, vcc_lo
	s_barrier
	buffer_gl0_inv
	s_and_saveexec_b32 s28, s12
	s_cbranch_execz .LBB20_46
; %bb.45:                               ;   in Loop: Header=BB20_12 Depth=1
	global_load_u16 v10, v[8:9], off
.LBB20_46:                              ;   in Loop: Header=BB20_12 Depth=1
	s_or_b32 exec_lo, exec_lo, s28
	v_dual_mov_b32 v11, 0 :: v_dual_mov_b32 v12, 0
	s_and_saveexec_b32 s28, s13
	s_cbranch_execz .LBB20_48
; %bb.47:                               ;   in Loop: Header=BB20_12 Depth=1
	global_load_u16 v12, v[8:9], off offset:64
.LBB20_48:                              ;   in Loop: Header=BB20_12 Depth=1
	s_or_b32 exec_lo, exec_lo, s28
	s_and_saveexec_b32 s28, s14
	s_cbranch_execz .LBB20_50
; %bb.49:                               ;   in Loop: Header=BB20_12 Depth=1
	global_load_u16 v11, v[8:9], off offset:128
.LBB20_50:                              ;   in Loop: Header=BB20_12 Depth=1
	s_or_b32 exec_lo, exec_lo, s28
	v_dual_mov_b32 v13, 0 :: v_dual_mov_b32 v14, 0
	s_and_saveexec_b32 s28, s15
	s_cbranch_execz .LBB20_52
; %bb.51:                               ;   in Loop: Header=BB20_12 Depth=1
	global_load_u16 v14, v[8:9], off offset:192
.LBB20_52:                              ;   in Loop: Header=BB20_12 Depth=1
	s_or_b32 exec_lo, exec_lo, s28
	s_and_saveexec_b32 s28, s16
	s_cbranch_execz .LBB20_54
; %bb.53:                               ;   in Loop: Header=BB20_12 Depth=1
	global_load_u16 v13, v[8:9], off offset:256
.LBB20_54:                              ;   in Loop: Header=BB20_12 Depth=1
	s_or_b32 exec_lo, exec_lo, s28
	v_mov_b32_e32 v15, 0
	v_mov_b32_e32 v17, 0
	s_and_saveexec_b32 s28, s17
	s_cbranch_execz .LBB20_56
; %bb.55:                               ;   in Loop: Header=BB20_12 Depth=1
	global_load_u16 v17, v[8:9], off offset:320
.LBB20_56:                              ;   in Loop: Header=BB20_12 Depth=1
	s_or_b32 exec_lo, exec_lo, s28
	s_and_saveexec_b32 s28, s18
	s_cbranch_execz .LBB20_58
; %bb.57:                               ;   in Loop: Header=BB20_12 Depth=1
	global_load_u16 v15, v[8:9], off offset:384
.LBB20_58:                              ;   in Loop: Header=BB20_12 Depth=1
	s_or_b32 exec_lo, exec_lo, s28
	v_dual_mov_b32 v94, 0 :: v_dual_mov_b32 v95, 0
	s_and_saveexec_b32 s28, s19
	s_cbranch_execz .LBB20_60
; %bb.59:                               ;   in Loop: Header=BB20_12 Depth=1
	global_load_u16 v95, v[8:9], off offset:448
.LBB20_60:                              ;   in Loop: Header=BB20_12 Depth=1
	s_or_b32 exec_lo, exec_lo, s28
	s_and_saveexec_b32 s28, s20
	s_cbranch_execz .LBB20_62
; %bb.61:                               ;   in Loop: Header=BB20_12 Depth=1
	global_load_u16 v94, v[8:9], off offset:512
.LBB20_62:                              ;   in Loop: Header=BB20_12 Depth=1
	s_or_b32 exec_lo, exec_lo, s28
	v_dual_mov_b32 v96, 0 :: v_dual_mov_b32 v97, 0
	;; [unrolled: 13-line block ×4, first 2 shown]
	s_and_saveexec_b32 s28, s25
	s_cbranch_execnz .LBB20_267
; %bb.71:                               ;   in Loop: Header=BB20_12 Depth=1
	s_or_b32 exec_lo, exec_lo, s28
	s_and_saveexec_b32 s28, s26
	s_cbranch_execnz .LBB20_268
.LBB20_72:                              ;   in Loop: Header=BB20_12 Depth=1
	s_or_b32 exec_lo, exec_lo, s28
	v_mov_b32_e32 v102, 0
	s_and_saveexec_b32 s28, s27
	s_cbranch_execz .LBB20_74
.LBB20_73:                              ;   in Loop: Header=BB20_12 Depth=1
	global_load_u16 v102, v[8:9], off offset:960
.LBB20_74:                              ;   in Loop: Header=BB20_12 Depth=1
	s_or_b32 exec_lo, exec_lo, s28
	s_waitcnt vmcnt(0)
	ds_store_b16 v37, v10
	ds_store_b16 v37, v12 offset:64
	ds_store_b16 v38, v11 offset:128
	;; [unrolled: 1-line block ×15, first 2 shown]
	; wave barrier
	ds_load_b128 v[12:15], v52
	ds_load_b128 v[8:11], v52 offset:16
	s_waitcnt lgkmcnt(1)
	v_lshlrev_b32_e32 v17, 16, v12
	s_delay_alu instid0(VALU_DEP_1) | instskip(NEXT) | instid1(VALU_DEP_1)
	v_add_f32_e32 v94, s66, v17
	v_cmp_ge_f32_e32 vcc_lo, 0x41a00000, v94
	s_and_b32 s28, s79, vcc_lo
	s_delay_alu instid0(SALU_CYCLE_1)
	s_and_saveexec_b32 s29, s28
	s_cbranch_execz .LBB20_76
; %bb.75:                               ;   in Loop: Header=BB20_12 Depth=1
	v_mul_f32_e32 v17, 0x3fb8aa3b, v94
	v_cmp_ngt_f32_e32 vcc_lo, 0xc2ce8ed0, v94
	s_delay_alu instid0(VALU_DEP_2) | instskip(SKIP_1) | instid1(VALU_DEP_1)
	v_rndne_f32_e32 v95, v17
	v_fma_f32 v96, 0x3fb8aa3b, v94, -v17
	v_dual_sub_f32 v17, v17, v95 :: v_dual_fmac_f32 v96, 0x32a5705f, v94
	v_cvt_i32_f32_e32 v95, v95
	s_delay_alu instid0(VALU_DEP_2) | instskip(NEXT) | instid1(VALU_DEP_1)
	v_add_f32_e32 v17, v17, v96
	v_exp_f32_e32 v17, v17
	s_waitcnt_depctr 0xfff
	v_ldexp_f32 v17, v17, v95
	s_delay_alu instid0(VALU_DEP_1) | instskip(SKIP_1) | instid1(VALU_DEP_2)
	v_cndmask_b32_e32 v17, 0, v17, vcc_lo
	v_cmp_nlt_f32_e32 vcc_lo, 0x42b17218, v94
	v_cndmask_b32_e32 v17, 0x7f800000, v17, vcc_lo
	s_delay_alu instid0(VALU_DEP_1) | instskip(NEXT) | instid1(VALU_DEP_1)
	v_add_f32_e32 v96, 1.0, v17
	v_cvt_f64_f32_e32 v[94:95], v96
	s_delay_alu instid0(VALU_DEP_1) | instskip(SKIP_1) | instid1(VALU_DEP_1)
	v_frexp_exp_i32_f64_e32 v94, v[94:95]
	v_frexp_mant_f32_e32 v95, v96
	v_cmp_gt_f32_e32 vcc_lo, 0x3f2aaaab, v95
	v_add_f32_e32 v95, -1.0, v96
	s_delay_alu instid0(VALU_DEP_1) | instskip(NEXT) | instid1(VALU_DEP_1)
	v_dual_sub_f32 v98, v95, v96 :: v_dual_sub_f32 v95, v17, v95
	v_add_f32_e32 v98, 1.0, v98
	v_subrev_co_ci_u32_e32 v94, vcc_lo, 0, v94, vcc_lo
	s_delay_alu instid0(VALU_DEP_1) | instskip(SKIP_1) | instid1(VALU_DEP_2)
	v_sub_nc_u32_e32 v97, 0, v94
	v_cvt_f32_i32_e32 v94, v94
	v_ldexp_f32 v96, v96, v97
	v_add_f32_e32 v95, v95, v98
	s_delay_alu instid0(VALU_DEP_1) | instskip(NEXT) | instid1(VALU_DEP_3)
	v_ldexp_f32 v95, v95, v97
	v_add_f32_e32 v99, 1.0, v96
	s_delay_alu instid0(VALU_DEP_1) | instskip(NEXT) | instid1(VALU_DEP_1)
	v_add_f32_e32 v98, -1.0, v99
	v_sub_f32_e32 v98, v96, v98
	v_cmp_eq_f32_e32 vcc_lo, 0x7f800000, v17
	v_cmp_gt_f32_e64 s28, 0x33800000, v17
	s_delay_alu instid0(VALU_DEP_3) | instskip(NEXT) | instid1(VALU_DEP_2)
	v_dual_add_f32 v98, v95, v98 :: v_dual_add_f32 v97, -1.0, v96
	s_or_b32 vcc_lo, s28, vcc_lo
	s_delay_alu instid0(VALU_DEP_1) | instskip(NEXT) | instid1(VALU_DEP_1)
	v_add_f32_e32 v100, 1.0, v97
	v_sub_f32_e32 v96, v96, v100
	s_delay_alu instid0(VALU_DEP_3) | instskip(NEXT) | instid1(VALU_DEP_1)
	v_add_f32_e32 v100, v99, v98
	v_sub_f32_e32 v99, v99, v100
	s_delay_alu instid0(VALU_DEP_3) | instskip(SKIP_1) | instid1(VALU_DEP_2)
	v_add_f32_e32 v95, v95, v96
	v_rcp_f32_e32 v96, v100
	v_add_f32_e32 v98, v98, v99
	s_delay_alu instid0(VALU_DEP_2) | instskip(NEXT) | instid1(VALU_DEP_1)
	v_add_f32_e32 v101, v97, v95
	v_sub_f32_e32 v97, v97, v101
	s_waitcnt_depctr 0xfff
	v_dual_mul_f32 v102, v101, v96 :: v_dual_add_f32 v95, v95, v97
	s_delay_alu instid0(VALU_DEP_1) | instskip(NEXT) | instid1(VALU_DEP_1)
	v_mul_f32_e32 v103, v100, v102
	v_fma_f32 v99, v102, v100, -v103
	s_delay_alu instid0(VALU_DEP_1) | instskip(NEXT) | instid1(VALU_DEP_1)
	v_fmac_f32_e32 v99, v102, v98
	v_add_f32_e32 v104, v103, v99
	s_delay_alu instid0(VALU_DEP_1) | instskip(NEXT) | instid1(VALU_DEP_1)
	v_sub_f32_e32 v105, v101, v104
	v_sub_f32_e32 v101, v101, v105
	;; [unrolled: 1-line block ×3, first 2 shown]
	s_delay_alu instid0(VALU_DEP_2) | instskip(NEXT) | instid1(VALU_DEP_2)
	v_sub_f32_e32 v101, v101, v104
	v_sub_f32_e32 v97, v97, v99
	s_delay_alu instid0(VALU_DEP_2) | instskip(NEXT) | instid1(VALU_DEP_1)
	v_add_f32_e32 v95, v95, v101
	v_add_f32_e32 v95, v97, v95
	s_delay_alu instid0(VALU_DEP_1) | instskip(NEXT) | instid1(VALU_DEP_1)
	v_add_f32_e32 v97, v105, v95
	v_mul_f32_e32 v99, v96, v97
	s_delay_alu instid0(VALU_DEP_1) | instskip(NEXT) | instid1(VALU_DEP_1)
	v_dual_sub_f32 v104, v105, v97 :: v_dual_mul_f32 v101, v100, v99
	v_add_f32_e32 v95, v95, v104
	s_delay_alu instid0(VALU_DEP_2) | instskip(NEXT) | instid1(VALU_DEP_1)
	v_fma_f32 v100, v99, v100, -v101
	v_fmac_f32_e32 v100, v99, v98
	s_delay_alu instid0(VALU_DEP_1) | instskip(NEXT) | instid1(VALU_DEP_1)
	v_add_f32_e32 v98, v101, v100
	v_sub_f32_e32 v103, v97, v98
	v_sub_f32_e32 v101, v98, v101
	s_delay_alu instid0(VALU_DEP_2) | instskip(NEXT) | instid1(VALU_DEP_1)
	v_sub_f32_e32 v97, v97, v103
	v_sub_f32_e32 v97, v97, v98
	s_delay_alu instid0(VALU_DEP_1) | instskip(SKIP_1) | instid1(VALU_DEP_1)
	v_dual_sub_f32 v98, v101, v100 :: v_dual_add_f32 v95, v95, v97
	v_add_f32_e32 v97, v102, v99
	v_dual_add_f32 v95, v98, v95 :: v_dual_sub_f32 v98, v97, v102
	s_delay_alu instid0(VALU_DEP_1) | instskip(NEXT) | instid1(VALU_DEP_1)
	v_add_f32_e32 v95, v103, v95
	v_dual_sub_f32 v98, v99, v98 :: v_dual_mul_f32 v95, v96, v95
	s_delay_alu instid0(VALU_DEP_1) | instskip(NEXT) | instid1(VALU_DEP_1)
	v_add_f32_e32 v95, v98, v95
	v_add_f32_e32 v96, v97, v95
	s_delay_alu instid0(VALU_DEP_1) | instskip(NEXT) | instid1(VALU_DEP_1)
	v_mul_f32_e32 v98, v96, v96
	v_fmaak_f32 v99, s83, v98, 0x3ecc95a3
	v_mul_f32_e32 v100, v96, v98
	s_delay_alu instid0(VALU_DEP_2) | instskip(SKIP_2) | instid1(VALU_DEP_3)
	v_fmaak_f32 v98, v98, v99, 0x3f2aaada
	v_ldexp_f32 v99, v96, 1
	v_sub_f32_e32 v96, v96, v97
	v_mul_f32_e32 v98, v100, v98
	s_delay_alu instid0(VALU_DEP_2) | instskip(NEXT) | instid1(VALU_DEP_2)
	v_dual_mul_f32 v100, 0x3f317218, v94 :: v_dual_sub_f32 v95, v95, v96
	v_add_f32_e32 v97, v99, v98
	s_delay_alu instid0(VALU_DEP_2) | instskip(NEXT) | instid1(VALU_DEP_2)
	v_ldexp_f32 v95, v95, 1
	v_sub_f32_e32 v96, v97, v99
	s_delay_alu instid0(VALU_DEP_4) | instskip(NEXT) | instid1(VALU_DEP_1)
	v_fma_f32 v99, 0x3f317218, v94, -v100
	v_dual_sub_f32 v96, v98, v96 :: v_dual_fmac_f32 v99, 0xb102e308, v94
	s_delay_alu instid0(VALU_DEP_1) | instskip(NEXT) | instid1(VALU_DEP_1)
	v_dual_add_f32 v94, v95, v96 :: v_dual_add_f32 v95, v100, v99
	v_add_f32_e32 v96, v97, v94
	s_delay_alu instid0(VALU_DEP_2) | instskip(NEXT) | instid1(VALU_DEP_2)
	v_sub_f32_e32 v100, v95, v100
	v_dual_add_f32 v98, v95, v96 :: v_dual_sub_f32 v97, v96, v97
	s_delay_alu instid0(VALU_DEP_2) | instskip(NEXT) | instid1(VALU_DEP_2)
	v_sub_f32_e32 v99, v99, v100
	v_sub_f32_e32 v101, v98, v95
	s_delay_alu instid0(VALU_DEP_3) | instskip(NEXT) | instid1(VALU_DEP_2)
	v_sub_f32_e32 v94, v94, v97
	v_sub_f32_e32 v102, v98, v101
	s_delay_alu instid0(VALU_DEP_2) | instskip(NEXT) | instid1(VALU_DEP_2)
	v_dual_sub_f32 v96, v96, v101 :: v_dual_add_f32 v97, v99, v94
	v_sub_f32_e32 v95, v95, v102
	s_delay_alu instid0(VALU_DEP_1) | instskip(NEXT) | instid1(VALU_DEP_3)
	v_add_f32_e32 v95, v96, v95
	v_sub_f32_e32 v96, v97, v99
	s_delay_alu instid0(VALU_DEP_2) | instskip(NEXT) | instid1(VALU_DEP_2)
	v_add_f32_e32 v95, v97, v95
	v_sub_f32_e32 v97, v97, v96
	v_sub_f32_e32 v94, v94, v96
	s_delay_alu instid0(VALU_DEP_2) | instskip(NEXT) | instid1(VALU_DEP_1)
	v_dual_add_f32 v100, v98, v95 :: v_dual_sub_f32 v97, v99, v97
	v_sub_f32_e32 v96, v100, v98
	s_delay_alu instid0(VALU_DEP_1) | instskip(NEXT) | instid1(VALU_DEP_1)
	v_dual_add_f32 v94, v94, v97 :: v_dual_sub_f32 v95, v95, v96
	v_add_f32_e32 v94, v94, v95
	s_delay_alu instid0(VALU_DEP_1) | instskip(NEXT) | instid1(VALU_DEP_1)
	v_add_f32_e32 v94, v100, v94
	v_cndmask_b32_e32 v94, v94, v17, vcc_lo
.LBB20_76:                              ;   in Loop: Header=BB20_12 Depth=1
	s_or_b32 exec_lo, exec_lo, s29
	v_and_b32_e32 v12, 0xffff0000, v12
	s_delay_alu instid0(VALU_DEP_1) | instskip(NEXT) | instid1(VALU_DEP_1)
	v_add_f32_e32 v95, s66, v12
	v_cmp_ge_f32_e32 vcc_lo, 0x41a00000, v95
	s_and_b32 s28, s79, vcc_lo
	s_delay_alu instid0(SALU_CYCLE_1)
	s_and_saveexec_b32 s29, s28
	s_cbranch_execz .LBB20_78
; %bb.77:                               ;   in Loop: Header=BB20_12 Depth=1
	v_mul_f32_e32 v12, 0x3fb8aa3b, v95
	v_cmp_ngt_f32_e32 vcc_lo, 0xc2ce8ed0, v95
	s_delay_alu instid0(VALU_DEP_2) | instskip(SKIP_1) | instid1(VALU_DEP_2)
	v_rndne_f32_e32 v17, v12
	v_fma_f32 v96, 0x3fb8aa3b, v95, -v12
	v_sub_f32_e32 v12, v12, v17
	s_delay_alu instid0(VALU_DEP_2) | instskip(SKIP_1) | instid1(VALU_DEP_2)
	v_fmac_f32_e32 v96, 0x32a5705f, v95
	v_cvt_i32_f32_e32 v17, v17
	v_add_f32_e32 v12, v12, v96
	s_delay_alu instid0(VALU_DEP_1) | instskip(SKIP_2) | instid1(VALU_DEP_1)
	v_exp_f32_e32 v12, v12
	s_waitcnt_depctr 0xfff
	v_ldexp_f32 v12, v12, v17
	v_cndmask_b32_e32 v12, 0, v12, vcc_lo
	v_cmp_nlt_f32_e32 vcc_lo, 0x42b17218, v95
	s_delay_alu instid0(VALU_DEP_2) | instskip(NEXT) | instid1(VALU_DEP_1)
	v_cndmask_b32_e32 v12, 0x7f800000, v12, vcc_lo
	v_add_f32_e32 v17, 1.0, v12
	s_delay_alu instid0(VALU_DEP_1) | instskip(NEXT) | instid1(VALU_DEP_1)
	v_cvt_f64_f32_e32 v[95:96], v17
	v_frexp_exp_i32_f64_e32 v95, v[95:96]
	v_frexp_mant_f32_e32 v96, v17
	s_delay_alu instid0(VALU_DEP_1) | instskip(SKIP_1) | instid1(VALU_DEP_1)
	v_cmp_gt_f32_e32 vcc_lo, 0x3f2aaaab, v96
	v_add_f32_e32 v96, -1.0, v17
	v_sub_f32_e32 v98, v96, v17
	v_sub_f32_e32 v96, v12, v96
	s_delay_alu instid0(VALU_DEP_2) | instskip(NEXT) | instid1(VALU_DEP_1)
	v_add_f32_e32 v98, 1.0, v98
	v_add_f32_e32 v96, v96, v98
	v_subrev_co_ci_u32_e32 v95, vcc_lo, 0, v95, vcc_lo
	s_delay_alu instid0(VALU_DEP_1) | instskip(SKIP_1) | instid1(VALU_DEP_2)
	v_sub_nc_u32_e32 v97, 0, v95
	v_cvt_f32_i32_e32 v95, v95
	v_ldexp_f32 v17, v17, v97
	v_ldexp_f32 v96, v96, v97
	s_delay_alu instid0(VALU_DEP_2) | instskip(NEXT) | instid1(VALU_DEP_1)
	v_add_f32_e32 v99, 1.0, v17
	v_dual_add_f32 v97, -1.0, v17 :: v_dual_add_f32 v98, -1.0, v99
	s_delay_alu instid0(VALU_DEP_1) | instskip(NEXT) | instid1(VALU_DEP_2)
	v_add_f32_e32 v100, 1.0, v97
	v_sub_f32_e32 v98, v17, v98
	s_delay_alu instid0(VALU_DEP_2) | instskip(NEXT) | instid1(VALU_DEP_1)
	v_sub_f32_e32 v17, v17, v100
	v_add_f32_e32 v17, v96, v17
	s_delay_alu instid0(VALU_DEP_1) | instskip(SKIP_2) | instid1(VALU_DEP_3)
	v_add_f32_e32 v101, v97, v17
	v_cmp_eq_f32_e32 vcc_lo, 0x7f800000, v12
	v_cmp_gt_f32_e64 s28, 0x33800000, v12
	v_dual_sub_f32 v97, v97, v101 :: v_dual_add_f32 v98, v96, v98
	s_delay_alu instid0(VALU_DEP_2) | instskip(NEXT) | instid1(VALU_DEP_1)
	s_or_b32 vcc_lo, s28, vcc_lo
	v_dual_add_f32 v17, v17, v97 :: v_dual_add_f32 v100, v99, v98
	s_delay_alu instid0(VALU_DEP_1) | instskip(SKIP_1) | instid1(VALU_DEP_1)
	v_rcp_f32_e32 v96, v100
	v_sub_f32_e32 v99, v99, v100
	v_add_f32_e32 v98, v98, v99
	s_waitcnt_depctr 0xfff
	v_mul_f32_e32 v102, v101, v96
	s_delay_alu instid0(VALU_DEP_1) | instskip(NEXT) | instid1(VALU_DEP_1)
	v_mul_f32_e32 v103, v100, v102
	v_fma_f32 v99, v102, v100, -v103
	s_delay_alu instid0(VALU_DEP_1) | instskip(NEXT) | instid1(VALU_DEP_1)
	v_fmac_f32_e32 v99, v102, v98
	v_add_f32_e32 v104, v103, v99
	s_delay_alu instid0(VALU_DEP_1) | instskip(SKIP_1) | instid1(VALU_DEP_2)
	v_sub_f32_e32 v105, v101, v104
	v_sub_f32_e32 v97, v104, v103
	;; [unrolled: 1-line block ×3, first 2 shown]
	s_delay_alu instid0(VALU_DEP_2) | instskip(NEXT) | instid1(VALU_DEP_2)
	v_sub_f32_e32 v97, v97, v99
	v_sub_f32_e32 v101, v101, v104
	s_delay_alu instid0(VALU_DEP_1) | instskip(NEXT) | instid1(VALU_DEP_1)
	v_add_f32_e32 v17, v17, v101
	v_add_f32_e32 v17, v97, v17
	s_delay_alu instid0(VALU_DEP_1) | instskip(NEXT) | instid1(VALU_DEP_1)
	v_add_f32_e32 v97, v105, v17
	v_mul_f32_e32 v99, v96, v97
	s_delay_alu instid0(VALU_DEP_1) | instskip(NEXT) | instid1(VALU_DEP_1)
	v_mul_f32_e32 v101, v100, v99
	v_fma_f32 v100, v99, v100, -v101
	s_delay_alu instid0(VALU_DEP_1) | instskip(SKIP_1) | instid1(VALU_DEP_2)
	v_fmac_f32_e32 v100, v99, v98
	v_sub_f32_e32 v104, v105, v97
	v_add_f32_e32 v98, v101, v100
	s_delay_alu instid0(VALU_DEP_2) | instskip(NEXT) | instid1(VALU_DEP_2)
	v_add_f32_e32 v17, v17, v104
	v_sub_f32_e32 v103, v97, v98
	s_delay_alu instid0(VALU_DEP_1) | instskip(NEXT) | instid1(VALU_DEP_1)
	v_sub_f32_e32 v97, v97, v103
	v_sub_f32_e32 v97, v97, v98
	s_delay_alu instid0(VALU_DEP_1) | instskip(SKIP_2) | instid1(VALU_DEP_1)
	v_add_f32_e32 v17, v17, v97
	v_add_f32_e32 v97, v102, v99
	v_sub_f32_e32 v101, v98, v101
	v_sub_f32_e32 v98, v101, v100
	s_delay_alu instid0(VALU_DEP_1) | instskip(NEXT) | instid1(VALU_DEP_1)
	v_dual_add_f32 v17, v98, v17 :: v_dual_sub_f32 v98, v97, v102
	v_add_f32_e32 v17, v103, v17
	s_delay_alu instid0(VALU_DEP_1) | instskip(NEXT) | instid1(VALU_DEP_1)
	v_dual_sub_f32 v98, v99, v98 :: v_dual_mul_f32 v17, v96, v17
	v_add_f32_e32 v17, v98, v17
	s_delay_alu instid0(VALU_DEP_1) | instskip(NEXT) | instid1(VALU_DEP_1)
	v_add_f32_e32 v96, v97, v17
	v_mul_f32_e32 v98, v96, v96
	s_delay_alu instid0(VALU_DEP_1) | instskip(SKIP_1) | instid1(VALU_DEP_2)
	v_fmaak_f32 v99, s83, v98, 0x3ecc95a3
	v_mul_f32_e32 v100, v96, v98
	v_fmaak_f32 v98, v98, v99, 0x3f2aaada
	v_ldexp_f32 v99, v96, 1
	s_delay_alu instid0(VALU_DEP_2) | instskip(SKIP_1) | instid1(VALU_DEP_2)
	v_mul_f32_e32 v98, v100, v98
	v_sub_f32_e32 v96, v96, v97
	v_dual_mul_f32 v100, 0x3f317218, v95 :: v_dual_add_f32 v97, v99, v98
	s_delay_alu instid0(VALU_DEP_2) | instskip(NEXT) | instid1(VALU_DEP_2)
	v_sub_f32_e32 v17, v17, v96
	v_sub_f32_e32 v96, v97, v99
	s_delay_alu instid0(VALU_DEP_3) | instskip(NEXT) | instid1(VALU_DEP_3)
	v_fma_f32 v99, 0x3f317218, v95, -v100
	v_ldexp_f32 v17, v17, 1
	s_delay_alu instid0(VALU_DEP_2) | instskip(NEXT) | instid1(VALU_DEP_1)
	v_dual_sub_f32 v96, v98, v96 :: v_dual_fmac_f32 v99, 0xb102e308, v95
	v_add_f32_e32 v17, v17, v96
	s_delay_alu instid0(VALU_DEP_1) | instskip(NEXT) | instid1(VALU_DEP_1)
	v_dual_add_f32 v95, v100, v99 :: v_dual_add_f32 v96, v97, v17
	v_sub_f32_e32 v100, v95, v100
	s_delay_alu instid0(VALU_DEP_2) | instskip(NEXT) | instid1(VALU_DEP_2)
	v_dual_add_f32 v98, v95, v96 :: v_dual_sub_f32 v97, v96, v97
	v_sub_f32_e32 v99, v99, v100
	s_delay_alu instid0(VALU_DEP_2) | instskip(NEXT) | instid1(VALU_DEP_1)
	v_sub_f32_e32 v101, v98, v95
	v_sub_f32_e32 v102, v98, v101
	;; [unrolled: 1-line block ×4, first 2 shown]
	s_delay_alu instid0(VALU_DEP_1) | instskip(NEXT) | instid1(VALU_DEP_4)
	v_add_f32_e32 v97, v99, v17
	v_sub_f32_e32 v95, v95, v102
	s_delay_alu instid0(VALU_DEP_1) | instskip(NEXT) | instid1(VALU_DEP_3)
	v_add_f32_e32 v95, v96, v95
	v_sub_f32_e32 v96, v97, v99
	s_delay_alu instid0(VALU_DEP_2) | instskip(NEXT) | instid1(VALU_DEP_2)
	v_add_f32_e32 v95, v97, v95
	v_sub_f32_e32 v97, v97, v96
	s_delay_alu instid0(VALU_DEP_2) | instskip(NEXT) | instid1(VALU_DEP_1)
	v_dual_sub_f32 v17, v17, v96 :: v_dual_add_f32 v100, v98, v95
	v_dual_sub_f32 v96, v100, v98 :: v_dual_sub_f32 v97, v99, v97
	s_delay_alu instid0(VALU_DEP_1) | instskip(NEXT) | instid1(VALU_DEP_2)
	v_sub_f32_e32 v95, v95, v96
	v_add_f32_e32 v17, v17, v97
	s_delay_alu instid0(VALU_DEP_1) | instskip(NEXT) | instid1(VALU_DEP_1)
	v_add_f32_e32 v17, v17, v95
	v_add_f32_e32 v17, v100, v17
	s_delay_alu instid0(VALU_DEP_1)
	v_cndmask_b32_e32 v95, v17, v12, vcc_lo
.LBB20_78:                              ;   in Loop: Header=BB20_12 Depth=1
	s_or_b32 exec_lo, exec_lo, s29
	v_lshlrev_b32_e32 v12, 16, v13
	s_delay_alu instid0(VALU_DEP_1) | instskip(NEXT) | instid1(VALU_DEP_1)
	v_add_f32_e32 v96, s66, v12
	v_cmp_ge_f32_e32 vcc_lo, 0x41a00000, v96
	s_and_b32 s28, s79, vcc_lo
	s_delay_alu instid0(SALU_CYCLE_1)
	s_and_saveexec_b32 s29, s28
	s_cbranch_execz .LBB20_80
; %bb.79:                               ;   in Loop: Header=BB20_12 Depth=1
	v_mul_f32_e32 v12, 0x3fb8aa3b, v96
	v_cmp_ngt_f32_e32 vcc_lo, 0xc2ce8ed0, v96
	s_delay_alu instid0(VALU_DEP_2) | instskip(SKIP_1) | instid1(VALU_DEP_1)
	v_rndne_f32_e32 v17, v12
	v_fma_f32 v97, 0x3fb8aa3b, v96, -v12
	v_dual_sub_f32 v12, v12, v17 :: v_dual_fmac_f32 v97, 0x32a5705f, v96
	v_cvt_i32_f32_e32 v17, v17
	s_delay_alu instid0(VALU_DEP_2) | instskip(NEXT) | instid1(VALU_DEP_1)
	v_add_f32_e32 v12, v12, v97
	v_exp_f32_e32 v12, v12
	s_waitcnt_depctr 0xfff
	v_ldexp_f32 v12, v12, v17
	s_delay_alu instid0(VALU_DEP_1) | instskip(SKIP_1) | instid1(VALU_DEP_2)
	v_cndmask_b32_e32 v12, 0, v12, vcc_lo
	v_cmp_nlt_f32_e32 vcc_lo, 0x42b17218, v96
	v_cndmask_b32_e32 v12, 0x7f800000, v12, vcc_lo
	s_delay_alu instid0(VALU_DEP_1) | instskip(NEXT) | instid1(VALU_DEP_1)
	v_add_f32_e32 v17, 1.0, v12
	v_cvt_f64_f32_e32 v[96:97], v17
	s_delay_alu instid0(VALU_DEP_1) | instskip(SKIP_1) | instid1(VALU_DEP_1)
	v_frexp_exp_i32_f64_e32 v96, v[96:97]
	v_frexp_mant_f32_e32 v97, v17
	v_cmp_gt_f32_e32 vcc_lo, 0x3f2aaaab, v97
	v_add_f32_e32 v97, -1.0, v17
	s_delay_alu instid0(VALU_DEP_1) | instskip(SKIP_1) | instid1(VALU_DEP_2)
	v_sub_f32_e32 v99, v97, v17
	v_sub_f32_e32 v97, v12, v97
	v_add_f32_e32 v99, 1.0, v99
	s_delay_alu instid0(VALU_DEP_1) | instskip(SKIP_3) | instid1(VALU_DEP_2)
	v_add_f32_e32 v97, v97, v99
	v_cmp_gt_f32_e64 s28, 0x33800000, v12
	v_subrev_co_ci_u32_e32 v96, vcc_lo, 0, v96, vcc_lo
	v_cmp_eq_f32_e32 vcc_lo, 0x7f800000, v12
	v_sub_nc_u32_e32 v98, 0, v96
	v_cvt_f32_i32_e32 v96, v96
	s_or_b32 vcc_lo, s28, vcc_lo
	s_delay_alu instid0(VALU_DEP_2) | instskip(SKIP_1) | instid1(VALU_DEP_2)
	v_ldexp_f32 v17, v17, v98
	v_ldexp_f32 v97, v97, v98
	v_add_f32_e32 v100, 1.0, v17
	s_delay_alu instid0(VALU_DEP_1) | instskip(NEXT) | instid1(VALU_DEP_1)
	v_dual_add_f32 v98, -1.0, v17 :: v_dual_add_f32 v99, -1.0, v100
	v_add_f32_e32 v101, 1.0, v98
	s_delay_alu instid0(VALU_DEP_2) | instskip(NEXT) | instid1(VALU_DEP_2)
	v_sub_f32_e32 v99, v17, v99
	v_sub_f32_e32 v17, v17, v101
	s_delay_alu instid0(VALU_DEP_1) | instskip(NEXT) | instid1(VALU_DEP_1)
	v_add_f32_e32 v17, v97, v17
	v_dual_add_f32 v102, v98, v17 :: v_dual_add_f32 v99, v97, v99
	s_delay_alu instid0(VALU_DEP_1) | instskip(NEXT) | instid1(VALU_DEP_1)
	v_dual_sub_f32 v98, v98, v102 :: v_dual_add_f32 v101, v100, v99
	v_rcp_f32_e32 v97, v101
	v_sub_f32_e32 v100, v100, v101
	s_delay_alu instid0(VALU_DEP_1) | instskip(SKIP_2) | instid1(VALU_DEP_1)
	v_add_f32_e32 v99, v99, v100
	s_waitcnt_depctr 0xfff
	v_mul_f32_e32 v103, v102, v97
	v_mul_f32_e32 v104, v101, v103
	s_delay_alu instid0(VALU_DEP_1) | instskip(NEXT) | instid1(VALU_DEP_1)
	v_fma_f32 v100, v103, v101, -v104
	v_fmac_f32_e32 v100, v103, v99
	s_delay_alu instid0(VALU_DEP_1) | instskip(NEXT) | instid1(VALU_DEP_1)
	v_add_f32_e32 v105, v104, v100
	v_sub_f32_e32 v106, v102, v105
	s_delay_alu instid0(VALU_DEP_1) | instskip(SKIP_2) | instid1(VALU_DEP_3)
	v_sub_f32_e32 v102, v102, v106
	v_add_f32_e32 v17, v17, v98
	v_sub_f32_e32 v98, v105, v104
	v_sub_f32_e32 v102, v102, v105
	s_delay_alu instid0(VALU_DEP_1) | instskip(NEXT) | instid1(VALU_DEP_1)
	v_dual_sub_f32 v98, v98, v100 :: v_dual_add_f32 v17, v17, v102
	v_add_f32_e32 v17, v98, v17
	s_delay_alu instid0(VALU_DEP_1) | instskip(NEXT) | instid1(VALU_DEP_1)
	v_add_f32_e32 v98, v106, v17
	v_mul_f32_e32 v100, v97, v98
	s_delay_alu instid0(VALU_DEP_1) | instskip(NEXT) | instid1(VALU_DEP_1)
	v_dual_sub_f32 v105, v106, v98 :: v_dual_mul_f32 v102, v101, v100
	v_add_f32_e32 v17, v17, v105
	s_delay_alu instid0(VALU_DEP_2) | instskip(NEXT) | instid1(VALU_DEP_1)
	v_fma_f32 v101, v100, v101, -v102
	v_fmac_f32_e32 v101, v100, v99
	s_delay_alu instid0(VALU_DEP_1) | instskip(NEXT) | instid1(VALU_DEP_1)
	v_add_f32_e32 v99, v102, v101
	v_sub_f32_e32 v104, v98, v99
	s_delay_alu instid0(VALU_DEP_1) | instskip(NEXT) | instid1(VALU_DEP_1)
	v_sub_f32_e32 v98, v98, v104
	v_sub_f32_e32 v98, v98, v99
	s_delay_alu instid0(VALU_DEP_1) | instskip(SKIP_1) | instid1(VALU_DEP_1)
	v_dual_add_f32 v17, v17, v98 :: v_dual_add_f32 v98, v103, v100
	v_sub_f32_e32 v102, v99, v102
	v_sub_f32_e32 v99, v102, v101
	s_delay_alu instid0(VALU_DEP_1) | instskip(NEXT) | instid1(VALU_DEP_4)
	v_add_f32_e32 v17, v99, v17
	v_sub_f32_e32 v99, v98, v103
	s_delay_alu instid0(VALU_DEP_2) | instskip(NEXT) | instid1(VALU_DEP_2)
	v_add_f32_e32 v17, v104, v17
	v_sub_f32_e32 v99, v100, v99
	s_delay_alu instid0(VALU_DEP_2) | instskip(NEXT) | instid1(VALU_DEP_1)
	v_mul_f32_e32 v17, v97, v17
	v_add_f32_e32 v17, v99, v17
	s_delay_alu instid0(VALU_DEP_1) | instskip(NEXT) | instid1(VALU_DEP_1)
	v_add_f32_e32 v97, v98, v17
	v_mul_f32_e32 v99, v97, v97
	s_delay_alu instid0(VALU_DEP_1) | instskip(SKIP_1) | instid1(VALU_DEP_2)
	v_fmaak_f32 v100, s83, v99, 0x3ecc95a3
	v_mul_f32_e32 v101, v97, v99
	v_fmaak_f32 v99, v99, v100, 0x3f2aaada
	v_ldexp_f32 v100, v97, 1
	v_sub_f32_e32 v97, v97, v98
	s_delay_alu instid0(VALU_DEP_3) | instskip(SKIP_1) | instid1(VALU_DEP_2)
	v_mul_f32_e32 v99, v101, v99
	v_mul_f32_e32 v101, 0x3f317218, v96
	v_dual_sub_f32 v17, v17, v97 :: v_dual_add_f32 v98, v100, v99
	s_delay_alu instid0(VALU_DEP_1) | instskip(NEXT) | instid1(VALU_DEP_2)
	v_ldexp_f32 v17, v17, 1
	v_sub_f32_e32 v97, v98, v100
	s_delay_alu instid0(VALU_DEP_4) | instskip(NEXT) | instid1(VALU_DEP_1)
	v_fma_f32 v100, 0x3f317218, v96, -v101
	v_dual_sub_f32 v97, v99, v97 :: v_dual_fmac_f32 v100, 0xb102e308, v96
	s_delay_alu instid0(VALU_DEP_1) | instskip(NEXT) | instid1(VALU_DEP_1)
	v_add_f32_e32 v17, v17, v97
	v_dual_add_f32 v96, v101, v100 :: v_dual_add_f32 v97, v98, v17
	s_delay_alu instid0(VALU_DEP_1) | instskip(NEXT) | instid1(VALU_DEP_2)
	v_sub_f32_e32 v101, v96, v101
	v_dual_add_f32 v99, v96, v97 :: v_dual_sub_f32 v98, v97, v98
	s_delay_alu instid0(VALU_DEP_2) | instskip(NEXT) | instid1(VALU_DEP_2)
	v_sub_f32_e32 v100, v100, v101
	v_dual_sub_f32 v102, v99, v96 :: v_dual_sub_f32 v17, v17, v98
	s_delay_alu instid0(VALU_DEP_1) | instskip(NEXT) | instid1(VALU_DEP_2)
	v_sub_f32_e32 v103, v99, v102
	v_dual_sub_f32 v97, v97, v102 :: v_dual_add_f32 v98, v100, v17
	s_delay_alu instid0(VALU_DEP_2) | instskip(NEXT) | instid1(VALU_DEP_1)
	v_sub_f32_e32 v96, v96, v103
	v_add_f32_e32 v96, v97, v96
	s_delay_alu instid0(VALU_DEP_3) | instskip(NEXT) | instid1(VALU_DEP_2)
	v_sub_f32_e32 v97, v98, v100
	v_add_f32_e32 v96, v98, v96
	s_delay_alu instid0(VALU_DEP_2) | instskip(SKIP_1) | instid1(VALU_DEP_2)
	v_sub_f32_e32 v98, v98, v97
	v_sub_f32_e32 v17, v17, v97
	v_dual_add_f32 v101, v99, v96 :: v_dual_sub_f32 v98, v100, v98
	s_delay_alu instid0(VALU_DEP_1) | instskip(NEXT) | instid1(VALU_DEP_1)
	v_sub_f32_e32 v97, v101, v99
	v_dual_add_f32 v17, v17, v98 :: v_dual_sub_f32 v96, v96, v97
	s_delay_alu instid0(VALU_DEP_1) | instskip(NEXT) | instid1(VALU_DEP_1)
	v_add_f32_e32 v17, v17, v96
	v_add_f32_e32 v17, v101, v17
	s_delay_alu instid0(VALU_DEP_1)
	v_cndmask_b32_e32 v96, v17, v12, vcc_lo
.LBB20_80:                              ;   in Loop: Header=BB20_12 Depth=1
	s_or_b32 exec_lo, exec_lo, s29
	v_and_b32_e32 v12, 0xffff0000, v13
	s_delay_alu instid0(VALU_DEP_1) | instskip(NEXT) | instid1(VALU_DEP_1)
	v_add_f32_e32 v97, s66, v12
	v_cmp_ge_f32_e32 vcc_lo, 0x41a00000, v97
	s_and_b32 s28, s79, vcc_lo
	s_delay_alu instid0(SALU_CYCLE_1)
	s_and_saveexec_b32 s29, s28
	s_cbranch_execz .LBB20_82
; %bb.81:                               ;   in Loop: Header=BB20_12 Depth=1
	v_mul_f32_e32 v12, 0x3fb8aa3b, v97
	v_cmp_ngt_f32_e32 vcc_lo, 0xc2ce8ed0, v97
	s_delay_alu instid0(VALU_DEP_2) | instskip(SKIP_1) | instid1(VALU_DEP_2)
	v_rndne_f32_e32 v13, v12
	v_fma_f32 v17, 0x3fb8aa3b, v97, -v12
	v_sub_f32_e32 v12, v12, v13
	s_delay_alu instid0(VALU_DEP_2) | instskip(SKIP_1) | instid1(VALU_DEP_2)
	v_fmac_f32_e32 v17, 0x32a5705f, v97
	v_cvt_i32_f32_e32 v13, v13
	v_add_f32_e32 v12, v12, v17
	s_delay_alu instid0(VALU_DEP_1) | instskip(SKIP_2) | instid1(VALU_DEP_1)
	v_exp_f32_e32 v12, v12
	s_waitcnt_depctr 0xfff
	v_ldexp_f32 v12, v12, v13
	v_cndmask_b32_e32 v12, 0, v12, vcc_lo
	v_cmp_nlt_f32_e32 vcc_lo, 0x42b17218, v97
	s_delay_alu instid0(VALU_DEP_2) | instskip(NEXT) | instid1(VALU_DEP_1)
	v_cndmask_b32_e32 v17, 0x7f800000, v12, vcc_lo
	v_add_f32_e32 v97, 1.0, v17
	s_delay_alu instid0(VALU_DEP_1) | instskip(NEXT) | instid1(VALU_DEP_1)
	v_cvt_f64_f32_e32 v[12:13], v97
	v_frexp_exp_i32_f64_e32 v12, v[12:13]
	v_frexp_mant_f32_e32 v13, v97
	s_delay_alu instid0(VALU_DEP_1) | instskip(SKIP_1) | instid1(VALU_DEP_1)
	v_cmp_gt_f32_e32 vcc_lo, 0x3f2aaaab, v13
	v_add_f32_e32 v13, -1.0, v97
	v_sub_f32_e32 v99, v13, v97
	s_delay_alu instid0(VALU_DEP_1) | instskip(SKIP_1) | instid1(VALU_DEP_1)
	v_add_f32_e32 v99, 1.0, v99
	v_subrev_co_ci_u32_e32 v12, vcc_lo, 0, v12, vcc_lo
	v_sub_nc_u32_e32 v98, 0, v12
	v_cvt_f32_i32_e32 v12, v12
	s_delay_alu instid0(VALU_DEP_2) | instskip(NEXT) | instid1(VALU_DEP_1)
	v_ldexp_f32 v97, v97, v98
	v_add_f32_e32 v100, 1.0, v97
	v_sub_f32_e32 v13, v17, v13
	v_cmp_eq_f32_e32 vcc_lo, 0x7f800000, v17
	v_cmp_gt_f32_e64 s28, 0x33800000, v17
	s_delay_alu instid0(VALU_DEP_3) | instskip(SKIP_1) | instid1(VALU_DEP_3)
	v_add_f32_e32 v13, v13, v99
	v_add_f32_e32 v99, -1.0, v100
	s_or_b32 vcc_lo, s28, vcc_lo
	s_delay_alu instid0(VALU_DEP_2) | instskip(NEXT) | instid1(VALU_DEP_2)
	v_ldexp_f32 v13, v13, v98
	v_dual_add_f32 v98, -1.0, v97 :: v_dual_sub_f32 v99, v97, v99
	s_delay_alu instid0(VALU_DEP_1) | instskip(NEXT) | instid1(VALU_DEP_2)
	v_add_f32_e32 v101, 1.0, v98
	v_add_f32_e32 v99, v13, v99
	s_delay_alu instid0(VALU_DEP_2) | instskip(NEXT) | instid1(VALU_DEP_1)
	v_sub_f32_e32 v97, v97, v101
	v_add_f32_e32 v13, v13, v97
	s_delay_alu instid0(VALU_DEP_1) | instskip(NEXT) | instid1(VALU_DEP_1)
	v_dual_add_f32 v102, v98, v13 :: v_dual_add_f32 v101, v100, v99
	v_sub_f32_e32 v98, v98, v102
	s_delay_alu instid0(VALU_DEP_2) | instskip(NEXT) | instid1(VALU_DEP_1)
	v_rcp_f32_e32 v97, v101
	v_dual_sub_f32 v100, v100, v101 :: v_dual_add_f32 v13, v13, v98
	s_delay_alu instid0(VALU_DEP_1) | instskip(SKIP_2) | instid1(VALU_DEP_1)
	v_add_f32_e32 v99, v99, v100
	s_waitcnt_depctr 0xfff
	v_mul_f32_e32 v103, v102, v97
	v_mul_f32_e32 v104, v101, v103
	s_delay_alu instid0(VALU_DEP_1) | instskip(NEXT) | instid1(VALU_DEP_1)
	v_fma_f32 v100, v103, v101, -v104
	v_fmac_f32_e32 v100, v103, v99
	s_delay_alu instid0(VALU_DEP_1) | instskip(NEXT) | instid1(VALU_DEP_1)
	v_add_f32_e32 v105, v104, v100
	v_sub_f32_e32 v106, v102, v105
	v_sub_f32_e32 v98, v105, v104
	s_delay_alu instid0(VALU_DEP_2) | instskip(NEXT) | instid1(VALU_DEP_2)
	v_sub_f32_e32 v102, v102, v106
	v_sub_f32_e32 v98, v98, v100
	s_delay_alu instid0(VALU_DEP_2) | instskip(NEXT) | instid1(VALU_DEP_1)
	v_sub_f32_e32 v102, v102, v105
	v_add_f32_e32 v13, v13, v102
	s_delay_alu instid0(VALU_DEP_1) | instskip(NEXT) | instid1(VALU_DEP_1)
	v_add_f32_e32 v13, v98, v13
	v_add_f32_e32 v98, v106, v13
	s_delay_alu instid0(VALU_DEP_1) | instskip(NEXT) | instid1(VALU_DEP_1)
	v_mul_f32_e32 v100, v97, v98
	v_dual_sub_f32 v105, v106, v98 :: v_dual_mul_f32 v102, v101, v100
	s_delay_alu instid0(VALU_DEP_1) | instskip(NEXT) | instid1(VALU_DEP_1)
	v_fma_f32 v101, v100, v101, -v102
	v_fmac_f32_e32 v101, v100, v99
	s_delay_alu instid0(VALU_DEP_1) | instskip(NEXT) | instid1(VALU_DEP_1)
	v_add_f32_e32 v99, v102, v101
	v_dual_add_f32 v13, v13, v105 :: v_dual_sub_f32 v104, v98, v99
	s_delay_alu instid0(VALU_DEP_1) | instskip(NEXT) | instid1(VALU_DEP_1)
	v_sub_f32_e32 v98, v98, v104
	v_sub_f32_e32 v98, v98, v99
	s_delay_alu instid0(VALU_DEP_1) | instskip(SKIP_1) | instid1(VALU_DEP_1)
	v_dual_add_f32 v13, v13, v98 :: v_dual_add_f32 v98, v103, v100
	v_sub_f32_e32 v102, v99, v102
	v_sub_f32_e32 v99, v102, v101
	s_delay_alu instid0(VALU_DEP_1) | instskip(NEXT) | instid1(VALU_DEP_4)
	v_add_f32_e32 v13, v99, v13
	v_sub_f32_e32 v99, v98, v103
	s_delay_alu instid0(VALU_DEP_2) | instskip(NEXT) | instid1(VALU_DEP_2)
	v_add_f32_e32 v13, v104, v13
	v_sub_f32_e32 v99, v100, v99
	s_delay_alu instid0(VALU_DEP_2) | instskip(NEXT) | instid1(VALU_DEP_1)
	v_mul_f32_e32 v13, v97, v13
	v_add_f32_e32 v13, v99, v13
	s_delay_alu instid0(VALU_DEP_1) | instskip(NEXT) | instid1(VALU_DEP_1)
	v_add_f32_e32 v97, v98, v13
	v_mul_f32_e32 v99, v97, v97
	s_delay_alu instid0(VALU_DEP_1) | instskip(SKIP_1) | instid1(VALU_DEP_2)
	v_fmaak_f32 v100, s83, v99, 0x3ecc95a3
	v_mul_f32_e32 v101, v97, v99
	v_fmaak_f32 v99, v99, v100, 0x3f2aaada
	v_ldexp_f32 v100, v97, 1
	v_sub_f32_e32 v97, v97, v98
	s_delay_alu instid0(VALU_DEP_3) | instskip(SKIP_1) | instid1(VALU_DEP_2)
	v_mul_f32_e32 v99, v101, v99
	v_mul_f32_e32 v101, 0x3f317218, v12
	v_dual_sub_f32 v13, v13, v97 :: v_dual_add_f32 v98, v100, v99
	s_delay_alu instid0(VALU_DEP_1) | instskip(NEXT) | instid1(VALU_DEP_2)
	v_ldexp_f32 v13, v13, 1
	v_sub_f32_e32 v97, v98, v100
	s_delay_alu instid0(VALU_DEP_4) | instskip(NEXT) | instid1(VALU_DEP_1)
	v_fma_f32 v100, 0x3f317218, v12, -v101
	v_dual_sub_f32 v97, v99, v97 :: v_dual_fmac_f32 v100, 0xb102e308, v12
	s_delay_alu instid0(VALU_DEP_1) | instskip(NEXT) | instid1(VALU_DEP_2)
	v_add_f32_e32 v12, v13, v97
	v_add_f32_e32 v13, v101, v100
	s_delay_alu instid0(VALU_DEP_2) | instskip(NEXT) | instid1(VALU_DEP_2)
	v_add_f32_e32 v97, v98, v12
	v_sub_f32_e32 v101, v13, v101
	s_delay_alu instid0(VALU_DEP_2) | instskip(SKIP_1) | instid1(VALU_DEP_3)
	v_add_f32_e32 v99, v13, v97
	v_sub_f32_e32 v98, v97, v98
	v_sub_f32_e32 v100, v100, v101
	s_delay_alu instid0(VALU_DEP_3) | instskip(NEXT) | instid1(VALU_DEP_3)
	v_sub_f32_e32 v102, v99, v13
	v_sub_f32_e32 v12, v12, v98
	s_delay_alu instid0(VALU_DEP_2) | instskip(NEXT) | instid1(VALU_DEP_2)
	v_sub_f32_e32 v103, v99, v102
	v_dual_sub_f32 v97, v97, v102 :: v_dual_add_f32 v98, v100, v12
	s_delay_alu instid0(VALU_DEP_2) | instskip(NEXT) | instid1(VALU_DEP_1)
	v_sub_f32_e32 v13, v13, v103
	v_add_f32_e32 v13, v97, v13
	s_delay_alu instid0(VALU_DEP_3) | instskip(NEXT) | instid1(VALU_DEP_2)
	v_sub_f32_e32 v97, v98, v100
	v_add_f32_e32 v13, v98, v13
	s_delay_alu instid0(VALU_DEP_2) | instskip(SKIP_1) | instid1(VALU_DEP_1)
	v_sub_f32_e32 v12, v12, v97
	v_sub_f32_e32 v98, v98, v97
	v_dual_add_f32 v101, v99, v13 :: v_dual_sub_f32 v98, v100, v98
	s_delay_alu instid0(VALU_DEP_1) | instskip(NEXT) | instid1(VALU_DEP_1)
	v_dual_sub_f32 v97, v101, v99 :: v_dual_add_f32 v12, v12, v98
	v_sub_f32_e32 v13, v13, v97
	s_delay_alu instid0(VALU_DEP_1) | instskip(NEXT) | instid1(VALU_DEP_1)
	v_add_f32_e32 v12, v12, v13
	v_add_f32_e32 v12, v101, v12
	s_delay_alu instid0(VALU_DEP_1)
	v_cndmask_b32_e32 v97, v12, v17, vcc_lo
.LBB20_82:                              ;   in Loop: Header=BB20_12 Depth=1
	s_or_b32 exec_lo, exec_lo, s29
	v_lshlrev_b32_e32 v12, 16, v14
	s_delay_alu instid0(VALU_DEP_1) | instskip(NEXT) | instid1(VALU_DEP_1)
	v_add_f32_e32 v98, s66, v12
	v_cmp_ge_f32_e32 vcc_lo, 0x41a00000, v98
	s_and_b32 s28, s79, vcc_lo
	s_delay_alu instid0(SALU_CYCLE_1)
	s_and_saveexec_b32 s29, s28
	s_cbranch_execz .LBB20_84
; %bb.83:                               ;   in Loop: Header=BB20_12 Depth=1
	v_mul_f32_e32 v12, 0x3fb8aa3b, v98
	v_cmp_ngt_f32_e32 vcc_lo, 0xc2ce8ed0, v98
	s_delay_alu instid0(VALU_DEP_2) | instskip(SKIP_1) | instid1(VALU_DEP_1)
	v_rndne_f32_e32 v13, v12
	v_fma_f32 v17, 0x3fb8aa3b, v98, -v12
	v_dual_sub_f32 v12, v12, v13 :: v_dual_fmac_f32 v17, 0x32a5705f, v98
	v_cvt_i32_f32_e32 v13, v13
	s_delay_alu instid0(VALU_DEP_2) | instskip(NEXT) | instid1(VALU_DEP_1)
	v_add_f32_e32 v12, v12, v17
	v_exp_f32_e32 v12, v12
	s_waitcnt_depctr 0xfff
	v_ldexp_f32 v12, v12, v13
	s_delay_alu instid0(VALU_DEP_1) | instskip(SKIP_1) | instid1(VALU_DEP_2)
	v_cndmask_b32_e32 v12, 0, v12, vcc_lo
	v_cmp_nlt_f32_e32 vcc_lo, 0x42b17218, v98
	v_cndmask_b32_e32 v17, 0x7f800000, v12, vcc_lo
	s_delay_alu instid0(VALU_DEP_1) | instskip(NEXT) | instid1(VALU_DEP_1)
	v_add_f32_e32 v98, 1.0, v17
	v_cvt_f64_f32_e32 v[12:13], v98
	s_delay_alu instid0(VALU_DEP_1) | instskip(SKIP_1) | instid1(VALU_DEP_1)
	v_frexp_exp_i32_f64_e32 v12, v[12:13]
	v_frexp_mant_f32_e32 v13, v98
	v_cmp_gt_f32_e32 vcc_lo, 0x3f2aaaab, v13
	v_add_f32_e32 v13, -1.0, v98
	s_delay_alu instid0(VALU_DEP_1) | instskip(SKIP_2) | instid1(VALU_DEP_3)
	v_sub_f32_e32 v100, v13, v98
	v_sub_f32_e32 v13, v17, v13
	v_cmp_gt_f32_e64 s28, 0x33800000, v17
	v_add_f32_e32 v100, 1.0, v100
	s_delay_alu instid0(VALU_DEP_1) | instskip(SKIP_2) | instid1(VALU_DEP_2)
	v_add_f32_e32 v13, v13, v100
	v_subrev_co_ci_u32_e32 v12, vcc_lo, 0, v12, vcc_lo
	v_cmp_eq_f32_e32 vcc_lo, 0x7f800000, v17
	v_sub_nc_u32_e32 v99, 0, v12
	v_cvt_f32_i32_e32 v12, v12
	s_or_b32 vcc_lo, s28, vcc_lo
	s_delay_alu instid0(VALU_DEP_2) | instskip(SKIP_1) | instid1(VALU_DEP_2)
	v_ldexp_f32 v98, v98, v99
	v_ldexp_f32 v13, v13, v99
	v_add_f32_e32 v99, -1.0, v98
	s_delay_alu instid0(VALU_DEP_1) | instskip(NEXT) | instid1(VALU_DEP_1)
	v_dual_add_f32 v101, 1.0, v98 :: v_dual_add_f32 v102, 1.0, v99
	v_add_f32_e32 v100, -1.0, v101
	s_delay_alu instid0(VALU_DEP_1) | instskip(NEXT) | instid1(VALU_DEP_3)
	v_sub_f32_e32 v100, v98, v100
	v_sub_f32_e32 v98, v98, v102
	s_delay_alu instid0(VALU_DEP_2) | instskip(NEXT) | instid1(VALU_DEP_2)
	v_add_f32_e32 v100, v13, v100
	v_add_f32_e32 v13, v13, v98
	s_delay_alu instid0(VALU_DEP_1) | instskip(NEXT) | instid1(VALU_DEP_1)
	v_dual_add_f32 v103, v99, v13 :: v_dual_add_f32 v102, v101, v100
	v_sub_f32_e32 v99, v99, v103
	s_delay_alu instid0(VALU_DEP_2) | instskip(SKIP_1) | instid1(VALU_DEP_1)
	v_rcp_f32_e32 v98, v102
	v_sub_f32_e32 v101, v101, v102
	v_dual_add_f32 v13, v13, v99 :: v_dual_add_f32 v100, v100, v101
	s_waitcnt_depctr 0xfff
	v_mul_f32_e32 v104, v103, v98
	s_delay_alu instid0(VALU_DEP_1) | instskip(NEXT) | instid1(VALU_DEP_1)
	v_mul_f32_e32 v105, v102, v104
	v_fma_f32 v101, v104, v102, -v105
	s_delay_alu instid0(VALU_DEP_1) | instskip(NEXT) | instid1(VALU_DEP_1)
	v_fmac_f32_e32 v101, v104, v100
	v_add_f32_e32 v106, v105, v101
	s_delay_alu instid0(VALU_DEP_1) | instskip(SKIP_1) | instid1(VALU_DEP_2)
	v_sub_f32_e32 v107, v103, v106
	v_sub_f32_e32 v99, v106, v105
	;; [unrolled: 1-line block ×3, first 2 shown]
	s_delay_alu instid0(VALU_DEP_2) | instskip(NEXT) | instid1(VALU_DEP_2)
	v_sub_f32_e32 v99, v99, v101
	v_sub_f32_e32 v103, v103, v106
	s_delay_alu instid0(VALU_DEP_1) | instskip(NEXT) | instid1(VALU_DEP_1)
	v_add_f32_e32 v13, v13, v103
	v_add_f32_e32 v13, v99, v13
	s_delay_alu instid0(VALU_DEP_1) | instskip(NEXT) | instid1(VALU_DEP_1)
	v_add_f32_e32 v99, v107, v13
	v_mul_f32_e32 v101, v98, v99
	s_delay_alu instid0(VALU_DEP_1) | instskip(NEXT) | instid1(VALU_DEP_1)
	v_dual_sub_f32 v106, v107, v99 :: v_dual_mul_f32 v103, v102, v101
	v_add_f32_e32 v13, v13, v106
	s_delay_alu instid0(VALU_DEP_2) | instskip(NEXT) | instid1(VALU_DEP_1)
	v_fma_f32 v102, v101, v102, -v103
	v_fmac_f32_e32 v102, v101, v100
	s_delay_alu instid0(VALU_DEP_1) | instskip(NEXT) | instid1(VALU_DEP_1)
	v_add_f32_e32 v100, v103, v102
	v_sub_f32_e32 v105, v99, v100
	s_delay_alu instid0(VALU_DEP_1) | instskip(NEXT) | instid1(VALU_DEP_1)
	v_sub_f32_e32 v99, v99, v105
	v_sub_f32_e32 v99, v99, v100
	s_delay_alu instid0(VALU_DEP_1) | instskip(SKIP_2) | instid1(VALU_DEP_1)
	v_add_f32_e32 v13, v13, v99
	v_add_f32_e32 v99, v104, v101
	v_sub_f32_e32 v103, v100, v103
	v_sub_f32_e32 v100, v103, v102
	s_delay_alu instid0(VALU_DEP_1) | instskip(NEXT) | instid1(VALU_DEP_1)
	v_dual_add_f32 v13, v100, v13 :: v_dual_sub_f32 v100, v99, v104
	v_add_f32_e32 v13, v105, v13
	s_delay_alu instid0(VALU_DEP_1) | instskip(NEXT) | instid1(VALU_DEP_1)
	v_dual_sub_f32 v100, v101, v100 :: v_dual_mul_f32 v13, v98, v13
	v_add_f32_e32 v13, v100, v13
	s_delay_alu instid0(VALU_DEP_1) | instskip(NEXT) | instid1(VALU_DEP_1)
	v_add_f32_e32 v98, v99, v13
	v_mul_f32_e32 v100, v98, v98
	s_delay_alu instid0(VALU_DEP_1) | instskip(SKIP_1) | instid1(VALU_DEP_2)
	v_fmaak_f32 v101, s83, v100, 0x3ecc95a3
	v_mul_f32_e32 v102, v98, v100
	v_fmaak_f32 v100, v100, v101, 0x3f2aaada
	v_ldexp_f32 v101, v98, 1
	v_sub_f32_e32 v98, v98, v99
	s_delay_alu instid0(VALU_DEP_3) | instskip(NEXT) | instid1(VALU_DEP_2)
	v_mul_f32_e32 v100, v102, v100
	v_dual_mul_f32 v102, 0x3f317218, v12 :: v_dual_sub_f32 v13, v13, v98
	s_delay_alu instid0(VALU_DEP_2) | instskip(NEXT) | instid1(VALU_DEP_2)
	v_add_f32_e32 v99, v101, v100
	v_ldexp_f32 v13, v13, 1
	s_delay_alu instid0(VALU_DEP_2) | instskip(NEXT) | instid1(VALU_DEP_4)
	v_sub_f32_e32 v98, v99, v101
	v_fma_f32 v101, 0x3f317218, v12, -v102
	s_delay_alu instid0(VALU_DEP_1) | instskip(NEXT) | instid1(VALU_DEP_1)
	v_dual_sub_f32 v98, v100, v98 :: v_dual_fmac_f32 v101, 0xb102e308, v12
	v_add_f32_e32 v12, v13, v98
	s_delay_alu instid0(VALU_DEP_1) | instskip(NEXT) | instid1(VALU_DEP_1)
	v_add_f32_e32 v98, v99, v12
	v_sub_f32_e32 v99, v98, v99
	s_delay_alu instid0(VALU_DEP_1) | instskip(NEXT) | instid1(VALU_DEP_1)
	v_dual_sub_f32 v12, v12, v99 :: v_dual_add_f32 v13, v102, v101
	v_add_f32_e32 v100, v13, v98
	s_delay_alu instid0(VALU_DEP_1) | instskip(NEXT) | instid1(VALU_DEP_1)
	v_dual_sub_f32 v102, v13, v102 :: v_dual_sub_f32 v103, v100, v13
	v_dual_sub_f32 v101, v101, v102 :: v_dual_sub_f32 v104, v100, v103
	s_delay_alu instid0(VALU_DEP_1) | instskip(NEXT) | instid1(VALU_DEP_2)
	v_dual_sub_f32 v98, v98, v103 :: v_dual_add_f32 v99, v101, v12
	v_sub_f32_e32 v13, v13, v104
	s_delay_alu instid0(VALU_DEP_1) | instskip(NEXT) | instid1(VALU_DEP_3)
	v_add_f32_e32 v13, v98, v13
	v_sub_f32_e32 v98, v99, v101
	s_delay_alu instid0(VALU_DEP_2) | instskip(NEXT) | instid1(VALU_DEP_2)
	v_add_f32_e32 v13, v99, v13
	v_sub_f32_e32 v99, v99, v98
	v_sub_f32_e32 v12, v12, v98
	s_delay_alu instid0(VALU_DEP_2) | instskip(NEXT) | instid1(VALU_DEP_1)
	v_dual_add_f32 v102, v100, v13 :: v_dual_sub_f32 v99, v101, v99
	v_sub_f32_e32 v98, v102, v100
	s_delay_alu instid0(VALU_DEP_1) | instskip(NEXT) | instid1(VALU_DEP_1)
	v_dual_add_f32 v12, v12, v99 :: v_dual_sub_f32 v13, v13, v98
	v_add_f32_e32 v12, v12, v13
	s_delay_alu instid0(VALU_DEP_1) | instskip(NEXT) | instid1(VALU_DEP_1)
	v_add_f32_e32 v12, v102, v12
	v_cndmask_b32_e32 v98, v12, v17, vcc_lo
.LBB20_84:                              ;   in Loop: Header=BB20_12 Depth=1
	s_or_b32 exec_lo, exec_lo, s29
	v_and_b32_e32 v12, 0xffff0000, v14
	s_delay_alu instid0(VALU_DEP_1) | instskip(NEXT) | instid1(VALU_DEP_1)
	v_add_f32_e32 v99, s66, v12
	v_cmp_ge_f32_e32 vcc_lo, 0x41a00000, v99
	s_and_b32 s28, s79, vcc_lo
	s_delay_alu instid0(SALU_CYCLE_1)
	s_and_saveexec_b32 s29, s28
	s_cbranch_execz .LBB20_86
; %bb.85:                               ;   in Loop: Header=BB20_12 Depth=1
	v_mul_f32_e32 v12, 0x3fb8aa3b, v99
	v_cmp_ngt_f32_e32 vcc_lo, 0xc2ce8ed0, v99
	s_delay_alu instid0(VALU_DEP_2) | instskip(SKIP_1) | instid1(VALU_DEP_2)
	v_rndne_f32_e32 v13, v12
	v_fma_f32 v14, 0x3fb8aa3b, v99, -v12
	v_sub_f32_e32 v12, v12, v13
	s_delay_alu instid0(VALU_DEP_2) | instskip(SKIP_1) | instid1(VALU_DEP_2)
	v_fmac_f32_e32 v14, 0x32a5705f, v99
	v_cvt_i32_f32_e32 v13, v13
	v_add_f32_e32 v12, v12, v14
	s_delay_alu instid0(VALU_DEP_1) | instskip(SKIP_2) | instid1(VALU_DEP_1)
	v_exp_f32_e32 v12, v12
	s_waitcnt_depctr 0xfff
	v_ldexp_f32 v12, v12, v13
	v_cndmask_b32_e32 v12, 0, v12, vcc_lo
	v_cmp_nlt_f32_e32 vcc_lo, 0x42b17218, v99
	s_delay_alu instid0(VALU_DEP_2) | instskip(NEXT) | instid1(VALU_DEP_1)
	v_cndmask_b32_e32 v14, 0x7f800000, v12, vcc_lo
	v_add_f32_e32 v17, 1.0, v14
	s_delay_alu instid0(VALU_DEP_1) | instskip(NEXT) | instid1(VALU_DEP_1)
	v_cvt_f64_f32_e32 v[12:13], v17
	v_frexp_exp_i32_f64_e32 v12, v[12:13]
	v_frexp_mant_f32_e32 v13, v17
	s_delay_alu instid0(VALU_DEP_1) | instskip(SKIP_1) | instid1(VALU_DEP_1)
	v_cmp_gt_f32_e32 vcc_lo, 0x3f2aaaab, v13
	v_add_f32_e32 v13, -1.0, v17
	v_sub_f32_e32 v100, v13, v17
	v_sub_f32_e32 v13, v14, v13
	v_subrev_co_ci_u32_e32 v12, vcc_lo, 0, v12, vcc_lo
	s_delay_alu instid0(VALU_DEP_1) | instskip(SKIP_1) | instid1(VALU_DEP_2)
	v_sub_nc_u32_e32 v99, 0, v12
	v_cvt_f32_i32_e32 v12, v12
	v_ldexp_f32 v17, v17, v99
	s_delay_alu instid0(VALU_DEP_1) | instskip(NEXT) | instid1(VALU_DEP_1)
	v_dual_add_f32 v100, 1.0, v100 :: v_dual_add_f32 v101, 1.0, v17
	v_dual_add_f32 v13, v13, v100 :: v_dual_add_f32 v100, -1.0, v101
	s_delay_alu instid0(VALU_DEP_1) | instskip(SKIP_4) | instid1(VALU_DEP_4)
	v_ldexp_f32 v13, v13, v99
	v_add_f32_e32 v99, -1.0, v17
	v_cmp_eq_f32_e32 vcc_lo, 0x7f800000, v14
	v_cmp_gt_f32_e64 s28, 0x33800000, v14
	v_sub_f32_e32 v100, v17, v100
	v_add_f32_e32 v102, 1.0, v99
	s_delay_alu instid0(VALU_DEP_3) | instskip(NEXT) | instid1(VALU_DEP_2)
	s_or_b32 vcc_lo, s28, vcc_lo
	v_add_f32_e32 v100, v13, v100
	s_delay_alu instid0(VALU_DEP_2) | instskip(NEXT) | instid1(VALU_DEP_1)
	v_sub_f32_e32 v17, v17, v102
	v_add_f32_e32 v13, v13, v17
	s_delay_alu instid0(VALU_DEP_1) | instskip(NEXT) | instid1(VALU_DEP_1)
	v_dual_add_f32 v103, v99, v13 :: v_dual_add_f32 v102, v101, v100
	v_sub_f32_e32 v99, v99, v103
	s_delay_alu instid0(VALU_DEP_2) | instskip(SKIP_1) | instid1(VALU_DEP_1)
	v_rcp_f32_e32 v17, v102
	v_sub_f32_e32 v101, v101, v102
	v_dual_add_f32 v13, v13, v99 :: v_dual_add_f32 v100, v100, v101
	s_waitcnt_depctr 0xfff
	v_mul_f32_e32 v104, v103, v17
	s_delay_alu instid0(VALU_DEP_1) | instskip(NEXT) | instid1(VALU_DEP_1)
	v_mul_f32_e32 v105, v102, v104
	v_fma_f32 v101, v104, v102, -v105
	s_delay_alu instid0(VALU_DEP_1) | instskip(NEXT) | instid1(VALU_DEP_1)
	v_fmac_f32_e32 v101, v104, v100
	v_add_f32_e32 v106, v105, v101
	s_delay_alu instid0(VALU_DEP_1) | instskip(NEXT) | instid1(VALU_DEP_1)
	v_sub_f32_e32 v107, v103, v106
	v_sub_f32_e32 v103, v103, v107
	;; [unrolled: 1-line block ×3, first 2 shown]
	s_delay_alu instid0(VALU_DEP_2) | instskip(NEXT) | instid1(VALU_DEP_2)
	v_sub_f32_e32 v103, v103, v106
	v_sub_f32_e32 v99, v99, v101
	s_delay_alu instid0(VALU_DEP_2) | instskip(NEXT) | instid1(VALU_DEP_1)
	v_add_f32_e32 v13, v13, v103
	v_add_f32_e32 v13, v99, v13
	s_delay_alu instid0(VALU_DEP_1) | instskip(NEXT) | instid1(VALU_DEP_1)
	v_add_f32_e32 v99, v107, v13
	v_mul_f32_e32 v101, v17, v99
	s_delay_alu instid0(VALU_DEP_1) | instskip(NEXT) | instid1(VALU_DEP_1)
	v_dual_sub_f32 v106, v107, v99 :: v_dual_mul_f32 v103, v102, v101
	v_add_f32_e32 v13, v13, v106
	s_delay_alu instid0(VALU_DEP_2) | instskip(NEXT) | instid1(VALU_DEP_1)
	v_fma_f32 v102, v101, v102, -v103
	v_fmac_f32_e32 v102, v101, v100
	s_delay_alu instid0(VALU_DEP_1) | instskip(NEXT) | instid1(VALU_DEP_1)
	v_add_f32_e32 v100, v103, v102
	v_sub_f32_e32 v105, v99, v100
	v_sub_f32_e32 v103, v100, v103
	s_delay_alu instid0(VALU_DEP_2) | instskip(NEXT) | instid1(VALU_DEP_1)
	v_sub_f32_e32 v99, v99, v105
	v_sub_f32_e32 v99, v99, v100
	s_delay_alu instid0(VALU_DEP_1) | instskip(SKIP_1) | instid1(VALU_DEP_1)
	v_dual_sub_f32 v100, v103, v102 :: v_dual_add_f32 v13, v13, v99
	v_add_f32_e32 v99, v104, v101
	v_dual_add_f32 v13, v100, v13 :: v_dual_sub_f32 v100, v99, v104
	s_delay_alu instid0(VALU_DEP_1) | instskip(NEXT) | instid1(VALU_DEP_2)
	v_add_f32_e32 v13, v105, v13
	v_sub_f32_e32 v100, v101, v100
	s_delay_alu instid0(VALU_DEP_2) | instskip(NEXT) | instid1(VALU_DEP_1)
	v_mul_f32_e32 v13, v17, v13
	v_add_f32_e32 v13, v100, v13
	s_delay_alu instid0(VALU_DEP_1) | instskip(NEXT) | instid1(VALU_DEP_1)
	v_add_f32_e32 v17, v99, v13
	v_mul_f32_e32 v100, v17, v17
	s_delay_alu instid0(VALU_DEP_1) | instskip(SKIP_1) | instid1(VALU_DEP_2)
	v_fmaak_f32 v101, s83, v100, 0x3ecc95a3
	v_mul_f32_e32 v102, v17, v100
	v_fmaak_f32 v100, v100, v101, 0x3f2aaada
	v_ldexp_f32 v101, v17, 1
	s_delay_alu instid0(VALU_DEP_2) | instskip(NEXT) | instid1(VALU_DEP_1)
	v_dual_sub_f32 v17, v17, v99 :: v_dual_mul_f32 v100, v102, v100
	v_dual_mul_f32 v102, 0x3f317218, v12 :: v_dual_sub_f32 v13, v13, v17
	s_delay_alu instid0(VALU_DEP_2) | instskip(NEXT) | instid1(VALU_DEP_2)
	v_add_f32_e32 v99, v101, v100
	v_ldexp_f32 v13, v13, 1
	s_delay_alu instid0(VALU_DEP_2) | instskip(NEXT) | instid1(VALU_DEP_4)
	v_sub_f32_e32 v17, v99, v101
	v_fma_f32 v101, 0x3f317218, v12, -v102
	s_delay_alu instid0(VALU_DEP_2) | instskip(NEXT) | instid1(VALU_DEP_1)
	v_sub_f32_e32 v17, v100, v17
	v_dual_fmac_f32 v101, 0xb102e308, v12 :: v_dual_add_f32 v12, v13, v17
	s_delay_alu instid0(VALU_DEP_1) | instskip(NEXT) | instid1(VALU_DEP_1)
	v_add_f32_e32 v13, v102, v101
	v_dual_add_f32 v17, v99, v12 :: v_dual_sub_f32 v102, v13, v102
	s_delay_alu instid0(VALU_DEP_1) | instskip(SKIP_1) | instid1(VALU_DEP_3)
	v_add_f32_e32 v100, v13, v17
	v_sub_f32_e32 v99, v17, v99
	v_sub_f32_e32 v101, v101, v102
	s_delay_alu instid0(VALU_DEP_3) | instskip(NEXT) | instid1(VALU_DEP_3)
	v_sub_f32_e32 v103, v100, v13
	v_sub_f32_e32 v12, v12, v99
	s_delay_alu instid0(VALU_DEP_2) | instskip(SKIP_1) | instid1(VALU_DEP_3)
	v_sub_f32_e32 v104, v100, v103
	v_sub_f32_e32 v17, v17, v103
	v_add_f32_e32 v99, v101, v12
	s_delay_alu instid0(VALU_DEP_3) | instskip(NEXT) | instid1(VALU_DEP_1)
	v_sub_f32_e32 v13, v13, v104
	v_add_f32_e32 v13, v17, v13
	s_delay_alu instid0(VALU_DEP_3) | instskip(NEXT) | instid1(VALU_DEP_2)
	v_sub_f32_e32 v17, v99, v101
	v_add_f32_e32 v13, v99, v13
	s_delay_alu instid0(VALU_DEP_2) | instskip(SKIP_1) | instid1(VALU_DEP_2)
	v_sub_f32_e32 v99, v99, v17
	v_sub_f32_e32 v12, v12, v17
	v_dual_add_f32 v102, v100, v13 :: v_dual_sub_f32 v99, v101, v99
	s_delay_alu instid0(VALU_DEP_1) | instskip(NEXT) | instid1(VALU_DEP_1)
	v_dual_sub_f32 v17, v102, v100 :: v_dual_add_f32 v12, v12, v99
	v_sub_f32_e32 v13, v13, v17
	s_delay_alu instid0(VALU_DEP_1) | instskip(NEXT) | instid1(VALU_DEP_1)
	v_add_f32_e32 v12, v12, v13
	v_add_f32_e32 v12, v102, v12
	s_delay_alu instid0(VALU_DEP_1)
	v_cndmask_b32_e32 v99, v12, v14, vcc_lo
.LBB20_86:                              ;   in Loop: Header=BB20_12 Depth=1
	s_or_b32 exec_lo, exec_lo, s29
	v_lshlrev_b32_e32 v12, 16, v15
	s_delay_alu instid0(VALU_DEP_1) | instskip(NEXT) | instid1(VALU_DEP_1)
	v_add_f32_e32 v100, s66, v12
	v_cmp_ge_f32_e32 vcc_lo, 0x41a00000, v100
	s_and_b32 s28, s79, vcc_lo
	s_delay_alu instid0(SALU_CYCLE_1)
	s_and_saveexec_b32 s29, s28
	s_cbranch_execz .LBB20_88
; %bb.87:                               ;   in Loop: Header=BB20_12 Depth=1
	v_mul_f32_e32 v12, 0x3fb8aa3b, v100
	v_cmp_ngt_f32_e32 vcc_lo, 0xc2ce8ed0, v100
	s_delay_alu instid0(VALU_DEP_2) | instskip(SKIP_1) | instid1(VALU_DEP_2)
	v_rndne_f32_e32 v13, v12
	v_fma_f32 v14, 0x3fb8aa3b, v100, -v12
	v_sub_f32_e32 v12, v12, v13
	s_delay_alu instid0(VALU_DEP_2) | instskip(SKIP_1) | instid1(VALU_DEP_2)
	v_fmac_f32_e32 v14, 0x32a5705f, v100
	v_cvt_i32_f32_e32 v13, v13
	v_add_f32_e32 v12, v12, v14
	s_delay_alu instid0(VALU_DEP_1) | instskip(SKIP_2) | instid1(VALU_DEP_1)
	v_exp_f32_e32 v12, v12
	s_waitcnt_depctr 0xfff
	v_ldexp_f32 v12, v12, v13
	v_cndmask_b32_e32 v12, 0, v12, vcc_lo
	v_cmp_nlt_f32_e32 vcc_lo, 0x42b17218, v100
	s_delay_alu instid0(VALU_DEP_2) | instskip(NEXT) | instid1(VALU_DEP_1)
	v_cndmask_b32_e32 v14, 0x7f800000, v12, vcc_lo
	v_add_f32_e32 v17, 1.0, v14
	s_delay_alu instid0(VALU_DEP_1) | instskip(NEXT) | instid1(VALU_DEP_1)
	v_cvt_f64_f32_e32 v[12:13], v17
	v_frexp_exp_i32_f64_e32 v12, v[12:13]
	v_frexp_mant_f32_e32 v13, v17
	s_delay_alu instid0(VALU_DEP_1) | instskip(SKIP_1) | instid1(VALU_DEP_1)
	v_cmp_gt_f32_e32 vcc_lo, 0x3f2aaaab, v13
	v_add_f32_e32 v13, -1.0, v17
	v_sub_f32_e32 v101, v13, v17
	s_delay_alu instid0(VALU_DEP_1) | instskip(SKIP_2) | instid1(VALU_DEP_2)
	v_add_f32_e32 v101, 1.0, v101
	v_sub_f32_e32 v13, v14, v13
	v_cmp_gt_f32_e64 s28, 0x33800000, v14
	v_add_f32_e32 v13, v13, v101
	v_subrev_co_ci_u32_e32 v12, vcc_lo, 0, v12, vcc_lo
	v_cmp_eq_f32_e32 vcc_lo, 0x7f800000, v14
	s_delay_alu instid0(VALU_DEP_2) | instskip(SKIP_2) | instid1(VALU_DEP_2)
	v_sub_nc_u32_e32 v100, 0, v12
	v_cvt_f32_i32_e32 v12, v12
	s_or_b32 vcc_lo, s28, vcc_lo
	v_ldexp_f32 v17, v17, v100
	v_ldexp_f32 v13, v13, v100
	s_delay_alu instid0(VALU_DEP_2) | instskip(NEXT) | instid1(VALU_DEP_1)
	v_add_f32_e32 v100, -1.0, v17
	v_dual_add_f32 v102, 1.0, v17 :: v_dual_add_f32 v103, 1.0, v100
	s_delay_alu instid0(VALU_DEP_1) | instskip(NEXT) | instid1(VALU_DEP_1)
	v_add_f32_e32 v101, -1.0, v102
	v_sub_f32_e32 v101, v17, v101
	s_delay_alu instid0(VALU_DEP_3) | instskip(NEXT) | instid1(VALU_DEP_2)
	v_sub_f32_e32 v17, v17, v103
	v_add_f32_e32 v101, v13, v101
	s_delay_alu instid0(VALU_DEP_2) | instskip(NEXT) | instid1(VALU_DEP_1)
	v_add_f32_e32 v13, v13, v17
	v_add_f32_e32 v104, v100, v13
	s_delay_alu instid0(VALU_DEP_1) | instskip(NEXT) | instid1(VALU_DEP_1)
	v_dual_sub_f32 v100, v100, v104 :: v_dual_add_f32 v103, v102, v101
	v_add_f32_e32 v13, v13, v100
	s_delay_alu instid0(VALU_DEP_2) | instskip(SKIP_1) | instid1(VALU_DEP_1)
	v_rcp_f32_e32 v17, v103
	v_sub_f32_e32 v102, v102, v103
	v_add_f32_e32 v101, v101, v102
	s_waitcnt_depctr 0xfff
	v_mul_f32_e32 v105, v104, v17
	s_delay_alu instid0(VALU_DEP_1) | instskip(NEXT) | instid1(VALU_DEP_1)
	v_mul_f32_e32 v106, v103, v105
	v_fma_f32 v102, v105, v103, -v106
	s_delay_alu instid0(VALU_DEP_1) | instskip(NEXT) | instid1(VALU_DEP_1)
	v_fmac_f32_e32 v102, v105, v101
	v_add_f32_e32 v107, v106, v102
	s_delay_alu instid0(VALU_DEP_1) | instskip(SKIP_1) | instid1(VALU_DEP_2)
	v_sub_f32_e32 v108, v104, v107
	v_sub_f32_e32 v100, v107, v106
	;; [unrolled: 1-line block ×3, first 2 shown]
	s_delay_alu instid0(VALU_DEP_1) | instskip(NEXT) | instid1(VALU_DEP_1)
	v_sub_f32_e32 v104, v104, v107
	v_dual_sub_f32 v100, v100, v102 :: v_dual_add_f32 v13, v13, v104
	s_delay_alu instid0(VALU_DEP_1) | instskip(NEXT) | instid1(VALU_DEP_1)
	v_add_f32_e32 v13, v100, v13
	v_add_f32_e32 v100, v108, v13
	s_delay_alu instid0(VALU_DEP_1) | instskip(NEXT) | instid1(VALU_DEP_1)
	v_mul_f32_e32 v102, v17, v100
	v_dual_sub_f32 v107, v108, v100 :: v_dual_mul_f32 v104, v103, v102
	s_delay_alu instid0(VALU_DEP_1) | instskip(NEXT) | instid1(VALU_DEP_2)
	v_add_f32_e32 v13, v13, v107
	v_fma_f32 v103, v102, v103, -v104
	s_delay_alu instid0(VALU_DEP_1) | instskip(NEXT) | instid1(VALU_DEP_1)
	v_fmac_f32_e32 v103, v102, v101
	v_add_f32_e32 v101, v104, v103
	s_delay_alu instid0(VALU_DEP_1) | instskip(NEXT) | instid1(VALU_DEP_1)
	v_sub_f32_e32 v106, v100, v101
	v_sub_f32_e32 v100, v100, v106
	s_delay_alu instid0(VALU_DEP_1) | instskip(NEXT) | instid1(VALU_DEP_1)
	v_sub_f32_e32 v100, v100, v101
	v_add_f32_e32 v13, v13, v100
	v_add_f32_e32 v100, v105, v102
	v_sub_f32_e32 v104, v101, v104
	s_delay_alu instid0(VALU_DEP_1) | instskip(NEXT) | instid1(VALU_DEP_1)
	v_sub_f32_e32 v101, v104, v103
	v_add_f32_e32 v13, v101, v13
	s_delay_alu instid0(VALU_DEP_4) | instskip(NEXT) | instid1(VALU_DEP_2)
	v_sub_f32_e32 v101, v100, v105
	v_add_f32_e32 v13, v106, v13
	s_delay_alu instid0(VALU_DEP_2) | instskip(NEXT) | instid1(VALU_DEP_2)
	v_sub_f32_e32 v101, v102, v101
	v_mul_f32_e32 v13, v17, v13
	s_delay_alu instid0(VALU_DEP_1) | instskip(NEXT) | instid1(VALU_DEP_1)
	v_add_f32_e32 v13, v101, v13
	v_add_f32_e32 v17, v100, v13
	s_delay_alu instid0(VALU_DEP_1) | instskip(NEXT) | instid1(VALU_DEP_1)
	v_mul_f32_e32 v101, v17, v17
	v_fmaak_f32 v102, s83, v101, 0x3ecc95a3
	v_mul_f32_e32 v103, v17, v101
	s_delay_alu instid0(VALU_DEP_2) | instskip(SKIP_1) | instid1(VALU_DEP_2)
	v_fmaak_f32 v101, v101, v102, 0x3f2aaada
	v_ldexp_f32 v102, v17, 1
	v_mul_f32_e32 v101, v103, v101
	s_delay_alu instid0(VALU_DEP_1) | instskip(NEXT) | instid1(VALU_DEP_1)
	v_dual_sub_f32 v17, v17, v100 :: v_dual_add_f32 v100, v102, v101
	v_sub_f32_e32 v13, v13, v17
	s_delay_alu instid0(VALU_DEP_2) | instskip(NEXT) | instid1(VALU_DEP_2)
	v_sub_f32_e32 v17, v100, v102
	v_ldexp_f32 v13, v13, 1
	s_delay_alu instid0(VALU_DEP_2) | instskip(SKIP_1) | instid1(VALU_DEP_1)
	v_sub_f32_e32 v17, v101, v17
	v_mul_f32_e32 v103, 0x3f317218, v12
	v_fma_f32 v102, 0x3f317218, v12, -v103
	s_delay_alu instid0(VALU_DEP_1) | instskip(NEXT) | instid1(VALU_DEP_1)
	v_fmac_f32_e32 v102, 0xb102e308, v12
	v_dual_add_f32 v12, v13, v17 :: v_dual_add_f32 v13, v103, v102
	s_delay_alu instid0(VALU_DEP_1) | instskip(NEXT) | instid1(VALU_DEP_1)
	v_add_f32_e32 v17, v100, v12
	v_add_f32_e32 v101, v13, v17
	v_sub_f32_e32 v100, v17, v100
	s_delay_alu instid0(VALU_DEP_2) | instskip(NEXT) | instid1(VALU_DEP_2)
	v_sub_f32_e32 v104, v101, v13
	v_dual_sub_f32 v12, v12, v100 :: v_dual_sub_f32 v103, v13, v103
	s_delay_alu instid0(VALU_DEP_2) | instskip(NEXT) | instid1(VALU_DEP_2)
	v_sub_f32_e32 v105, v101, v104
	v_dual_sub_f32 v17, v17, v104 :: v_dual_sub_f32 v102, v102, v103
	s_delay_alu instid0(VALU_DEP_1) | instskip(NEXT) | instid1(VALU_DEP_1)
	v_dual_sub_f32 v13, v13, v105 :: v_dual_add_f32 v100, v102, v12
	v_add_f32_e32 v13, v17, v13
	s_delay_alu instid0(VALU_DEP_2) | instskip(NEXT) | instid1(VALU_DEP_2)
	v_sub_f32_e32 v17, v100, v102
	v_add_f32_e32 v13, v100, v13
	s_delay_alu instid0(VALU_DEP_2) | instskip(SKIP_1) | instid1(VALU_DEP_2)
	v_sub_f32_e32 v100, v100, v17
	v_sub_f32_e32 v12, v12, v17
	v_dual_add_f32 v103, v101, v13 :: v_dual_sub_f32 v100, v102, v100
	s_delay_alu instid0(VALU_DEP_1) | instskip(NEXT) | instid1(VALU_DEP_1)
	v_dual_sub_f32 v17, v103, v101 :: v_dual_add_f32 v12, v12, v100
	v_sub_f32_e32 v13, v13, v17
	s_delay_alu instid0(VALU_DEP_1) | instskip(NEXT) | instid1(VALU_DEP_1)
	v_add_f32_e32 v12, v12, v13
	v_add_f32_e32 v12, v103, v12
	s_delay_alu instid0(VALU_DEP_1)
	v_cndmask_b32_e32 v100, v12, v14, vcc_lo
.LBB20_88:                              ;   in Loop: Header=BB20_12 Depth=1
	s_or_b32 exec_lo, exec_lo, s29
	v_and_b32_e32 v12, 0xffff0000, v15
	s_delay_alu instid0(VALU_DEP_1) | instskip(NEXT) | instid1(VALU_DEP_1)
	v_add_f32_e32 v105, s66, v12
	v_cmp_ge_f32_e32 vcc_lo, 0x41a00000, v105
	s_and_b32 s28, s79, vcc_lo
	s_delay_alu instid0(SALU_CYCLE_1)
	s_and_saveexec_b32 s29, s28
	s_cbranch_execz .LBB20_90
; %bb.89:                               ;   in Loop: Header=BB20_12 Depth=1
	v_mul_f32_e32 v12, 0x3fb8aa3b, v105
	v_cmp_ngt_f32_e32 vcc_lo, 0xc2ce8ed0, v105
	s_delay_alu instid0(VALU_DEP_2) | instskip(SKIP_1) | instid1(VALU_DEP_2)
	v_rndne_f32_e32 v13, v12
	v_fma_f32 v14, 0x3fb8aa3b, v105, -v12
	v_sub_f32_e32 v12, v12, v13
	s_delay_alu instid0(VALU_DEP_2) | instskip(SKIP_1) | instid1(VALU_DEP_2)
	v_fmac_f32_e32 v14, 0x32a5705f, v105
	v_cvt_i32_f32_e32 v13, v13
	v_add_f32_e32 v12, v12, v14
	s_delay_alu instid0(VALU_DEP_1) | instskip(SKIP_2) | instid1(VALU_DEP_1)
	v_exp_f32_e32 v12, v12
	s_waitcnt_depctr 0xfff
	v_ldexp_f32 v12, v12, v13
	v_cndmask_b32_e32 v12, 0, v12, vcc_lo
	v_cmp_nlt_f32_e32 vcc_lo, 0x42b17218, v105
	s_delay_alu instid0(VALU_DEP_2) | instskip(NEXT) | instid1(VALU_DEP_1)
	v_cndmask_b32_e32 v14, 0x7f800000, v12, vcc_lo
	v_add_f32_e32 v15, 1.0, v14
	s_delay_alu instid0(VALU_DEP_1) | instskip(NEXT) | instid1(VALU_DEP_1)
	v_cvt_f64_f32_e32 v[12:13], v15
	v_frexp_exp_i32_f64_e32 v12, v[12:13]
	v_frexp_mant_f32_e32 v13, v15
	s_delay_alu instid0(VALU_DEP_1) | instskip(SKIP_1) | instid1(VALU_DEP_1)
	v_cmp_gt_f32_e32 vcc_lo, 0x3f2aaaab, v13
	v_add_f32_e32 v13, -1.0, v15
	v_sub_f32_e32 v101, v13, v15
	v_sub_f32_e32 v13, v14, v13
	s_delay_alu instid0(VALU_DEP_2) | instskip(NEXT) | instid1(VALU_DEP_1)
	v_add_f32_e32 v101, 1.0, v101
	v_add_f32_e32 v13, v13, v101
	v_cmp_gt_f32_e64 s28, 0x33800000, v14
	v_subrev_co_ci_u32_e32 v12, vcc_lo, 0, v12, vcc_lo
	v_cmp_eq_f32_e32 vcc_lo, 0x7f800000, v14
	s_delay_alu instid0(VALU_DEP_2) | instskip(SKIP_2) | instid1(VALU_DEP_2)
	v_sub_nc_u32_e32 v17, 0, v12
	v_cvt_f32_i32_e32 v12, v12
	s_or_b32 vcc_lo, s28, vcc_lo
	v_ldexp_f32 v15, v15, v17
	v_ldexp_f32 v13, v13, v17
	s_delay_alu instid0(VALU_DEP_2) | instskip(SKIP_1) | instid1(VALU_DEP_2)
	v_add_f32_e32 v102, 1.0, v15
	v_add_f32_e32 v17, -1.0, v15
	v_add_f32_e32 v101, -1.0, v102
	s_delay_alu instid0(VALU_DEP_2) | instskip(NEXT) | instid1(VALU_DEP_2)
	v_add_f32_e32 v103, 1.0, v17
	v_sub_f32_e32 v101, v15, v101
	s_delay_alu instid0(VALU_DEP_2) | instskip(NEXT) | instid1(VALU_DEP_2)
	v_sub_f32_e32 v15, v15, v103
	v_add_f32_e32 v101, v13, v101
	s_delay_alu instid0(VALU_DEP_2) | instskip(NEXT) | instid1(VALU_DEP_1)
	v_add_f32_e32 v13, v13, v15
	v_add_f32_e32 v104, v17, v13
	s_delay_alu instid0(VALU_DEP_3) | instskip(NEXT) | instid1(VALU_DEP_1)
	v_add_f32_e32 v103, v102, v101
	v_rcp_f32_e32 v15, v103
	v_sub_f32_e32 v102, v102, v103
	s_delay_alu instid0(VALU_DEP_1) | instskip(SKIP_2) | instid1(VALU_DEP_1)
	v_add_f32_e32 v101, v101, v102
	s_waitcnt_depctr 0xfff
	v_mul_f32_e32 v105, v104, v15
	v_dual_mul_f32 v106, v103, v105 :: v_dual_sub_f32 v17, v17, v104
	s_delay_alu instid0(VALU_DEP_1) | instskip(NEXT) | instid1(VALU_DEP_2)
	v_fma_f32 v102, v105, v103, -v106
	v_add_f32_e32 v13, v13, v17
	s_delay_alu instid0(VALU_DEP_2) | instskip(NEXT) | instid1(VALU_DEP_1)
	v_fmac_f32_e32 v102, v105, v101
	v_add_f32_e32 v107, v106, v102
	s_delay_alu instid0(VALU_DEP_1) | instskip(NEXT) | instid1(VALU_DEP_1)
	v_dual_sub_f32 v108, v104, v107 :: v_dual_sub_f32 v17, v107, v106
	v_dual_sub_f32 v104, v104, v108 :: v_dual_sub_f32 v17, v17, v102
	s_delay_alu instid0(VALU_DEP_1) | instskip(NEXT) | instid1(VALU_DEP_1)
	v_sub_f32_e32 v104, v104, v107
	v_add_f32_e32 v13, v13, v104
	s_delay_alu instid0(VALU_DEP_1) | instskip(NEXT) | instid1(VALU_DEP_1)
	v_add_f32_e32 v13, v17, v13
	v_add_f32_e32 v17, v108, v13
	s_delay_alu instid0(VALU_DEP_1) | instskip(NEXT) | instid1(VALU_DEP_1)
	v_mul_f32_e32 v102, v15, v17
	v_dual_sub_f32 v107, v108, v17 :: v_dual_mul_f32 v104, v103, v102
	s_delay_alu instid0(VALU_DEP_1) | instskip(NEXT) | instid1(VALU_DEP_2)
	v_add_f32_e32 v13, v13, v107
	v_fma_f32 v103, v102, v103, -v104
	s_delay_alu instid0(VALU_DEP_1) | instskip(NEXT) | instid1(VALU_DEP_1)
	v_fmac_f32_e32 v103, v102, v101
	v_add_f32_e32 v101, v104, v103
	s_delay_alu instid0(VALU_DEP_1) | instskip(SKIP_1) | instid1(VALU_DEP_2)
	v_sub_f32_e32 v106, v17, v101
	v_sub_f32_e32 v104, v101, v104
	;; [unrolled: 1-line block ×3, first 2 shown]
	s_delay_alu instid0(VALU_DEP_1) | instskip(NEXT) | instid1(VALU_DEP_3)
	v_sub_f32_e32 v17, v17, v101
	v_sub_f32_e32 v101, v104, v103
	s_delay_alu instid0(VALU_DEP_2) | instskip(SKIP_1) | instid1(VALU_DEP_2)
	v_add_f32_e32 v13, v13, v17
	v_add_f32_e32 v17, v105, v102
	;; [unrolled: 1-line block ×3, first 2 shown]
	s_delay_alu instid0(VALU_DEP_2) | instskip(NEXT) | instid1(VALU_DEP_2)
	v_sub_f32_e32 v101, v17, v105
	v_add_f32_e32 v13, v106, v13
	s_delay_alu instid0(VALU_DEP_2) | instskip(NEXT) | instid1(VALU_DEP_2)
	v_sub_f32_e32 v101, v102, v101
	v_mul_f32_e32 v13, v15, v13
	s_delay_alu instid0(VALU_DEP_1) | instskip(NEXT) | instid1(VALU_DEP_1)
	v_add_f32_e32 v13, v101, v13
	v_add_f32_e32 v15, v17, v13
	s_delay_alu instid0(VALU_DEP_1) | instskip(NEXT) | instid1(VALU_DEP_1)
	v_mul_f32_e32 v101, v15, v15
	v_fmaak_f32 v102, s83, v101, 0x3ecc95a3
	v_mul_f32_e32 v103, v15, v101
	s_delay_alu instid0(VALU_DEP_2) | instskip(SKIP_2) | instid1(VALU_DEP_3)
	v_fmaak_f32 v101, v101, v102, 0x3f2aaada
	v_ldexp_f32 v102, v15, 1
	v_sub_f32_e32 v15, v15, v17
	v_mul_f32_e32 v101, v103, v101
	v_mul_f32_e32 v103, 0x3f317218, v12
	s_delay_alu instid0(VALU_DEP_3) | instskip(NEXT) | instid1(VALU_DEP_3)
	v_sub_f32_e32 v13, v13, v15
	v_add_f32_e32 v17, v102, v101
	s_delay_alu instid0(VALU_DEP_2) | instskip(NEXT) | instid1(VALU_DEP_2)
	v_ldexp_f32 v13, v13, 1
	v_sub_f32_e32 v15, v17, v102
	v_fma_f32 v102, 0x3f317218, v12, -v103
	s_delay_alu instid0(VALU_DEP_1) | instskip(NEXT) | instid1(VALU_DEP_1)
	v_dual_sub_f32 v15, v101, v15 :: v_dual_fmac_f32 v102, 0xb102e308, v12
	v_dual_add_f32 v12, v13, v15 :: v_dual_add_f32 v13, v103, v102
	s_delay_alu instid0(VALU_DEP_1) | instskip(NEXT) | instid1(VALU_DEP_1)
	v_add_f32_e32 v15, v17, v12
	v_add_f32_e32 v101, v13, v15
	v_sub_f32_e32 v17, v15, v17
	s_delay_alu instid0(VALU_DEP_2) | instskip(NEXT) | instid1(VALU_DEP_2)
	v_sub_f32_e32 v104, v101, v13
	v_dual_sub_f32 v103, v13, v103 :: v_dual_sub_f32 v12, v12, v17
	s_delay_alu instid0(VALU_DEP_1) | instskip(SKIP_1) | instid1(VALU_DEP_2)
	v_dual_sub_f32 v105, v101, v104 :: v_dual_sub_f32 v102, v102, v103
	v_sub_f32_e32 v15, v15, v104
	v_sub_f32_e32 v13, v13, v105
	s_delay_alu instid0(VALU_DEP_3) | instskip(NEXT) | instid1(VALU_DEP_2)
	v_add_f32_e32 v17, v102, v12
	v_add_f32_e32 v13, v15, v13
	s_delay_alu instid0(VALU_DEP_2) | instskip(NEXT) | instid1(VALU_DEP_2)
	v_sub_f32_e32 v15, v17, v102
	v_add_f32_e32 v13, v17, v13
	s_delay_alu instid0(VALU_DEP_2) | instskip(NEXT) | instid1(VALU_DEP_2)
	v_sub_f32_e32 v17, v17, v15
	v_dual_sub_f32 v12, v12, v15 :: v_dual_add_f32 v103, v101, v13
	s_delay_alu instid0(VALU_DEP_2) | instskip(NEXT) | instid1(VALU_DEP_2)
	v_sub_f32_e32 v17, v102, v17
	v_sub_f32_e32 v15, v103, v101
	s_delay_alu instid0(VALU_DEP_1) | instskip(NEXT) | instid1(VALU_DEP_1)
	v_dual_add_f32 v12, v12, v17 :: v_dual_sub_f32 v13, v13, v15
	v_add_f32_e32 v12, v12, v13
	s_delay_alu instid0(VALU_DEP_1) | instskip(NEXT) | instid1(VALU_DEP_1)
	v_add_f32_e32 v12, v103, v12
	v_cndmask_b32_e32 v105, v12, v14, vcc_lo
.LBB20_90:                              ;   in Loop: Header=BB20_12 Depth=1
	s_or_b32 exec_lo, exec_lo, s29
	s_waitcnt lgkmcnt(0)
	v_lshlrev_b32_e32 v12, 16, v8
	s_delay_alu instid0(VALU_DEP_1) | instskip(NEXT) | instid1(VALU_DEP_1)
	v_add_f32_e32 v108, s66, v12
	v_cmp_ge_f32_e32 vcc_lo, 0x41a00000, v108
	s_and_b32 s28, s79, vcc_lo
	s_delay_alu instid0(SALU_CYCLE_1)
	s_and_saveexec_b32 s29, s28
	s_cbranch_execz .LBB20_92
; %bb.91:                               ;   in Loop: Header=BB20_12 Depth=1
	v_mul_f32_e32 v12, 0x3fb8aa3b, v108
	v_cmp_ngt_f32_e32 vcc_lo, 0xc2ce8ed0, v108
	s_delay_alu instid0(VALU_DEP_2) | instskip(SKIP_1) | instid1(VALU_DEP_2)
	v_rndne_f32_e32 v13, v12
	v_fma_f32 v14, 0x3fb8aa3b, v108, -v12
	v_sub_f32_e32 v12, v12, v13
	s_delay_alu instid0(VALU_DEP_2) | instskip(SKIP_1) | instid1(VALU_DEP_2)
	v_fmac_f32_e32 v14, 0x32a5705f, v108
	v_cvt_i32_f32_e32 v13, v13
	v_add_f32_e32 v12, v12, v14
	s_delay_alu instid0(VALU_DEP_1) | instskip(SKIP_2) | instid1(VALU_DEP_1)
	v_exp_f32_e32 v12, v12
	s_waitcnt_depctr 0xfff
	v_ldexp_f32 v12, v12, v13
	v_cndmask_b32_e32 v12, 0, v12, vcc_lo
	v_cmp_nlt_f32_e32 vcc_lo, 0x42b17218, v108
	s_delay_alu instid0(VALU_DEP_2) | instskip(NEXT) | instid1(VALU_DEP_1)
	v_cndmask_b32_e32 v14, 0x7f800000, v12, vcc_lo
	v_add_f32_e32 v15, 1.0, v14
	s_delay_alu instid0(VALU_DEP_1) | instskip(NEXT) | instid1(VALU_DEP_1)
	v_cvt_f64_f32_e32 v[12:13], v15
	v_frexp_exp_i32_f64_e32 v12, v[12:13]
	v_frexp_mant_f32_e32 v13, v15
	s_delay_alu instid0(VALU_DEP_1) | instskip(SKIP_1) | instid1(VALU_DEP_1)
	v_cmp_gt_f32_e32 vcc_lo, 0x3f2aaaab, v13
	v_add_f32_e32 v13, -1.0, v15
	v_sub_f32_e32 v101, v13, v15
	v_sub_f32_e32 v13, v14, v13
	s_delay_alu instid0(VALU_DEP_2) | instskip(NEXT) | instid1(VALU_DEP_1)
	v_add_f32_e32 v101, 1.0, v101
	v_add_f32_e32 v13, v13, v101
	v_cmp_gt_f32_e64 s28, 0x33800000, v14
	v_subrev_co_ci_u32_e32 v12, vcc_lo, 0, v12, vcc_lo
	v_cmp_eq_f32_e32 vcc_lo, 0x7f800000, v14
	s_delay_alu instid0(VALU_DEP_2) | instskip(SKIP_2) | instid1(VALU_DEP_2)
	v_sub_nc_u32_e32 v17, 0, v12
	v_cvt_f32_i32_e32 v12, v12
	s_or_b32 vcc_lo, s28, vcc_lo
	v_ldexp_f32 v15, v15, v17
	v_ldexp_f32 v13, v13, v17
	s_delay_alu instid0(VALU_DEP_2) | instskip(SKIP_1) | instid1(VALU_DEP_2)
	v_add_f32_e32 v102, 1.0, v15
	v_add_f32_e32 v17, -1.0, v15
	v_add_f32_e32 v101, -1.0, v102
	s_delay_alu instid0(VALU_DEP_2) | instskip(NEXT) | instid1(VALU_DEP_2)
	v_add_f32_e32 v103, 1.0, v17
	v_sub_f32_e32 v101, v15, v101
	s_delay_alu instid0(VALU_DEP_2) | instskip(NEXT) | instid1(VALU_DEP_2)
	v_sub_f32_e32 v15, v15, v103
	v_add_f32_e32 v101, v13, v101
	s_delay_alu instid0(VALU_DEP_2) | instskip(NEXT) | instid1(VALU_DEP_2)
	v_add_f32_e32 v13, v13, v15
	v_add_f32_e32 v103, v102, v101
	s_delay_alu instid0(VALU_DEP_2) | instskip(NEXT) | instid1(VALU_DEP_2)
	v_add_f32_e32 v104, v17, v13
	v_rcp_f32_e32 v15, v103
	v_sub_f32_e32 v102, v102, v103
	s_waitcnt_depctr 0xfff
	v_dual_add_f32 v101, v101, v102 :: v_dual_mul_f32 v106, v104, v15
	s_delay_alu instid0(VALU_DEP_1) | instskip(NEXT) | instid1(VALU_DEP_1)
	v_mul_f32_e32 v107, v103, v106
	v_fma_f32 v102, v106, v103, -v107
	s_delay_alu instid0(VALU_DEP_1) | instskip(NEXT) | instid1(VALU_DEP_1)
	v_dual_fmac_f32 v102, v106, v101 :: v_dual_sub_f32 v17, v17, v104
	v_add_f32_e32 v108, v107, v102
	s_delay_alu instid0(VALU_DEP_1) | instskip(NEXT) | instid1(VALU_DEP_1)
	v_sub_f32_e32 v109, v104, v108
	v_sub_f32_e32 v104, v104, v109
	s_delay_alu instid0(VALU_DEP_1) | instskip(SKIP_1) | instid1(VALU_DEP_2)
	v_dual_sub_f32 v104, v104, v108 :: v_dual_add_f32 v13, v13, v17
	v_sub_f32_e32 v17, v108, v107
	v_add_f32_e32 v13, v13, v104
	s_delay_alu instid0(VALU_DEP_2) | instskip(NEXT) | instid1(VALU_DEP_1)
	v_sub_f32_e32 v17, v17, v102
	v_add_f32_e32 v13, v17, v13
	s_delay_alu instid0(VALU_DEP_1) | instskip(NEXT) | instid1(VALU_DEP_1)
	v_add_f32_e32 v17, v109, v13
	v_mul_f32_e32 v102, v15, v17
	s_delay_alu instid0(VALU_DEP_1) | instskip(SKIP_1) | instid1(VALU_DEP_2)
	v_mul_f32_e32 v104, v103, v102
	v_sub_f32_e32 v108, v109, v17
	v_fma_f32 v103, v102, v103, -v104
	s_delay_alu instid0(VALU_DEP_2) | instskip(NEXT) | instid1(VALU_DEP_2)
	v_add_f32_e32 v13, v13, v108
	v_fmac_f32_e32 v103, v102, v101
	s_delay_alu instid0(VALU_DEP_1) | instskip(NEXT) | instid1(VALU_DEP_1)
	v_add_f32_e32 v101, v104, v103
	v_sub_f32_e32 v107, v17, v101
	v_sub_f32_e32 v104, v101, v104
	s_delay_alu instid0(VALU_DEP_2) | instskip(NEXT) | instid1(VALU_DEP_1)
	v_sub_f32_e32 v17, v17, v107
	v_sub_f32_e32 v17, v17, v101
	s_delay_alu instid0(VALU_DEP_3) | instskip(NEXT) | instid1(VALU_DEP_2)
	v_sub_f32_e32 v101, v104, v103
	v_add_f32_e32 v13, v13, v17
	v_add_f32_e32 v17, v106, v102
	s_delay_alu instid0(VALU_DEP_2) | instskip(NEXT) | instid1(VALU_DEP_2)
	v_add_f32_e32 v13, v101, v13
	v_sub_f32_e32 v101, v17, v106
	s_delay_alu instid0(VALU_DEP_2) | instskip(NEXT) | instid1(VALU_DEP_2)
	v_add_f32_e32 v13, v107, v13
	v_sub_f32_e32 v101, v102, v101
	s_delay_alu instid0(VALU_DEP_2) | instskip(NEXT) | instid1(VALU_DEP_1)
	v_mul_f32_e32 v13, v15, v13
	v_add_f32_e32 v13, v101, v13
	s_delay_alu instid0(VALU_DEP_1) | instskip(NEXT) | instid1(VALU_DEP_1)
	v_add_f32_e32 v15, v17, v13
	v_mul_f32_e32 v101, v15, v15
	s_delay_alu instid0(VALU_DEP_1) | instskip(SKIP_1) | instid1(VALU_DEP_2)
	v_fmaak_f32 v102, s83, v101, 0x3ecc95a3
	v_mul_f32_e32 v103, v15, v101
	v_fmaak_f32 v101, v101, v102, 0x3f2aaada
	v_ldexp_f32 v102, v15, 1
	v_sub_f32_e32 v15, v15, v17
	s_delay_alu instid0(VALU_DEP_3) | instskip(SKIP_1) | instid1(VALU_DEP_3)
	v_mul_f32_e32 v101, v103, v101
	v_mul_f32_e32 v103, 0x3f317218, v12
	v_sub_f32_e32 v13, v13, v15
	s_delay_alu instid0(VALU_DEP_3) | instskip(NEXT) | instid1(VALU_DEP_2)
	v_add_f32_e32 v17, v102, v101
	v_ldexp_f32 v13, v13, 1
	s_delay_alu instid0(VALU_DEP_2) | instskip(SKIP_1) | instid1(VALU_DEP_1)
	v_sub_f32_e32 v15, v17, v102
	v_fma_f32 v102, 0x3f317218, v12, -v103
	v_dual_sub_f32 v15, v101, v15 :: v_dual_fmac_f32 v102, 0xb102e308, v12
	s_delay_alu instid0(VALU_DEP_1) | instskip(NEXT) | instid1(VALU_DEP_1)
	v_dual_add_f32 v12, v13, v15 :: v_dual_add_f32 v13, v103, v102
	v_add_f32_e32 v15, v17, v12
	s_delay_alu instid0(VALU_DEP_2) | instskip(NEXT) | instid1(VALU_DEP_2)
	v_sub_f32_e32 v103, v13, v103
	v_add_f32_e32 v101, v13, v15
	s_delay_alu instid0(VALU_DEP_2) | instskip(NEXT) | instid1(VALU_DEP_2)
	v_dual_sub_f32 v17, v15, v17 :: v_dual_sub_f32 v102, v102, v103
	v_sub_f32_e32 v104, v101, v13
	s_delay_alu instid0(VALU_DEP_2) | instskip(NEXT) | instid1(VALU_DEP_2)
	v_sub_f32_e32 v12, v12, v17
	v_sub_f32_e32 v106, v101, v104
	;; [unrolled: 1-line block ×3, first 2 shown]
	s_delay_alu instid0(VALU_DEP_3) | instskip(NEXT) | instid1(VALU_DEP_3)
	v_add_f32_e32 v17, v102, v12
	v_sub_f32_e32 v13, v13, v106
	s_delay_alu instid0(VALU_DEP_1) | instskip(NEXT) | instid1(VALU_DEP_3)
	v_add_f32_e32 v13, v15, v13
	v_sub_f32_e32 v15, v17, v102
	s_delay_alu instid0(VALU_DEP_2) | instskip(NEXT) | instid1(VALU_DEP_2)
	v_add_f32_e32 v13, v17, v13
	v_sub_f32_e32 v17, v17, v15
	s_delay_alu instid0(VALU_DEP_2) | instskip(NEXT) | instid1(VALU_DEP_2)
	v_dual_sub_f32 v12, v12, v15 :: v_dual_add_f32 v103, v101, v13
	v_sub_f32_e32 v17, v102, v17
	s_delay_alu instid0(VALU_DEP_2) | instskip(NEXT) | instid1(VALU_DEP_1)
	v_sub_f32_e32 v15, v103, v101
	v_dual_add_f32 v12, v12, v17 :: v_dual_sub_f32 v13, v13, v15
	s_delay_alu instid0(VALU_DEP_1) | instskip(NEXT) | instid1(VALU_DEP_1)
	v_add_f32_e32 v12, v12, v13
	v_add_f32_e32 v12, v103, v12
	s_delay_alu instid0(VALU_DEP_1)
	v_cndmask_b32_e32 v108, v12, v14, vcc_lo
.LBB20_92:                              ;   in Loop: Header=BB20_12 Depth=1
	s_or_b32 exec_lo, exec_lo, s29
	v_and_b32_e32 v8, 0xffff0000, v8
	s_delay_alu instid0(VALU_DEP_1) | instskip(NEXT) | instid1(VALU_DEP_1)
	v_add_f32_e32 v113, s66, v8
	v_cmp_ge_f32_e32 vcc_lo, 0x41a00000, v113
	s_and_b32 s28, s79, vcc_lo
	s_delay_alu instid0(SALU_CYCLE_1)
	s_and_saveexec_b32 s29, s28
	s_cbranch_execz .LBB20_94
; %bb.93:                               ;   in Loop: Header=BB20_12 Depth=1
	v_mul_f32_e32 v8, 0x3fb8aa3b, v113
	v_cmp_ngt_f32_e32 vcc_lo, 0xc2ce8ed0, v113
	s_delay_alu instid0(VALU_DEP_2) | instskip(SKIP_1) | instid1(VALU_DEP_1)
	v_rndne_f32_e32 v12, v8
	v_fma_f32 v13, 0x3fb8aa3b, v113, -v8
	v_dual_sub_f32 v8, v8, v12 :: v_dual_fmac_f32 v13, 0x32a5705f, v113
	v_cvt_i32_f32_e32 v12, v12
	s_delay_alu instid0(VALU_DEP_2) | instskip(NEXT) | instid1(VALU_DEP_1)
	v_add_f32_e32 v8, v8, v13
	v_exp_f32_e32 v8, v8
	s_waitcnt_depctr 0xfff
	v_ldexp_f32 v8, v8, v12
	s_delay_alu instid0(VALU_DEP_1) | instskip(SKIP_1) | instid1(VALU_DEP_2)
	v_cndmask_b32_e32 v8, 0, v8, vcc_lo
	v_cmp_nlt_f32_e32 vcc_lo, 0x42b17218, v113
	v_cndmask_b32_e32 v8, 0x7f800000, v8, vcc_lo
	s_delay_alu instid0(VALU_DEP_1) | instskip(NEXT) | instid1(VALU_DEP_1)
	v_add_f32_e32 v14, 1.0, v8
	v_cvt_f64_f32_e32 v[12:13], v14
	s_delay_alu instid0(VALU_DEP_1) | instskip(SKIP_1) | instid1(VALU_DEP_1)
	v_frexp_exp_i32_f64_e32 v12, v[12:13]
	v_frexp_mant_f32_e32 v13, v14
	v_cmp_gt_f32_e32 vcc_lo, 0x3f2aaaab, v13
	v_add_f32_e32 v13, -1.0, v14
	s_delay_alu instid0(VALU_DEP_1) | instskip(NEXT) | instid1(VALU_DEP_1)
	v_sub_f32_e32 v17, v13, v14
	v_add_f32_e32 v17, 1.0, v17
	v_subrev_co_ci_u32_e32 v12, vcc_lo, 0, v12, vcc_lo
	s_delay_alu instid0(VALU_DEP_1) | instskip(SKIP_1) | instid1(VALU_DEP_2)
	v_sub_nc_u32_e32 v15, 0, v12
	v_cvt_f32_i32_e32 v12, v12
	v_ldexp_f32 v14, v14, v15
	s_delay_alu instid0(VALU_DEP_1) | instskip(SKIP_3) | instid1(VALU_DEP_3)
	v_add_f32_e32 v101, 1.0, v14
	v_sub_f32_e32 v13, v8, v13
	v_cmp_eq_f32_e32 vcc_lo, 0x7f800000, v8
	v_cmp_gt_f32_e64 s28, 0x33800000, v8
	v_add_f32_e32 v13, v13, v17
	s_delay_alu instid0(VALU_DEP_2) | instskip(NEXT) | instid1(VALU_DEP_1)
	s_or_b32 vcc_lo, s28, vcc_lo
	v_ldexp_f32 v13, v13, v15
	v_add_f32_e32 v15, -1.0, v14
	s_delay_alu instid0(VALU_DEP_1) | instskip(NEXT) | instid1(VALU_DEP_1)
	v_dual_add_f32 v102, 1.0, v15 :: v_dual_add_f32 v17, -1.0, v101
	v_sub_f32_e32 v17, v14, v17
	s_delay_alu instid0(VALU_DEP_1) | instskip(NEXT) | instid1(VALU_DEP_1)
	v_dual_sub_f32 v14, v14, v102 :: v_dual_add_f32 v17, v13, v17
	v_add_f32_e32 v13, v13, v14
	s_delay_alu instid0(VALU_DEP_2) | instskip(NEXT) | instid1(VALU_DEP_2)
	v_add_f32_e32 v102, v101, v17
	v_add_f32_e32 v103, v15, v13
	s_delay_alu instid0(VALU_DEP_2) | instskip(SKIP_1) | instid1(VALU_DEP_2)
	v_rcp_f32_e32 v14, v102
	v_sub_f32_e32 v101, v101, v102
	v_sub_f32_e32 v15, v15, v103
	s_waitcnt_depctr 0xfff
	v_dual_add_f32 v13, v13, v15 :: v_dual_mul_f32 v104, v103, v14
	s_delay_alu instid0(VALU_DEP_1) | instskip(NEXT) | instid1(VALU_DEP_1)
	v_dual_mul_f32 v106, v102, v104 :: v_dual_add_f32 v17, v17, v101
	v_fma_f32 v101, v104, v102, -v106
	s_delay_alu instid0(VALU_DEP_1) | instskip(NEXT) | instid1(VALU_DEP_1)
	v_fmac_f32_e32 v101, v104, v17
	v_add_f32_e32 v107, v106, v101
	s_delay_alu instid0(VALU_DEP_1) | instskip(SKIP_1) | instid1(VALU_DEP_2)
	v_sub_f32_e32 v109, v103, v107
	v_sub_f32_e32 v15, v107, v106
	;; [unrolled: 1-line block ×3, first 2 shown]
	s_delay_alu instid0(VALU_DEP_2) | instskip(NEXT) | instid1(VALU_DEP_2)
	v_sub_f32_e32 v15, v15, v101
	v_sub_f32_e32 v103, v103, v107
	s_delay_alu instid0(VALU_DEP_1) | instskip(NEXT) | instid1(VALU_DEP_1)
	v_add_f32_e32 v13, v13, v103
	v_add_f32_e32 v13, v15, v13
	s_delay_alu instid0(VALU_DEP_1) | instskip(NEXT) | instid1(VALU_DEP_1)
	v_add_f32_e32 v15, v109, v13
	v_mul_f32_e32 v101, v14, v15
	s_delay_alu instid0(VALU_DEP_1) | instskip(NEXT) | instid1(VALU_DEP_1)
	v_mul_f32_e32 v103, v102, v101
	v_fma_f32 v102, v101, v102, -v103
	s_delay_alu instid0(VALU_DEP_1) | instskip(SKIP_1) | instid1(VALU_DEP_2)
	v_fmac_f32_e32 v102, v101, v17
	v_sub_f32_e32 v107, v109, v15
	v_add_f32_e32 v17, v103, v102
	s_delay_alu instid0(VALU_DEP_1) | instskip(SKIP_1) | instid1(VALU_DEP_2)
	v_dual_add_f32 v13, v13, v107 :: v_dual_sub_f32 v106, v15, v17
	v_sub_f32_e32 v103, v17, v103
	v_sub_f32_e32 v15, v15, v106
	s_delay_alu instid0(VALU_DEP_1) | instskip(NEXT) | instid1(VALU_DEP_3)
	v_sub_f32_e32 v15, v15, v17
	v_sub_f32_e32 v17, v103, v102
	s_delay_alu instid0(VALU_DEP_2) | instskip(SKIP_1) | instid1(VALU_DEP_2)
	v_add_f32_e32 v13, v13, v15
	v_add_f32_e32 v15, v104, v101
	;; [unrolled: 1-line block ×3, first 2 shown]
	s_delay_alu instid0(VALU_DEP_2) | instskip(NEXT) | instid1(VALU_DEP_2)
	v_sub_f32_e32 v17, v15, v104
	v_add_f32_e32 v13, v106, v13
	s_delay_alu instid0(VALU_DEP_2) | instskip(NEXT) | instid1(VALU_DEP_2)
	v_sub_f32_e32 v17, v101, v17
	v_mul_f32_e32 v13, v14, v13
	s_delay_alu instid0(VALU_DEP_1) | instskip(NEXT) | instid1(VALU_DEP_1)
	v_add_f32_e32 v13, v17, v13
	v_add_f32_e32 v14, v15, v13
	s_delay_alu instid0(VALU_DEP_1) | instskip(NEXT) | instid1(VALU_DEP_1)
	v_mul_f32_e32 v17, v14, v14
	v_fmaak_f32 v101, s83, v17, 0x3ecc95a3
	v_mul_f32_e32 v102, v14, v17
	s_delay_alu instid0(VALU_DEP_2) | instskip(SKIP_2) | instid1(VALU_DEP_3)
	v_fmaak_f32 v17, v17, v101, 0x3f2aaada
	v_ldexp_f32 v101, v14, 1
	v_sub_f32_e32 v14, v14, v15
	v_dual_mul_f32 v17, v102, v17 :: v_dual_mul_f32 v102, 0x3f317218, v12
	s_delay_alu instid0(VALU_DEP_2) | instskip(NEXT) | instid1(VALU_DEP_2)
	v_sub_f32_e32 v13, v13, v14
	v_add_f32_e32 v15, v101, v17
	s_delay_alu instid0(VALU_DEP_2) | instskip(NEXT) | instid1(VALU_DEP_2)
	v_ldexp_f32 v13, v13, 1
	v_sub_f32_e32 v14, v15, v101
	v_fma_f32 v101, 0x3f317218, v12, -v102
	s_delay_alu instid0(VALU_DEP_1) | instskip(NEXT) | instid1(VALU_DEP_1)
	v_dual_sub_f32 v14, v17, v14 :: v_dual_fmac_f32 v101, 0xb102e308, v12
	v_dual_add_f32 v12, v13, v14 :: v_dual_add_f32 v13, v102, v101
	s_delay_alu instid0(VALU_DEP_1) | instskip(NEXT) | instid1(VALU_DEP_2)
	v_add_f32_e32 v14, v15, v12
	v_sub_f32_e32 v102, v13, v102
	s_delay_alu instid0(VALU_DEP_2) | instskip(SKIP_1) | instid1(VALU_DEP_3)
	v_add_f32_e32 v17, v13, v14
	v_sub_f32_e32 v15, v14, v15
	v_sub_f32_e32 v101, v101, v102
	s_delay_alu instid0(VALU_DEP_2) | instskip(NEXT) | instid1(VALU_DEP_1)
	v_dual_sub_f32 v103, v17, v13 :: v_dual_sub_f32 v12, v12, v15
	v_sub_f32_e32 v104, v17, v103
	s_delay_alu instid0(VALU_DEP_2) | instskip(NEXT) | instid1(VALU_DEP_2)
	v_dual_sub_f32 v14, v14, v103 :: v_dual_add_f32 v15, v101, v12
	v_sub_f32_e32 v13, v13, v104
	s_delay_alu instid0(VALU_DEP_1) | instskip(NEXT) | instid1(VALU_DEP_3)
	v_add_f32_e32 v13, v14, v13
	v_sub_f32_e32 v14, v15, v101
	s_delay_alu instid0(VALU_DEP_2) | instskip(NEXT) | instid1(VALU_DEP_2)
	v_add_f32_e32 v13, v15, v13
	v_sub_f32_e32 v15, v15, v14
	v_sub_f32_e32 v12, v12, v14
	s_delay_alu instid0(VALU_DEP_3) | instskip(NEXT) | instid1(VALU_DEP_1)
	v_add_f32_e32 v102, v17, v13
	v_dual_sub_f32 v15, v101, v15 :: v_dual_sub_f32 v14, v102, v17
	s_delay_alu instid0(VALU_DEP_1) | instskip(NEXT) | instid1(VALU_DEP_1)
	v_dual_add_f32 v12, v12, v15 :: v_dual_sub_f32 v13, v13, v14
	v_add_f32_e32 v12, v12, v13
	s_delay_alu instid0(VALU_DEP_1) | instskip(NEXT) | instid1(VALU_DEP_1)
	v_add_f32_e32 v12, v102, v12
	v_cndmask_b32_e32 v113, v12, v8, vcc_lo
.LBB20_94:                              ;   in Loop: Header=BB20_12 Depth=1
	s_or_b32 exec_lo, exec_lo, s29
	v_lshlrev_b32_e32 v8, 16, v9
	s_delay_alu instid0(VALU_DEP_1) | instskip(NEXT) | instid1(VALU_DEP_1)
	v_add_f32_e32 v116, s66, v8
	v_cmp_ge_f32_e32 vcc_lo, 0x41a00000, v116
	s_and_b32 s28, s79, vcc_lo
	s_delay_alu instid0(SALU_CYCLE_1)
	s_and_saveexec_b32 s29, s28
	s_cbranch_execz .LBB20_96
; %bb.95:                               ;   in Loop: Header=BB20_12 Depth=1
	v_mul_f32_e32 v8, 0x3fb8aa3b, v116
	v_cmp_ngt_f32_e32 vcc_lo, 0xc2ce8ed0, v116
	s_delay_alu instid0(VALU_DEP_2) | instskip(SKIP_1) | instid1(VALU_DEP_2)
	v_rndne_f32_e32 v12, v8
	v_fma_f32 v13, 0x3fb8aa3b, v116, -v8
	v_sub_f32_e32 v8, v8, v12
	s_delay_alu instid0(VALU_DEP_2) | instskip(SKIP_1) | instid1(VALU_DEP_2)
	v_fmac_f32_e32 v13, 0x32a5705f, v116
	v_cvt_i32_f32_e32 v12, v12
	v_add_f32_e32 v8, v8, v13
	s_delay_alu instid0(VALU_DEP_1) | instskip(SKIP_2) | instid1(VALU_DEP_1)
	v_exp_f32_e32 v8, v8
	s_waitcnt_depctr 0xfff
	v_ldexp_f32 v8, v8, v12
	v_cndmask_b32_e32 v8, 0, v8, vcc_lo
	v_cmp_nlt_f32_e32 vcc_lo, 0x42b17218, v116
	s_delay_alu instid0(VALU_DEP_2) | instskip(NEXT) | instid1(VALU_DEP_1)
	v_cndmask_b32_e32 v8, 0x7f800000, v8, vcc_lo
	v_add_f32_e32 v14, 1.0, v8
	s_delay_alu instid0(VALU_DEP_1) | instskip(NEXT) | instid1(VALU_DEP_1)
	v_cvt_f64_f32_e32 v[12:13], v14
	v_frexp_exp_i32_f64_e32 v12, v[12:13]
	v_frexp_mant_f32_e32 v13, v14
	s_delay_alu instid0(VALU_DEP_1) | instskip(SKIP_1) | instid1(VALU_DEP_1)
	v_cmp_gt_f32_e32 vcc_lo, 0x3f2aaaab, v13
	v_add_f32_e32 v13, -1.0, v14
	v_sub_f32_e32 v17, v13, v14
	v_sub_f32_e32 v13, v8, v13
	s_delay_alu instid0(VALU_DEP_2) | instskip(NEXT) | instid1(VALU_DEP_1)
	v_add_f32_e32 v17, 1.0, v17
	v_add_f32_e32 v13, v13, v17
	v_cmp_gt_f32_e64 s28, 0x33800000, v8
	v_subrev_co_ci_u32_e32 v12, vcc_lo, 0, v12, vcc_lo
	v_cmp_eq_f32_e32 vcc_lo, 0x7f800000, v8
	s_delay_alu instid0(VALU_DEP_2) | instskip(SKIP_2) | instid1(VALU_DEP_2)
	v_sub_nc_u32_e32 v15, 0, v12
	v_cvt_f32_i32_e32 v12, v12
	s_or_b32 vcc_lo, s28, vcc_lo
	v_ldexp_f32 v14, v14, v15
	v_ldexp_f32 v13, v13, v15
	s_delay_alu instid0(VALU_DEP_2) | instskip(SKIP_1) | instid1(VALU_DEP_1)
	v_add_f32_e32 v101, 1.0, v14
	v_add_f32_e32 v15, -1.0, v14
	v_dual_add_f32 v102, 1.0, v15 :: v_dual_add_f32 v17, -1.0, v101
	s_delay_alu instid0(VALU_DEP_1) | instskip(NEXT) | instid1(VALU_DEP_1)
	v_sub_f32_e32 v17, v14, v17
	v_dual_sub_f32 v14, v14, v102 :: v_dual_add_f32 v17, v13, v17
	s_delay_alu instid0(VALU_DEP_1) | instskip(NEXT) | instid1(VALU_DEP_2)
	v_add_f32_e32 v13, v13, v14
	v_add_f32_e32 v102, v101, v17
	s_delay_alu instid0(VALU_DEP_2) | instskip(NEXT) | instid1(VALU_DEP_2)
	v_add_f32_e32 v103, v15, v13
	v_rcp_f32_e32 v14, v102
	v_sub_f32_e32 v101, v101, v102
	s_delay_alu instid0(VALU_DEP_2) | instskip(SKIP_2) | instid1(VALU_DEP_1)
	v_sub_f32_e32 v15, v15, v103
	s_waitcnt_depctr 0xfff
	v_dual_add_f32 v13, v13, v15 :: v_dual_mul_f32 v104, v103, v14
	v_dual_mul_f32 v106, v102, v104 :: v_dual_add_f32 v17, v17, v101
	s_delay_alu instid0(VALU_DEP_1) | instskip(NEXT) | instid1(VALU_DEP_1)
	v_fma_f32 v101, v104, v102, -v106
	v_fmac_f32_e32 v101, v104, v17
	s_delay_alu instid0(VALU_DEP_1) | instskip(NEXT) | instid1(VALU_DEP_1)
	v_add_f32_e32 v107, v106, v101
	v_sub_f32_e32 v109, v103, v107
	v_sub_f32_e32 v15, v107, v106
	s_delay_alu instid0(VALU_DEP_2) | instskip(NEXT) | instid1(VALU_DEP_2)
	v_sub_f32_e32 v103, v103, v109
	v_sub_f32_e32 v15, v15, v101
	s_delay_alu instid0(VALU_DEP_2) | instskip(NEXT) | instid1(VALU_DEP_1)
	v_sub_f32_e32 v103, v103, v107
	v_add_f32_e32 v13, v13, v103
	s_delay_alu instid0(VALU_DEP_1) | instskip(NEXT) | instid1(VALU_DEP_1)
	v_add_f32_e32 v13, v15, v13
	v_add_f32_e32 v15, v109, v13
	s_delay_alu instid0(VALU_DEP_1) | instskip(NEXT) | instid1(VALU_DEP_1)
	v_mul_f32_e32 v101, v14, v15
	v_mul_f32_e32 v103, v102, v101
	s_delay_alu instid0(VALU_DEP_1) | instskip(NEXT) | instid1(VALU_DEP_1)
	v_fma_f32 v102, v101, v102, -v103
	v_fmac_f32_e32 v102, v101, v17
	v_sub_f32_e32 v107, v109, v15
	s_delay_alu instid0(VALU_DEP_2) | instskip(NEXT) | instid1(VALU_DEP_1)
	v_add_f32_e32 v17, v103, v102
	v_dual_add_f32 v13, v13, v107 :: v_dual_sub_f32 v106, v15, v17
	v_sub_f32_e32 v103, v17, v103
	s_delay_alu instid0(VALU_DEP_2) | instskip(NEXT) | instid1(VALU_DEP_1)
	v_sub_f32_e32 v15, v15, v106
	v_sub_f32_e32 v15, v15, v17
	s_delay_alu instid0(VALU_DEP_3) | instskip(NEXT) | instid1(VALU_DEP_2)
	v_sub_f32_e32 v17, v103, v102
	v_add_f32_e32 v13, v13, v15
	v_add_f32_e32 v15, v104, v101
	s_delay_alu instid0(VALU_DEP_2) | instskip(NEXT) | instid1(VALU_DEP_2)
	v_add_f32_e32 v13, v17, v13
	v_sub_f32_e32 v17, v15, v104
	s_delay_alu instid0(VALU_DEP_2) | instskip(NEXT) | instid1(VALU_DEP_2)
	v_add_f32_e32 v13, v106, v13
	v_sub_f32_e32 v17, v101, v17
	s_delay_alu instid0(VALU_DEP_2) | instskip(NEXT) | instid1(VALU_DEP_1)
	v_mul_f32_e32 v13, v14, v13
	v_add_f32_e32 v13, v17, v13
	s_delay_alu instid0(VALU_DEP_1) | instskip(NEXT) | instid1(VALU_DEP_1)
	v_add_f32_e32 v14, v15, v13
	v_mul_f32_e32 v17, v14, v14
	s_delay_alu instid0(VALU_DEP_1) | instskip(SKIP_1) | instid1(VALU_DEP_2)
	v_fmaak_f32 v101, s83, v17, 0x3ecc95a3
	v_mul_f32_e32 v102, v14, v17
	v_fmaak_f32 v17, v17, v101, 0x3f2aaada
	v_ldexp_f32 v101, v14, 1
	v_sub_f32_e32 v14, v14, v15
	s_delay_alu instid0(VALU_DEP_3) | instskip(NEXT) | instid1(VALU_DEP_2)
	v_dual_mul_f32 v17, v102, v17 :: v_dual_mul_f32 v102, 0x3f317218, v12
	v_sub_f32_e32 v13, v13, v14
	s_delay_alu instid0(VALU_DEP_2) | instskip(NEXT) | instid1(VALU_DEP_2)
	v_add_f32_e32 v15, v101, v17
	v_ldexp_f32 v13, v13, 1
	s_delay_alu instid0(VALU_DEP_2) | instskip(SKIP_1) | instid1(VALU_DEP_1)
	v_sub_f32_e32 v14, v15, v101
	v_fma_f32 v101, 0x3f317218, v12, -v102
	v_dual_sub_f32 v14, v17, v14 :: v_dual_fmac_f32 v101, 0xb102e308, v12
	s_delay_alu instid0(VALU_DEP_1) | instskip(NEXT) | instid1(VALU_DEP_1)
	v_dual_add_f32 v12, v13, v14 :: v_dual_add_f32 v13, v102, v101
	v_add_f32_e32 v14, v15, v12
	s_delay_alu instid0(VALU_DEP_2) | instskip(NEXT) | instid1(VALU_DEP_2)
	v_sub_f32_e32 v102, v13, v102
	v_add_f32_e32 v17, v13, v14
	v_sub_f32_e32 v15, v14, v15
	s_delay_alu instid0(VALU_DEP_3) | instskip(NEXT) | instid1(VALU_DEP_2)
	v_sub_f32_e32 v101, v101, v102
	v_dual_sub_f32 v103, v17, v13 :: v_dual_sub_f32 v12, v12, v15
	s_delay_alu instid0(VALU_DEP_1) | instskip(NEXT) | instid1(VALU_DEP_2)
	v_sub_f32_e32 v104, v17, v103
	v_dual_sub_f32 v14, v14, v103 :: v_dual_add_f32 v15, v101, v12
	s_delay_alu instid0(VALU_DEP_2) | instskip(NEXT) | instid1(VALU_DEP_1)
	v_sub_f32_e32 v13, v13, v104
	v_add_f32_e32 v13, v14, v13
	s_delay_alu instid0(VALU_DEP_3) | instskip(NEXT) | instid1(VALU_DEP_2)
	v_sub_f32_e32 v14, v15, v101
	v_add_f32_e32 v13, v15, v13
	s_delay_alu instid0(VALU_DEP_2) | instskip(SKIP_1) | instid1(VALU_DEP_3)
	v_sub_f32_e32 v15, v15, v14
	v_sub_f32_e32 v12, v12, v14
	v_add_f32_e32 v102, v17, v13
	s_delay_alu instid0(VALU_DEP_1) | instskip(NEXT) | instid1(VALU_DEP_1)
	v_dual_sub_f32 v15, v101, v15 :: v_dual_sub_f32 v14, v102, v17
	v_dual_add_f32 v12, v12, v15 :: v_dual_sub_f32 v13, v13, v14
	s_delay_alu instid0(VALU_DEP_1) | instskip(NEXT) | instid1(VALU_DEP_1)
	v_add_f32_e32 v12, v12, v13
	v_add_f32_e32 v12, v102, v12
	s_delay_alu instid0(VALU_DEP_1)
	v_cndmask_b32_e32 v116, v12, v8, vcc_lo
.LBB20_96:                              ;   in Loop: Header=BB20_12 Depth=1
	s_or_b32 exec_lo, exec_lo, s29
	v_and_b32_e32 v8, 0xffff0000, v9
	s_delay_alu instid0(VALU_DEP_1) | instskip(NEXT) | instid1(VALU_DEP_1)
	v_add_f32_e32 v121, s66, v8
	v_cmp_ge_f32_e32 vcc_lo, 0x41a00000, v121
	s_and_b32 s28, s79, vcc_lo
	s_delay_alu instid0(SALU_CYCLE_1)
	s_and_saveexec_b32 s29, s28
	s_cbranch_execz .LBB20_98
; %bb.97:                               ;   in Loop: Header=BB20_12 Depth=1
	v_mul_f32_e32 v8, 0x3fb8aa3b, v121
	v_cmp_ngt_f32_e32 vcc_lo, 0xc2ce8ed0, v121
	s_delay_alu instid0(VALU_DEP_2) | instskip(SKIP_1) | instid1(VALU_DEP_2)
	v_rndne_f32_e32 v9, v8
	v_fma_f32 v12, 0x3fb8aa3b, v121, -v8
	v_sub_f32_e32 v8, v8, v9
	s_delay_alu instid0(VALU_DEP_2) | instskip(SKIP_1) | instid1(VALU_DEP_2)
	v_fmac_f32_e32 v12, 0x32a5705f, v121
	v_cvt_i32_f32_e32 v9, v9
	v_add_f32_e32 v8, v8, v12
	s_delay_alu instid0(VALU_DEP_1) | instskip(SKIP_2) | instid1(VALU_DEP_1)
	v_exp_f32_e32 v8, v8
	s_waitcnt_depctr 0xfff
	v_ldexp_f32 v8, v8, v9
	v_cndmask_b32_e32 v8, 0, v8, vcc_lo
	v_cmp_nlt_f32_e32 vcc_lo, 0x42b17218, v121
	s_delay_alu instid0(VALU_DEP_2) | instskip(NEXT) | instid1(VALU_DEP_1)
	v_cndmask_b32_e32 v12, 0x7f800000, v8, vcc_lo
	v_add_f32_e32 v13, 1.0, v12
	s_delay_alu instid0(VALU_DEP_1) | instskip(NEXT) | instid1(VALU_DEP_1)
	v_cvt_f64_f32_e32 v[8:9], v13
	v_frexp_exp_i32_f64_e32 v8, v[8:9]
	v_frexp_mant_f32_e32 v9, v13
	s_delay_alu instid0(VALU_DEP_1) | instskip(SKIP_1) | instid1(VALU_DEP_1)
	v_cmp_gt_f32_e32 vcc_lo, 0x3f2aaaab, v9
	v_add_f32_e32 v9, -1.0, v13
	v_sub_f32_e32 v15, v9, v13
	s_delay_alu instid0(VALU_DEP_1) | instskip(SKIP_1) | instid1(VALU_DEP_1)
	v_add_f32_e32 v15, 1.0, v15
	v_subrev_co_ci_u32_e32 v8, vcc_lo, 0, v8, vcc_lo
	v_sub_nc_u32_e32 v14, 0, v8
	v_cvt_f32_i32_e32 v8, v8
	s_delay_alu instid0(VALU_DEP_2) | instskip(NEXT) | instid1(VALU_DEP_1)
	v_ldexp_f32 v13, v13, v14
	v_add_f32_e32 v17, 1.0, v13
	v_sub_f32_e32 v9, v12, v9
	v_cmp_eq_f32_e32 vcc_lo, 0x7f800000, v12
	v_cmp_gt_f32_e64 s28, 0x33800000, v12
	s_delay_alu instid0(VALU_DEP_3) | instskip(NEXT) | instid1(VALU_DEP_2)
	v_add_f32_e32 v9, v9, v15
	s_or_b32 vcc_lo, s28, vcc_lo
	s_delay_alu instid0(VALU_DEP_1) | instskip(SKIP_2) | instid1(VALU_DEP_1)
	v_ldexp_f32 v9, v9, v14
	v_add_f32_e32 v14, -1.0, v13
	v_add_f32_e32 v15, -1.0, v17
	v_sub_f32_e32 v15, v13, v15
	s_delay_alu instid0(VALU_DEP_3) | instskip(NEXT) | instid1(VALU_DEP_2)
	v_add_f32_e32 v101, 1.0, v14
	v_add_f32_e32 v15, v9, v15
	s_delay_alu instid0(VALU_DEP_2) | instskip(NEXT) | instid1(VALU_DEP_2)
	v_sub_f32_e32 v13, v13, v101
	v_add_f32_e32 v101, v17, v15
	s_delay_alu instid0(VALU_DEP_2) | instskip(NEXT) | instid1(VALU_DEP_2)
	v_add_f32_e32 v9, v9, v13
	v_rcp_f32_e32 v13, v101
	s_delay_alu instid0(VALU_DEP_1) | instskip(NEXT) | instid1(VALU_DEP_1)
	v_add_f32_e32 v102, v14, v9
	v_dual_sub_f32 v17, v17, v101 :: v_dual_sub_f32 v14, v14, v102
	s_delay_alu instid0(VALU_DEP_1) | instskip(SKIP_2) | instid1(VALU_DEP_1)
	v_add_f32_e32 v15, v15, v17
	s_waitcnt_depctr 0xfff
	v_mul_f32_e32 v103, v102, v13
	v_mul_f32_e32 v104, v101, v103
	s_delay_alu instid0(VALU_DEP_1) | instskip(NEXT) | instid1(VALU_DEP_1)
	v_fma_f32 v17, v103, v101, -v104
	v_fmac_f32_e32 v17, v103, v15
	s_delay_alu instid0(VALU_DEP_1) | instskip(NEXT) | instid1(VALU_DEP_1)
	v_add_f32_e32 v106, v104, v17
	v_sub_f32_e32 v107, v102, v106
	s_delay_alu instid0(VALU_DEP_1) | instskip(NEXT) | instid1(VALU_DEP_1)
	v_sub_f32_e32 v102, v102, v107
	v_sub_f32_e32 v102, v102, v106
	v_dual_add_f32 v9, v9, v14 :: v_dual_sub_f32 v14, v106, v104
	s_delay_alu instid0(VALU_DEP_1) | instskip(NEXT) | instid1(VALU_DEP_1)
	v_dual_sub_f32 v14, v14, v17 :: v_dual_add_f32 v9, v9, v102
	v_add_f32_e32 v9, v14, v9
	s_delay_alu instid0(VALU_DEP_1) | instskip(NEXT) | instid1(VALU_DEP_1)
	v_add_f32_e32 v14, v107, v9
	v_mul_f32_e32 v17, v13, v14
	s_delay_alu instid0(VALU_DEP_1) | instskip(NEXT) | instid1(VALU_DEP_1)
	v_mul_f32_e32 v102, v101, v17
	v_fma_f32 v101, v17, v101, -v102
	s_delay_alu instid0(VALU_DEP_1) | instskip(NEXT) | instid1(VALU_DEP_1)
	v_dual_fmac_f32 v101, v17, v15 :: v_dual_sub_f32 v106, v107, v14
	v_add_f32_e32 v15, v102, v101
	s_delay_alu instid0(VALU_DEP_1) | instskip(SKIP_1) | instid1(VALU_DEP_2)
	v_sub_f32_e32 v104, v14, v15
	v_sub_f32_e32 v102, v15, v102
	v_dual_add_f32 v9, v9, v106 :: v_dual_sub_f32 v14, v14, v104
	s_delay_alu instid0(VALU_DEP_1) | instskip(NEXT) | instid1(VALU_DEP_3)
	v_sub_f32_e32 v14, v14, v15
	v_sub_f32_e32 v15, v102, v101
	s_delay_alu instid0(VALU_DEP_2) | instskip(NEXT) | instid1(VALU_DEP_1)
	v_dual_add_f32 v9, v9, v14 :: v_dual_add_f32 v14, v103, v17
	v_add_f32_e32 v9, v15, v9
	s_delay_alu instid0(VALU_DEP_2) | instskip(NEXT) | instid1(VALU_DEP_2)
	v_sub_f32_e32 v15, v14, v103
	v_add_f32_e32 v9, v104, v9
	s_delay_alu instid0(VALU_DEP_2) | instskip(NEXT) | instid1(VALU_DEP_2)
	v_sub_f32_e32 v15, v17, v15
	v_mul_f32_e32 v9, v13, v9
	s_delay_alu instid0(VALU_DEP_1) | instskip(NEXT) | instid1(VALU_DEP_1)
	v_add_f32_e32 v9, v15, v9
	v_add_f32_e32 v13, v14, v9
	s_delay_alu instid0(VALU_DEP_1) | instskip(NEXT) | instid1(VALU_DEP_1)
	v_mul_f32_e32 v15, v13, v13
	v_fmaak_f32 v17, s83, v15, 0x3ecc95a3
	v_mul_f32_e32 v101, v13, v15
	s_delay_alu instid0(VALU_DEP_2) | instskip(SKIP_2) | instid1(VALU_DEP_3)
	v_fmaak_f32 v15, v15, v17, 0x3f2aaada
	v_ldexp_f32 v17, v13, 1
	v_sub_f32_e32 v13, v13, v14
	v_mul_f32_e32 v15, v101, v15
	v_mul_f32_e32 v101, 0x3f317218, v8
	s_delay_alu instid0(VALU_DEP_3) | instskip(NEXT) | instid1(VALU_DEP_3)
	v_sub_f32_e32 v9, v9, v13
	v_add_f32_e32 v14, v17, v15
	s_delay_alu instid0(VALU_DEP_2) | instskip(NEXT) | instid1(VALU_DEP_2)
	v_ldexp_f32 v9, v9, 1
	v_sub_f32_e32 v13, v14, v17
	v_fma_f32 v17, 0x3f317218, v8, -v101
	s_delay_alu instid0(VALU_DEP_2) | instskip(NEXT) | instid1(VALU_DEP_1)
	v_sub_f32_e32 v13, v15, v13
	v_dual_fmac_f32 v17, 0xb102e308, v8 :: v_dual_add_f32 v8, v9, v13
	s_delay_alu instid0(VALU_DEP_1) | instskip(NEXT) | instid1(VALU_DEP_2)
	v_add_f32_e32 v9, v101, v17
	v_add_f32_e32 v13, v14, v8
	s_delay_alu instid0(VALU_DEP_2) | instskip(NEXT) | instid1(VALU_DEP_2)
	v_sub_f32_e32 v101, v9, v101
	v_add_f32_e32 v15, v9, v13
	v_sub_f32_e32 v14, v13, v14
	s_delay_alu instid0(VALU_DEP_3) | instskip(NEXT) | instid1(VALU_DEP_3)
	v_sub_f32_e32 v17, v17, v101
	v_sub_f32_e32 v102, v15, v9
	s_delay_alu instid0(VALU_DEP_3) | instskip(NEXT) | instid1(VALU_DEP_2)
	v_sub_f32_e32 v8, v8, v14
	v_sub_f32_e32 v103, v15, v102
	;; [unrolled: 1-line block ×3, first 2 shown]
	s_delay_alu instid0(VALU_DEP_3) | instskip(NEXT) | instid1(VALU_DEP_3)
	v_add_f32_e32 v14, v17, v8
	v_sub_f32_e32 v9, v9, v103
	s_delay_alu instid0(VALU_DEP_1) | instskip(NEXT) | instid1(VALU_DEP_3)
	v_add_f32_e32 v9, v13, v9
	v_sub_f32_e32 v13, v14, v17
	s_delay_alu instid0(VALU_DEP_2) | instskip(NEXT) | instid1(VALU_DEP_2)
	v_add_f32_e32 v9, v14, v9
	v_sub_f32_e32 v14, v14, v13
	v_sub_f32_e32 v8, v8, v13
	s_delay_alu instid0(VALU_DEP_2) | instskip(NEXT) | instid1(VALU_DEP_1)
	v_dual_add_f32 v101, v15, v9 :: v_dual_sub_f32 v14, v17, v14
	v_dual_sub_f32 v13, v101, v15 :: v_dual_add_f32 v8, v8, v14
	s_delay_alu instid0(VALU_DEP_1) | instskip(NEXT) | instid1(VALU_DEP_1)
	v_sub_f32_e32 v9, v9, v13
	v_add_f32_e32 v8, v8, v9
	s_delay_alu instid0(VALU_DEP_1) | instskip(NEXT) | instid1(VALU_DEP_1)
	v_add_f32_e32 v8, v101, v8
	v_cndmask_b32_e32 v121, v8, v12, vcc_lo
.LBB20_98:                              ;   in Loop: Header=BB20_12 Depth=1
	s_or_b32 exec_lo, exec_lo, s29
	v_lshlrev_b32_e32 v8, 16, v10
	s_delay_alu instid0(VALU_DEP_1) | instskip(NEXT) | instid1(VALU_DEP_1)
	v_add_f32_e32 v122, s66, v8
	v_cmp_ge_f32_e32 vcc_lo, 0x41a00000, v122
	s_and_b32 s28, s79, vcc_lo
	s_delay_alu instid0(SALU_CYCLE_1)
	s_and_saveexec_b32 s29, s28
	s_cbranch_execz .LBB20_100
; %bb.99:                               ;   in Loop: Header=BB20_12 Depth=1
	v_mul_f32_e32 v8, 0x3fb8aa3b, v122
	v_cmp_ngt_f32_e32 vcc_lo, 0xc2ce8ed0, v122
	s_delay_alu instid0(VALU_DEP_2) | instskip(SKIP_1) | instid1(VALU_DEP_2)
	v_rndne_f32_e32 v9, v8
	v_fma_f32 v12, 0x3fb8aa3b, v122, -v8
	v_sub_f32_e32 v8, v8, v9
	s_delay_alu instid0(VALU_DEP_2) | instskip(SKIP_1) | instid1(VALU_DEP_2)
	v_fmac_f32_e32 v12, 0x32a5705f, v122
	v_cvt_i32_f32_e32 v9, v9
	v_add_f32_e32 v8, v8, v12
	s_delay_alu instid0(VALU_DEP_1) | instskip(SKIP_2) | instid1(VALU_DEP_1)
	v_exp_f32_e32 v8, v8
	s_waitcnt_depctr 0xfff
	v_ldexp_f32 v8, v8, v9
	v_cndmask_b32_e32 v8, 0, v8, vcc_lo
	v_cmp_nlt_f32_e32 vcc_lo, 0x42b17218, v122
	s_delay_alu instid0(VALU_DEP_2) | instskip(NEXT) | instid1(VALU_DEP_1)
	v_cndmask_b32_e32 v12, 0x7f800000, v8, vcc_lo
	v_add_f32_e32 v13, 1.0, v12
	s_delay_alu instid0(VALU_DEP_1) | instskip(NEXT) | instid1(VALU_DEP_1)
	v_cvt_f64_f32_e32 v[8:9], v13
	v_frexp_exp_i32_f64_e32 v8, v[8:9]
	v_frexp_mant_f32_e32 v9, v13
	s_delay_alu instid0(VALU_DEP_1) | instskip(SKIP_1) | instid1(VALU_DEP_1)
	v_cmp_gt_f32_e32 vcc_lo, 0x3f2aaaab, v9
	v_add_f32_e32 v9, -1.0, v13
	v_sub_f32_e32 v15, v9, v13
	s_delay_alu instid0(VALU_DEP_1) | instskip(SKIP_1) | instid1(VALU_DEP_1)
	v_add_f32_e32 v15, 1.0, v15
	v_subrev_co_ci_u32_e32 v8, vcc_lo, 0, v8, vcc_lo
	v_sub_nc_u32_e32 v14, 0, v8
	v_cvt_f32_i32_e32 v8, v8
	s_delay_alu instid0(VALU_DEP_2) | instskip(NEXT) | instid1(VALU_DEP_1)
	v_ldexp_f32 v13, v13, v14
	v_add_f32_e32 v17, 1.0, v13
	v_sub_f32_e32 v9, v12, v9
	v_cmp_eq_f32_e32 vcc_lo, 0x7f800000, v12
	v_cmp_gt_f32_e64 s28, 0x33800000, v12
	s_delay_alu instid0(VALU_DEP_3) | instskip(SKIP_1) | instid1(VALU_DEP_3)
	v_add_f32_e32 v9, v9, v15
	v_add_f32_e32 v15, -1.0, v17
	s_or_b32 vcc_lo, s28, vcc_lo
	s_delay_alu instid0(VALU_DEP_2) | instskip(NEXT) | instid1(VALU_DEP_2)
	v_ldexp_f32 v9, v9, v14
	v_dual_add_f32 v14, -1.0, v13 :: v_dual_sub_f32 v15, v13, v15
	s_delay_alu instid0(VALU_DEP_1) | instskip(NEXT) | instid1(VALU_DEP_2)
	v_add_f32_e32 v101, 1.0, v14
	v_add_f32_e32 v15, v9, v15
	s_delay_alu instid0(VALU_DEP_2) | instskip(NEXT) | instid1(VALU_DEP_1)
	v_sub_f32_e32 v13, v13, v101
	v_add_f32_e32 v9, v9, v13
	s_delay_alu instid0(VALU_DEP_1) | instskip(NEXT) | instid1(VALU_DEP_1)
	v_add_f32_e32 v102, v14, v9
	v_dual_sub_f32 v14, v14, v102 :: v_dual_add_f32 v101, v17, v15
	s_delay_alu instid0(VALU_DEP_1) | instskip(SKIP_1) | instid1(VALU_DEP_1)
	v_rcp_f32_e32 v13, v101
	v_sub_f32_e32 v17, v17, v101
	v_add_f32_e32 v15, v15, v17
	s_waitcnt_depctr 0xfff
	v_mul_f32_e32 v103, v102, v13
	s_delay_alu instid0(VALU_DEP_1) | instskip(NEXT) | instid1(VALU_DEP_1)
	v_mul_f32_e32 v104, v101, v103
	v_fma_f32 v17, v103, v101, -v104
	s_delay_alu instid0(VALU_DEP_1) | instskip(NEXT) | instid1(VALU_DEP_1)
	v_fmac_f32_e32 v17, v103, v15
	v_add_f32_e32 v106, v104, v17
	s_delay_alu instid0(VALU_DEP_1) | instskip(NEXT) | instid1(VALU_DEP_1)
	v_sub_f32_e32 v107, v102, v106
	v_sub_f32_e32 v102, v102, v107
	s_delay_alu instid0(VALU_DEP_1) | instskip(SKIP_1) | instid1(VALU_DEP_1)
	v_sub_f32_e32 v102, v102, v106
	v_dual_add_f32 v9, v9, v14 :: v_dual_sub_f32 v14, v106, v104
	v_dual_sub_f32 v14, v14, v17 :: v_dual_add_f32 v9, v9, v102
	s_delay_alu instid0(VALU_DEP_1) | instskip(NEXT) | instid1(VALU_DEP_1)
	v_add_f32_e32 v9, v14, v9
	v_add_f32_e32 v14, v107, v9
	s_delay_alu instid0(VALU_DEP_1) | instskip(NEXT) | instid1(VALU_DEP_1)
	v_mul_f32_e32 v17, v13, v14
	v_mul_f32_e32 v102, v101, v17
	s_delay_alu instid0(VALU_DEP_1) | instskip(NEXT) | instid1(VALU_DEP_1)
	v_fma_f32 v101, v17, v101, -v102
	v_dual_fmac_f32 v101, v17, v15 :: v_dual_sub_f32 v106, v107, v14
	s_delay_alu instid0(VALU_DEP_1) | instskip(NEXT) | instid1(VALU_DEP_1)
	v_add_f32_e32 v15, v102, v101
	v_sub_f32_e32 v104, v14, v15
	v_sub_f32_e32 v102, v15, v102
	s_delay_alu instid0(VALU_DEP_2) | instskip(NEXT) | instid1(VALU_DEP_1)
	v_dual_add_f32 v9, v9, v106 :: v_dual_sub_f32 v14, v14, v104
	v_sub_f32_e32 v14, v14, v15
	s_delay_alu instid0(VALU_DEP_3) | instskip(NEXT) | instid1(VALU_DEP_2)
	v_sub_f32_e32 v15, v102, v101
	v_dual_add_f32 v9, v9, v14 :: v_dual_add_f32 v14, v103, v17
	s_delay_alu instid0(VALU_DEP_1) | instskip(NEXT) | instid1(VALU_DEP_2)
	v_add_f32_e32 v9, v15, v9
	v_sub_f32_e32 v15, v14, v103
	s_delay_alu instid0(VALU_DEP_2) | instskip(NEXT) | instid1(VALU_DEP_2)
	v_add_f32_e32 v9, v104, v9
	v_sub_f32_e32 v15, v17, v15
	s_delay_alu instid0(VALU_DEP_2) | instskip(NEXT) | instid1(VALU_DEP_1)
	v_mul_f32_e32 v9, v13, v9
	v_add_f32_e32 v9, v15, v9
	s_delay_alu instid0(VALU_DEP_1) | instskip(NEXT) | instid1(VALU_DEP_1)
	v_add_f32_e32 v13, v14, v9
	v_mul_f32_e32 v15, v13, v13
	s_delay_alu instid0(VALU_DEP_1) | instskip(SKIP_1) | instid1(VALU_DEP_2)
	v_fmaak_f32 v17, s83, v15, 0x3ecc95a3
	v_mul_f32_e32 v101, v13, v15
	v_fmaak_f32 v15, v15, v17, 0x3f2aaada
	v_ldexp_f32 v17, v13, 1
	v_sub_f32_e32 v13, v13, v14
	s_delay_alu instid0(VALU_DEP_3) | instskip(SKIP_1) | instid1(VALU_DEP_3)
	v_mul_f32_e32 v15, v101, v15
	v_mul_f32_e32 v101, 0x3f317218, v8
	v_sub_f32_e32 v9, v9, v13
	s_delay_alu instid0(VALU_DEP_3) | instskip(NEXT) | instid1(VALU_DEP_2)
	v_add_f32_e32 v14, v17, v15
	v_ldexp_f32 v9, v9, 1
	s_delay_alu instid0(VALU_DEP_2) | instskip(SKIP_1) | instid1(VALU_DEP_2)
	v_sub_f32_e32 v13, v14, v17
	v_fma_f32 v17, 0x3f317218, v8, -v101
	v_sub_f32_e32 v13, v15, v13
	s_delay_alu instid0(VALU_DEP_1) | instskip(NEXT) | instid1(VALU_DEP_1)
	v_dual_fmac_f32 v17, 0xb102e308, v8 :: v_dual_add_f32 v8, v9, v13
	v_add_f32_e32 v9, v101, v17
	s_delay_alu instid0(VALU_DEP_2) | instskip(NEXT) | instid1(VALU_DEP_2)
	v_add_f32_e32 v13, v14, v8
	v_sub_f32_e32 v101, v9, v101
	s_delay_alu instid0(VALU_DEP_2) | instskip(SKIP_1) | instid1(VALU_DEP_3)
	v_add_f32_e32 v15, v9, v13
	v_sub_f32_e32 v14, v13, v14
	v_sub_f32_e32 v17, v17, v101
	s_delay_alu instid0(VALU_DEP_3) | instskip(NEXT) | instid1(VALU_DEP_3)
	v_sub_f32_e32 v102, v15, v9
	v_sub_f32_e32 v8, v8, v14
	s_delay_alu instid0(VALU_DEP_2) | instskip(SKIP_1) | instid1(VALU_DEP_3)
	v_sub_f32_e32 v103, v15, v102
	v_sub_f32_e32 v13, v13, v102
	v_add_f32_e32 v14, v17, v8
	s_delay_alu instid0(VALU_DEP_3) | instskip(NEXT) | instid1(VALU_DEP_1)
	v_sub_f32_e32 v9, v9, v103
	v_add_f32_e32 v9, v13, v9
	s_delay_alu instid0(VALU_DEP_3) | instskip(NEXT) | instid1(VALU_DEP_2)
	v_sub_f32_e32 v13, v14, v17
	v_add_f32_e32 v9, v14, v9
	s_delay_alu instid0(VALU_DEP_2) | instskip(SKIP_1) | instid1(VALU_DEP_2)
	v_sub_f32_e32 v14, v14, v13
	v_sub_f32_e32 v8, v8, v13
	v_dual_add_f32 v101, v15, v9 :: v_dual_sub_f32 v14, v17, v14
	s_delay_alu instid0(VALU_DEP_1) | instskip(NEXT) | instid1(VALU_DEP_1)
	v_dual_sub_f32 v13, v101, v15 :: v_dual_add_f32 v8, v8, v14
	v_sub_f32_e32 v9, v9, v13
	s_delay_alu instid0(VALU_DEP_1) | instskip(NEXT) | instid1(VALU_DEP_1)
	v_add_f32_e32 v8, v8, v9
	v_add_f32_e32 v8, v101, v8
	s_delay_alu instid0(VALU_DEP_1)
	v_cndmask_b32_e32 v122, v8, v12, vcc_lo
.LBB20_100:                             ;   in Loop: Header=BB20_12 Depth=1
	s_or_b32 exec_lo, exec_lo, s29
	v_and_b32_e32 v8, 0xffff0000, v10
	s_delay_alu instid0(VALU_DEP_1) | instskip(NEXT) | instid1(VALU_DEP_1)
	v_add_f32_e32 v123, s66, v8
	v_cmp_ge_f32_e32 vcc_lo, 0x41a00000, v123
	s_and_b32 s28, s79, vcc_lo
	s_delay_alu instid0(SALU_CYCLE_1)
	s_and_saveexec_b32 s29, s28
	s_cbranch_execz .LBB20_102
; %bb.101:                              ;   in Loop: Header=BB20_12 Depth=1
	v_mul_f32_e32 v8, 0x3fb8aa3b, v123
	v_cmp_ngt_f32_e32 vcc_lo, 0xc2ce8ed0, v123
	s_delay_alu instid0(VALU_DEP_2) | instskip(SKIP_1) | instid1(VALU_DEP_2)
	v_rndne_f32_e32 v9, v8
	v_fma_f32 v10, 0x3fb8aa3b, v123, -v8
	v_sub_f32_e32 v8, v8, v9
	s_delay_alu instid0(VALU_DEP_2) | instskip(SKIP_1) | instid1(VALU_DEP_2)
	v_fmac_f32_e32 v10, 0x32a5705f, v123
	v_cvt_i32_f32_e32 v9, v9
	v_add_f32_e32 v8, v8, v10
	s_delay_alu instid0(VALU_DEP_1) | instskip(SKIP_2) | instid1(VALU_DEP_1)
	v_exp_f32_e32 v8, v8
	s_waitcnt_depctr 0xfff
	v_ldexp_f32 v8, v8, v9
	v_cndmask_b32_e32 v8, 0, v8, vcc_lo
	v_cmp_nlt_f32_e32 vcc_lo, 0x42b17218, v123
	s_delay_alu instid0(VALU_DEP_2) | instskip(NEXT) | instid1(VALU_DEP_1)
	v_cndmask_b32_e32 v10, 0x7f800000, v8, vcc_lo
	v_add_f32_e32 v12, 1.0, v10
	s_delay_alu instid0(VALU_DEP_1) | instskip(NEXT) | instid1(VALU_DEP_1)
	v_cvt_f64_f32_e32 v[8:9], v12
	v_frexp_exp_i32_f64_e32 v8, v[8:9]
	v_frexp_mant_f32_e32 v9, v12
	s_delay_alu instid0(VALU_DEP_1) | instskip(SKIP_1) | instid1(VALU_DEP_1)
	v_cmp_gt_f32_e32 vcc_lo, 0x3f2aaaab, v9
	v_add_f32_e32 v9, -1.0, v12
	v_dual_sub_f32 v14, v9, v12 :: v_dual_sub_f32 v9, v10, v9
	v_subrev_co_ci_u32_e32 v8, vcc_lo, 0, v8, vcc_lo
	s_delay_alu instid0(VALU_DEP_1) | instskip(SKIP_1) | instid1(VALU_DEP_2)
	v_sub_nc_u32_e32 v13, 0, v8
	v_cvt_f32_i32_e32 v8, v8
	v_ldexp_f32 v12, v12, v13
	s_delay_alu instid0(VALU_DEP_1) | instskip(NEXT) | instid1(VALU_DEP_1)
	v_dual_add_f32 v14, 1.0, v14 :: v_dual_add_f32 v15, 1.0, v12
	v_add_f32_e32 v9, v9, v14
	s_delay_alu instid0(VALU_DEP_1) | instskip(NEXT) | instid1(VALU_DEP_3)
	v_ldexp_f32 v9, v9, v13
	v_dual_add_f32 v13, -1.0, v12 :: v_dual_add_f32 v14, -1.0, v15
	s_delay_alu instid0(VALU_DEP_1) | instskip(NEXT) | instid1(VALU_DEP_1)
	v_dual_add_f32 v17, 1.0, v13 :: v_dual_sub_f32 v14, v12, v14
	v_sub_f32_e32 v12, v12, v17
	s_delay_alu instid0(VALU_DEP_2) | instskip(NEXT) | instid1(VALU_DEP_2)
	v_add_f32_e32 v14, v9, v14
	v_add_f32_e32 v9, v9, v12
	s_delay_alu instid0(VALU_DEP_2) | instskip(SKIP_2) | instid1(VALU_DEP_4)
	v_add_f32_e32 v17, v15, v14
	v_cmp_eq_f32_e32 vcc_lo, 0x7f800000, v10
	v_cmp_gt_f32_e64 s28, 0x33800000, v10
	v_add_f32_e32 v101, v13, v9
	s_delay_alu instid0(VALU_DEP_4) | instskip(SKIP_1) | instid1(VALU_DEP_3)
	v_rcp_f32_e32 v12, v17
	v_sub_f32_e32 v15, v15, v17
	s_or_b32 vcc_lo, s28, vcc_lo
	s_delay_alu instid0(VALU_DEP_1) | instskip(NEXT) | instid1(VALU_DEP_1)
	v_dual_sub_f32 v13, v13, v101 :: v_dual_add_f32 v14, v14, v15
	v_add_f32_e32 v9, v9, v13
	s_waitcnt_depctr 0xfff
	v_mul_f32_e32 v102, v101, v12
	s_delay_alu instid0(VALU_DEP_1) | instskip(NEXT) | instid1(VALU_DEP_1)
	v_mul_f32_e32 v103, v17, v102
	v_fma_f32 v15, v102, v17, -v103
	s_delay_alu instid0(VALU_DEP_1) | instskip(NEXT) | instid1(VALU_DEP_1)
	v_fmac_f32_e32 v15, v102, v14
	v_add_f32_e32 v104, v103, v15
	s_delay_alu instid0(VALU_DEP_1) | instskip(NEXT) | instid1(VALU_DEP_1)
	v_dual_sub_f32 v106, v101, v104 :: v_dual_sub_f32 v13, v104, v103
	v_sub_f32_e32 v101, v101, v106
	s_delay_alu instid0(VALU_DEP_2) | instskip(NEXT) | instid1(VALU_DEP_2)
	v_sub_f32_e32 v13, v13, v15
	v_sub_f32_e32 v101, v101, v104
	s_delay_alu instid0(VALU_DEP_1) | instskip(NEXT) | instid1(VALU_DEP_1)
	v_add_f32_e32 v9, v9, v101
	v_add_f32_e32 v9, v13, v9
	s_delay_alu instid0(VALU_DEP_1) | instskip(NEXT) | instid1(VALU_DEP_1)
	v_add_f32_e32 v13, v106, v9
	v_mul_f32_e32 v15, v12, v13
	s_delay_alu instid0(VALU_DEP_1) | instskip(NEXT) | instid1(VALU_DEP_1)
	v_dual_sub_f32 v104, v106, v13 :: v_dual_mul_f32 v101, v17, v15
	v_add_f32_e32 v9, v9, v104
	s_delay_alu instid0(VALU_DEP_2) | instskip(NEXT) | instid1(VALU_DEP_1)
	v_fma_f32 v17, v15, v17, -v101
	v_fmac_f32_e32 v17, v15, v14
	s_delay_alu instid0(VALU_DEP_1) | instskip(NEXT) | instid1(VALU_DEP_1)
	v_add_f32_e32 v14, v101, v17
	v_sub_f32_e32 v103, v13, v14
	s_delay_alu instid0(VALU_DEP_1) | instskip(NEXT) | instid1(VALU_DEP_1)
	v_sub_f32_e32 v13, v13, v103
	v_sub_f32_e32 v13, v13, v14
	s_delay_alu instid0(VALU_DEP_1) | instskip(SKIP_2) | instid1(VALU_DEP_1)
	v_add_f32_e32 v9, v9, v13
	v_add_f32_e32 v13, v102, v15
	v_sub_f32_e32 v101, v14, v101
	v_sub_f32_e32 v14, v101, v17
	s_delay_alu instid0(VALU_DEP_1) | instskip(NEXT) | instid1(VALU_DEP_1)
	v_dual_add_f32 v9, v14, v9 :: v_dual_sub_f32 v14, v13, v102
	v_add_f32_e32 v9, v103, v9
	s_delay_alu instid0(VALU_DEP_1) | instskip(NEXT) | instid1(VALU_DEP_1)
	v_dual_sub_f32 v14, v15, v14 :: v_dual_mul_f32 v9, v12, v9
	v_add_f32_e32 v9, v14, v9
	s_delay_alu instid0(VALU_DEP_1) | instskip(NEXT) | instid1(VALU_DEP_1)
	v_add_f32_e32 v12, v13, v9
	v_mul_f32_e32 v14, v12, v12
	s_delay_alu instid0(VALU_DEP_1) | instskip(NEXT) | instid1(VALU_DEP_1)
	v_fmaak_f32 v15, s83, v14, 0x3ecc95a3
	v_dual_mul_f32 v17, v12, v14 :: v_dual_fmaak_f32 v14, v14, v15, 0x3f2aaada
	v_ldexp_f32 v15, v12, 1
	v_sub_f32_e32 v12, v12, v13
	s_delay_alu instid0(VALU_DEP_3) | instskip(NEXT) | instid1(VALU_DEP_2)
	v_dual_mul_f32 v14, v17, v14 :: v_dual_mul_f32 v17, 0x3f317218, v8
	v_sub_f32_e32 v9, v9, v12
	s_delay_alu instid0(VALU_DEP_2) | instskip(NEXT) | instid1(VALU_DEP_2)
	v_add_f32_e32 v13, v15, v14
	v_ldexp_f32 v9, v9, 1
	s_delay_alu instid0(VALU_DEP_2) | instskip(SKIP_1) | instid1(VALU_DEP_2)
	v_sub_f32_e32 v12, v13, v15
	v_fma_f32 v15, 0x3f317218, v8, -v17
	v_sub_f32_e32 v12, v14, v12
	s_delay_alu instid0(VALU_DEP_2) | instskip(NEXT) | instid1(VALU_DEP_2)
	v_fmac_f32_e32 v15, 0xb102e308, v8
	v_add_f32_e32 v8, v9, v12
	s_delay_alu instid0(VALU_DEP_2) | instskip(NEXT) | instid1(VALU_DEP_2)
	v_add_f32_e32 v9, v17, v15
	v_add_f32_e32 v12, v13, v8
	s_delay_alu instid0(VALU_DEP_2) | instskip(NEXT) | instid1(VALU_DEP_2)
	v_sub_f32_e32 v17, v9, v17
	v_dual_add_f32 v14, v9, v12 :: v_dual_sub_f32 v13, v12, v13
	s_delay_alu instid0(VALU_DEP_2) | instskip(NEXT) | instid1(VALU_DEP_2)
	v_sub_f32_e32 v15, v15, v17
	v_sub_f32_e32 v101, v14, v9
	s_delay_alu instid0(VALU_DEP_3) | instskip(NEXT) | instid1(VALU_DEP_2)
	v_sub_f32_e32 v8, v8, v13
	v_sub_f32_e32 v102, v14, v101
	s_delay_alu instid0(VALU_DEP_2) | instskip(NEXT) | instid1(VALU_DEP_2)
	v_dual_sub_f32 v12, v12, v101 :: v_dual_add_f32 v13, v15, v8
	v_sub_f32_e32 v9, v9, v102
	s_delay_alu instid0(VALU_DEP_1) | instskip(NEXT) | instid1(VALU_DEP_1)
	v_dual_add_f32 v9, v12, v9 :: v_dual_sub_f32 v12, v13, v15
	v_add_f32_e32 v9, v13, v9
	s_delay_alu instid0(VALU_DEP_2) | instskip(NEXT) | instid1(VALU_DEP_2)
	v_sub_f32_e32 v13, v13, v12
	v_dual_sub_f32 v8, v8, v12 :: v_dual_add_f32 v17, v14, v9
	s_delay_alu instid0(VALU_DEP_1) | instskip(NEXT) | instid1(VALU_DEP_1)
	v_dual_sub_f32 v13, v15, v13 :: v_dual_sub_f32 v12, v17, v14
	v_dual_add_f32 v8, v8, v13 :: v_dual_sub_f32 v9, v9, v12
	s_delay_alu instid0(VALU_DEP_1) | instskip(NEXT) | instid1(VALU_DEP_1)
	v_add_f32_e32 v8, v8, v9
	v_add_f32_e32 v8, v17, v8
	s_delay_alu instid0(VALU_DEP_1)
	v_cndmask_b32_e32 v123, v8, v10, vcc_lo
.LBB20_102:                             ;   in Loop: Header=BB20_12 Depth=1
	s_or_b32 exec_lo, exec_lo, s29
	v_lshlrev_b32_e32 v8, 16, v11
	s_delay_alu instid0(VALU_DEP_1) | instskip(NEXT) | instid1(VALU_DEP_1)
	v_add_f32_e32 v124, s66, v8
	v_cmp_ge_f32_e32 vcc_lo, 0x41a00000, v124
	s_and_b32 s28, s79, vcc_lo
	s_delay_alu instid0(SALU_CYCLE_1)
	s_and_saveexec_b32 s29, s28
	s_cbranch_execz .LBB20_104
; %bb.103:                              ;   in Loop: Header=BB20_12 Depth=1
	v_mul_f32_e32 v8, 0x3fb8aa3b, v124
	v_cmp_ngt_f32_e32 vcc_lo, 0xc2ce8ed0, v124
	s_delay_alu instid0(VALU_DEP_2) | instskip(SKIP_1) | instid1(VALU_DEP_2)
	v_rndne_f32_e32 v9, v8
	v_fma_f32 v10, 0x3fb8aa3b, v124, -v8
	v_sub_f32_e32 v8, v8, v9
	s_delay_alu instid0(VALU_DEP_2) | instskip(SKIP_1) | instid1(VALU_DEP_2)
	v_fmac_f32_e32 v10, 0x32a5705f, v124
	v_cvt_i32_f32_e32 v9, v9
	v_add_f32_e32 v8, v8, v10
	s_delay_alu instid0(VALU_DEP_1) | instskip(SKIP_2) | instid1(VALU_DEP_1)
	v_exp_f32_e32 v8, v8
	s_waitcnt_depctr 0xfff
	v_ldexp_f32 v8, v8, v9
	v_cndmask_b32_e32 v8, 0, v8, vcc_lo
	v_cmp_nlt_f32_e32 vcc_lo, 0x42b17218, v124
	s_delay_alu instid0(VALU_DEP_2) | instskip(NEXT) | instid1(VALU_DEP_1)
	v_cndmask_b32_e32 v10, 0x7f800000, v8, vcc_lo
	v_add_f32_e32 v12, 1.0, v10
	s_delay_alu instid0(VALU_DEP_1) | instskip(NEXT) | instid1(VALU_DEP_1)
	v_cvt_f64_f32_e32 v[8:9], v12
	v_frexp_exp_i32_f64_e32 v8, v[8:9]
	v_frexp_mant_f32_e32 v9, v12
	s_delay_alu instid0(VALU_DEP_1) | instskip(SKIP_1) | instid1(VALU_DEP_1)
	v_cmp_gt_f32_e32 vcc_lo, 0x3f2aaaab, v9
	v_add_f32_e32 v9, -1.0, v12
	v_dual_sub_f32 v14, v9, v12 :: v_dual_sub_f32 v9, v10, v9
	v_subrev_co_ci_u32_e32 v8, vcc_lo, 0, v8, vcc_lo
	s_delay_alu instid0(VALU_DEP_1) | instskip(SKIP_1) | instid1(VALU_DEP_2)
	v_sub_nc_u32_e32 v13, 0, v8
	v_cvt_f32_i32_e32 v8, v8
	v_ldexp_f32 v12, v12, v13
	s_delay_alu instid0(VALU_DEP_1) | instskip(NEXT) | instid1(VALU_DEP_1)
	v_dual_add_f32 v14, 1.0, v14 :: v_dual_add_f32 v15, 1.0, v12
	v_add_f32_e32 v9, v9, v14
	s_delay_alu instid0(VALU_DEP_1) | instskip(NEXT) | instid1(VALU_DEP_3)
	v_ldexp_f32 v9, v9, v13
	v_dual_add_f32 v13, -1.0, v12 :: v_dual_add_f32 v14, -1.0, v15
	s_delay_alu instid0(VALU_DEP_1) | instskip(NEXT) | instid1(VALU_DEP_1)
	v_dual_add_f32 v17, 1.0, v13 :: v_dual_sub_f32 v14, v12, v14
	v_sub_f32_e32 v12, v12, v17
	s_delay_alu instid0(VALU_DEP_2) | instskip(NEXT) | instid1(VALU_DEP_2)
	v_add_f32_e32 v14, v9, v14
	v_add_f32_e32 v9, v9, v12
	s_delay_alu instid0(VALU_DEP_2) | instskip(SKIP_2) | instid1(VALU_DEP_4)
	v_add_f32_e32 v17, v15, v14
	v_cmp_eq_f32_e32 vcc_lo, 0x7f800000, v10
	v_cmp_gt_f32_e64 s28, 0x33800000, v10
	v_add_f32_e32 v101, v13, v9
	s_delay_alu instid0(VALU_DEP_4) | instskip(SKIP_1) | instid1(VALU_DEP_3)
	v_rcp_f32_e32 v12, v17
	v_sub_f32_e32 v15, v15, v17
	s_or_b32 vcc_lo, s28, vcc_lo
	s_delay_alu instid0(VALU_DEP_1) | instskip(NEXT) | instid1(VALU_DEP_1)
	v_dual_sub_f32 v13, v13, v101 :: v_dual_add_f32 v14, v14, v15
	v_add_f32_e32 v9, v9, v13
	s_waitcnt_depctr 0xfff
	v_mul_f32_e32 v102, v101, v12
	s_delay_alu instid0(VALU_DEP_1) | instskip(NEXT) | instid1(VALU_DEP_1)
	v_mul_f32_e32 v103, v17, v102
	v_fma_f32 v15, v102, v17, -v103
	s_delay_alu instid0(VALU_DEP_1) | instskip(NEXT) | instid1(VALU_DEP_1)
	v_fmac_f32_e32 v15, v102, v14
	v_add_f32_e32 v104, v103, v15
	s_delay_alu instid0(VALU_DEP_1) | instskip(NEXT) | instid1(VALU_DEP_1)
	v_dual_sub_f32 v106, v101, v104 :: v_dual_sub_f32 v13, v104, v103
	v_sub_f32_e32 v101, v101, v106
	s_delay_alu instid0(VALU_DEP_2) | instskip(NEXT) | instid1(VALU_DEP_2)
	v_sub_f32_e32 v13, v13, v15
	v_sub_f32_e32 v101, v101, v104
	s_delay_alu instid0(VALU_DEP_1) | instskip(NEXT) | instid1(VALU_DEP_1)
	v_add_f32_e32 v9, v9, v101
	v_add_f32_e32 v9, v13, v9
	s_delay_alu instid0(VALU_DEP_1) | instskip(NEXT) | instid1(VALU_DEP_1)
	v_add_f32_e32 v13, v106, v9
	v_mul_f32_e32 v15, v12, v13
	s_delay_alu instid0(VALU_DEP_1) | instskip(NEXT) | instid1(VALU_DEP_1)
	v_dual_sub_f32 v104, v106, v13 :: v_dual_mul_f32 v101, v17, v15
	v_add_f32_e32 v9, v9, v104
	s_delay_alu instid0(VALU_DEP_2) | instskip(NEXT) | instid1(VALU_DEP_1)
	v_fma_f32 v17, v15, v17, -v101
	v_fmac_f32_e32 v17, v15, v14
	s_delay_alu instid0(VALU_DEP_1) | instskip(NEXT) | instid1(VALU_DEP_1)
	v_add_f32_e32 v14, v101, v17
	v_sub_f32_e32 v103, v13, v14
	s_delay_alu instid0(VALU_DEP_1) | instskip(NEXT) | instid1(VALU_DEP_1)
	v_sub_f32_e32 v13, v13, v103
	v_sub_f32_e32 v13, v13, v14
	s_delay_alu instid0(VALU_DEP_1) | instskip(SKIP_2) | instid1(VALU_DEP_1)
	v_add_f32_e32 v9, v9, v13
	v_add_f32_e32 v13, v102, v15
	v_sub_f32_e32 v101, v14, v101
	v_sub_f32_e32 v14, v101, v17
	s_delay_alu instid0(VALU_DEP_1) | instskip(NEXT) | instid1(VALU_DEP_1)
	v_dual_add_f32 v9, v14, v9 :: v_dual_sub_f32 v14, v13, v102
	v_add_f32_e32 v9, v103, v9
	s_delay_alu instid0(VALU_DEP_1) | instskip(NEXT) | instid1(VALU_DEP_1)
	v_dual_sub_f32 v14, v15, v14 :: v_dual_mul_f32 v9, v12, v9
	v_add_f32_e32 v9, v14, v9
	s_delay_alu instid0(VALU_DEP_1) | instskip(NEXT) | instid1(VALU_DEP_1)
	v_add_f32_e32 v12, v13, v9
	v_mul_f32_e32 v14, v12, v12
	s_delay_alu instid0(VALU_DEP_1) | instskip(NEXT) | instid1(VALU_DEP_1)
	v_fmaak_f32 v15, s83, v14, 0x3ecc95a3
	v_dual_mul_f32 v17, v12, v14 :: v_dual_fmaak_f32 v14, v14, v15, 0x3f2aaada
	v_ldexp_f32 v15, v12, 1
	v_sub_f32_e32 v12, v12, v13
	s_delay_alu instid0(VALU_DEP_3) | instskip(NEXT) | instid1(VALU_DEP_2)
	v_dual_mul_f32 v14, v17, v14 :: v_dual_mul_f32 v17, 0x3f317218, v8
	v_sub_f32_e32 v9, v9, v12
	s_delay_alu instid0(VALU_DEP_2) | instskip(NEXT) | instid1(VALU_DEP_2)
	v_add_f32_e32 v13, v15, v14
	v_ldexp_f32 v9, v9, 1
	s_delay_alu instid0(VALU_DEP_2) | instskip(SKIP_1) | instid1(VALU_DEP_2)
	v_sub_f32_e32 v12, v13, v15
	v_fma_f32 v15, 0x3f317218, v8, -v17
	v_sub_f32_e32 v12, v14, v12
	s_delay_alu instid0(VALU_DEP_2) | instskip(NEXT) | instid1(VALU_DEP_2)
	v_fmac_f32_e32 v15, 0xb102e308, v8
	v_add_f32_e32 v8, v9, v12
	s_delay_alu instid0(VALU_DEP_2) | instskip(NEXT) | instid1(VALU_DEP_2)
	v_add_f32_e32 v9, v17, v15
	v_add_f32_e32 v12, v13, v8
	s_delay_alu instid0(VALU_DEP_2) | instskip(NEXT) | instid1(VALU_DEP_2)
	v_sub_f32_e32 v17, v9, v17
	v_dual_add_f32 v14, v9, v12 :: v_dual_sub_f32 v13, v12, v13
	s_delay_alu instid0(VALU_DEP_2) | instskip(NEXT) | instid1(VALU_DEP_2)
	v_sub_f32_e32 v15, v15, v17
	v_sub_f32_e32 v101, v14, v9
	s_delay_alu instid0(VALU_DEP_3) | instskip(NEXT) | instid1(VALU_DEP_2)
	v_sub_f32_e32 v8, v8, v13
	v_sub_f32_e32 v102, v14, v101
	s_delay_alu instid0(VALU_DEP_2) | instskip(NEXT) | instid1(VALU_DEP_2)
	v_dual_sub_f32 v12, v12, v101 :: v_dual_add_f32 v13, v15, v8
	v_sub_f32_e32 v9, v9, v102
	s_delay_alu instid0(VALU_DEP_1) | instskip(NEXT) | instid1(VALU_DEP_1)
	v_dual_add_f32 v9, v12, v9 :: v_dual_sub_f32 v12, v13, v15
	v_add_f32_e32 v9, v13, v9
	s_delay_alu instid0(VALU_DEP_2) | instskip(NEXT) | instid1(VALU_DEP_2)
	v_sub_f32_e32 v13, v13, v12
	v_dual_sub_f32 v8, v8, v12 :: v_dual_add_f32 v17, v14, v9
	s_delay_alu instid0(VALU_DEP_1) | instskip(NEXT) | instid1(VALU_DEP_1)
	v_dual_sub_f32 v13, v15, v13 :: v_dual_sub_f32 v12, v17, v14
	v_dual_add_f32 v8, v8, v13 :: v_dual_sub_f32 v9, v9, v12
	s_delay_alu instid0(VALU_DEP_1) | instskip(NEXT) | instid1(VALU_DEP_1)
	v_add_f32_e32 v8, v8, v9
	v_add_f32_e32 v8, v17, v8
	s_delay_alu instid0(VALU_DEP_1)
	v_cndmask_b32_e32 v124, v8, v10, vcc_lo
.LBB20_104:                             ;   in Loop: Header=BB20_12 Depth=1
	s_or_b32 exec_lo, exec_lo, s29
	v_and_b32_e32 v8, 0xffff0000, v11
	s_delay_alu instid0(VALU_DEP_1) | instskip(NEXT) | instid1(VALU_DEP_1)
	v_add_f32_e32 v125, s66, v8
	v_cmp_ge_f32_e32 vcc_lo, 0x41a00000, v125
	s_and_b32 s28, s79, vcc_lo
	s_delay_alu instid0(SALU_CYCLE_1)
	s_and_saveexec_b32 s29, s28
	s_cbranch_execz .LBB20_106
; %bb.105:                              ;   in Loop: Header=BB20_12 Depth=1
	v_mul_f32_e32 v8, 0x3fb8aa3b, v125
	v_cmp_ngt_f32_e32 vcc_lo, 0xc2ce8ed0, v125
	s_delay_alu instid0(VALU_DEP_2) | instskip(SKIP_1) | instid1(VALU_DEP_2)
	v_rndne_f32_e32 v9, v8
	v_fma_f32 v10, 0x3fb8aa3b, v125, -v8
	v_sub_f32_e32 v8, v8, v9
	s_delay_alu instid0(VALU_DEP_2) | instskip(SKIP_1) | instid1(VALU_DEP_2)
	v_fmac_f32_e32 v10, 0x32a5705f, v125
	v_cvt_i32_f32_e32 v9, v9
	v_add_f32_e32 v8, v8, v10
	s_delay_alu instid0(VALU_DEP_1) | instskip(SKIP_2) | instid1(VALU_DEP_1)
	v_exp_f32_e32 v8, v8
	s_waitcnt_depctr 0xfff
	v_ldexp_f32 v8, v8, v9
	v_cndmask_b32_e32 v8, 0, v8, vcc_lo
	v_cmp_nlt_f32_e32 vcc_lo, 0x42b17218, v125
	s_delay_alu instid0(VALU_DEP_2) | instskip(NEXT) | instid1(VALU_DEP_1)
	v_cndmask_b32_e32 v10, 0x7f800000, v8, vcc_lo
	v_add_f32_e32 v11, 1.0, v10
	s_delay_alu instid0(VALU_DEP_1) | instskip(NEXT) | instid1(VALU_DEP_1)
	v_cvt_f64_f32_e32 v[8:9], v11
	v_frexp_exp_i32_f64_e32 v8, v[8:9]
	v_frexp_mant_f32_e32 v9, v11
	s_delay_alu instid0(VALU_DEP_1) | instskip(SKIP_1) | instid1(VALU_DEP_1)
	v_cmp_gt_f32_e32 vcc_lo, 0x3f2aaaab, v9
	v_add_f32_e32 v9, -1.0, v11
	v_sub_f32_e32 v13, v9, v11
	v_sub_f32_e32 v9, v10, v9
	s_delay_alu instid0(VALU_DEP_2) | instskip(NEXT) | instid1(VALU_DEP_1)
	v_add_f32_e32 v13, 1.0, v13
	v_add_f32_e32 v9, v9, v13
	v_cmp_gt_f32_e64 s28, 0x33800000, v10
	v_subrev_co_ci_u32_e32 v8, vcc_lo, 0, v8, vcc_lo
	v_cmp_eq_f32_e32 vcc_lo, 0x7f800000, v10
	s_delay_alu instid0(VALU_DEP_2) | instskip(SKIP_2) | instid1(VALU_DEP_2)
	v_sub_nc_u32_e32 v12, 0, v8
	v_cvt_f32_i32_e32 v8, v8
	s_or_b32 vcc_lo, s28, vcc_lo
	v_ldexp_f32 v11, v11, v12
	v_ldexp_f32 v9, v9, v12
	s_delay_alu instid0(VALU_DEP_2) | instskip(NEXT) | instid1(VALU_DEP_1)
	v_add_f32_e32 v14, 1.0, v11
	v_dual_add_f32 v12, -1.0, v11 :: v_dual_add_f32 v13, -1.0, v14
	s_delay_alu instid0(VALU_DEP_1) | instskip(NEXT) | instid1(VALU_DEP_2)
	v_add_f32_e32 v15, 1.0, v12
	v_sub_f32_e32 v13, v11, v13
	s_delay_alu instid0(VALU_DEP_2) | instskip(NEXT) | instid1(VALU_DEP_2)
	v_sub_f32_e32 v11, v11, v15
	v_add_f32_e32 v13, v9, v13
	s_delay_alu instid0(VALU_DEP_2) | instskip(NEXT) | instid1(VALU_DEP_1)
	v_add_f32_e32 v9, v9, v11
	v_add_f32_e32 v17, v12, v9
	s_delay_alu instid0(VALU_DEP_3) | instskip(NEXT) | instid1(VALU_DEP_2)
	v_add_f32_e32 v15, v14, v13
	v_sub_f32_e32 v12, v12, v17
	s_delay_alu instid0(VALU_DEP_2) | instskip(SKIP_1) | instid1(VALU_DEP_1)
	v_rcp_f32_e32 v11, v15
	v_sub_f32_e32 v14, v14, v15
	v_add_f32_e32 v13, v13, v14
	s_waitcnt_depctr 0xfff
	v_mul_f32_e32 v101, v17, v11
	s_delay_alu instid0(VALU_DEP_1) | instskip(NEXT) | instid1(VALU_DEP_1)
	v_dual_mul_f32 v102, v15, v101 :: v_dual_add_f32 v9, v9, v12
	v_fma_f32 v14, v101, v15, -v102
	s_delay_alu instid0(VALU_DEP_1) | instskip(NEXT) | instid1(VALU_DEP_1)
	v_fmac_f32_e32 v14, v101, v13
	v_add_f32_e32 v103, v102, v14
	s_delay_alu instid0(VALU_DEP_1) | instskip(SKIP_1) | instid1(VALU_DEP_1)
	v_sub_f32_e32 v12, v103, v102
	v_sub_f32_e32 v104, v17, v103
	v_dual_sub_f32 v12, v12, v14 :: v_dual_sub_f32 v17, v17, v104
	s_delay_alu instid0(VALU_DEP_1) | instskip(NEXT) | instid1(VALU_DEP_1)
	v_sub_f32_e32 v17, v17, v103
	v_add_f32_e32 v9, v9, v17
	s_delay_alu instid0(VALU_DEP_1) | instskip(NEXT) | instid1(VALU_DEP_1)
	v_add_f32_e32 v9, v12, v9
	v_add_f32_e32 v12, v104, v9
	s_delay_alu instid0(VALU_DEP_1) | instskip(SKIP_1) | instid1(VALU_DEP_2)
	v_mul_f32_e32 v14, v11, v12
	v_sub_f32_e32 v103, v104, v12
	v_mul_f32_e32 v17, v15, v14
	s_delay_alu instid0(VALU_DEP_2) | instskip(NEXT) | instid1(VALU_DEP_2)
	v_add_f32_e32 v9, v9, v103
	v_fma_f32 v15, v14, v15, -v17
	s_delay_alu instid0(VALU_DEP_1) | instskip(NEXT) | instid1(VALU_DEP_1)
	v_fmac_f32_e32 v15, v14, v13
	v_add_f32_e32 v13, v17, v15
	s_delay_alu instid0(VALU_DEP_1) | instskip(NEXT) | instid1(VALU_DEP_1)
	v_sub_f32_e32 v102, v12, v13
	v_dual_sub_f32 v17, v13, v17 :: v_dual_sub_f32 v12, v12, v102
	s_delay_alu instid0(VALU_DEP_1) | instskip(NEXT) | instid1(VALU_DEP_1)
	v_dual_sub_f32 v12, v12, v13 :: v_dual_sub_f32 v13, v17, v15
	v_add_f32_e32 v9, v9, v12
	v_add_f32_e32 v12, v101, v14
	s_delay_alu instid0(VALU_DEP_2) | instskip(NEXT) | instid1(VALU_DEP_2)
	v_add_f32_e32 v9, v13, v9
	v_sub_f32_e32 v13, v12, v101
	s_delay_alu instid0(VALU_DEP_2) | instskip(NEXT) | instid1(VALU_DEP_2)
	v_add_f32_e32 v9, v102, v9
	v_sub_f32_e32 v13, v14, v13
	s_delay_alu instid0(VALU_DEP_2) | instskip(NEXT) | instid1(VALU_DEP_1)
	v_mul_f32_e32 v9, v11, v9
	v_add_f32_e32 v9, v13, v9
	s_delay_alu instid0(VALU_DEP_1) | instskip(NEXT) | instid1(VALU_DEP_1)
	v_add_f32_e32 v11, v12, v9
	v_mul_f32_e32 v13, v11, v11
	s_delay_alu instid0(VALU_DEP_1) | instskip(SKIP_1) | instid1(VALU_DEP_2)
	v_fmaak_f32 v14, s83, v13, 0x3ecc95a3
	v_mul_f32_e32 v15, v11, v13
	v_fmaak_f32 v13, v13, v14, 0x3f2aaada
	v_ldexp_f32 v14, v11, 1
	v_sub_f32_e32 v11, v11, v12
	s_delay_alu instid0(VALU_DEP_3) | instskip(SKIP_1) | instid1(VALU_DEP_2)
	v_mul_f32_e32 v13, v15, v13
	v_mul_f32_e32 v15, 0x3f317218, v8
	v_dual_sub_f32 v9, v9, v11 :: v_dual_add_f32 v12, v14, v13
	s_delay_alu instid0(VALU_DEP_1) | instskip(NEXT) | instid1(VALU_DEP_2)
	v_ldexp_f32 v9, v9, 1
	v_sub_f32_e32 v11, v12, v14
	s_delay_alu instid0(VALU_DEP_4) | instskip(NEXT) | instid1(VALU_DEP_1)
	v_fma_f32 v14, 0x3f317218, v8, -v15
	v_dual_sub_f32 v11, v13, v11 :: v_dual_fmac_f32 v14, 0xb102e308, v8
	s_delay_alu instid0(VALU_DEP_1) | instskip(NEXT) | instid1(VALU_DEP_1)
	v_dual_add_f32 v8, v9, v11 :: v_dual_add_f32 v9, v15, v14
	v_add_f32_e32 v11, v12, v8
	s_delay_alu instid0(VALU_DEP_2) | instskip(NEXT) | instid1(VALU_DEP_2)
	v_sub_f32_e32 v15, v9, v15
	v_dual_add_f32 v13, v9, v11 :: v_dual_sub_f32 v12, v11, v12
	s_delay_alu instid0(VALU_DEP_1) | instskip(NEXT) | instid1(VALU_DEP_1)
	v_dual_sub_f32 v14, v14, v15 :: v_dual_sub_f32 v17, v13, v9
	v_dual_sub_f32 v8, v8, v12 :: v_dual_sub_f32 v101, v13, v17
	s_delay_alu instid0(VALU_DEP_1) | instskip(NEXT) | instid1(VALU_DEP_2)
	v_dual_sub_f32 v11, v11, v17 :: v_dual_add_f32 v12, v14, v8
	v_sub_f32_e32 v9, v9, v101
	s_delay_alu instid0(VALU_DEP_1) | instskip(NEXT) | instid1(VALU_DEP_3)
	v_add_f32_e32 v9, v11, v9
	v_sub_f32_e32 v11, v12, v14
	s_delay_alu instid0(VALU_DEP_2) | instskip(NEXT) | instid1(VALU_DEP_2)
	v_add_f32_e32 v9, v12, v9
	v_sub_f32_e32 v12, v12, v11
	s_delay_alu instid0(VALU_DEP_2) | instskip(NEXT) | instid1(VALU_DEP_1)
	v_dual_sub_f32 v8, v8, v11 :: v_dual_add_f32 v15, v13, v9
	v_dual_sub_f32 v12, v14, v12 :: v_dual_sub_f32 v11, v15, v13
	s_delay_alu instid0(VALU_DEP_1) | instskip(NEXT) | instid1(VALU_DEP_1)
	v_dual_add_f32 v8, v8, v12 :: v_dual_sub_f32 v9, v9, v11
	v_add_f32_e32 v8, v8, v9
	s_delay_alu instid0(VALU_DEP_1) | instskip(NEXT) | instid1(VALU_DEP_1)
	v_add_f32_e32 v8, v15, v8
	v_cndmask_b32_e32 v125, v8, v10, vcc_lo
.LBB20_106:                             ;   in Loop: Header=BB20_12 Depth=1
	s_or_b32 exec_lo, exec_lo, s29
	v_and_b32_e32 v10, 0xffff0000, v5
	v_lshlrev_b32_e32 v5, 16, v5
	v_and_b32_e32 v9, 0xffff0000, v6
	v_and_b32_e32 v14, 0xffff0000, v7
	;; [unrolled: 1-line block ×4, first 2 shown]
	v_lshlrev_b32_e32 v1, 16, v1
	v_and_b32_e32 v12, 0xffff0000, v2
	v_lshlrev_b32_e32 v0, 16, v0
	v_lshlrev_b32_e32 v2, 16, v2
	v_mul_f32_e32 v106, s67, v5
	v_dual_mul_f32 v103, s67, v9 :: v_dual_lshlrev_b32 v8, 16, v7
	v_lshlrev_b32_e32 v6, 16, v6
	v_mul_f32_e32 v120, s67, v15
	s_delay_alu instid0(VALU_DEP_3)
	v_dual_mul_f32 v118, s67, v13 :: v_dual_mul_f32 v101, s67, v8
	v_mul_f32_e32 v119, s67, v0
	v_dual_mul_f32 v114, s67, v2 :: v_dual_and_b32 v11, 0xffff0000, v3
	v_and_b32_e32 v7, 0xffff0000, v4
	v_lshlrev_b32_e32 v3, 16, v3
	v_lshlrev_b32_e32 v4, 16, v4
	v_mul_f32_e32 v102, s67, v6
	v_mul_f32_e32 v112, s67, v11
	s_and_b32 vcc_lo, exec_lo, s80
	v_mul_f32_e32 v111, s67, v3
	v_mul_f32_e32 v109, s67, v4
	;; [unrolled: 1-line block ×3, first 2 shown]
	v_dual_mul_f32 v104, s67, v14 :: v_dual_mul_f32 v117, s67, v1
	v_dual_mul_f32 v110, s67, v7 :: v_dual_mul_f32 v115, s67, v12
	s_barrier
	buffer_gl0_inv
	s_cbranch_vccz .LBB20_202
; %bb.107:                              ;   in Loop: Header=BB20_12 Depth=1
	v_dual_mul_f32 v126, v125, v14 :: v_dual_mul_f32 v131, v124, v8
	v_add_co_u32 v14, s28, s61, v16
	s_delay_alu instid0(VALU_DEP_1) | instskip(SKIP_1) | instid1(VALU_DEP_1)
	v_add_co_ci_u32_e64 v17, null, s62, 0, s28
	v_add_co_u32 v16, s28, s49, v16
	v_add_co_ci_u32_e64 v130, null, s73, 0, s28
	s_delay_alu instid0(VALU_DEP_4) | instskip(NEXT) | instid1(VALU_DEP_4)
	v_add_co_u32 v127, vcc_lo, v14, v93
	v_add_co_ci_u32_e32 v128, vcc_lo, 0, v17, vcc_lo
	s_delay_alu instid0(VALU_DEP_4) | instskip(NEXT) | instid1(VALU_DEP_4)
	v_add_co_u32 v129, vcc_lo, v16, v93
	v_add_co_ci_u32_e32 v130, vcc_lo, 0, v130, vcc_lo
	v_cmp_gt_u32_e32 vcc_lo, s40, v18
	s_cmp_lg_u32 s85, 0
	v_cmp_gt_u32_e64 s30, s40, v79
	s_cselect_b32 s51, -1, 0
	s_cmp_eq_u32 s85, s82
	v_cmp_gt_u32_e64 s31, s40, v80
	s_cselect_b32 s86, -1, 0
	s_or_b32 s28, s81, vcc_lo
	v_cmp_gt_u32_e32 vcc_lo, s40, v78
	v_cmp_gt_u32_e64 s33, s40, v81
	v_cmp_gt_u32_e64 s34, s40, v82
	;; [unrolled: 1-line block ×4, first 2 shown]
	s_or_b32 s29, s81, vcc_lo
	v_cmp_gt_u32_e32 vcc_lo, s40, v83
	v_cmp_gt_u32_e64 s38, s40, v86
	v_cmp_gt_u32_e64 s39, s40, v87
	;; [unrolled: 1-line block ×4, first 2 shown]
	s_or_b32 s35, s81, vcc_lo
	v_cmp_gt_u32_e32 vcc_lo, s40, v88
	v_cmp_gt_u32_e64 s43, s40, v91
	v_cmp_gt_u32_e64 s44, s40, v92
	v_dual_mul_f32 v132, v123, v9 :: v_dual_mul_f32 v133, v122, v6
	v_dual_mul_f32 v134, v121, v10 :: v_dual_mul_f32 v135, v116, v5
	;; [unrolled: 1-line block ×7, first 2 shown]
	s_mov_b32 s64, 0
	s_or_b32 s30, s81, s30
	s_or_b32 s31, s81, s31
	;; [unrolled: 1-line block ×8, first 2 shown]
	s_or_b32 s40, s81, vcc_lo
	s_or_b32 s41, s81, s41
	s_or_b32 s42, s81, s42
	;; [unrolled: 1-line block ×4, first 2 shown]
	s_mov_b32 s52, s64
	s_mov_b32 s54, s64
	s_mov_b32 s58, s64
	s_mov_b32 s87, s77
	s_mov_b32 s88, s84
	s_branch .LBB20_109
.LBB20_108:                             ;   in Loop: Header=BB20_109 Depth=2
	s_or_b32 exec_lo, exec_lo, s45
	v_cndmask_b32_e64 v9, v175, v11, s11
	v_cndmask_b32_e64 v10, v174, v10, s11
	s_add_i32 s87, s87, -1
	s_add_i32 s88, s88, 8
	s_add_i32 s58, s58, s74
	v_fma_f32 v9, v9, v149, v148
	v_mul_f32_e32 v10, v10, v149
	s_add_i32 s54, s54, s48
	s_add_i32 s52, s52, s60
	;; [unrolled: 1-line block ×3, first 2 shown]
	v_cndmask_b32_e64 v9, v9, v148, s10
	v_cndmask_b32_e64 v10, v10, v149, s10
	s_cmp_eq_u32 s87, 0
	s_waitcnt lgkmcnt(0)
	s_delay_alu instid0(VALU_DEP_1) | instskip(NEXT) | instid1(VALU_DEP_1)
	v_dual_fmac_f32 v9, v8, v10 :: v_dual_and_b32 v10, 0xffff0000, v5
	v_dual_fmac_f32 v12, v9, v151 :: v_dual_lshlrev_b32 v5, 16, v5
	s_delay_alu instid0(VALU_DEP_1) | instskip(NEXT) | instid1(VALU_DEP_1)
	v_fmac_f32_e32 v13, v12, v152
	v_fmac_f32_e32 v14, v13, v154
	s_delay_alu instid0(VALU_DEP_3) | instskip(NEXT) | instid1(VALU_DEP_2)
	v_fmac_f32_e32 v117, v13, v5
	v_fmac_f32_e32 v15, v14, v157
	s_delay_alu instid0(VALU_DEP_1) | instskip(NEXT) | instid1(VALU_DEP_1)
	v_fmac_f32_e32 v146, v15, v158
	v_fmac_f32_e32 v147, v146, v159
	s_delay_alu instid0(VALU_DEP_1) | instskip(NEXT) | instid1(VALU_DEP_1)
	v_fmac_f32_e32 v150, v147, v160
	v_dual_fmac_f32 v153, v150, v162 :: v_dual_and_b32 v8, 0xffff0000, v4
	v_lshlrev_b32_e32 v4, 16, v4
	s_delay_alu instid0(VALU_DEP_2) | instskip(SKIP_1) | instid1(VALU_DEP_3)
	v_dual_fmac_f32 v120, v12, v8 :: v_dual_fmac_f32 v155, v153, v163
	v_and_b32_e32 v11, 0xffff0000, v6
	v_dual_fmac_f32 v119, v9, v4 :: v_dual_and_b32 v16, 0xffff0000, v7
	s_delay_alu instid0(VALU_DEP_3) | instskip(NEXT) | instid1(VALU_DEP_3)
	v_dual_fmac_f32 v156, v155, v164 :: v_dual_lshlrev_b32 v7, 16, v7
	v_dual_fmac_f32 v115, v146, v11 :: v_dual_and_b32 v148, 0xffff0000, v1
	s_delay_alu instid0(VALU_DEP_2) | instskip(NEXT) | instid1(VALU_DEP_3)
	v_dual_fmac_f32 v112, v150, v16 :: v_dual_fmac_f32 v111, v147, v7
	v_dual_fmac_f32 v161, v156, v172 :: v_dual_lshlrev_b32 v6, 16, v6
	v_dual_fmac_f32 v118, v14, v10 :: v_dual_lshlrev_b32 v1, 16, v1
	s_delay_alu instid0(VALU_DEP_2) | instskip(SKIP_3) | instid1(VALU_DEP_4)
	v_fmac_f32_e32 v165, v161, v167
	v_and_b32_e32 v17, 0xffff0000, v0
	v_lshlrev_b32_e32 v0, 16, v0
	v_dual_fmac_f32 v114, v15, v6 :: v_dual_and_b32 v151, 0xffff0000, v3
	v_dual_fmac_f32 v166, v165, v169 :: v_dual_and_b32 v149, 0xffff0000, v2
	v_lshlrev_b32_e32 v2, 16, v2
	v_lshlrev_b32_e32 v3, 16, v3
	v_dual_fmac_f32 v109, v153, v0 :: v_dual_fmac_f32 v110, v155, v17
	s_delay_alu instid0(VALU_DEP_4) | instskip(SKIP_2) | instid1(VALU_DEP_3)
	v_fmac_f32_e32 v168, v166, v171
	v_dual_fmac_f32 v106, v156, v1 :: v_dual_fmac_f32 v107, v161, v148
	v_dual_fmac_f32 v102, v165, v2 :: v_dual_fmac_f32 v103, v166, v149
	v_fmac_f32_e32 v170, v168, v173
	v_fmac_f32_e32 v101, v168, v3
	s_delay_alu instid0(VALU_DEP_2)
	v_fmac_f32_e32 v104, v170, v151
	s_cbranch_scc1 .LBB20_202
.LBB20_109:                             ;   Parent Loop BB20_12 Depth=1
                                        ; =>  This Inner Loop Header: Depth=2
	s_lshl_b64 s[90:91], s[64:65], 2
	s_mov_b32 s53, s65
	s_add_u32 s90, s71, s90
	s_addc_u32 s91, s72, s91
	v_dual_mov_b32 v2, 0 :: v_dual_mov_b32 v3, 0
	global_load_b32 v146, v21, s[90:91]
	s_lshl_b64 s[90:91], s[52:53], 1
	s_delay_alu instid0(SALU_CYCLE_1)
	v_add_co_u32 v0, vcc_lo, v127, s90
	v_add_co_ci_u32_e32 v1, vcc_lo, s91, v128, vcc_lo
	s_and_saveexec_b32 s45, s12
	s_cbranch_execz .LBB20_111
; %bb.110:                              ;   in Loop: Header=BB20_109 Depth=2
	global_load_u16 v3, v[0:1], off
.LBB20_111:                             ;   in Loop: Header=BB20_109 Depth=2
	s_or_b32 exec_lo, exec_lo, s45
	s_and_saveexec_b32 s45, s13
	s_cbranch_execz .LBB20_113
; %bb.112:                              ;   in Loop: Header=BB20_109 Depth=2
	global_load_u16 v2, v[0:1], off offset:64
.LBB20_113:                             ;   in Loop: Header=BB20_109 Depth=2
	s_or_b32 exec_lo, exec_lo, s45
	v_dual_mov_b32 v4, 0 :: v_dual_mov_b32 v5, 0
	s_and_saveexec_b32 s45, s14
	s_cbranch_execz .LBB20_115
; %bb.114:                              ;   in Loop: Header=BB20_109 Depth=2
	global_load_u16 v5, v[0:1], off offset:128
.LBB20_115:                             ;   in Loop: Header=BB20_109 Depth=2
	s_or_b32 exec_lo, exec_lo, s45
	s_and_saveexec_b32 s45, s15
	s_cbranch_execz .LBB20_117
; %bb.116:                              ;   in Loop: Header=BB20_109 Depth=2
	global_load_u16 v4, v[0:1], off offset:192
.LBB20_117:                             ;   in Loop: Header=BB20_109 Depth=2
	s_or_b32 exec_lo, exec_lo, s45
	v_dual_mov_b32 v6, 0 :: v_dual_mov_b32 v7, 0
	s_and_saveexec_b32 s45, s16
	s_cbranch_execz .LBB20_119
; %bb.118:                              ;   in Loop: Header=BB20_109 Depth=2
	global_load_u16 v7, v[0:1], off offset:256
.LBB20_119:                             ;   in Loop: Header=BB20_109 Depth=2
	;; [unrolled: 13-line block ×7, first 2 shown]
	s_or_b32 exec_lo, exec_lo, s45
	s_and_saveexec_b32 s45, s27
	s_cbranch_execz .LBB20_141
; %bb.140:                              ;   in Loop: Header=BB20_109 Depth=2
	global_load_u16 v16, v[0:1], off offset:960
.LBB20_141:                             ;   in Loop: Header=BB20_109 Depth=2
	s_or_b32 exec_lo, exec_lo, s45
	s_waitcnt vmcnt(0)
	ds_store_b16 v37, v3
	ds_store_b16 v37, v2 offset:64
	ds_store_b16 v38, v5 offset:128
	;; [unrolled: 1-line block ×15, first 2 shown]
	; wave barrier
	ds_load_b128 v[12:15], v52
	ds_load_b128 v[8:11], v52 offset:16
	s_mov_b32 s55, s65
	v_dual_mov_b32 v2, 0 :: v_dual_mov_b32 v3, 0
	s_lshl_b64 s[90:91], s[54:55], 1
	s_delay_alu instid0(SALU_CYCLE_1)
	v_add_co_u32 v0, vcc_lo, v129, s90
	v_add_co_ci_u32_e32 v1, vcc_lo, s91, v130, vcc_lo
	s_and_saveexec_b32 s45, s12
	s_cbranch_execz .LBB20_143
; %bb.142:                              ;   in Loop: Header=BB20_109 Depth=2
	global_load_u16 v3, v[0:1], off
.LBB20_143:                             ;   in Loop: Header=BB20_109 Depth=2
	s_or_b32 exec_lo, exec_lo, s45
	s_and_saveexec_b32 s45, s13
	s_cbranch_execz .LBB20_145
; %bb.144:                              ;   in Loop: Header=BB20_109 Depth=2
	global_load_u16 v2, v[0:1], off offset:64
.LBB20_145:                             ;   in Loop: Header=BB20_109 Depth=2
	s_or_b32 exec_lo, exec_lo, s45
	v_dual_mov_b32 v4, 0 :: v_dual_mov_b32 v5, 0
	s_and_saveexec_b32 s45, s14
	s_cbranch_execz .LBB20_147
; %bb.146:                              ;   in Loop: Header=BB20_109 Depth=2
	global_load_u16 v5, v[0:1], off offset:128
.LBB20_147:                             ;   in Loop: Header=BB20_109 Depth=2
	s_or_b32 exec_lo, exec_lo, s45
	s_and_saveexec_b32 s45, s15
	s_cbranch_execz .LBB20_149
; %bb.148:                              ;   in Loop: Header=BB20_109 Depth=2
	global_load_u16 v4, v[0:1], off offset:192
.LBB20_149:                             ;   in Loop: Header=BB20_109 Depth=2
	s_or_b32 exec_lo, exec_lo, s45
	v_dual_mov_b32 v6, 0 :: v_dual_mov_b32 v7, 0
	s_and_saveexec_b32 s45, s16
	s_cbranch_execz .LBB20_151
; %bb.150:                              ;   in Loop: Header=BB20_109 Depth=2
	global_load_u16 v7, v[0:1], off offset:256
.LBB20_151:                             ;   in Loop: Header=BB20_109 Depth=2
	;; [unrolled: 13-line block ×7, first 2 shown]
	s_or_b32 exec_lo, exec_lo, s45
	s_and_saveexec_b32 s45, s27
	s_cbranch_execz .LBB20_173
; %bb.172:                              ;   in Loop: Header=BB20_109 Depth=2
	global_load_u16 v153, v[0:1], off offset:960
.LBB20_173:                             ;   in Loop: Header=BB20_109 Depth=2
	s_or_b32 exec_lo, exec_lo, s45
	s_waitcnt vmcnt(0)
	ds_store_b16 v37, v3 offset:2112
	ds_store_b16 v53, v2 offset:64
	;; [unrolled: 1-line block ×16, first 2 shown]
	; wave barrier
	ds_load_b128 v[4:7], v52 offset:2112
	ds_load_b128 v[0:3], v68 offset:16
	s_and_not1_b32 vcc_lo, exec_lo, s51
	s_cbranch_vccnz .LBB20_175
; %bb.174:                              ;   in Loop: Header=BB20_109 Depth=2
	v_mov_b32_e32 v16, s88
	ds_load_b64 v[16:17], v16
	s_cbranch_execz .LBB20_176
	s_branch .LBB20_179
.LBB20_175:                             ;   in Loop: Header=BB20_109 Depth=2
                                        ; implicit-def: $vgpr16
.LBB20_176:                             ;   in Loop: Header=BB20_109 Depth=2
	s_waitcnt lgkmcnt(0)
	v_mov_b32_e32 v17, 0
	s_and_not1_b32 vcc_lo, exec_lo, s47
	s_cbranch_vccnz .LBB20_178
; %bb.177:                              ;   in Loop: Header=BB20_109 Depth=2
	s_mov_b32 s59, s65
	s_delay_alu instid0(SALU_CYCLE_1) | instskip(NEXT) | instid1(SALU_CYCLE_1)
	s_lshl_b64 s[90:91], s[58:59], 1
	s_add_u32 s90, s75, s90
	s_addc_u32 s91, s76, s91
	global_load_u16 v16, v21, s[90:91]
	s_waitcnt vmcnt(0)
	v_lshlrev_b32_e32 v17, 16, v16
.LBB20_178:                             ;   in Loop: Header=BB20_109 Depth=2
	v_mov_b32_e32 v16, 1.0
.LBB20_179:                             ;   in Loop: Header=BB20_109 Depth=2
	s_waitcnt lgkmcnt(19)
	v_dual_mul_f32 v168, 0x3fb8aa3b, v146 :: v_dual_lshlrev_b32 v147, 16, v12
	v_and_b32_e32 v12, 0xffff0000, v12
	v_lshlrev_b32_e32 v146, 16, v13
	v_and_b32_e32 v150, 0xffff0000, v13
	v_lshlrev_b32_e32 v153, 16, v14
	v_mul_f32_e32 v13, v168, v94
	v_dual_mul_f32 v14, v168, v95 :: v_dual_and_b32 v155, 0xffff0000, v14
	v_dual_mul_f32 v149, v168, v97 :: v_dual_lshlrev_b32 v156, 16, v15
	s_delay_alu instid0(VALU_DEP_3) | instskip(SKIP_1) | instid1(VALU_DEP_4)
	v_cmp_gt_f32_e32 vcc_lo, 0xc2fc0000, v13
	v_dual_mul_f32 v12, v144, v12 :: v_dual_and_b32 v159, 0xffff0000, v15
	v_cmp_gt_f32_e64 s45, 0xc2fc0000, v14
	v_mul_f32_e32 v15, v168, v96
	v_cndmask_b32_e64 v13, 0, 0x42800000, vcc_lo
	v_cndmask_b32_e64 v148, 1.0, 0x1f800000, vcc_lo
	s_waitcnt lgkmcnt(18)
	v_lshlrev_b32_e32 v165, 16, v10
	v_cndmask_b32_e64 v14, 0, 0x42800000, s45
	v_mul_f32_e32 v147, v145, v147
	v_fmac_f32_e32 v13, v168, v94
	v_dual_mul_f32 v146, v143, v146 :: v_dual_lshlrev_b32 v161, 16, v8
	v_and_b32_e32 v8, 0xffff0000, v8
	v_fmac_f32_e32 v14, v168, v95
	s_delay_alu instid0(VALU_DEP_4) | instskip(SKIP_2) | instid1(VALU_DEP_3)
	v_exp_f32_e32 v13, v13
	v_cmp_gt_f32_e32 vcc_lo, 0xc2fc0000, v15
	v_dual_mul_f32 v155, v140, v155 :: v_dual_and_b32 v10, 0xffff0000, v10
	v_exp_f32_e32 v14, v14
	v_dual_mul_f32 v161, v137, v161 :: v_dual_mul_f32 v8, v136, v8
	v_cndmask_b32_e64 v15, 0, 0x42800000, vcc_lo
	v_lshlrev_b32_e32 v170, 16, v11
	v_and_b32_e32 v11, 0xffff0000, v11
	s_delay_alu instid0(TRANS32_DEP_2)
	v_mul_f32_e32 v13, v13, v148
	v_cndmask_b32_e64 v148, 0, v147, s28
	v_cndmask_b32_e64 v147, 1.0, 0x1f800000, s45
	v_cmp_gt_f32_e64 s45, 0xc2fc0000, v149
	v_fmac_f32_e32 v15, v168, v96
	v_cndmask_b32_e64 v149, 1.0, v13, s28
	v_cndmask_b32_e64 v12, 0, v12, s29
	v_mul_f32_e32 v13, v14, v147
	v_cndmask_b32_e64 v151, 0, 0x42800000, s45
	v_exp_f32_e32 v14, v15
	v_cndmask_b32_e64 v147, 1.0, 0x1f800000, vcc_lo
	v_lshlrev_b32_e32 v163, 16, v9
	v_mul_f32_e32 v15, v168, v98
	v_fmac_f32_e32 v151, v168, v97
	v_and_b32_e32 v9, 0xffff0000, v9
	v_mul_f32_e32 v171, v168, v123
	v_mul_f32_e32 v173, v168, v125
	v_cmp_gt_f32_e32 vcc_lo, 0xc2fc0000, v15
	v_exp_f32_e32 v154, v151
	v_mul_f32_e32 v14, v14, v147
	v_cndmask_b32_e64 v147, 1.0, 0x1f800000, s45
	v_mul_f32_e32 v157, v168, v105
	v_cndmask_b32_e64 v15, 0, 0x42800000, vcc_lo
	v_mul_f32_e32 v160, v168, v108
	v_cndmask_b32_e64 v152, 1.0, v14, s30
	v_mul_f32_e32 v14, v142, v150
	v_mul_f32_e32 v150, v168, v100
	v_fmac_f32_e32 v15, v168, v98
	v_mul_f32_e32 v147, v154, v147
	v_cmp_gt_f32_e64 s46, 0xc2fc0000, v157
	v_cndmask_b32_e64 v14, 0, v14, s31
	v_mul_f32_e32 v162, v168, v116
	v_exp_f32_e32 v15, v15
	v_cndmask_b32_e64 v154, 1.0, v147, s31
	v_cndmask_b32_e64 v147, 1.0, 0x1f800000, vcc_lo
	v_cmp_gt_f32_e32 vcc_lo, 0xc2fc0000, v150
	v_mul_f32_e32 v170, v131, v170
	v_dual_mul_f32 v10, v132, v10 :: v_dual_mul_f32 v11, v126, v11
	v_cndmask_b32_e64 v150, 0, 0x42800000, vcc_lo
	s_delay_alu instid0(TRANS32_DEP_1) | instskip(SKIP_2) | instid1(VALU_DEP_4)
	v_mul_f32_e32 v147, v15, v147
	v_mul_f32_e32 v15, v141, v153
	v_cndmask_b32_e64 v153, 0, 0x42800000, s46
	v_fmac_f32_e32 v150, v168, v100
	v_cndmask_b32_e64 v151, 1.0, v13, s29
	v_cndmask_b32_e64 v13, 0, v146, s30
	v_mul_f32_e32 v146, v168, v99
	v_cndmask_b32_e64 v157, 1.0, v147, s33
	v_exp_f32_e32 v150, v150
	v_fma_f32 v169, v151, v148, v12
	v_cndmask_b32_e64 v15, 0, v15, s33
	v_cmp_gt_f32_e64 s45, 0xc2fc0000, v146
	s_delay_alu instid0(VALU_DEP_1) | instskip(SKIP_1) | instid1(VALU_DEP_2)
	v_cndmask_b32_e64 v146, 0, 0x42800000, s45
	v_cndmask_b32_e64 v158, 1.0, 0x1f800000, s45
	v_fmac_f32_e32 v146, v168, v99
	s_delay_alu instid0(VALU_DEP_1)
	v_exp_f32_e32 v146, v146
	s_waitcnt_depctr 0xfff
	v_mul_f32_e32 v147, v146, v158
	v_cndmask_b32_e64 v146, 0, v155, s34
	v_cndmask_b32_e64 v155, 1.0, 0x1f800000, vcc_lo
	v_cmp_gt_f32_e32 vcc_lo, 0xc2fc0000, v160
	v_mul_f32_e32 v160, v138, v159
	v_cndmask_b32_e64 v158, 1.0, v147, s34
	s_delay_alu instid0(VALU_DEP_4)
	v_dual_mul_f32 v147, v139, v156 :: v_dual_mul_f32 v150, v150, v155
	v_cndmask_b32_e64 v155, 1.0, 0x1f800000, s46
	v_cmp_gt_f32_e64 s46, 0xc2fc0000, v162
	v_mul_f32_e32 v162, v168, v121
	v_cndmask_b32_e64 v156, 0, 0x42800000, vcc_lo
	v_cndmask_b32_e64 v164, 1.0, 0x1f800000, vcc_lo
	v_cndmask_b32_e64 v159, 1.0, v150, s35
	v_cndmask_b32_e64 v150, 0, v160, s36
	v_cmp_gt_f32_e32 vcc_lo, 0xc2fc0000, v162
	v_fmac_f32_e32 v156, v168, v108
	v_cndmask_b32_e64 v147, 0, v147, s35
	v_cndmask_b32_e64 v166, 0, 0x42800000, vcc_lo
	v_cndmask_b32_e64 v167, 1.0, 0x1f800000, vcc_lo
	s_delay_alu instid0(VALU_DEP_2) | instskip(NEXT) | instid1(VALU_DEP_1)
	v_fmac_f32_e32 v166, v168, v121
	v_exp_f32_e32 v166, v166
	v_fmac_f32_e32 v153, v168, v105
	s_delay_alu instid0(VALU_DEP_1) | instskip(SKIP_3) | instid1(VALU_DEP_2)
	v_exp_f32_e32 v153, v153
	s_waitcnt_depctr 0xfff
	v_mul_f32_e32 v153, v153, v155
	v_mul_f32_e32 v155, v168, v113
	v_cndmask_b32_e64 v160, 1.0, v153, s36
	s_delay_alu instid0(VALU_DEP_2) | instskip(SKIP_2) | instid1(VALU_DEP_2)
	v_cmp_gt_f32_e64 s45, 0xc2fc0000, v155
	v_exp_f32_e32 v153, v156
	v_cndmask_b32_e64 v156, 0, 0x42800000, s46
	v_cndmask_b32_e64 v155, 0, 0x42800000, s45
	s_delay_alu instid0(VALU_DEP_2)
	v_fmac_f32_e32 v156, v168, v116
	s_waitcnt_depctr 0xfff
	v_dual_fmac_f32 v155, v168, v113 :: v_dual_mul_f32 v162, v153, v164
	v_cndmask_b32_e64 v153, 0, v161, s37
	v_exp_f32_e32 v156, v156
	v_cndmask_b32_e64 v161, 1.0, 0x1f800000, s45
	s_delay_alu instid0(VALU_DEP_3) | instskip(SKIP_3) | instid1(VALU_DEP_2)
	v_exp_f32_e32 v155, v155
	v_cndmask_b32_e64 v164, 1.0, 0x1f800000, s46
	v_cmp_gt_f32_e64 s45, 0xc2fc0000, v171
	v_cndmask_b32_e64 v162, 1.0, v162, s37
	v_cndmask_b32_e64 v171, 1.0, 0x1f800000, s45
	s_waitcnt_depctr 0xfff
	v_dual_mul_f32 v164, v156, v164 :: v_dual_mul_f32 v161, v155, v161
	v_cndmask_b32_e64 v155, 0, v8, s38
	v_mul_f32_e32 v8, v135, v163
	s_delay_alu instid0(VALU_DEP_3) | instskip(NEXT) | instid1(VALU_DEP_4)
	v_cndmask_b32_e64 v164, 1.0, v164, s39
	v_cndmask_b32_e64 v163, 1.0, v161, s38
	v_mul_f32_e32 v161, v168, v122
	s_delay_alu instid0(VALU_DEP_4) | instskip(SKIP_1) | instid1(VALU_DEP_3)
	v_cndmask_b32_e64 v156, 0, v8, s39
	v_dual_mul_f32 v8, v166, v167 :: v_dual_mul_f32 v167, v151, v149
	v_cmp_gt_f32_e32 vcc_lo, 0xc2fc0000, v161
	s_delay_alu instid0(VALU_DEP_2) | instskip(SKIP_3) | instid1(VALU_DEP_3)
	v_cndmask_b32_e64 v172, 1.0, v8, s40
	v_cndmask_b32_e64 v166, 0, 0x42800000, vcc_lo
	v_mul_f32_e32 v9, v134, v9
	v_cndmask_b32_e64 v8, 1.0, 0x1f800000, vcc_lo
	v_fmac_f32_e32 v166, v168, v122
	s_delay_alu instid0(VALU_DEP_3)
	v_cndmask_b32_e64 v161, 0, v9, s40
	v_mul_f32_e32 v9, v167, v152
	v_fma_f32 v167, v169, v152, v13
	v_cndmask_b32_e64 v169, 0, 0x42800000, s45
	v_exp_f32_e32 v166, v166
	v_cmp_gt_f32_e64 s45, 0xc2fc0000, v173
	v_mul_f32_e32 v9, v9, v154
	v_fma_f32 v167, v167, v154, v14
	v_fmac_f32_e32 v169, v168, v123
	s_delay_alu instid0(VALU_DEP_3) | instskip(NEXT) | instid1(VALU_DEP_3)
	v_mul_f32_e32 v9, v9, v157
	v_fma_f32 v167, v167, v157, v15
	s_delay_alu instid0(VALU_DEP_3)
	v_exp_f32_e32 v169, v169
	s_delay_alu instid0(TRANS32_DEP_2) | instid1(VALU_DEP_2)
	v_dual_mul_f32 v8, v166, v8 :: v_dual_mul_f32 v9, v9, v158
	s_delay_alu instid0(VALU_DEP_2) | instskip(NEXT) | instid1(VALU_DEP_2)
	v_fma_f32 v166, v167, v158, v146
	v_cndmask_b32_e64 v167, 1.0, v8, s41
	s_delay_alu instid0(VALU_DEP_3) | instskip(NEXT) | instid1(VALU_DEP_3)
	v_mul_f32_e32 v8, v9, v159
	v_fma_f32 v9, v166, v159, v147
	v_mul_f32_e32 v166, v168, v124
	s_delay_alu instid0(VALU_DEP_3) | instskip(NEXT) | instid1(VALU_DEP_3)
	v_mul_f32_e32 v8, v8, v160
	v_fma_f32 v9, v9, v160, v150
	s_delay_alu instid0(VALU_DEP_3)
	v_cmp_gt_f32_e32 vcc_lo, 0xc2fc0000, v166
	v_mul_f32_e32 v165, v133, v165
	v_cndmask_b32_e64 v166, 0, v10, s42
	v_mul_f32_e32 v8, v8, v162
	v_fma_f32 v9, v9, v162, v153
	v_cndmask_b32_e64 v10, 0, 0x42800000, s45
	v_mul_f32_e32 v169, v169, v171
	v_cndmask_b32_e64 v171, 0, 0x42800000, vcc_lo
	v_mul_f32_e32 v8, v8, v163
	v_fma_f32 v9, v9, v163, v155
	v_fmac_f32_e32 v10, v168, v125
	v_cndmask_b32_e64 v165, 0, v165, s41
	v_fmac_f32_e32 v171, v168, v124
	v_mul_f32_e32 v8, v8, v164
	v_fma_f32 v9, v9, v164, v156
	v_cndmask_b32_e64 v168, 1.0, 0x1f800000, vcc_lo
	v_exp_f32_e32 v10, v10
	v_exp_f32_e32 v171, v171
	v_mul_f32_e32 v8, v8, v172
	v_fma_f32 v9, v9, v172, v161
	v_cndmask_b32_e64 v169, 1.0, v169, s42
	s_delay_alu instid0(VALU_DEP_3) | instskip(NEXT) | instid1(VALU_DEP_3)
	v_mul_f32_e32 v8, v8, v167
	v_fma_f32 v9, v9, v167, v165
	s_waitcnt_depctr 0xfff
	v_mul_f32_e32 v171, v171, v168
	v_cndmask_b32_e64 v168, 0, v170, s43
	v_cndmask_b32_e64 v170, 1.0, 0x1f800000, s45
	v_mul_f32_e32 v8, v8, v169
	v_fma_f32 v9, v9, v169, v166
	v_cndmask_b32_e64 v171, 1.0, v171, s43
	s_delay_alu instid0(VALU_DEP_4) | instskip(SKIP_1) | instid1(VALU_DEP_3)
	v_mul_f32_e32 v10, v10, v170
	v_cndmask_b32_e64 v170, 0, v11, s44
	v_mul_f32_e32 v8, v8, v171
	v_fma_f32 v9, v9, v171, v168
	s_delay_alu instid0(VALU_DEP_4) | instskip(NEXT) | instid1(VALU_DEP_1)
	v_cndmask_b32_e64 v173, 1.0, v10, s44
	v_mul_f32_e32 v8, v8, v173
	s_delay_alu instid0(VALU_DEP_3) | instskip(NEXT) | instid1(VALU_DEP_2)
	v_fma_f32 v9, v9, v173, v170
	v_mov_b32_dpp v11, v8 row_shr:1 row_mask:0xf bank_mask:0xf
	s_delay_alu instid0(VALU_DEP_2)
	v_mov_b32_dpp v10, v9 row_shr:1 row_mask:0xf bank_mask:0xf
	s_and_saveexec_b32 s45, s0
; %bb.180:                              ;   in Loop: Header=BB20_109 Depth=2
	s_delay_alu instid0(VALU_DEP_2) | instskip(NEXT) | instid1(VALU_DEP_1)
	v_mul_f32_e32 v11, v8, v11
	v_dual_fmac_f32 v9, v8, v10 :: v_dual_mov_b32 v8, v11
; %bb.181:                              ;   in Loop: Header=BB20_109 Depth=2
	s_or_b32 exec_lo, exec_lo, s45
	s_delay_alu instid0(VALU_DEP_1) | instskip(NEXT) | instid1(VALU_DEP_2)
	v_mov_b32_dpp v10, v8 row_shr:2 row_mask:0xf bank_mask:0xf
	v_mov_b32_dpp v11, v9 row_shr:2 row_mask:0xf bank_mask:0xf
	s_and_saveexec_b32 s45, s1
; %bb.182:                              ;   in Loop: Header=BB20_109 Depth=2
	s_delay_alu instid0(VALU_DEP_1) | instskip(NEXT) | instid1(VALU_DEP_3)
	v_fmac_f32_e32 v9, v8, v11
	v_mul_f32_e32 v8, v8, v10
; %bb.183:                              ;   in Loop: Header=BB20_109 Depth=2
	s_or_b32 exec_lo, exec_lo, s45
	s_delay_alu instid0(VALU_DEP_1) | instskip(NEXT) | instid1(VALU_DEP_3)
	v_mov_b32_dpp v10, v8 row_shr:4 row_mask:0xf bank_mask:0xf
	v_mov_b32_dpp v11, v9 row_shr:4 row_mask:0xf bank_mask:0xf
	s_and_saveexec_b32 s45, s2
; %bb.184:                              ;   in Loop: Header=BB20_109 Depth=2
	s_delay_alu instid0(VALU_DEP_1) | instskip(NEXT) | instid1(VALU_DEP_3)
	v_fmac_f32_e32 v9, v8, v11
	v_mul_f32_e32 v8, v8, v10
; %bb.185:                              ;   in Loop: Header=BB20_109 Depth=2
	s_or_b32 exec_lo, exec_lo, s45
	s_delay_alu instid0(VALU_DEP_1) | instskip(NEXT) | instid1(VALU_DEP_3)
	v_mov_b32_dpp v10, v8 row_shr:8 row_mask:0xf bank_mask:0xf
	v_mov_b32_dpp v11, v9 row_shr:8 row_mask:0xf bank_mask:0xf
	s_and_saveexec_b32 s45, s3
; %bb.186:                              ;   in Loop: Header=BB20_109 Depth=2
	s_delay_alu instid0(VALU_DEP_1) | instskip(NEXT) | instid1(VALU_DEP_3)
	v_fmac_f32_e32 v9, v8, v11
	v_mul_f32_e32 v8, v8, v10
; %bb.187:                              ;   in Loop: Header=BB20_109 Depth=2
	s_or_b32 exec_lo, exec_lo, s45
	ds_swizzle_b32 v11, v8 offset:swizzle(BROADCAST,32,15)
	ds_swizzle_b32 v10, v9 offset:swizzle(BROADCAST,32,15)
	s_and_saveexec_b32 s45, s4
	s_cbranch_execz .LBB20_189
; %bb.188:                              ;   in Loop: Header=BB20_109 Depth=2
	s_waitcnt lgkmcnt(1)
	v_mul_f32_e32 v11, v8, v11
	s_waitcnt lgkmcnt(0)
	s_delay_alu instid0(VALU_DEP_1)
	v_dual_fmac_f32 v9, v8, v10 :: v_dual_mov_b32 v8, v11
.LBB20_189:                             ;   in Loop: Header=BB20_109 Depth=2
	s_or_b32 exec_lo, exec_lo, s45
	s_and_saveexec_b32 s45, s5
	s_cbranch_execz .LBB20_191
; %bb.190:                              ;   in Loop: Header=BB20_109 Depth=2
	ds_store_b64 v69, v[8:9] offset:4224
.LBB20_191:                             ;   in Loop: Header=BB20_109 Depth=2
	s_or_b32 exec_lo, exec_lo, s45
	s_waitcnt lgkmcnt(0)
	s_waitcnt_vscnt null, 0x0
	s_barrier
	buffer_gl0_inv
	s_and_saveexec_b32 s45, s6
	s_cbranch_execz .LBB20_193
; %bb.192:                              ;   in Loop: Header=BB20_109 Depth=2
	ds_load_b64 v[10:11], v70 offset:4224
	s_waitcnt lgkmcnt(0)
	v_mov_b32_dpp v174, v10 row_shr:1 row_mask:0xf bank_mask:0xf
	v_mov_b32_dpp v175, v11 row_shr:1 row_mask:0xf bank_mask:0xf
	s_delay_alu instid0(VALU_DEP_2) | instskip(NEXT) | instid1(VALU_DEP_2)
	v_mul_f32_e32 v174, v10, v174
	v_fma_f32 v175, v10, v175, v11
	s_delay_alu instid0(VALU_DEP_2) | instskip(NEXT) | instid1(VALU_DEP_2)
	v_cndmask_b32_e64 v10, v174, v10, s7
	v_cndmask_b32_e64 v11, v175, v11, s7
	ds_store_b64 v70, v[10:11] offset:4224
.LBB20_193:                             ;   in Loop: Header=BB20_109 Depth=2
	s_or_b32 exec_lo, exec_lo, s45
	s_waitcnt lgkmcnt(0)
	s_barrier
	buffer_gl0_inv
                                        ; implicit-def: $vgpr11
	s_and_saveexec_b32 s45, s9
	s_cbranch_execz .LBB20_195
; %bb.194:                              ;   in Loop: Header=BB20_109 Depth=2
	ds_load_b64 v[10:11], v69 offset:4216
	s_waitcnt lgkmcnt(0)
	v_mul_f32_e32 v174, v8, v10
	s_delay_alu instid0(VALU_DEP_1)
	v_dual_fmac_f32 v9, v8, v11 :: v_dual_mov_b32 v8, v174
.LBB20_195:                             ;   in Loop: Header=BB20_109 Depth=2
	s_or_b32 exec_lo, exec_lo, s45
	ds_bpermute_b32 v174, v71, v8
	ds_bpermute_b32 v175, v71, v9
	s_and_saveexec_b32 s45, s8
	s_cbranch_execz .LBB20_199
; %bb.196:                              ;   in Loop: Header=BB20_109 Depth=2
	ds_load_b64 v[8:9], v21 offset:4232
	s_and_saveexec_b32 s46, s10
	s_cbranch_execz .LBB20_198
; %bb.197:                              ;   in Loop: Header=BB20_109 Depth=2
	ds_store_b64 v21, v[16:17] offset:4232
.LBB20_198:                             ;   in Loop: Header=BB20_109 Depth=2
	s_or_b32 exec_lo, exec_lo, s46
	s_waitcnt lgkmcnt(0)
	v_fmac_f32_e32 v9, v8, v17
	s_delay_alu instid0(VALU_DEP_1)
	v_dual_mul_f32 v16, v16, v8 :: v_dual_mov_b32 v17, v9
.LBB20_199:                             ;   in Loop: Header=BB20_109 Depth=2
	s_or_b32 exec_lo, exec_lo, s45
	s_waitcnt lgkmcnt(0)
	s_barrier
	buffer_gl0_inv
	ds_load_b32 v8, v21 offset:4236
	s_and_saveexec_b32 s45, s10
	s_cbranch_execz .LBB20_108
; %bb.200:                              ;   in Loop: Header=BB20_109 Depth=2
	v_mov_b32_e32 v9, s88
	s_and_not1_b32 vcc_lo, exec_lo, s86
	ds_store_b64 v9, v[16:17]
	s_cbranch_vccnz .LBB20_108
; %bb.201:                              ;   in Loop: Header=BB20_109 Depth=2
	v_bfe_u32 v9, v17, 16, 1
	v_cmp_o_f32_e32 vcc_lo, v17, v17
	s_mov_b32 s59, s65
	s_delay_alu instid0(SALU_CYCLE_1) | instskip(NEXT) | instid1(VALU_DEP_2)
	s_lshl_b64 s[90:91], s[58:59], 1
	v_add3_u32 v9, v17, v9, 0x7fff
	s_add_u32 s90, s75, s90
	s_addc_u32 s91, s76, s91
	s_delay_alu instid0(VALU_DEP_1) | instskip(NEXT) | instid1(VALU_DEP_1)
	v_lshrrev_b32_e32 v9, 16, v9
	v_cndmask_b32_e32 v9, 0x7fc0, v9, vcc_lo
	global_store_b16 v21, v9, s[90:91]
	s_branch .LBB20_108
.LBB20_202:                             ;   in Loop: Header=BB20_12 Depth=1
	v_bfe_u32 v0, v119, 16, 1
	v_bfe_u32 v1, v120, 16, 1
	v_cmp_o_f32_e32 vcc_lo, v119, v119
	v_bfe_u32 v2, v117, 16, 1
	v_bfe_u32 v4, v115, 16, 1
	v_add3_u32 v0, v119, v0, 0x7fff
	v_add3_u32 v1, v120, v1, 0x7fff
	v_bfe_u32 v7, v111, 16, 1
	v_add3_u32 v2, v117, v2, 0x7fff
	v_bfe_u32 v6, v112, 16, 1
	v_lshrrev_b32_e32 v0, 16, v0
	v_lshrrev_b32_e32 v1, 16, v1
	v_add3_u32 v4, v115, v4, 0x7fff
	v_lshrrev_b32_e32 v2, 16, v2
	v_add3_u32 v7, v111, v7, 0x7fff
	v_cndmask_b32_e32 v0, 0x7fc0, v0, vcc_lo
	v_cmp_o_f32_e32 vcc_lo, v120, v120
	v_add3_u32 v6, v112, v6, 0x7fff
	v_bfe_u32 v3, v118, 16, 1
	v_bfe_u32 v10, v107, 16, 1
	;; [unrolled: 1-line block ×3, first 2 shown]
	v_cndmask_b32_e32 v5, 0x7fc0, v1, vcc_lo
	v_bfe_u32 v1, v114, 16, 1
	v_cmp_o_f32_e32 vcc_lo, v117, v117
	v_lshrrev_b32_e32 v6, 16, v6
	v_add3_u32 v3, v118, v3, 0x7fff
	v_bfe_u32 v12, v104, 16, 1
	v_add3_u32 v1, v114, v1, 0x7fff
	v_cndmask_b32_e32 v8, 0x7fc0, v2, vcc_lo
	v_cmp_o_f32_e32 vcc_lo, v114, v114
	v_lshrrev_b32_e32 v2, 16, v4
	v_lshrrev_b32_e32 v4, 16, v7
	;; [unrolled: 1-line block ×4, first 2 shown]
	v_bfe_u32 v7, v109, 16, 1
	v_add3_u32 v11, v101, v11, 0x7fff
	v_perm_b32 v0, v5, v0, 0x5040100
	v_cndmask_b32_e32 v1, 0x7fc0, v1, vcc_lo
	v_cmp_o_f32_e32 vcc_lo, v111, v111
	s_waitcnt_vscnt null, 0x0
	s_barrier
	buffer_gl0_inv
	s_mov_b32 s51, s65
	v_cndmask_b32_e32 v4, 0x7fc0, v4, vcc_lo
	v_cmp_o_f32_e32 vcc_lo, v112, v112
	s_lshl_b64 s[34:35], s[50:51], 1
	v_cndmask_b32_e32 v6, 0x7fc0, v6, vcc_lo
	v_cmp_o_f32_e32 vcc_lo, v115, v115
	v_cndmask_b32_e32 v2, 0x7fc0, v2, vcc_lo
	v_cmp_o_f32_e32 vcc_lo, v118, v118
	s_delay_alu instid0(VALU_DEP_2)
	v_perm_b32 v2, v2, v1, 0x5040100
	v_cndmask_b32_e32 v9, 0x7fc0, v3, vcc_lo
	v_perm_b32 v3, v6, v4, 0x5040100
	v_add3_u32 v6, v109, v7, 0x7fff
	v_bfe_u32 v7, v106, 16, 1
	v_cmp_o_f32_e32 vcc_lo, v109, v109
	v_perm_b32 v1, v9, v8, 0x5040100
	v_add3_u32 v8, v107, v10, 0x7fff
	v_lshrrev_b32_e32 v6, 16, v6
	v_add3_u32 v7, v106, v7, 0x7fff
	v_bfe_u32 v10, v103, 16, 1
	v_bfe_u32 v4, v110, 16, 1
	s_delay_alu instid0(VALU_DEP_4) | instskip(NEXT) | instid1(VALU_DEP_4)
	v_cndmask_b32_e32 v9, 0x7fc0, v6, vcc_lo
	v_lshrrev_b32_e32 v6, 16, v7
	v_lshrrev_b32_e32 v7, 16, v8
	v_bfe_u32 v8, v102, 16, 1
	v_cmp_o_f32_e32 vcc_lo, v106, v106
	v_add3_u32 v4, v110, v4, 0x7fff
	s_delay_alu instid0(VALU_DEP_3)
	v_add3_u32 v8, v102, v8, 0x7fff
	v_cndmask_b32_e32 v13, 0x7fc0, v6, vcc_lo
	v_cmp_o_f32_e32 vcc_lo, v107, v107
	v_add3_u32 v6, v103, v10, 0x7fff
	v_add3_u32 v10, v104, v12, 0x7fff
	v_lshrrev_b32_e32 v4, 16, v4
	v_cndmask_b32_e32 v12, 0x7fc0, v7, vcc_lo
	v_lshrrev_b32_e32 v7, 16, v8
	v_cmp_o_f32_e32 vcc_lo, v102, v102
	v_lshrrev_b32_e32 v8, 16, v11
	v_lshrrev_b32_e32 v10, 16, v10
	;; [unrolled: 1-line block ×3, first 2 shown]
	v_perm_b32 v5, v12, v13, 0x5040100
	v_cndmask_b32_e32 v11, 0x7fc0, v7, vcc_lo
	v_cmp_o_f32_e32 vcc_lo, v101, v101
	v_cndmask_b32_e32 v7, 0x7fc0, v8, vcc_lo
	v_cmp_o_f32_e32 vcc_lo, v104, v104
	v_cndmask_b32_e32 v8, 0x7fc0, v10, vcc_lo
	v_cmp_o_f32_e32 vcc_lo, v103, v103
	s_delay_alu instid0(VALU_DEP_2) | instskip(SKIP_2) | instid1(VALU_DEP_2)
	v_perm_b32 v7, v8, v7, 0x5040100
	v_cndmask_b32_e32 v6, 0x7fc0, v6, vcc_lo
	v_cmp_o_f32_e32 vcc_lo, v110, v110
	v_perm_b32 v6, v6, v11, 0x5040100
	v_cndmask_b32_e32 v4, 0x7fc0, v4, vcc_lo
	s_delay_alu instid0(VALU_DEP_1)
	v_perm_b32 v4, v4, v9, 0x5040100
	ds_store_b128 v52, v[0:3]
	ds_store_b128 v52, v[4:7] offset:16
	; wave barrier
	ds_load_u16 v16, v37 offset:64
	ds_load_u16 v15, v38 offset:128
	;; [unrolled: 1-line block ×15, first 2 shown]
	v_add_co_u32 v0, vcc_lo, v72, s34
	v_add_co_ci_u32_e32 v1, vcc_lo, s35, v73, vcc_lo
	s_and_saveexec_b32 s28, s12
	s_cbranch_execnz .LBB20_269
; %bb.203:                              ;   in Loop: Header=BB20_12 Depth=1
	s_or_b32 exec_lo, exec_lo, s28
	s_and_saveexec_b32 s28, s13
	s_cbranch_execnz .LBB20_270
.LBB20_204:                             ;   in Loop: Header=BB20_12 Depth=1
	s_or_b32 exec_lo, exec_lo, s28
	s_and_saveexec_b32 s28, s14
	s_cbranch_execnz .LBB20_271
.LBB20_205:                             ;   in Loop: Header=BB20_12 Depth=1
	s_or_b32 exec_lo, exec_lo, s28
	s_and_saveexec_b32 s28, s15
	s_cbranch_execnz .LBB20_272
.LBB20_206:                             ;   in Loop: Header=BB20_12 Depth=1
	s_or_b32 exec_lo, exec_lo, s28
	s_and_saveexec_b32 s28, s16
	s_cbranch_execnz .LBB20_273
.LBB20_207:                             ;   in Loop: Header=BB20_12 Depth=1
	s_or_b32 exec_lo, exec_lo, s28
	s_and_saveexec_b32 s28, s17
	s_cbranch_execnz .LBB20_274
.LBB20_208:                             ;   in Loop: Header=BB20_12 Depth=1
	s_or_b32 exec_lo, exec_lo, s28
	s_and_saveexec_b32 s28, s18
	s_cbranch_execnz .LBB20_275
.LBB20_209:                             ;   in Loop: Header=BB20_12 Depth=1
	s_or_b32 exec_lo, exec_lo, s28
	s_and_saveexec_b32 s28, s19
	s_cbranch_execnz .LBB20_276
.LBB20_210:                             ;   in Loop: Header=BB20_12 Depth=1
	s_or_b32 exec_lo, exec_lo, s28
	s_and_saveexec_b32 s28, s20
	s_cbranch_execnz .LBB20_277
.LBB20_211:                             ;   in Loop: Header=BB20_12 Depth=1
	s_or_b32 exec_lo, exec_lo, s28
	s_and_saveexec_b32 s28, s21
	s_cbranch_execnz .LBB20_278
.LBB20_212:                             ;   in Loop: Header=BB20_12 Depth=1
	s_or_b32 exec_lo, exec_lo, s28
	s_and_saveexec_b32 s28, s22
	s_cbranch_execnz .LBB20_279
.LBB20_213:                             ;   in Loop: Header=BB20_12 Depth=1
	s_or_b32 exec_lo, exec_lo, s28
	s_and_saveexec_b32 s28, s23
	s_cbranch_execnz .LBB20_280
.LBB20_214:                             ;   in Loop: Header=BB20_12 Depth=1
	s_or_b32 exec_lo, exec_lo, s28
	s_and_saveexec_b32 s28, s24
	s_cbranch_execnz .LBB20_281
.LBB20_215:                             ;   in Loop: Header=BB20_12 Depth=1
	s_or_b32 exec_lo, exec_lo, s28
	s_and_saveexec_b32 s28, s25
	s_cbranch_execnz .LBB20_282
.LBB20_216:                             ;   in Loop: Header=BB20_12 Depth=1
	s_or_b32 exec_lo, exec_lo, s28
	s_and_saveexec_b32 s28, s26
	s_cbranch_execnz .LBB20_283
.LBB20_217:                             ;   in Loop: Header=BB20_12 Depth=1
	s_or_b32 exec_lo, exec_lo, s28
	s_and_saveexec_b32 s28, s27
	s_cbranch_execz .LBB20_219
.LBB20_218:                             ;   in Loop: Header=BB20_12 Depth=1
	s_waitcnt lgkmcnt(0)
	global_store_b16 v[0:1], v2, off offset:960
.LBB20_219:                             ;   in Loop: Header=BB20_12 Depth=1
	s_or_b32 exec_lo, exec_lo, s28
	v_add_co_u32 v0, vcc_lo, v74, s34
	v_add_co_ci_u32_e32 v1, vcc_lo, s35, v75, vcc_lo
	s_waitcnt lgkmcnt(0)
	v_dual_mov_b32 v2, 0 :: v_dual_mov_b32 v3, 0
	s_waitcnt_vscnt null, 0x0
	s_barrier
	buffer_gl0_inv
	s_and_saveexec_b32 s28, s12
	s_cbranch_execz .LBB20_221
; %bb.220:                              ;   in Loop: Header=BB20_12 Depth=1
	global_load_u16 v3, v[0:1], off
.LBB20_221:                             ;   in Loop: Header=BB20_12 Depth=1
	s_or_b32 exec_lo, exec_lo, s28
	s_and_saveexec_b32 s28, s13
	s_cbranch_execz .LBB20_223
; %bb.222:                              ;   in Loop: Header=BB20_12 Depth=1
	global_load_u16 v2, v[0:1], off offset:64
.LBB20_223:                             ;   in Loop: Header=BB20_12 Depth=1
	s_or_b32 exec_lo, exec_lo, s28
	v_dual_mov_b32 v4, 0 :: v_dual_mov_b32 v5, 0
	s_and_saveexec_b32 s28, s14
	s_cbranch_execz .LBB20_225
; %bb.224:                              ;   in Loop: Header=BB20_12 Depth=1
	global_load_u16 v5, v[0:1], off offset:128
.LBB20_225:                             ;   in Loop: Header=BB20_12 Depth=1
	s_or_b32 exec_lo, exec_lo, s28
	s_and_saveexec_b32 s28, s15
	s_cbranch_execz .LBB20_227
; %bb.226:                              ;   in Loop: Header=BB20_12 Depth=1
	global_load_u16 v4, v[0:1], off offset:192
.LBB20_227:                             ;   in Loop: Header=BB20_12 Depth=1
	s_or_b32 exec_lo, exec_lo, s28
	v_dual_mov_b32 v6, 0 :: v_dual_mov_b32 v7, 0
	s_and_saveexec_b32 s28, s16
	s_cbranch_execz .LBB20_229
; %bb.228:                              ;   in Loop: Header=BB20_12 Depth=1
	global_load_u16 v7, v[0:1], off offset:256
.LBB20_229:                             ;   in Loop: Header=BB20_12 Depth=1
	;; [unrolled: 13-line block ×7, first 2 shown]
	s_or_b32 exec_lo, exec_lo, s28
	s_and_saveexec_b32 s28, s27
	s_cbranch_execz .LBB20_251
; %bb.250:                              ;   in Loop: Header=BB20_12 Depth=1
	global_load_u16 v16, v[0:1], off offset:960
.LBB20_251:                             ;   in Loop: Header=BB20_12 Depth=1
	s_or_b32 exec_lo, exec_lo, s28
	s_waitcnt vmcnt(0)
	ds_store_b16 v37, v3
	ds_store_b16 v37, v2 offset:64
	ds_store_b16 v38, v5 offset:128
	;; [unrolled: 1-line block ×15, first 2 shown]
	; wave barrier
	ds_load_b128 v[4:7], v52
	ds_load_b128 v[0:3], v52 offset:16
	s_waitcnt lgkmcnt(0)
	s_barrier
	buffer_gl0_inv
	v_and_b32_e32 v8, 0xffff0000, v4
	v_and_b32_e32 v15, 0xffff0000, v5
	;; [unrolled: 1-line block ×3, first 2 shown]
	v_lshlrev_b32_e32 v5, 16, v5
	s_delay_alu instid0(VALU_DEP_4) | instskip(NEXT) | instid1(VALU_DEP_3)
	v_mul_f32_e32 v9, 0xbfb8aa3b, v8
	v_mul_f32_e32 v17, 0xbfb8aa3b, v16
	s_delay_alu instid0(VALU_DEP_3) | instskip(NEXT) | instid1(VALU_DEP_3)
	v_cmp_nlt_f32_e64 s29, 0x42ce8ed0, v5
	v_fma_f32 v11, 0xbfb8aa3b, v8, -v9
	v_rndne_f32_e32 v12, v9
	s_delay_alu instid0(VALU_DEP_4) | instskip(NEXT) | instid1(VALU_DEP_3)
	v_rndne_f32_e32 v100, v17
	v_fmac_f32_e32 v11, 0xb2a5705f, v8
	s_delay_alu instid0(VALU_DEP_3) | instskip(SKIP_1) | instid1(VALU_DEP_2)
	v_sub_f32_e32 v9, v9, v12
	v_cvt_i32_f32_e32 v12, v12
	v_add_f32_e32 v9, v9, v11
	v_cmp_nlt_f32_e32 vcc_lo, 0x42ce8ed0, v8
	v_lshlrev_b32_e32 v11, 16, v6
	s_delay_alu instid0(VALU_DEP_3) | instskip(SKIP_2) | instid1(VALU_DEP_1)
	v_exp_f32_e32 v9, v9
	s_waitcnt_depctr 0xfff
	v_ldexp_f32 v9, v9, v12
	v_dual_cndmask_b32 v9, 0, v9 :: v_dual_lshlrev_b32 v4, 16, v4
	s_delay_alu instid0(VALU_DEP_1) | instskip(SKIP_1) | instid1(VALU_DEP_2)
	v_mul_f32_e32 v10, 0xbfb8aa3b, v4
	v_cmp_nlt_f32_e32 vcc_lo, 0x42ce8ed0, v4
	v_rndne_f32_e32 v13, v10
	v_fma_f32 v14, 0xbfb8aa3b, v4, -v10
	s_delay_alu instid0(VALU_DEP_2) | instskip(NEXT) | instid1(VALU_DEP_2)
	v_sub_f32_e32 v10, v10, v13
	v_fmac_f32_e32 v14, 0xb2a5705f, v4
	v_cvt_i32_f32_e32 v13, v13
	s_delay_alu instid0(VALU_DEP_2) | instskip(SKIP_2) | instid1(VALU_DEP_3)
	v_add_f32_e32 v6, v10, v14
	v_mul_f32_e32 v14, 0xbfb8aa3b, v5
	v_mul_f32_e32 v10, 0xbfb8aa3b, v15
	v_exp_f32_e32 v6, v6
	s_delay_alu instid0(VALU_DEP_1) | instskip(SKIP_1) | instid1(VALU_DEP_2)
	v_fma_f32 v94, 0xbfb8aa3b, v15, -v10
	v_rndne_f32_e32 v95, v10
	v_fmac_f32_e32 v94, 0xb2a5705f, v15
	s_waitcnt_depctr 0xfff
	v_ldexp_f32 v6, v6, v13
	v_mul_f32_e32 v13, 0xbfb8aa3b, v11
	v_rndne_f32_e32 v96, v14
	v_fma_f32 v97, 0xbfb8aa3b, v5, -v14
	v_sub_f32_e32 v10, v10, v95
	v_cndmask_b32_e32 v6, 0, v6, vcc_lo
	v_cmp_ngt_f32_e32 vcc_lo, 0xc2b17218, v8
	s_delay_alu instid0(VALU_DEP_4) | instskip(SKIP_4) | instid1(VALU_DEP_2)
	v_dual_sub_f32 v12, v14, v96 :: v_dual_fmac_f32 v97, 0xb2a5705f, v5
	v_cvt_i32_f32_e32 v95, v95
	v_cvt_i32_f32_e32 v96, v96
	v_cndmask_b32_e32 v9, 0x7f800000, v9, vcc_lo
	v_cmp_ngt_f32_e32 vcc_lo, 0xc2b17218, v4
	v_dual_add_f32 v9, 1.0, v9 :: v_dual_cndmask_b32 v6, 0x7f800000, v6
	v_cmp_nlt_f32_e32 vcc_lo, 0x42ce8ed0, v15
	s_delay_alu instid0(VALU_DEP_2) | instskip(NEXT) | instid1(VALU_DEP_3)
	v_div_scale_f32 v14, null, v9, v9, v8
	v_add_f32_e32 v6, 1.0, v6
	s_delay_alu instid0(VALU_DEP_2) | instskip(NEXT) | instid1(VALU_DEP_1)
	v_rcp_f32_e32 v98, v14
	v_div_scale_f32 v113, s28, v4, v6, v4
	v_add_f32_e32 v12, v12, v97
	v_fma_f32 v97, 0xbfb8aa3b, v16, -v17
	v_dual_add_f32 v10, v10, v94 :: v_dual_sub_f32 v17, v17, v100
	v_div_scale_f32 v94, null, v6, v6, v4
	s_delay_alu instid0(VALU_DEP_3) | instskip(NEXT) | instid1(VALU_DEP_3)
	v_fmac_f32_e32 v97, 0xb2a5705f, v16
	v_exp_f32_e32 v10, v10
	v_cvt_i32_f32_e32 v100, v100
	s_delay_alu instid0(VALU_DEP_3) | instskip(NEXT) | instid1(VALU_DEP_2)
	v_rcp_f32_e32 v99, v94
	v_add_f32_e32 v17, v17, v97
	s_waitcnt_depctr 0xfff
	v_ldexp_f32 v10, v10, v95
	v_rndne_f32_e32 v95, v13
	v_fma_f32 v105, -v94, v99, 1.0
	s_delay_alu instid0(VALU_DEP_1) | instskip(NEXT) | instid1(VALU_DEP_1)
	v_fmac_f32_e32 v99, v105, v99
	v_mul_f32_e32 v105, v113, v99
	v_exp_f32_e32 v12, v12
	s_delay_alu instid0(VALU_DEP_1) | instskip(SKIP_2) | instid1(VALU_DEP_3)
	v_fma_f32 v121, -v94, v105, v113
	v_cndmask_b32_e32 v10, 0, v10, vcc_lo
	v_div_scale_f32 v108, vcc_lo, v8, v9, v8
	v_fmac_f32_e32 v105, v121, v99
	s_waitcnt_depctr 0xfff
	v_ldexp_f32 v12, v12, v96
	v_fma_f32 v96, -v14, v98, 1.0
	v_fma_f32 v94, -v94, v105, v113
	s_delay_alu instid0(VALU_DEP_3) | instskip(SKIP_1) | instid1(VALU_DEP_4)
	v_cndmask_b32_e64 v12, 0, v12, s29
	v_cmp_ngt_f32_e64 s29, 0xc2b17218, v15
	v_fmac_f32_e32 v98, v96, v98
	s_delay_alu instid0(VALU_DEP_2) | instskip(SKIP_1) | instid1(VALU_DEP_2)
	v_cndmask_b32_e64 v10, 0x7f800000, v10, s29
	v_cmp_ngt_f32_e64 s29, 0xc2b17218, v5
	v_add_f32_e32 v10, 1.0, v10
	s_delay_alu instid0(VALU_DEP_2) | instskip(SKIP_1) | instid1(VALU_DEP_3)
	v_cndmask_b32_e64 v12, 0x7f800000, v12, s29
	v_cmp_nlt_f32_e64 s29, 0x42ce8ed0, v16
	v_div_scale_f32 v122, null, v10, v10, v15
	s_delay_alu instid0(VALU_DEP_1) | instskip(SKIP_1) | instid1(VALU_DEP_1)
	v_rcp_f32_e32 v121, v122
	v_mul_f32_e32 v96, v108, v98
	v_fma_f32 v116, -v14, v96, v108
	s_delay_alu instid0(VALU_DEP_1) | instskip(NEXT) | instid1(VALU_DEP_1)
	v_fmac_f32_e32 v96, v116, v98
	v_fma_f32 v14, -v14, v96, v108
	v_sub_f32_e32 v108, v13, v95
	v_fma_f32 v13, 0xbfb8aa3b, v11, -v13
	v_add_f32_e32 v12, 1.0, v12
	v_cvt_i32_f32_e32 v95, v95
	v_div_fmas_f32 v14, v14, v98, v96
	s_mov_b32 vcc_lo, s28
	v_fmac_f32_e32 v13, 0xb2a5705f, v11
	v_div_scale_f32 v116, null, v12, v12, v5
	v_div_fmas_f32 v94, v94, v99, v105
	v_div_fixup_f32 v8, v14, v9, v8
	v_fma_f32 v9, -v122, v121, 1.0
	s_delay_alu instid0(VALU_DEP_4) | instskip(SKIP_2) | instid1(VALU_DEP_3)
	v_rcp_f32_e32 v96, v116
	v_div_scale_f32 v98, s28, v5, v12, v5
	v_div_fixup_f32 v4, v94, v6, v4
	v_fmac_f32_e32 v121, v9, v121
	s_delay_alu instid0(VALU_DEP_2)
	v_mul_f32_e32 v9, v119, v4
	v_div_scale_f32 v6, vcc_lo, v15, v10, v15
	s_waitcnt_depctr 0xfff
	v_fma_f32 v14, -v116, v96, 1.0
	v_exp_f32_e32 v4, v17
	v_bfe_u32 v97, v9, 16, 1
	s_delay_alu instid0(VALU_DEP_2) | instskip(NEXT) | instid1(VALU_DEP_2)
	v_fmac_f32_e32 v96, v14, v96
	v_add3_u32 v14, v9, v97, 0x7fff
	s_delay_alu instid0(VALU_DEP_2) | instskip(SKIP_2) | instid1(VALU_DEP_4)
	v_mul_f32_e32 v97, v98, v96
	v_add_f32_e32 v13, v108, v13
	v_mul_f32_e32 v94, v6, v121
	v_lshrrev_b32_e32 v14, 16, v14
	s_delay_alu instid0(TRANS32_DEP_1) | instskip(NEXT) | instid1(VALU_DEP_4)
	v_ldexp_f32 v4, v4, v100
	v_exp_f32_e32 v13, v13
	s_delay_alu instid0(VALU_DEP_3) | instskip(NEXT) | instid1(VALU_DEP_2)
	v_fma_f32 v99, -v122, v94, v6
	v_cndmask_b32_e64 v4, 0, v4, s29
	s_delay_alu instid0(VALU_DEP_2) | instskip(SKIP_1) | instid1(VALU_DEP_2)
	v_fmac_f32_e32 v94, v99, v121
	v_fma_f32 v99, -v116, v97, v98
	v_fma_f32 v6, -v122, v94, v6
	s_delay_alu instid0(VALU_DEP_2) | instskip(SKIP_1) | instid1(VALU_DEP_3)
	v_fmac_f32_e32 v97, v99, v96
	v_lshlrev_b32_e32 v99, 16, v7
	v_div_fmas_f32 v6, v6, v121, v94
	v_cmp_ngt_f32_e32 vcc_lo, 0xc2b17218, v16
	s_delay_alu instid0(VALU_DEP_3) | instskip(NEXT) | instid1(VALU_DEP_3)
	v_mul_f32_e32 v100, 0xbfb8aa3b, v99
	v_div_fixup_f32 v6, v6, v10, v15
	v_cndmask_b32_e32 v94, 0x7f800000, v4, vcc_lo
	v_mul_f32_e32 v8, v120, v8
	v_ldexp_f32 v10, v13, v95
	v_fma_f32 v113, 0xbfb8aa3b, v99, -v100
	s_delay_alu instid0(VALU_DEP_4) | instskip(NEXT) | instid1(VALU_DEP_4)
	v_add_f32_e32 v13, 1.0, v94
	v_bfe_u32 v17, v8, 16, 1
	v_cmp_o_f32_e32 vcc_lo, v8, v8
	s_delay_alu instid0(VALU_DEP_4) | instskip(NEXT) | instid1(VALU_DEP_4)
	v_fmac_f32_e32 v113, 0xb2a5705f, v99
	v_div_scale_f32 v15, null, v13, v13, v16
	s_delay_alu instid0(VALU_DEP_4) | instskip(SKIP_1) | instid1(VALU_DEP_2)
	v_add3_u32 v17, v8, v17, 0x7fff
	v_fma_f32 v8, -v116, v97, v98
	v_lshrrev_b32_e32 v17, 16, v17
	s_delay_alu instid0(VALU_DEP_1) | instskip(SKIP_1) | instid1(VALU_DEP_3)
	v_cndmask_b32_e32 v4, 0x7fc0, v17, vcc_lo
	s_mov_b32 vcc_lo, s28
	v_div_fmas_f32 v8, v8, v96, v97
	v_cmp_nlt_f32_e32 vcc_lo, 0x42ce8ed0, v11
	s_delay_alu instid0(VALU_DEP_2) | instskip(SKIP_3) | instid1(VALU_DEP_3)
	v_div_fixup_f32 v5, v8, v12, v5
	v_cndmask_b32_e32 v10, 0, v10, vcc_lo
	v_cmp_ngt_f32_e32 vcc_lo, 0xc2b17218, v11
	v_rcp_f32_e32 v8, v15
	v_mul_f32_e32 v12, v117, v5
	s_delay_alu instid0(VALU_DEP_3)
	v_cndmask_b32_e32 v10, 0x7f800000, v10, vcc_lo
	v_cmp_o_f32_e32 vcc_lo, v9, v9
	v_cndmask_b32_e32 v5, 0x7fc0, v14, vcc_lo
	v_and_b32_e32 v14, 0xffff0000, v7
	s_waitcnt_depctr 0xfff
	v_fma_f32 v94, -v15, v8, 1.0
	v_div_scale_f32 v7, vcc_lo, v16, v13, v16
	v_mul_f32_e32 v96, 0xbfb8aa3b, v14
	s_delay_alu instid0(VALU_DEP_3) | instskip(NEXT) | instid1(VALU_DEP_2)
	v_fmac_f32_e32 v8, v94, v8
	v_fma_f32 v97, 0xbfb8aa3b, v14, -v96
	v_rndne_f32_e32 v98, v96
	s_delay_alu instid0(VALU_DEP_3) | instskip(NEXT) | instid1(VALU_DEP_3)
	v_mul_f32_e32 v105, v7, v8
	v_fmac_f32_e32 v97, 0xb2a5705f, v14
	v_bfe_u32 v17, v12, 16, 1
	s_delay_alu instid0(VALU_DEP_3) | instskip(SKIP_1) | instid1(VALU_DEP_3)
	v_fma_f32 v116, -v15, v105, v7
	v_mul_f32_e32 v6, v118, v6
	v_add3_u32 v17, v12, v17, 0x7fff
	s_delay_alu instid0(VALU_DEP_3) | instskip(NEXT) | instid1(VALU_DEP_3)
	v_fmac_f32_e32 v105, v116, v8
	v_bfe_u32 v9, v6, 16, 1
	v_cmp_o_f32_e64 s29, v6, v6
	s_delay_alu instid0(VALU_DEP_4) | instskip(SKIP_1) | instid1(VALU_DEP_4)
	v_lshrrev_b32_e32 v17, 16, v17
	v_sub_f32_e32 v96, v96, v98
	v_add3_u32 v9, v6, v9, 0x7fff
	v_cvt_i32_f32_e32 v98, v98
	v_fma_f32 v7, -v15, v105, v7
	s_delay_alu instid0(VALU_DEP_4) | instskip(NEXT) | instid1(VALU_DEP_4)
	v_add_f32_e32 v96, v96, v97
	v_lshrrev_b32_e32 v9, 16, v9
	v_rndne_f32_e32 v97, v100
	s_delay_alu instid0(VALU_DEP_4)
	v_div_fmas_f32 v7, v7, v8, v105
	v_cmp_ngt_f32_e32 vcc_lo, 0xc2b17218, v14
	v_exp_f32_e32 v96, v96
	v_cndmask_b32_e64 v6, 0x7fc0, v9, s29
	v_cmp_nlt_f32_e64 s29, 0x42ce8ed0, v14
	v_sub_f32_e32 v100, v100, v97
	v_cvt_i32_f32_e32 v97, v97
	v_div_fixup_f32 v13, v7, v13, v16
	s_delay_alu instid0(VALU_DEP_3) | instskip(NEXT) | instid1(TRANS32_DEP_1)
	v_add_f32_e32 v100, v100, v113
	v_ldexp_f32 v9, v96, v98
	s_delay_alu instid0(VALU_DEP_2) | instskip(NEXT) | instid1(VALU_DEP_1)
	v_exp_f32_e32 v96, v100
	v_cndmask_b32_e64 v9, 0, v9, s29
	s_delay_alu instid0(VALU_DEP_1) | instskip(NEXT) | instid1(VALU_DEP_1)
	v_dual_add_f32 v10, 1.0, v10 :: v_dual_cndmask_b32 v9, 0x7f800000, v9
	v_div_scale_f32 v95, null, v10, v10, v11
	s_waitcnt_depctr 0xfff
	v_ldexp_f32 v8, v96, v97
	v_cmp_nlt_f32_e32 vcc_lo, 0x42ce8ed0, v99
	v_add_f32_e32 v9, 1.0, v9
	v_rcp_f32_e32 v94, v95
	s_delay_alu instid0(VALU_DEP_3) | instskip(SKIP_2) | instid1(VALU_DEP_1)
	v_cndmask_b32_e32 v8, 0, v8, vcc_lo
	s_waitcnt_depctr 0xfff
	v_fma_f32 v108, -v95, v94, 1.0
	v_fmac_f32_e32 v94, v108, v94
	v_div_scale_f32 v108, s28, v11, v10, v11
	s_delay_alu instid0(VALU_DEP_1) | instskip(NEXT) | instid1(VALU_DEP_1)
	s_mov_b32 vcc_lo, s28
	v_mul_f32_e32 v113, v108, v94
	v_div_scale_f32 v16, null, v9, v9, v14
	s_delay_alu instid0(VALU_DEP_2) | instskip(NEXT) | instid1(VALU_DEP_1)
	v_fma_f32 v15, -v95, v113, v108
	v_fmac_f32_e32 v113, v15, v94
	s_delay_alu instid0(VALU_DEP_1) | instskip(NEXT) | instid1(VALU_DEP_1)
	v_fma_f32 v7, -v95, v113, v108
	v_div_fmas_f32 v15, v7, v94, v113
	v_cmp_ngt_f32_e32 vcc_lo, 0xc2b17218, v99
	s_delay_alu instid0(VALU_DEP_2)
	v_div_fixup_f32 v10, v15, v10, v11
	v_cndmask_b32_e32 v8, 0x7f800000, v8, vcc_lo
	v_cmp_o_f32_e32 vcc_lo, v12, v12
	v_mul_f32_e32 v11, v115, v13
	v_rcp_f32_e32 v12, v16
	v_and_b32_e32 v13, 0xffff0000, v0
	v_dual_cndmask_b32 v7, 0x7fc0, v17 :: v_dual_lshlrev_b32 v0, 16, v0
	v_div_scale_f32 v105, vcc_lo, v14, v9, v14
	s_delay_alu instid0(VALU_DEP_3) | instskip(SKIP_3) | instid1(TRANS32_DEP_1)
	v_mul_f32_e32 v94, 0xbfb8aa3b, v13
	v_mul_f32_e32 v10, v114, v10
	v_cmp_nlt_f32_e64 s29, 0x42ce8ed0, v13
	v_bfe_u32 v15, v11, 16, 1
	v_fma_f32 v96, -v16, v12, 1.0
	v_fma_f32 v98, 0xbfb8aa3b, v13, -v94
	v_rndne_f32_e32 v100, v94
	s_delay_alu instid0(VALU_DEP_4) | instskip(NEXT) | instid1(VALU_DEP_4)
	v_add3_u32 v15, v11, v15, 0x7fff
	v_fmac_f32_e32 v12, v96, v12
	s_delay_alu instid0(VALU_DEP_4) | instskip(NEXT) | instid1(VALU_DEP_4)
	v_fmac_f32_e32 v98, 0xb2a5705f, v13
	v_sub_f32_e32 v94, v94, v100
	v_mul_f32_e32 v96, 0xbfb8aa3b, v0
	v_cvt_i32_f32_e32 v100, v100
	v_lshrrev_b32_e32 v15, 16, v15
	s_delay_alu instid0(VALU_DEP_4) | instskip(NEXT) | instid1(VALU_DEP_4)
	v_add_f32_e32 v94, v94, v98
	v_rndne_f32_e32 v98, v96
	v_fma_f32 v113, 0xbfb8aa3b, v0, -v96
	s_delay_alu instid0(VALU_DEP_1) | instskip(SKIP_1) | instid1(VALU_DEP_2)
	v_dual_sub_f32 v96, v96, v98 :: v_dual_fmac_f32 v113, 0xb2a5705f, v0
	v_cvt_i32_f32_e32 v98, v98
	v_add_f32_e32 v96, v96, v113
	s_delay_alu instid0(VALU_DEP_1) | instskip(SKIP_4) | instid1(VALU_DEP_1)
	v_exp_f32_e32 v96, v96
	s_waitcnt_depctr 0xfff
	v_ldexp_f32 v96, v96, v98
	v_and_b32_e32 v98, 0xffff0000, v1
	v_dual_mul_f32 v114, v105, v12 :: v_dual_lshlrev_b32 v1, 16, v1
	v_fma_f32 v113, -v16, v114, v105
	s_delay_alu instid0(VALU_DEP_1) | instskip(NEXT) | instid1(VALU_DEP_1)
	v_fmac_f32_e32 v114, v113, v12
	v_fma_f32 v16, -v16, v114, v105
	s_delay_alu instid0(VALU_DEP_1) | instskip(SKIP_1) | instid1(VALU_DEP_2)
	v_div_fmas_f32 v12, v16, v12, v114
	v_cmp_nlt_f32_e32 vcc_lo, 0x42ce8ed0, v0
	v_div_fixup_f32 v9, v12, v9, v14
	s_delay_alu instid0(VALU_DEP_1) | instskip(NEXT) | instid1(VALU_DEP_1)
	v_dual_add_f32 v8, 1.0, v8 :: v_dual_mul_f32 v9, v112, v9
	v_div_scale_f32 v17, null, v8, v8, v99
	v_mul_f32_e32 v112, 0xbfb8aa3b, v1
	s_delay_alu instid0(VALU_DEP_2) | instskip(NEXT) | instid1(VALU_DEP_1)
	v_rcp_f32_e32 v97, v17
	v_fma_f32 v113, 0xbfb8aa3b, v1, -v112
	s_delay_alu instid0(VALU_DEP_1) | instskip(SKIP_3) | instid1(VALU_DEP_1)
	v_fmac_f32_e32 v113, 0xb2a5705f, v1
	v_exp_f32_e32 v94, v94
	s_waitcnt_depctr 0xfff
	v_fma_f32 v108, -v17, v97, 1.0
	v_fmac_f32_e32 v97, v108, v97
	v_div_scale_f32 v108, s28, v99, v8, v99
	v_ldexp_f32 v94, v94, v100
	s_delay_alu instid0(VALU_DEP_2) | instskip(NEXT) | instid1(VALU_DEP_2)
	v_mul_f32_e32 v115, v108, v97
	v_cndmask_b32_e64 v94, 0, v94, s29
	v_cmp_ngt_f32_e64 s29, 0xc2b17218, v13
	s_delay_alu instid0(VALU_DEP_3) | instskip(NEXT) | instid1(VALU_DEP_2)
	v_fma_f32 v100, -v17, v115, v108
	v_cndmask_b32_e64 v94, 0x7f800000, v94, s29
	v_cmp_nlt_f32_e64 s29, 0x42ce8ed0, v98
	s_delay_alu instid0(VALU_DEP_3) | instskip(NEXT) | instid1(VALU_DEP_3)
	v_dual_fmac_f32 v115, v100, v97 :: v_dual_mul_f32 v100, 0xbfb8aa3b, v98
	v_add_f32_e32 v16, 1.0, v94
	v_cndmask_b32_e32 v94, 0, v96, vcc_lo
	s_delay_alu instid0(VALU_DEP_3) | instskip(SKIP_3) | instid1(VALU_DEP_3)
	v_fma_f32 v17, -v17, v115, v108
	s_mov_b32 vcc_lo, s28
	v_fma_f32 v14, 0xbfb8aa3b, v98, -v100
	v_div_scale_f32 v96, null, v16, v16, v13
	v_div_fmas_f32 v17, v17, v97, v115
	v_cmp_ngt_f32_e32 vcc_lo, 0xc2b17218, v0
	s_delay_alu instid0(VALU_DEP_4) | instskip(NEXT) | instid1(VALU_DEP_4)
	v_fmac_f32_e32 v14, 0xb2a5705f, v98
	v_rcp_f32_e32 v97, v96
	s_delay_alu instid0(VALU_DEP_3) | instskip(SKIP_2) | instid1(VALU_DEP_3)
	v_div_fixup_f32 v8, v17, v8, v99
	v_cndmask_b32_e32 v94, 0x7f800000, v94, vcc_lo
	v_cmp_o_f32_e32 vcc_lo, v11, v11
	v_mul_f32_e32 v8, v111, v8
	s_delay_alu instid0(VALU_DEP_3) | instskip(SKIP_1) | instid1(TRANS32_DEP_1)
	v_dual_add_f32 v12, 1.0, v94 :: v_dual_cndmask_b32 v11, 0x7fc0, v15
	v_rndne_f32_e32 v15, v100
	v_fma_f32 v17, -v96, v97, 1.0
	s_delay_alu instid0(VALU_DEP_2) | instskip(NEXT) | instid1(VALU_DEP_2)
	v_sub_f32_e32 v99, v100, v15
	v_fmac_f32_e32 v97, v17, v97
	v_bfe_u32 v95, v10, 16, 1
	v_cmp_o_f32_e64 s28, v10, v10
	v_cvt_i32_f32_e32 v15, v15
	v_add_f32_e32 v14, v99, v14
	v_div_scale_f32 v99, vcc_lo, v13, v16, v13
	v_add3_u32 v95, v10, v95, 0x7fff
	v_bfe_u32 v100, v8, 16, 1
	s_delay_alu instid0(VALU_DEP_4) | instskip(NEXT) | instid1(VALU_DEP_3)
	v_exp_f32_e32 v14, v14
	v_mul_f32_e32 v105, v99, v97
	v_div_scale_f32 v94, null, v12, v12, v0
	v_lshrrev_b32_e32 v95, 16, v95
	v_add3_u32 v100, v8, v100, 0x7fff
	s_delay_alu instid0(VALU_DEP_4) | instskip(NEXT) | instid1(VALU_DEP_4)
	v_fma_f32 v111, -v96, v105, v99
	v_rcp_f32_e32 v17, v94
	s_delay_alu instid0(VALU_DEP_3) | instskip(NEXT) | instid1(TRANS32_DEP_2)
	v_cndmask_b32_e64 v10, 0x7fc0, v95, s28
	v_ldexp_f32 v14, v14, v15
	v_div_scale_f32 v15, s28, v0, v12, v0
	v_fmac_f32_e32 v105, v111, v97
	v_bfe_u32 v95, v9, 16, 1
	s_delay_alu instid0(VALU_DEP_4) | instskip(SKIP_1) | instid1(TRANS32_DEP_1)
	v_cndmask_b32_e64 v14, 0, v14, s29
	v_cmp_ngt_f32_e64 s29, 0xc2b17218, v98
	v_fma_f32 v108, -v94, v17, 1.0
	v_fma_f32 v96, -v96, v105, v99
	v_add3_u32 v95, v9, v95, 0x7fff
	s_delay_alu instid0(VALU_DEP_4) | instskip(NEXT) | instid1(VALU_DEP_4)
	v_cndmask_b32_e64 v14, 0x7f800000, v14, s29
	v_fmac_f32_e32 v17, v108, v17
	v_rndne_f32_e32 v108, v112
	v_div_fmas_f32 v96, v96, v97, v105
	s_mov_b32 vcc_lo, s28
	v_add_f32_e32 v14, 1.0, v14
	v_mul_f32_e32 v114, v15, v17
	v_sub_f32_e32 v112, v112, v108
	v_div_fixup_f32 v13, v96, v16, v13
	v_lshrrev_b32_e32 v16, 16, v95
	v_cmp_o_f32_e64 s28, v9, v9
	v_fma_f32 v111, -v94, v114, v15
	v_add_f32_e32 v112, v112, v113
	s_delay_alu instid0(VALU_DEP_3) | instskip(NEXT) | instid1(VALU_DEP_3)
	v_cndmask_b32_e64 v9, 0x7fc0, v16, s28
	v_fmac_f32_e32 v114, v111, v17
	s_delay_alu instid0(VALU_DEP_3) | instskip(SKIP_2) | instid1(VALU_DEP_3)
	v_exp_f32_e32 v99, v112
	v_div_scale_f32 v111, null, v14, v14, v98
	v_cmp_o_f32_e64 s28, v8, v8
	v_fma_f32 v15, -v94, v114, v15
	v_cvt_i32_f32_e32 v94, v108
	s_delay_alu instid0(VALU_DEP_4) | instskip(NEXT) | instid1(VALU_DEP_2)
	v_rcp_f32_e32 v97, v111
	v_div_fmas_f32 v15, v15, v17, v114
	s_delay_alu instid0(TRANS32_DEP_2) | instid1(VALU_DEP_2)
	v_ldexp_f32 v17, v99, v94
	v_cmp_nlt_f32_e32 vcc_lo, 0x42ce8ed0, v1
	v_lshrrev_b32_e32 v94, 16, v100
	v_and_b32_e32 v100, 0xffff0000, v2
	v_div_fixup_f32 v0, v15, v12, v0
	v_mul_f32_e32 v12, v110, v13
	v_cndmask_b32_e32 v13, 0, v17, vcc_lo
	v_cmp_ngt_f32_e32 vcc_lo, 0xc2b17218, v1
	v_fma_f32 v15, -v111, v97, 1.0
	v_mul_f32_e32 v0, v109, v0
	v_bfe_u32 v17, v12, 16, 1
	v_cndmask_b32_e64 v8, 0x7fc0, v94, s28
	v_cndmask_b32_e32 v13, 0x7f800000, v13, vcc_lo
	v_fmac_f32_e32 v97, v15, v97
	v_div_scale_f32 v15, vcc_lo, v98, v14, v98
	v_add3_u32 v17, v12, v17, 0x7fff
	s_delay_alu instid0(VALU_DEP_4) | instskip(SKIP_1) | instid1(VALU_DEP_4)
	v_add_f32_e32 v13, 1.0, v13
	v_bfe_u32 v16, v0, 16, 1
	v_mul_f32_e32 v95, v15, v97
	v_cmp_o_f32_e64 s28, v12, v12
	v_lshrrev_b32_e32 v17, 16, v17
	v_div_scale_f32 v96, null, v13, v13, v1
	s_delay_alu instid0(VALU_DEP_4) | instskip(SKIP_1) | instid1(VALU_DEP_4)
	v_fma_f32 v94, -v111, v95, v15
	v_add3_u32 v16, v0, v16, 0x7fff
	v_cndmask_b32_e64 v12, 0x7fc0, v17, s28
	s_delay_alu instid0(VALU_DEP_4) | instskip(SKIP_4) | instid1(VALU_DEP_3)
	v_rcp_f32_e32 v99, v96
	v_cmp_o_f32_e64 s28, v0, v0
	v_fmac_f32_e32 v95, v94, v97
	v_mul_f32_e32 v17, 0xbfb8aa3b, v100
	v_lshrrev_b32_e32 v16, 16, v16
	v_fma_f32 v0, -v111, v95, v15
	s_delay_alu instid0(VALU_DEP_3) | instskip(SKIP_1) | instid1(TRANS32_DEP_1)
	v_fma_f32 v94, 0xbfb8aa3b, v100, -v17
	v_rndne_f32_e32 v105, v17
	v_fma_f32 v15, -v96, v99, 1.0
	v_cndmask_b32_e64 v16, 0x7fc0, v16, s28
	v_div_fmas_f32 v0, v0, v97, v95
	v_div_scale_f32 v95, vcc_lo, v1, v13, v1
	s_delay_alu instid0(VALU_DEP_4) | instskip(SKIP_3) | instid1(VALU_DEP_4)
	v_dual_fmac_f32 v99, v15, v99 :: v_dual_fmac_f32 v94, 0xb2a5705f, v100
	v_sub_f32_e32 v17, v17, v105
	v_cvt_i32_f32_e32 v105, v105
	v_cmp_nlt_f32_e64 s28, 0x42ce8ed0, v100
	v_mul_f32_e32 v97, v95, v99
	v_div_fixup_f32 v0, v0, v14, v98
	v_dual_add_f32 v17, v17, v94 :: v_dual_and_b32 v98, 0xffff0000, v3
	v_lshlrev_b32_e32 v3, 16, v3
	s_delay_alu instid0(VALU_DEP_4) | instskip(NEXT) | instid1(VALU_DEP_4)
	v_fma_f32 v108, -v96, v97, v95
	v_mul_f32_e32 v0, v107, v0
	s_delay_alu instid0(VALU_DEP_4) | instskip(SKIP_1) | instid1(VALU_DEP_3)
	v_exp_f32_e32 v17, v17
	v_mul_f32_e32 v109, 0xbfb8aa3b, v98
	v_fmac_f32_e32 v97, v108, v99
	s_delay_alu instid0(VALU_DEP_2) | instskip(NEXT) | instid1(VALU_DEP_2)
	v_rndne_f32_e32 v108, v109
	v_fma_f32 v95, -v96, v97, v95
	s_waitcnt_depctr 0xfff
	v_ldexp_f32 v17, v17, v105
	v_mul_f32_e32 v105, 0xbfb8aa3b, v3
	v_div_fmas_f32 v95, v95, v99, v97
	s_delay_alu instid0(VALU_DEP_3) | instskip(SKIP_1) | instid1(VALU_DEP_4)
	v_cndmask_b32_e64 v17, 0, v17, s28
	v_cmp_ngt_f32_e64 s28, 0xc2b17218, v100
	v_rndne_f32_e32 v110, v105
	s_delay_alu instid0(VALU_DEP_4)
	v_div_fixup_f32 v1, v95, v13, v1
	v_lshlrev_b32_e32 v2, 16, v2
	v_fma_f32 v111, 0xbfb8aa3b, v3, -v105
	v_cndmask_b32_e64 v17, 0x7f800000, v17, s28
	v_sub_f32_e32 v105, v105, v110
	v_mul_f32_e32 v1, v106, v1
	v_mul_f32_e32 v15, 0xbfb8aa3b, v2
	v_fmac_f32_e32 v111, 0xb2a5705f, v3
	v_add_f32_e32 v17, 1.0, v17
	v_cmp_nlt_f32_e64 s28, 0x42ce8ed0, v2
	v_bfe_u32 v116, v1, 16, 1
	v_rndne_f32_e32 v14, v15
	v_fma_f32 v94, 0xbfb8aa3b, v2, -v15
	v_div_scale_f32 v99, vcc_lo, v100, v17, v100
	s_delay_alu instid0(VALU_DEP_3) | instskip(NEXT) | instid1(VALU_DEP_3)
	v_sub_f32_e32 v15, v15, v14
	v_fmac_f32_e32 v94, 0xb2a5705f, v2
	v_cvt_i32_f32_e32 v14, v14
	s_delay_alu instid0(VALU_DEP_2) | instskip(SKIP_2) | instid1(VALU_DEP_3)
	v_add_f32_e32 v15, v15, v94
	v_fma_f32 v94, 0xbfb8aa3b, v98, -v109
	v_sub_f32_e32 v109, v109, v108
	v_exp_f32_e32 v15, v15
	s_delay_alu instid0(VALU_DEP_2)
	v_fmac_f32_e32 v94, 0xb2a5705f, v98
	s_waitcnt_depctr 0xfff
	v_ldexp_f32 v14, v15, v14
	v_add_f32_e32 v15, v109, v94
	v_add_f32_e32 v94, v105, v111
	v_cvt_i32_f32_e32 v105, v108
	v_div_scale_f32 v108, null, v17, v17, v100
	v_cvt_i32_f32_e32 v109, v110
	s_delay_alu instid0(VALU_DEP_4) | instskip(SKIP_1) | instid1(VALU_DEP_2)
	v_exp_f32_e32 v94, v94
	v_exp_f32_e32 v15, v15
	v_rcp_f32_e32 v96, v108
	v_cndmask_b32_e64 v14, 0, v14, s28
	v_cmp_ngt_f32_e64 s28, 0xc2b17218, v2
	s_delay_alu instid0(VALU_DEP_1) | instskip(NEXT) | instid1(TRANS32_DEP_3)
	v_cndmask_b32_e64 v14, 0x7f800000, v14, s28
	v_ldexp_f32 v94, v94, v109
	s_waitcnt_depctr 0xfff
	v_ldexp_f32 v15, v15, v105
	v_fma_f32 v109, -v108, v96, 1.0
	s_delay_alu instid0(VALU_DEP_1) | instskip(NEXT) | instid1(VALU_DEP_1)
	v_fmac_f32_e32 v96, v109, v96
	v_mul_f32_e32 v13, v99, v96
	s_delay_alu instid0(VALU_DEP_1) | instskip(NEXT) | instid1(VALU_DEP_1)
	v_fma_f32 v113, -v108, v13, v99
	v_fmac_f32_e32 v13, v113, v96
	v_cmp_nlt_f32_e64 s28, 0x42ce8ed0, v98
	s_delay_alu instid0(VALU_DEP_2) | instskip(NEXT) | instid1(VALU_DEP_2)
	v_fma_f32 v99, -v108, v13, v99
	v_cndmask_b32_e64 v15, 0, v15, s28
	v_cmp_nlt_f32_e64 s28, 0x42ce8ed0, v3
	s_delay_alu instid0(VALU_DEP_1) | instskip(SKIP_1) | instid1(VALU_DEP_1)
	v_cndmask_b32_e64 v94, 0, v94, s28
	v_cmp_ngt_f32_e64 s28, 0xc2b17218, v98
	v_cndmask_b32_e64 v15, 0x7f800000, v15, s28
	v_cmp_ngt_f32_e64 s28, 0xc2b17218, v3
	s_delay_alu instid0(VALU_DEP_2) | instskip(NEXT) | instid1(VALU_DEP_2)
	v_add_f32_e32 v15, 1.0, v15
	v_cndmask_b32_e64 v94, 0x7f800000, v94, s28
	s_delay_alu instid0(VALU_DEP_2) | instskip(NEXT) | instid1(VALU_DEP_2)
	v_div_scale_f32 v97, null, v15, v15, v98
	v_add_f32_e32 v94, 1.0, v94
	s_delay_alu instid0(VALU_DEP_2) | instskip(NEXT) | instid1(VALU_DEP_1)
	v_rcp_f32_e32 v111, v97
	v_div_scale_f32 v112, null, v94, v94, v3
	s_delay_alu instid0(VALU_DEP_1) | instskip(SKIP_2) | instid1(VALU_DEP_1)
	v_rcp_f32_e32 v95, v112
	s_waitcnt_depctr 0xfff
	v_fma_f32 v115, -v112, v95, 1.0
	v_fmac_f32_e32 v95, v115, v95
	v_div_scale_f32 v115, s30, v3, v94, v3
	v_add_f32_e32 v14, 1.0, v14
	s_delay_alu instid0(VALU_DEP_1) | instskip(SKIP_1) | instid1(VALU_DEP_2)
	v_div_scale_f32 v105, null, v14, v14, v2
	v_div_scale_f32 v107, s28, v2, v14, v2
	v_rcp_f32_e32 v110, v105
	s_waitcnt_depctr 0xfff
	v_fma_f32 v109, -v105, v110, 1.0
	s_delay_alu instid0(VALU_DEP_1) | instskip(SKIP_1) | instid1(VALU_DEP_1)
	v_fmac_f32_e32 v110, v109, v110
	v_fma_f32 v109, -v97, v111, 1.0
	v_dual_mul_f32 v114, v107, v110 :: v_dual_fmac_f32 v111, v109, v111
	v_div_scale_f32 v109, s29, v98, v15, v98
	s_delay_alu instid0(VALU_DEP_2) | instskip(NEXT) | instid1(VALU_DEP_2)
	v_fma_f32 v113, -v105, v114, v107
	v_mul_f32_e32 v117, v109, v111
	s_delay_alu instid0(VALU_DEP_2) | instskip(NEXT) | instid1(VALU_DEP_2)
	v_dual_fmac_f32 v114, v113, v110 :: v_dual_mul_f32 v113, v115, v95
	v_fma_f32 v108, -v97, v117, v109
	s_delay_alu instid0(VALU_DEP_1) | instskip(SKIP_1) | instid1(VALU_DEP_4)
	v_fmac_f32_e32 v117, v108, v111
	v_div_fmas_f32 v13, v99, v96, v13
	v_fma_f32 v96, -v105, v114, v107
	s_mov_b32 vcc_lo, s28
	v_fma_f32 v99, -v112, v113, v115
	s_delay_alu instid0(VALU_DEP_3)
	v_div_fixup_f32 v13, v13, v17, v100
	v_fma_f32 v17, -v97, v117, v109
	v_div_fmas_f32 v96, v96, v110, v114
	s_mov_b32 vcc_lo, s29
	v_fmac_f32_e32 v113, v99, v95
	v_mul_f32_e32 v13, v103, v13
	v_div_fmas_f32 v17, v17, v111, v117
	v_div_fixup_f32 v2, v96, v14, v2
	s_mov_b32 vcc_lo, s30
	v_fma_f32 v14, -v112, v113, v115
	v_add3_u32 v99, v1, v116, 0x7fff
	v_div_fixup_f32 v15, v17, v15, v98
	v_mul_f32_e32 v2, v102, v2
	v_bfe_u32 v17, v13, 16, 1
	v_div_fmas_f32 v14, v14, v95, v113
	s_delay_alu instid0(VALU_DEP_4) | instskip(SKIP_2) | instid1(VALU_DEP_4)
	v_mul_f32_e32 v15, v104, v15
	v_bfe_u32 v106, v0, 16, 1
	v_cmp_o_f32_e32 vcc_lo, v0, v0
	v_div_fixup_f32 v3, v14, v94, v3
	v_lshrrev_b32_e32 v14, 16, v99
	v_bfe_u32 v94, v2, 16, 1
	v_add3_u32 v106, v0, v106, 0x7fff
	v_add3_u32 v0, v13, v17, 0x7fff
	v_mul_f32_e32 v3, v101, v3
	s_delay_alu instid0(VALU_DEP_4) | instskip(NEXT) | instid1(VALU_DEP_4)
	v_add3_u32 v17, v2, v94, 0x7fff
	v_lshrrev_b32_e32 v95, 16, v106
	v_bfe_u32 v94, v15, 16, 1
	v_lshrrev_b32_e32 v0, 16, v0
	v_bfe_u32 v96, v3, 16, 1
	v_lshrrev_b32_e32 v17, 16, v17
	v_cndmask_b32_e32 v95, 0x7fc0, v95, vcc_lo
	v_cmp_o_f32_e32 vcc_lo, v1, v1
	v_add3_u32 v1, v15, v94, 0x7fff
	v_add3_u32 v94, v3, v96, 0x7fff
	v_cndmask_b32_e32 v14, 0x7fc0, v14, vcc_lo
	v_cmp_o_f32_e32 vcc_lo, v13, v13
	v_cndmask_b32_e32 v13, 0x7fc0, v0, vcc_lo
	v_cmp_o_f32_e32 vcc_lo, v2, v2
	v_lshrrev_b32_e32 v0, 16, v1
	v_lshrrev_b32_e32 v1, 16, v94
	v_perm_b32 v2, v11, v10, 0x5040100
	v_cndmask_b32_e32 v17, 0x7fc0, v17, vcc_lo
	v_cmp_o_f32_e32 vcc_lo, v15, v15
	v_cndmask_b32_e32 v15, 0x7fc0, v0, vcc_lo
	v_cmp_o_f32_e32 vcc_lo, v3, v3
	v_perm_b32 v3, v9, v8, 0x5040100
	v_perm_b32 v0, v4, v5, 0x5040100
	;; [unrolled: 1-line block ×4, first 2 shown]
	v_cndmask_b32_e32 v94, 0x7fc0, v1, vcc_lo
	v_perm_b32 v1, v6, v7, 0x5040100
	v_perm_b32 v6, v13, v17, 0x5040100
	s_delay_alu instid0(VALU_DEP_3)
	v_perm_b32 v7, v15, v94, 0x5040100
	ds_store_b128 v52, v[0:3]
	ds_store_b128 v52, v[4:7] offset:16
	; wave barrier
	ds_load_u16 v16, v37 offset:64
	ds_load_u16 v15, v38 offset:128
	;; [unrolled: 1-line block ×15, first 2 shown]
	v_add_co_u32 v0, vcc_lo, v76, s34
	v_add_co_ci_u32_e32 v1, vcc_lo, s35, v77, vcc_lo
	s_and_saveexec_b32 s28, s12
	s_cbranch_execnz .LBB20_284
; %bb.252:                              ;   in Loop: Header=BB20_12 Depth=1
	s_or_b32 exec_lo, exec_lo, s28
	s_and_saveexec_b32 s12, s13
	s_cbranch_execnz .LBB20_285
.LBB20_253:                             ;   in Loop: Header=BB20_12 Depth=1
	s_or_b32 exec_lo, exec_lo, s12
	s_and_saveexec_b32 s12, s14
	s_cbranch_execnz .LBB20_286
.LBB20_254:                             ;   in Loop: Header=BB20_12 Depth=1
	s_or_b32 exec_lo, exec_lo, s12
	s_and_saveexec_b32 s12, s15
	s_cbranch_execnz .LBB20_287
.LBB20_255:                             ;   in Loop: Header=BB20_12 Depth=1
	s_or_b32 exec_lo, exec_lo, s12
	s_and_saveexec_b32 s12, s16
	s_cbranch_execnz .LBB20_288
.LBB20_256:                             ;   in Loop: Header=BB20_12 Depth=1
	s_or_b32 exec_lo, exec_lo, s12
	s_and_saveexec_b32 s12, s17
	s_cbranch_execnz .LBB20_289
.LBB20_257:                             ;   in Loop: Header=BB20_12 Depth=1
	s_or_b32 exec_lo, exec_lo, s12
	s_and_saveexec_b32 s12, s18
	s_cbranch_execnz .LBB20_290
.LBB20_258:                             ;   in Loop: Header=BB20_12 Depth=1
	s_or_b32 exec_lo, exec_lo, s12
	s_and_saveexec_b32 s12, s19
	s_cbranch_execnz .LBB20_291
.LBB20_259:                             ;   in Loop: Header=BB20_12 Depth=1
	s_or_b32 exec_lo, exec_lo, s12
	s_and_saveexec_b32 s12, s20
	s_cbranch_execnz .LBB20_292
.LBB20_260:                             ;   in Loop: Header=BB20_12 Depth=1
	s_or_b32 exec_lo, exec_lo, s12
	s_and_saveexec_b32 s12, s21
	s_cbranch_execnz .LBB20_293
.LBB20_261:                             ;   in Loop: Header=BB20_12 Depth=1
	s_or_b32 exec_lo, exec_lo, s12
	s_and_saveexec_b32 s12, s22
	s_cbranch_execnz .LBB20_294
.LBB20_262:                             ;   in Loop: Header=BB20_12 Depth=1
	s_or_b32 exec_lo, exec_lo, s12
	s_and_saveexec_b32 s12, s23
	s_cbranch_execnz .LBB20_295
.LBB20_263:                             ;   in Loop: Header=BB20_12 Depth=1
	s_or_b32 exec_lo, exec_lo, s12
	s_and_saveexec_b32 s12, s24
	s_cbranch_execnz .LBB20_296
.LBB20_264:                             ;   in Loop: Header=BB20_12 Depth=1
	s_or_b32 exec_lo, exec_lo, s12
	s_and_saveexec_b32 s12, s25
	s_cbranch_execnz .LBB20_297
.LBB20_265:                             ;   in Loop: Header=BB20_12 Depth=1
	s_or_b32 exec_lo, exec_lo, s12
	s_and_saveexec_b32 s12, s26
	s_cbranch_execnz .LBB20_298
.LBB20_266:                             ;   in Loop: Header=BB20_12 Depth=1
	s_or_b32 exec_lo, exec_lo, s12
	s_and_saveexec_b32 s12, s27
	s_cbranch_execz .LBB20_11
	s_branch .LBB20_299
.LBB20_267:                             ;   in Loop: Header=BB20_12 Depth=1
	global_load_u16 v101, v[8:9], off offset:832
	s_or_b32 exec_lo, exec_lo, s28
	s_and_saveexec_b32 s28, s26
	s_cbranch_execz .LBB20_72
.LBB20_268:                             ;   in Loop: Header=BB20_12 Depth=1
	global_load_u16 v100, v[8:9], off offset:896
	s_or_b32 exec_lo, exec_lo, s28
	v_mov_b32_e32 v102, 0
	s_and_saveexec_b32 s28, s27
	s_cbranch_execnz .LBB20_73
	s_branch .LBB20_74
.LBB20_269:                             ;   in Loop: Header=BB20_12 Depth=1
	ds_load_u16 v17, v37
	s_waitcnt lgkmcnt(0)
	global_store_b16 v[0:1], v17, off
	s_or_b32 exec_lo, exec_lo, s28
	s_and_saveexec_b32 s28, s13
	s_cbranch_execz .LBB20_204
.LBB20_270:                             ;   in Loop: Header=BB20_12 Depth=1
	s_waitcnt lgkmcnt(14)
	global_store_b16 v[0:1], v16, off offset:64
	s_or_b32 exec_lo, exec_lo, s28
	s_and_saveexec_b32 s28, s14
	s_cbranch_execz .LBB20_205
.LBB20_271:                             ;   in Loop: Header=BB20_12 Depth=1
	s_waitcnt lgkmcnt(13)
	global_store_b16 v[0:1], v15, off offset:128
	s_or_b32 exec_lo, exec_lo, s28
	s_and_saveexec_b32 s28, s15
	s_cbranch_execz .LBB20_206
.LBB20_272:                             ;   in Loop: Header=BB20_12 Depth=1
	s_waitcnt lgkmcnt(12)
	global_store_b16 v[0:1], v14, off offset:192
	s_or_b32 exec_lo, exec_lo, s28
	s_and_saveexec_b32 s28, s16
	s_cbranch_execz .LBB20_207
.LBB20_273:                             ;   in Loop: Header=BB20_12 Depth=1
	s_waitcnt lgkmcnt(11)
	global_store_b16 v[0:1], v13, off offset:256
	s_or_b32 exec_lo, exec_lo, s28
	s_and_saveexec_b32 s28, s17
	s_cbranch_execz .LBB20_208
.LBB20_274:                             ;   in Loop: Header=BB20_12 Depth=1
	s_waitcnt lgkmcnt(10)
	global_store_b16 v[0:1], v12, off offset:320
	s_or_b32 exec_lo, exec_lo, s28
	s_and_saveexec_b32 s28, s18
	s_cbranch_execz .LBB20_209
.LBB20_275:                             ;   in Loop: Header=BB20_12 Depth=1
	s_waitcnt lgkmcnt(9)
	global_store_b16 v[0:1], v11, off offset:384
	s_or_b32 exec_lo, exec_lo, s28
	s_and_saveexec_b32 s28, s19
	s_cbranch_execz .LBB20_210
.LBB20_276:                             ;   in Loop: Header=BB20_12 Depth=1
	s_waitcnt lgkmcnt(8)
	global_store_b16 v[0:1], v10, off offset:448
	s_or_b32 exec_lo, exec_lo, s28
	s_and_saveexec_b32 s28, s20
	s_cbranch_execz .LBB20_211
.LBB20_277:                             ;   in Loop: Header=BB20_12 Depth=1
	s_waitcnt lgkmcnt(7)
	global_store_b16 v[0:1], v9, off offset:512
	s_or_b32 exec_lo, exec_lo, s28
	s_and_saveexec_b32 s28, s21
	s_cbranch_execz .LBB20_212
.LBB20_278:                             ;   in Loop: Header=BB20_12 Depth=1
	s_waitcnt lgkmcnt(6)
	global_store_b16 v[0:1], v8, off offset:576
	s_or_b32 exec_lo, exec_lo, s28
	s_and_saveexec_b32 s28, s22
	s_cbranch_execz .LBB20_213
.LBB20_279:                             ;   in Loop: Header=BB20_12 Depth=1
	s_waitcnt lgkmcnt(5)
	global_store_b16 v[0:1], v7, off offset:640
	s_or_b32 exec_lo, exec_lo, s28
	s_and_saveexec_b32 s28, s23
	s_cbranch_execz .LBB20_214
.LBB20_280:                             ;   in Loop: Header=BB20_12 Depth=1
	s_waitcnt lgkmcnt(4)
	global_store_b16 v[0:1], v6, off offset:704
	s_or_b32 exec_lo, exec_lo, s28
	s_and_saveexec_b32 s28, s24
	s_cbranch_execz .LBB20_215
.LBB20_281:                             ;   in Loop: Header=BB20_12 Depth=1
	s_waitcnt lgkmcnt(3)
	global_store_b16 v[0:1], v5, off offset:768
	s_or_b32 exec_lo, exec_lo, s28
	s_and_saveexec_b32 s28, s25
	s_cbranch_execz .LBB20_216
.LBB20_282:                             ;   in Loop: Header=BB20_12 Depth=1
	s_waitcnt lgkmcnt(2)
	global_store_b16 v[0:1], v4, off offset:832
	s_or_b32 exec_lo, exec_lo, s28
	s_and_saveexec_b32 s28, s26
	s_cbranch_execz .LBB20_217
.LBB20_283:                             ;   in Loop: Header=BB20_12 Depth=1
	s_waitcnt lgkmcnt(1)
	global_store_b16 v[0:1], v3, off offset:896
	s_or_b32 exec_lo, exec_lo, s28
	s_and_saveexec_b32 s28, s27
	s_cbranch_execnz .LBB20_218
	s_branch .LBB20_219
.LBB20_284:                             ;   in Loop: Header=BB20_12 Depth=1
	ds_load_u16 v17, v37
	s_waitcnt lgkmcnt(0)
	global_store_b16 v[0:1], v17, off
	s_or_b32 exec_lo, exec_lo, s28
	s_and_saveexec_b32 s12, s13
	s_cbranch_execz .LBB20_253
.LBB20_285:                             ;   in Loop: Header=BB20_12 Depth=1
	s_waitcnt lgkmcnt(14)
	global_store_b16 v[0:1], v16, off offset:64
	s_or_b32 exec_lo, exec_lo, s12
	s_and_saveexec_b32 s12, s14
	s_cbranch_execz .LBB20_254
.LBB20_286:                             ;   in Loop: Header=BB20_12 Depth=1
	s_waitcnt lgkmcnt(13)
	global_store_b16 v[0:1], v15, off offset:128
	s_or_b32 exec_lo, exec_lo, s12
	s_and_saveexec_b32 s12, s15
	s_cbranch_execz .LBB20_255
.LBB20_287:                             ;   in Loop: Header=BB20_12 Depth=1
	s_waitcnt lgkmcnt(12)
	global_store_b16 v[0:1], v14, off offset:192
	s_or_b32 exec_lo, exec_lo, s12
	s_and_saveexec_b32 s12, s16
	s_cbranch_execz .LBB20_256
.LBB20_288:                             ;   in Loop: Header=BB20_12 Depth=1
	s_waitcnt lgkmcnt(11)
	global_store_b16 v[0:1], v13, off offset:256
	s_or_b32 exec_lo, exec_lo, s12
	s_and_saveexec_b32 s12, s17
	s_cbranch_execz .LBB20_257
.LBB20_289:                             ;   in Loop: Header=BB20_12 Depth=1
	s_waitcnt lgkmcnt(10)
	global_store_b16 v[0:1], v12, off offset:320
	s_or_b32 exec_lo, exec_lo, s12
	s_and_saveexec_b32 s12, s18
	s_cbranch_execz .LBB20_258
.LBB20_290:                             ;   in Loop: Header=BB20_12 Depth=1
	s_waitcnt lgkmcnt(9)
	global_store_b16 v[0:1], v11, off offset:384
	s_or_b32 exec_lo, exec_lo, s12
	s_and_saveexec_b32 s12, s19
	s_cbranch_execz .LBB20_259
.LBB20_291:                             ;   in Loop: Header=BB20_12 Depth=1
	s_waitcnt lgkmcnt(8)
	global_store_b16 v[0:1], v10, off offset:448
	s_or_b32 exec_lo, exec_lo, s12
	s_and_saveexec_b32 s12, s20
	s_cbranch_execz .LBB20_260
.LBB20_292:                             ;   in Loop: Header=BB20_12 Depth=1
	s_waitcnt lgkmcnt(7)
	global_store_b16 v[0:1], v9, off offset:512
	s_or_b32 exec_lo, exec_lo, s12
	s_and_saveexec_b32 s12, s21
	s_cbranch_execz .LBB20_261
.LBB20_293:                             ;   in Loop: Header=BB20_12 Depth=1
	s_waitcnt lgkmcnt(6)
	global_store_b16 v[0:1], v8, off offset:576
	s_or_b32 exec_lo, exec_lo, s12
	s_and_saveexec_b32 s12, s22
	s_cbranch_execz .LBB20_262
.LBB20_294:                             ;   in Loop: Header=BB20_12 Depth=1
	s_waitcnt lgkmcnt(5)
	global_store_b16 v[0:1], v7, off offset:640
	s_or_b32 exec_lo, exec_lo, s12
	s_and_saveexec_b32 s12, s23
	s_cbranch_execz .LBB20_263
.LBB20_295:                             ;   in Loop: Header=BB20_12 Depth=1
	s_waitcnt lgkmcnt(4)
	global_store_b16 v[0:1], v6, off offset:704
	s_or_b32 exec_lo, exec_lo, s12
	s_and_saveexec_b32 s12, s24
	s_cbranch_execz .LBB20_264
.LBB20_296:                             ;   in Loop: Header=BB20_12 Depth=1
	s_waitcnt lgkmcnt(3)
	global_store_b16 v[0:1], v5, off offset:768
	s_or_b32 exec_lo, exec_lo, s12
	s_and_saveexec_b32 s12, s25
	s_cbranch_execz .LBB20_265
.LBB20_297:                             ;   in Loop: Header=BB20_12 Depth=1
	s_waitcnt lgkmcnt(2)
	global_store_b16 v[0:1], v4, off offset:832
	s_or_b32 exec_lo, exec_lo, s12
	s_and_saveexec_b32 s12, s26
	s_cbranch_execz .LBB20_266
.LBB20_298:                             ;   in Loop: Header=BB20_12 Depth=1
	s_waitcnt lgkmcnt(1)
	global_store_b16 v[0:1], v3, off offset:896
	s_or_b32 exec_lo, exec_lo, s12
	s_and_saveexec_b32 s12, s27
	s_cbranch_execz .LBB20_11
.LBB20_299:                             ;   in Loop: Header=BB20_12 Depth=1
	s_waitcnt lgkmcnt(0)
	global_store_b16 v[0:1], v2, off offset:960
	s_branch .LBB20_11
.LBB20_300:
	s_nop 0
	s_sendmsg sendmsg(MSG_DEALLOC_VGPRS)
	s_endpgm
	.section	.rodata,"a",@progbits
	.p2align	6, 0x0
	.amdhsa_kernel _Z25selective_scan_fwd_kernelI32Selective_Scan_fwd_kernel_traitsILi64ELi16ELi1ELb0ELb1ELb1ELb1ELb1EN3c108BFloat16EfS2_EEv13SSMParamsBase
		.amdhsa_group_segment_fixed_size 0
		.amdhsa_private_segment_fixed_size 0
		.amdhsa_kernarg_size 248
		.amdhsa_user_sgpr_count 14
		.amdhsa_user_sgpr_dispatch_ptr 0
		.amdhsa_user_sgpr_queue_ptr 0
		.amdhsa_user_sgpr_kernarg_segment_ptr 1
		.amdhsa_user_sgpr_dispatch_id 0
		.amdhsa_user_sgpr_private_segment_size 0
		.amdhsa_wavefront_size32 1
		.amdhsa_uses_dynamic_stack 0
		.amdhsa_enable_private_segment 0
		.amdhsa_system_sgpr_workgroup_id_x 1
		.amdhsa_system_sgpr_workgroup_id_y 1
		.amdhsa_system_sgpr_workgroup_id_z 0
		.amdhsa_system_sgpr_workgroup_info 0
		.amdhsa_system_vgpr_workitem_id 0
		.amdhsa_next_free_vgpr 176
		.amdhsa_next_free_sgpr 92
		.amdhsa_reserve_vcc 1
		.amdhsa_float_round_mode_32 0
		.amdhsa_float_round_mode_16_64 0
		.amdhsa_float_denorm_mode_32 3
		.amdhsa_float_denorm_mode_16_64 3
		.amdhsa_dx10_clamp 1
		.amdhsa_ieee_mode 1
		.amdhsa_fp16_overflow 0
		.amdhsa_workgroup_processor_mode 1
		.amdhsa_memory_ordered 1
		.amdhsa_forward_progress 0
		.amdhsa_shared_vgpr_count 0
		.amdhsa_exception_fp_ieee_invalid_op 0
		.amdhsa_exception_fp_denorm_src 0
		.amdhsa_exception_fp_ieee_div_zero 0
		.amdhsa_exception_fp_ieee_overflow 0
		.amdhsa_exception_fp_ieee_underflow 0
		.amdhsa_exception_fp_ieee_inexact 0
		.amdhsa_exception_int_div_zero 0
	.end_amdhsa_kernel
	.section	.text._Z25selective_scan_fwd_kernelI32Selective_Scan_fwd_kernel_traitsILi64ELi16ELi1ELb0ELb1ELb1ELb1ELb1EN3c108BFloat16EfS2_EEv13SSMParamsBase,"axG",@progbits,_Z25selective_scan_fwd_kernelI32Selective_Scan_fwd_kernel_traitsILi64ELi16ELi1ELb0ELb1ELb1ELb1ELb1EN3c108BFloat16EfS2_EEv13SSMParamsBase,comdat
.Lfunc_end20:
	.size	_Z25selective_scan_fwd_kernelI32Selective_Scan_fwd_kernel_traitsILi64ELi16ELi1ELb0ELb1ELb1ELb1ELb1EN3c108BFloat16EfS2_EEv13SSMParamsBase, .Lfunc_end20-_Z25selective_scan_fwd_kernelI32Selective_Scan_fwd_kernel_traitsILi64ELi16ELi1ELb0ELb1ELb1ELb1ELb1EN3c108BFloat16EfS2_EEv13SSMParamsBase
                                        ; -- End function
	.section	.AMDGPU.csdata,"",@progbits
; Kernel info:
; codeLenInByte = 27012
; NumSgprs: 94
; NumVgprs: 176
; ScratchSize: 0
; MemoryBound: 0
; FloatMode: 240
; IeeeMode: 1
; LDSByteSize: 0 bytes/workgroup (compile time only)
; SGPRBlocks: 11
; VGPRBlocks: 21
; NumSGPRsForWavesPerEU: 94
; NumVGPRsForWavesPerEU: 176
; Occupancy: 8
; WaveLimiterHint : 1
; COMPUTE_PGM_RSRC2:SCRATCH_EN: 0
; COMPUTE_PGM_RSRC2:USER_SGPR: 14
; COMPUTE_PGM_RSRC2:TRAP_HANDLER: 0
; COMPUTE_PGM_RSRC2:TGID_X_EN: 1
; COMPUTE_PGM_RSRC2:TGID_Y_EN: 1
; COMPUTE_PGM_RSRC2:TGID_Z_EN: 0
; COMPUTE_PGM_RSRC2:TIDIG_COMP_CNT: 0
	.section	.text._Z25selective_scan_fwd_kernelI32Selective_Scan_fwd_kernel_traitsILi64ELi16ELi1ELb0ELb1ELb1ELb1ELb0EN3c108BFloat16EfS2_EEv13SSMParamsBase,"axG",@progbits,_Z25selective_scan_fwd_kernelI32Selective_Scan_fwd_kernel_traitsILi64ELi16ELi1ELb0ELb1ELb1ELb1ELb0EN3c108BFloat16EfS2_EEv13SSMParamsBase,comdat
	.protected	_Z25selective_scan_fwd_kernelI32Selective_Scan_fwd_kernel_traitsILi64ELi16ELi1ELb0ELb1ELb1ELb1ELb0EN3c108BFloat16EfS2_EEv13SSMParamsBase ; -- Begin function _Z25selective_scan_fwd_kernelI32Selective_Scan_fwd_kernel_traitsILi64ELi16ELi1ELb0ELb1ELb1ELb1ELb0EN3c108BFloat16EfS2_EEv13SSMParamsBase
	.globl	_Z25selective_scan_fwd_kernelI32Selective_Scan_fwd_kernel_traitsILi64ELi16ELi1ELb0ELb1ELb1ELb1ELb0EN3c108BFloat16EfS2_EEv13SSMParamsBase
	.p2align	8
	.type	_Z25selective_scan_fwd_kernelI32Selective_Scan_fwd_kernel_traitsILi64ELi16ELi1ELb0ELb1ELb1ELb1ELb0EN3c108BFloat16EfS2_EEv13SSMParamsBase,@function
_Z25selective_scan_fwd_kernelI32Selective_Scan_fwd_kernel_traitsILi64ELi16ELi1ELb0ELb1ELb1ELb1ELb0EN3c108BFloat16EfS2_EEv13SSMParamsBase: ; @_Z25selective_scan_fwd_kernelI32Selective_Scan_fwd_kernel_traitsILi64ELi16ELi1ELb0ELb1ELb1ELb1ELb0EN3c108BFloat16EfS2_EEv13SSMParamsBase
; %bb.0:
	s_clause 0x1
	s_load_b32 s9, s[0:1], 0x18
	s_load_b128 s[4:7], s[0:1], 0xe8
	s_mov_b32 s12, s15
	s_mov_b32 s47, 0
	s_waitcnt lgkmcnt(0)
	s_abs_i32 s8, s9
	s_cmp_eq_u64 s[6:7], 0
	v_cvt_f32_u32_e32 v1, s8
	s_delay_alu instid0(VALU_DEP_1) | instskip(SKIP_2) | instid1(VALU_DEP_1)
	v_rcp_iflag_f32_e32 v1, v1
	s_waitcnt_depctr 0xfff
	v_mul_f32_e32 v1, 0x4f7ffffe, v1
	v_cvt_u32_f32_e32 v1, v1
	s_delay_alu instid0(VALU_DEP_1)
	v_readfirstlane_b32 s10, v1
	s_cbranch_scc1 .LBB21_2
; %bb.1:
	v_mov_b32_e32 v1, 0
	s_ashr_i32 s3, s14, 31
	s_add_u32 s2, s6, s14
	s_addc_u32 s3, s7, s3
	global_load_u8 v1, v1, s[2:3]
	s_waitcnt vmcnt(0)
	v_and_b32_e32 v1, 1, v1
	s_delay_alu instid0(VALU_DEP_1)
	v_cmp_eq_u32_e64 s47, 1, v1
.LBB21_2:
	s_load_b64 s[6:7], s[0:1], 0x20
	s_cmp_eq_u64 s[4:5], 0
	s_cbranch_scc1 .LBB21_4
; %bb.3:
	s_ashr_i32 s15, s14, 31
	s_delay_alu instid0(SALU_CYCLE_1) | instskip(NEXT) | instid1(SALU_CYCLE_1)
	s_lshl_b64 s[2:3], s[14:15], 2
	s_add_u32 s2, s4, s2
	s_addc_u32 s3, s5, s3
	s_load_b32 s2, s[2:3], 0x0
	s_waitcnt lgkmcnt(0)
	s_ashr_i32 s3, s2, 31
	s_delay_alu instid0(SALU_CYCLE_1)
	s_cmp_eq_u64 s[6:7], s[2:3]
	s_cbranch_scc0 .LBB21_5
	s_branch .LBB21_300
.LBB21_4:
	s_mov_b32 s2, s14
	s_delay_alu instid0(SALU_CYCLE_1)
	s_ashr_i32 s3, s2, 31
	s_waitcnt lgkmcnt(0)
	s_cmp_eq_u64 s[6:7], s[2:3]
	s_cbranch_scc1 .LBB21_300
.LBB21_5:
	s_clause 0x1
	s_load_b512 s[16:31], s[0:1], 0x88
	s_load_b64 s[64:65], s[0:1], 0x8
	s_mov_b32 s68, 0
	s_mov_b32 s69, 0
	s_waitcnt lgkmcnt(0)
	s_cmp_eq_u64 s[22:23], 0
	s_cbranch_scc1 .LBB21_7
; %bb.6:
	s_ashr_i32 s13, s12, 31
	s_delay_alu instid0(SALU_CYCLE_1) | instskip(NEXT) | instid1(SALU_CYCLE_1)
	s_lshl_b64 s[4:5], s[12:13], 2
	s_add_u32 s4, s22, s4
	s_addc_u32 s5, s23, s5
	s_load_b32 s69, s[4:5], 0x0
.LBB21_7:
	s_cmp_eq_u64 s[28:29], 0
	s_cbranch_scc1 .LBB21_9
; %bb.8:
	s_ashr_i32 s13, s12, 31
	s_delay_alu instid0(SALU_CYCLE_1) | instskip(NEXT) | instid1(SALU_CYCLE_1)
	s_lshl_b64 s[4:5], s[12:13], 2
	s_add_u32 s4, s28, s4
	s_addc_u32 s5, s29, s5
	s_load_b32 s68, s[4:5], 0x0
.LBB21_9:
	s_cmp_lt_i32 s64, 1
	s_cbranch_scc1 .LBB21_300
; %bb.10:
	s_sub_i32 s3, 0, s8
	s_load_b256 s[48:55], s[0:1], 0x4c
	s_mul_i32 s3, s3, s10
	s_abs_i32 s4, s12
	s_mul_hi_u32 s3, s10, s3
	s_ashr_i32 s6, s9, 31
	s_add_i32 s10, s10, s3
	s_ashr_i32 s3, s12, 31
	s_mul_hi_u32 s5, s4, s10
	s_xor_b32 s3, s3, s6
	s_mul_i32 s7, s5, s8
	s_add_i32 s6, s5, 1
	s_sub_i32 s4, s4, s7
	s_load_b256 s[56:63], s[0:1], 0x2c
	s_sub_i32 s7, s4, s8
	s_cmp_ge_u32 s4, s8
	s_mov_b32 s67, 0
	s_cselect_b32 s5, s6, s5
	s_cselect_b32 s4, s7, s4
	s_add_i32 s6, s5, 1
	s_cmp_ge_u32 s4, s8
	s_waitcnt lgkmcnt(0)
	s_mul_i32 s66, s50, s14
	s_cselect_b32 s6, s6, s5
	s_lshl_b64 s[4:5], s[66:67], 1
	s_xor_b32 s6, s6, s3
	s_mul_i32 s66, s51, s12
	s_sub_i32 s3, s6, s3
	s_add_u32 s6, s24, s4
	s_addc_u32 s7, s25, s5
	s_lshl_b64 s[4:5], s[66:67], 1
	s_mul_i32 s66, s52, s14
	s_add_u32 s63, s6, s4
	s_addc_u32 s70, s7, s5
	s_lshl_b64 s[4:5], s[66:67], 1
	s_mul_i32 s66, s53, s12
	;; [unrolled: 4-line block ×4, first 2 shown]
	s_load_b64 s[6:7], s[0:1], 0x7c
	s_add_u32 s72, s16, s4
	s_addc_u32 s73, s17, s5
	s_lshl_b64 s[4:5], s[66:67], 1
	v_dual_mov_b32 v21, 0 :: v_dual_lshlrev_b32 v18, 4, v0
	s_mul_i32 s66, s3, s61
	s_load_b128 s[24:27], s[0:1], 0xc8
	s_add_u32 s8, s18, s4
	s_addc_u32 s9, s19, s5
	s_lshl_b64 s[4:5], s[66:67], 1
	s_mul_i32 s66, s62, s14
	s_add_u32 s61, s8, s4
	v_mbcnt_lo_u32_b32 v19, -1, 0
	v_and_b32_e32 v1, 0x200, v18
	s_addc_u32 s62, s9, s5
	s_lshl_b64 s[4:5], s[66:67], 1
	s_load_b128 s[16:19], s[0:1], 0x6c
	s_add_u32 s8, s20, s4
	s_mul_i32 s66, s3, s49
	s_addc_u32 s3, s21, s5
	s_clause 0x2
	s_load_b32 s49, s[0:1], 0x84
	s_load_b64 s[20:21], s[0:1], 0xd8
	s_load_b32 s0, s[0:1], 0x28
	v_or_b32_e32 v20, v19, v1
	v_and_b32_e32 v14, 32, v0
	s_lshl_b64 s[4:5], s[66:67], 1
	s_waitcnt lgkmcnt(0)
	s_mul_i32 s66, s2, s6
	s_add_u32 s74, s8, s4
	v_or_b32_e32 v24, 0x60, v20
	s_addc_u32 s75, s3, s5
	s_lshl_b64 s[2:3], s[66:67], 1
	v_or_b32_e32 v26, 0xa0, v20
	v_or_b32_e32 v28, 0xe0, v20
	;; [unrolled: 1-line block ×5, first 2 shown]
	v_lshrrev_b32_e32 v2, 5, v24
	v_or_b32_e32 v36, 0x1e0, v20
	v_or_b32_e32 v16, v19, v14
	s_mul_i32 s66, s7, s12
	s_add_u32 s4, s24, s2
	s_addc_u32 s5, s25, s3
	s_lshl_b64 s[2:3], s[66:67], 1
	v_or_b32_e32 v23, 64, v20
	s_add_u32 s76, s4, s2
	v_or_b32_e32 v25, 0x80, v20
	v_or_b32_e32 v27, 0xc0, v20
	;; [unrolled: 1-line block ×6, first 2 shown]
	v_and_b32_e32 v2, 18, v2
	v_lshrrev_b32_e32 v5, 5, v26
	v_lshrrev_b32_e32 v8, 5, v28
	;; [unrolled: 1-line block ×6, first 2 shown]
	v_lshrrev_b16 v50, 1, v16
	s_addc_u32 s77, s5, s3
	s_add_i32 s2, s64, 0x7ff
	v_lshrrev_b32_e32 v3, 5, v1
	s_lshr_b32 s78, s2, 11
	s_bitcmp1_b32 s0, 0
	v_lshrrev_b32_e32 v4, 5, v23
	v_lshrrev_b32_e32 v6, 5, v25
	v_add_lshl_u32 v2, v2, v20, 1
	v_and_b32_e32 v5, 20, v5
	v_lshrrev_b32_e32 v7, 5, v27
	v_and_b32_e32 v8, 22, v8
	v_lshrrev_b32_e32 v10, 5, v29
	;; [unrolled: 2-line block ×5, first 2 shown]
	v_and_b32_e32 v51, 30, v49
	v_lshlrev_b32_e32 v16, 4, v16
	v_and_b32_e32 v52, 30, v50
	s_cselect_b32 s79, -1, 0
	s_cmp_gt_i32 s65, 0
	v_add_lshl_u32 v3, v3, v20, 1
	s_cselect_b32 s80, -1, 0
	s_add_i32 s0, 0, 0x840
	v_add_lshl_u32 v4, v4, v20, 1
	v_add_lshl_u32 v6, v6, v20, 1
	v_add_nc_u32_e32 v39, 0, v2
	v_add_lshl_u32 v5, v5, v20, 1
	v_add_lshl_u32 v7, v7, v20, 1
	;; [unrolled: 1-line block ×12, first 2 shown]
	v_add_nc_u32_e32 v55, s0, v2
	v_and_b32_e32 v2, 15, v19
	s_and_b32 s1, s64, 0x3ff
	v_add_nc_u32_e32 v51, 0, v67
	v_add_nc_u32_e32 v53, s0, v3
	;; [unrolled: 1-line block ×15, first 2 shown]
	s_cmp_eq_u32 s1, 0
	v_add_nc_u32_e32 v68, s0, v16
	v_cmp_ne_u32_e64 s0, 0, v2
	v_cmp_lt_u32_e64 s1, 1, v2
	v_cmp_lt_u32_e64 s2, 3, v2
	;; [unrolled: 1-line block ×3, first 2 shown]
	v_add_nc_u32_e32 v2, -1, v19
	v_add_nc_u32_e32 v37, 0, v3
	v_lshrrev_b32_e32 v3, 2, v0
	s_mul_i32 s66, s16, s14
	v_add_nc_u32_e32 v41, 0, v5
	s_cselect_b32 s81, -1, 0
	v_or_b32_e32 v5, 31, v14
	v_cmp_gt_i32_e32 vcc_lo, 0, v2
	s_lshl_b64 s[22:23], s[66:67], 1
	s_add_i32 s82, s78, -1
	s_mul_i32 s66, s17, s12
	v_and_b32_e32 v3, 8, v3
	v_cndmask_b32_e32 v2, v2, v19, vcc_lo
	s_add_u32 s13, s30, s22
	s_addc_u32 s15, s31, s23
	s_lshl_b64 s[16:17], s[66:67], 1
	s_mul_i32 s66, s54, s14
	v_cmp_eq_u32_e64 s5, v5, v0
	v_cmp_gt_u32_e64 s6, 2, v0
	v_lshl_add_u32 v70, v0, 3, 0
	v_cmp_gt_u32_e64 s8, 32, v0
	v_cmp_lt_u32_e64 s9, 31, v0
	v_cmp_eq_u32_e64 s10, 0, v0
	s_add_u32 s13, s13, s16
	v_lshlrev_b32_e32 v0, 1, v19
	s_addc_u32 s15, s15, s17
	s_lshl_b64 s[16:17], s[66:67], 1
	v_add_nc_u32_e32 v38, 0, v4
	v_and_b32_e32 v4, 16, v19
	v_add_nc_u32_e32 v69, 0, v3
	v_and_b32_e32 v3, 1, v19
	s_mul_i32 s66, s55, s12
	s_add_u32 s22, s26, s16
	s_addc_u32 s23, s27, s17
	s_lshl_b64 s[16:17], s[66:67], 1
	v_lshlrev_b32_e32 v71, 2, v2
	v_add_co_u32 v2, s13, s13, v0
	s_mul_i32 s66, s18, s14
	s_add_u32 s16, s22, s16
	v_cmp_ne_u32_e64 s4, 0, v4
	v_cmp_eq_u32_e64 s7, 0, v3
	v_add_co_ci_u32_e64 v3, null, s15, 0, s13
	s_addc_u32 s17, s23, s17
	s_lshl_b64 s[14:15], s[66:67], 1
	v_lshlrev_b32_e32 v4, 1, v1
	s_mul_i32 s66, s19, s12
	s_add_u32 s14, s20, s14
	s_addc_u32 s15, s21, s15
	s_lshl_b64 s[12:13], s[66:67], 1
	v_add_co_u32 v72, vcc_lo, v2, v4
	s_add_u32 s12, s14, s12
	v_add_co_u32 v2, s14, s16, v0
	v_add_co_ci_u32_e32 v73, vcc_lo, 0, v3, vcc_lo
	v_add_co_ci_u32_e64 v3, null, s17, 0, s14
	s_addc_u32 s13, s15, s13
	v_add_co_u32 v0, s12, s12, v0
	s_delay_alu instid0(VALU_DEP_1) | instskip(SKIP_2) | instid1(VALU_DEP_4)
	v_add_co_ci_u32_e64 v5, null, s13, 0, s12
	v_add_co_u32 v74, vcc_lo, v2, v4
	v_add_co_ci_u32_e32 v75, vcc_lo, 0, v3, vcc_lo
	v_add_co_u32 v76, vcc_lo, v0, v4
	v_or_b32_e32 v22, 32, v20
	v_add_nc_u32_e32 v40, 0, v6
	v_add_nc_u32_e32 v42, 0, v7
	;; [unrolled: 1-line block ×11, first 2 shown]
	v_cmp_eq_u32_e64 s11, 0, v19
	v_add_co_ci_u32_e32 v77, vcc_lo, 0, v5, vcc_lo
	v_or_b32_e32 v78, 1, v18
	v_or_b32_e32 v79, 2, v18
	v_or_b32_e32 v80, 3, v18
	v_or_b32_e32 v81, 4, v18
	v_or_b32_e32 v82, 5, v18
	v_or_b32_e32 v83, 6, v18
	v_or_b32_e32 v84, 7, v18
	v_or_b32_e32 v85, 8, v18
	v_or_b32_e32 v86, 9, v18
	v_or_b32_e32 v87, 10, v18
	v_or_b32_e32 v88, 11, v18
	v_or_b32_e32 v89, 12, v18
	v_or_b32_e32 v90, 13, v18
	v_or_b32_e32 v91, 14, v18
	v_or_b32_e32 v92, 15, v18
	v_lshlrev_b32_e32 v93, 1, v1
	s_mov_b32 s83, 0x3e9b6dac
	s_add_i32 s84, 0, 0x1090
	s_mov_b32 s85, 0
	s_branch .LBB21_12
.LBB21_11:                              ;   in Loop: Header=BB21_12 Depth=1
	s_or_b32 exec_lo, exec_lo, s12
	s_add_u32 s71, s71, 0x800
	s_addc_u32 s56, s56, 0
	s_add_u32 s63, s63, 0x800
	s_addc_u32 s70, s70, 0
	;; [unrolled: 2-line block ×4, first 2 shown]
	s_add_i32 s85, s85, 1
	s_delay_alu instid0(SALU_CYCLE_1)
	s_cmp_lg_u32 s85, s78
	s_cbranch_scc0 .LBB21_300
.LBB21_12:                              ; =>This Loop Header: Depth=1
                                        ;     Child Loop BB21_109 Depth 2
	s_waitcnt lgkmcnt(14)
	v_lshlrev_b32_e32 v16, 1, v19
	s_lshl_b32 s50, s85, 10
	s_waitcnt lgkmcnt(0)
	v_mov_b32_e32 v2, 0
	s_sub_i32 s40, s64, s50
	v_add_co_u32 v0, s12, s63, v16
	s_delay_alu instid0(VALU_DEP_1) | instskip(SKIP_1) | instid1(VALU_DEP_3)
	v_add_co_ci_u32_e64 v1, null, s70, 0, s12
	v_cmp_gt_u32_e64 s12, s40, v20
	v_add_co_u32 v0, vcc_lo, v0, v93
	s_delay_alu instid0(VALU_DEP_3)
	v_add_co_ci_u32_e32 v1, vcc_lo, 0, v1, vcc_lo
	s_waitcnt_vscnt null, 0x0
	s_barrier
	buffer_gl0_inv
	s_and_saveexec_b32 s13, s12
	s_cbranch_execz .LBB21_14
; %bb.13:                               ;   in Loop: Header=BB21_12 Depth=1
	global_load_u16 v2, v[0:1], off
.LBB21_14:                              ;   in Loop: Header=BB21_12 Depth=1
	s_or_b32 exec_lo, exec_lo, s13
	v_cmp_gt_u32_e64 s13, s40, v22
	v_dual_mov_b32 v3, 0 :: v_dual_mov_b32 v4, 0
	s_delay_alu instid0(VALU_DEP_2)
	s_and_saveexec_b32 s14, s13
	s_cbranch_execz .LBB21_16
; %bb.15:                               ;   in Loop: Header=BB21_12 Depth=1
	global_load_u16 v4, v[0:1], off offset:64
.LBB21_16:                              ;   in Loop: Header=BB21_12 Depth=1
	s_or_b32 exec_lo, exec_lo, s14
	v_cmp_gt_u32_e64 s14, s40, v23
	s_delay_alu instid0(VALU_DEP_1)
	s_and_saveexec_b32 s15, s14
	s_cbranch_execz .LBB21_18
; %bb.17:                               ;   in Loop: Header=BB21_12 Depth=1
	global_load_u16 v3, v[0:1], off offset:128
.LBB21_18:                              ;   in Loop: Header=BB21_12 Depth=1
	s_or_b32 exec_lo, exec_lo, s15
	v_cmp_gt_u32_e64 s15, s40, v24
	v_dual_mov_b32 v5, 0 :: v_dual_mov_b32 v6, 0
	s_delay_alu instid0(VALU_DEP_2)
	s_and_saveexec_b32 s16, s15
	s_cbranch_execz .LBB21_20
; %bb.19:                               ;   in Loop: Header=BB21_12 Depth=1
	global_load_u16 v6, v[0:1], off offset:192
.LBB21_20:                              ;   in Loop: Header=BB21_12 Depth=1
	s_or_b32 exec_lo, exec_lo, s16
	v_cmp_gt_u32_e64 s16, s40, v25
	s_delay_alu instid0(VALU_DEP_1)
	s_and_saveexec_b32 s17, s16
	s_cbranch_execz .LBB21_22
; %bb.21:                               ;   in Loop: Header=BB21_12 Depth=1
	global_load_u16 v5, v[0:1], off offset:256
.LBB21_22:                              ;   in Loop: Header=BB21_12 Depth=1
	;; [unrolled: 17-line block ×3, first 2 shown]
	s_or_b32 exec_lo, exec_lo, s19
	v_cmp_gt_u32_e64 s19, s40, v28
	v_mov_b32_e32 v9, 0
	v_mov_b32_e32 v11, 0
	s_delay_alu instid0(VALU_DEP_3)
	s_and_saveexec_b32 s20, s19
	s_cbranch_execz .LBB21_28
; %bb.27:                               ;   in Loop: Header=BB21_12 Depth=1
	global_load_u16 v11, v[0:1], off offset:448
.LBB21_28:                              ;   in Loop: Header=BB21_12 Depth=1
	s_or_b32 exec_lo, exec_lo, s20
	v_cmp_gt_u32_e64 s20, s40, v29
	s_delay_alu instid0(VALU_DEP_1)
	s_and_saveexec_b32 s21, s20
	s_cbranch_execz .LBB21_30
; %bb.29:                               ;   in Loop: Header=BB21_12 Depth=1
	global_load_u16 v9, v[0:1], off offset:512
.LBB21_30:                              ;   in Loop: Header=BB21_12 Depth=1
	s_or_b32 exec_lo, exec_lo, s21
	v_cmp_gt_u32_e64 s21, s40, v30
	v_dual_mov_b32 v12, 0 :: v_dual_mov_b32 v13, 0
	s_delay_alu instid0(VALU_DEP_2)
	s_and_saveexec_b32 s22, s21
	s_cbranch_execz .LBB21_32
; %bb.31:                               ;   in Loop: Header=BB21_12 Depth=1
	global_load_u16 v13, v[0:1], off offset:576
.LBB21_32:                              ;   in Loop: Header=BB21_12 Depth=1
	s_or_b32 exec_lo, exec_lo, s22
	v_cmp_gt_u32_e64 s22, s40, v31
	s_delay_alu instid0(VALU_DEP_1)
	s_and_saveexec_b32 s23, s22
	s_cbranch_execz .LBB21_34
; %bb.33:                               ;   in Loop: Header=BB21_12 Depth=1
	global_load_u16 v12, v[0:1], off offset:640
.LBB21_34:                              ;   in Loop: Header=BB21_12 Depth=1
	s_or_b32 exec_lo, exec_lo, s23
	v_cmp_gt_u32_e64 s23, s40, v32
	v_dual_mov_b32 v14, 0 :: v_dual_mov_b32 v15, 0
	s_delay_alu instid0(VALU_DEP_2)
	;; [unrolled: 17-line block ×4, first 2 shown]
	s_and_saveexec_b32 s28, s27
	s_cbranch_execz .LBB21_44
; %bb.43:                               ;   in Loop: Header=BB21_12 Depth=1
	global_load_u16 v95, v[0:1], off offset:960
.LBB21_44:                              ;   in Loop: Header=BB21_12 Depth=1
	s_or_b32 exec_lo, exec_lo, s28
	s_waitcnt vmcnt(0)
	ds_store_b16 v37, v2
	ds_store_b16 v37, v4 offset:64
	ds_store_b16 v38, v3 offset:128
	;; [unrolled: 1-line block ×15, first 2 shown]
	; wave barrier
	ds_load_b128 v[0:3], v52
	ds_load_b128 v[4:7], v52 offset:16
	v_add_co_u32 v8, s28, s71, v16
	s_delay_alu instid0(VALU_DEP_1) | instskip(SKIP_1) | instid1(VALU_DEP_2)
	v_add_co_ci_u32_e64 v9, null, s56, 0, s28
	s_waitcnt lgkmcnt(0)
	v_add_co_u32 v8, vcc_lo, v8, v93
	s_delay_alu instid0(VALU_DEP_2)
	v_add_co_ci_u32_e32 v9, vcc_lo, 0, v9, vcc_lo
	s_barrier
	buffer_gl0_inv
	s_and_saveexec_b32 s28, s12
	s_cbranch_execz .LBB21_46
; %bb.45:                               ;   in Loop: Header=BB21_12 Depth=1
	global_load_u16 v10, v[8:9], off
.LBB21_46:                              ;   in Loop: Header=BB21_12 Depth=1
	s_or_b32 exec_lo, exec_lo, s28
	v_dual_mov_b32 v11, 0 :: v_dual_mov_b32 v12, 0
	s_and_saveexec_b32 s28, s13
	s_cbranch_execz .LBB21_48
; %bb.47:                               ;   in Loop: Header=BB21_12 Depth=1
	global_load_u16 v12, v[8:9], off offset:64
.LBB21_48:                              ;   in Loop: Header=BB21_12 Depth=1
	s_or_b32 exec_lo, exec_lo, s28
	s_and_saveexec_b32 s28, s14
	s_cbranch_execz .LBB21_50
; %bb.49:                               ;   in Loop: Header=BB21_12 Depth=1
	global_load_u16 v11, v[8:9], off offset:128
.LBB21_50:                              ;   in Loop: Header=BB21_12 Depth=1
	s_or_b32 exec_lo, exec_lo, s28
	v_dual_mov_b32 v13, 0 :: v_dual_mov_b32 v14, 0
	s_and_saveexec_b32 s28, s15
	s_cbranch_execz .LBB21_52
; %bb.51:                               ;   in Loop: Header=BB21_12 Depth=1
	global_load_u16 v14, v[8:9], off offset:192
.LBB21_52:                              ;   in Loop: Header=BB21_12 Depth=1
	s_or_b32 exec_lo, exec_lo, s28
	s_and_saveexec_b32 s28, s16
	s_cbranch_execz .LBB21_54
; %bb.53:                               ;   in Loop: Header=BB21_12 Depth=1
	global_load_u16 v13, v[8:9], off offset:256
.LBB21_54:                              ;   in Loop: Header=BB21_12 Depth=1
	s_or_b32 exec_lo, exec_lo, s28
	v_mov_b32_e32 v15, 0
	v_mov_b32_e32 v17, 0
	s_and_saveexec_b32 s28, s17
	s_cbranch_execz .LBB21_56
; %bb.55:                               ;   in Loop: Header=BB21_12 Depth=1
	global_load_u16 v17, v[8:9], off offset:320
.LBB21_56:                              ;   in Loop: Header=BB21_12 Depth=1
	s_or_b32 exec_lo, exec_lo, s28
	s_and_saveexec_b32 s28, s18
	s_cbranch_execz .LBB21_58
; %bb.57:                               ;   in Loop: Header=BB21_12 Depth=1
	global_load_u16 v15, v[8:9], off offset:384
.LBB21_58:                              ;   in Loop: Header=BB21_12 Depth=1
	s_or_b32 exec_lo, exec_lo, s28
	v_dual_mov_b32 v94, 0 :: v_dual_mov_b32 v95, 0
	s_and_saveexec_b32 s28, s19
	s_cbranch_execz .LBB21_60
; %bb.59:                               ;   in Loop: Header=BB21_12 Depth=1
	global_load_u16 v95, v[8:9], off offset:448
.LBB21_60:                              ;   in Loop: Header=BB21_12 Depth=1
	s_or_b32 exec_lo, exec_lo, s28
	s_and_saveexec_b32 s28, s20
	s_cbranch_execz .LBB21_62
; %bb.61:                               ;   in Loop: Header=BB21_12 Depth=1
	global_load_u16 v94, v[8:9], off offset:512
.LBB21_62:                              ;   in Loop: Header=BB21_12 Depth=1
	s_or_b32 exec_lo, exec_lo, s28
	v_dual_mov_b32 v96, 0 :: v_dual_mov_b32 v97, 0
	;; [unrolled: 13-line block ×4, first 2 shown]
	s_and_saveexec_b32 s28, s25
	s_cbranch_execnz .LBB21_267
; %bb.71:                               ;   in Loop: Header=BB21_12 Depth=1
	s_or_b32 exec_lo, exec_lo, s28
	s_and_saveexec_b32 s28, s26
	s_cbranch_execnz .LBB21_268
.LBB21_72:                              ;   in Loop: Header=BB21_12 Depth=1
	s_or_b32 exec_lo, exec_lo, s28
	v_mov_b32_e32 v102, 0
	s_and_saveexec_b32 s28, s27
	s_cbranch_execz .LBB21_74
.LBB21_73:                              ;   in Loop: Header=BB21_12 Depth=1
	global_load_u16 v102, v[8:9], off offset:960
.LBB21_74:                              ;   in Loop: Header=BB21_12 Depth=1
	s_or_b32 exec_lo, exec_lo, s28
	s_waitcnt vmcnt(0)
	ds_store_b16 v37, v10
	ds_store_b16 v37, v12 offset:64
	ds_store_b16 v38, v11 offset:128
	;; [unrolled: 1-line block ×15, first 2 shown]
	; wave barrier
	ds_load_b128 v[12:15], v52
	ds_load_b128 v[8:11], v52 offset:16
	s_waitcnt lgkmcnt(1)
	v_lshlrev_b32_e32 v17, 16, v12
	s_delay_alu instid0(VALU_DEP_1) | instskip(NEXT) | instid1(VALU_DEP_1)
	v_add_f32_e32 v94, s68, v17
	v_cmp_ge_f32_e32 vcc_lo, 0x41a00000, v94
	s_and_b32 s28, s79, vcc_lo
	s_delay_alu instid0(SALU_CYCLE_1)
	s_and_saveexec_b32 s29, s28
	s_cbranch_execz .LBB21_76
; %bb.75:                               ;   in Loop: Header=BB21_12 Depth=1
	v_mul_f32_e32 v17, 0x3fb8aa3b, v94
	v_cmp_ngt_f32_e32 vcc_lo, 0xc2ce8ed0, v94
	s_delay_alu instid0(VALU_DEP_2) | instskip(SKIP_1) | instid1(VALU_DEP_1)
	v_rndne_f32_e32 v95, v17
	v_fma_f32 v96, 0x3fb8aa3b, v94, -v17
	v_dual_sub_f32 v17, v17, v95 :: v_dual_fmac_f32 v96, 0x32a5705f, v94
	v_cvt_i32_f32_e32 v95, v95
	s_delay_alu instid0(VALU_DEP_2) | instskip(NEXT) | instid1(VALU_DEP_1)
	v_add_f32_e32 v17, v17, v96
	v_exp_f32_e32 v17, v17
	s_waitcnt_depctr 0xfff
	v_ldexp_f32 v17, v17, v95
	s_delay_alu instid0(VALU_DEP_1) | instskip(SKIP_1) | instid1(VALU_DEP_2)
	v_cndmask_b32_e32 v17, 0, v17, vcc_lo
	v_cmp_nlt_f32_e32 vcc_lo, 0x42b17218, v94
	v_cndmask_b32_e32 v17, 0x7f800000, v17, vcc_lo
	s_delay_alu instid0(VALU_DEP_1) | instskip(NEXT) | instid1(VALU_DEP_1)
	v_add_f32_e32 v96, 1.0, v17
	v_cvt_f64_f32_e32 v[94:95], v96
	s_delay_alu instid0(VALU_DEP_1) | instskip(SKIP_1) | instid1(VALU_DEP_1)
	v_frexp_exp_i32_f64_e32 v94, v[94:95]
	v_frexp_mant_f32_e32 v95, v96
	v_cmp_gt_f32_e32 vcc_lo, 0x3f2aaaab, v95
	v_add_f32_e32 v95, -1.0, v96
	s_delay_alu instid0(VALU_DEP_1) | instskip(NEXT) | instid1(VALU_DEP_1)
	v_dual_sub_f32 v98, v95, v96 :: v_dual_sub_f32 v95, v17, v95
	v_add_f32_e32 v98, 1.0, v98
	v_subrev_co_ci_u32_e32 v94, vcc_lo, 0, v94, vcc_lo
	s_delay_alu instid0(VALU_DEP_1) | instskip(SKIP_1) | instid1(VALU_DEP_2)
	v_sub_nc_u32_e32 v97, 0, v94
	v_cvt_f32_i32_e32 v94, v94
	v_ldexp_f32 v96, v96, v97
	v_add_f32_e32 v95, v95, v98
	s_delay_alu instid0(VALU_DEP_1) | instskip(NEXT) | instid1(VALU_DEP_3)
	v_ldexp_f32 v95, v95, v97
	v_add_f32_e32 v99, 1.0, v96
	s_delay_alu instid0(VALU_DEP_1) | instskip(NEXT) | instid1(VALU_DEP_1)
	v_add_f32_e32 v98, -1.0, v99
	v_sub_f32_e32 v98, v96, v98
	v_cmp_eq_f32_e32 vcc_lo, 0x7f800000, v17
	v_cmp_gt_f32_e64 s28, 0x33800000, v17
	s_delay_alu instid0(VALU_DEP_3) | instskip(NEXT) | instid1(VALU_DEP_2)
	v_dual_add_f32 v98, v95, v98 :: v_dual_add_f32 v97, -1.0, v96
	s_or_b32 vcc_lo, s28, vcc_lo
	s_delay_alu instid0(VALU_DEP_1) | instskip(NEXT) | instid1(VALU_DEP_1)
	v_add_f32_e32 v100, 1.0, v97
	v_sub_f32_e32 v96, v96, v100
	s_delay_alu instid0(VALU_DEP_3) | instskip(NEXT) | instid1(VALU_DEP_1)
	v_add_f32_e32 v100, v99, v98
	v_sub_f32_e32 v99, v99, v100
	s_delay_alu instid0(VALU_DEP_3) | instskip(SKIP_1) | instid1(VALU_DEP_2)
	v_add_f32_e32 v95, v95, v96
	v_rcp_f32_e32 v96, v100
	v_add_f32_e32 v98, v98, v99
	s_delay_alu instid0(VALU_DEP_2) | instskip(NEXT) | instid1(VALU_DEP_1)
	v_add_f32_e32 v101, v97, v95
	v_sub_f32_e32 v97, v97, v101
	s_waitcnt_depctr 0xfff
	v_dual_mul_f32 v102, v101, v96 :: v_dual_add_f32 v95, v95, v97
	s_delay_alu instid0(VALU_DEP_1) | instskip(NEXT) | instid1(VALU_DEP_1)
	v_mul_f32_e32 v103, v100, v102
	v_fma_f32 v99, v102, v100, -v103
	s_delay_alu instid0(VALU_DEP_1) | instskip(NEXT) | instid1(VALU_DEP_1)
	v_fmac_f32_e32 v99, v102, v98
	v_add_f32_e32 v104, v103, v99
	s_delay_alu instid0(VALU_DEP_1) | instskip(NEXT) | instid1(VALU_DEP_1)
	v_sub_f32_e32 v105, v101, v104
	v_sub_f32_e32 v101, v101, v105
	;; [unrolled: 1-line block ×3, first 2 shown]
	s_delay_alu instid0(VALU_DEP_2) | instskip(NEXT) | instid1(VALU_DEP_2)
	v_sub_f32_e32 v101, v101, v104
	v_sub_f32_e32 v97, v97, v99
	s_delay_alu instid0(VALU_DEP_2) | instskip(NEXT) | instid1(VALU_DEP_1)
	v_add_f32_e32 v95, v95, v101
	v_add_f32_e32 v95, v97, v95
	s_delay_alu instid0(VALU_DEP_1) | instskip(NEXT) | instid1(VALU_DEP_1)
	v_add_f32_e32 v97, v105, v95
	v_mul_f32_e32 v99, v96, v97
	s_delay_alu instid0(VALU_DEP_1) | instskip(NEXT) | instid1(VALU_DEP_1)
	v_dual_sub_f32 v104, v105, v97 :: v_dual_mul_f32 v101, v100, v99
	v_add_f32_e32 v95, v95, v104
	s_delay_alu instid0(VALU_DEP_2) | instskip(NEXT) | instid1(VALU_DEP_1)
	v_fma_f32 v100, v99, v100, -v101
	v_fmac_f32_e32 v100, v99, v98
	s_delay_alu instid0(VALU_DEP_1) | instskip(NEXT) | instid1(VALU_DEP_1)
	v_add_f32_e32 v98, v101, v100
	v_sub_f32_e32 v103, v97, v98
	v_sub_f32_e32 v101, v98, v101
	s_delay_alu instid0(VALU_DEP_2) | instskip(NEXT) | instid1(VALU_DEP_1)
	v_sub_f32_e32 v97, v97, v103
	v_sub_f32_e32 v97, v97, v98
	s_delay_alu instid0(VALU_DEP_1) | instskip(SKIP_1) | instid1(VALU_DEP_1)
	v_dual_sub_f32 v98, v101, v100 :: v_dual_add_f32 v95, v95, v97
	v_add_f32_e32 v97, v102, v99
	v_dual_add_f32 v95, v98, v95 :: v_dual_sub_f32 v98, v97, v102
	s_delay_alu instid0(VALU_DEP_1) | instskip(NEXT) | instid1(VALU_DEP_1)
	v_add_f32_e32 v95, v103, v95
	v_dual_sub_f32 v98, v99, v98 :: v_dual_mul_f32 v95, v96, v95
	s_delay_alu instid0(VALU_DEP_1) | instskip(NEXT) | instid1(VALU_DEP_1)
	v_add_f32_e32 v95, v98, v95
	v_add_f32_e32 v96, v97, v95
	s_delay_alu instid0(VALU_DEP_1) | instskip(NEXT) | instid1(VALU_DEP_1)
	v_mul_f32_e32 v98, v96, v96
	v_fmaak_f32 v99, s83, v98, 0x3ecc95a3
	v_mul_f32_e32 v100, v96, v98
	s_delay_alu instid0(VALU_DEP_2) | instskip(SKIP_2) | instid1(VALU_DEP_3)
	v_fmaak_f32 v98, v98, v99, 0x3f2aaada
	v_ldexp_f32 v99, v96, 1
	v_sub_f32_e32 v96, v96, v97
	v_mul_f32_e32 v98, v100, v98
	s_delay_alu instid0(VALU_DEP_2) | instskip(NEXT) | instid1(VALU_DEP_2)
	v_dual_mul_f32 v100, 0x3f317218, v94 :: v_dual_sub_f32 v95, v95, v96
	v_add_f32_e32 v97, v99, v98
	s_delay_alu instid0(VALU_DEP_2) | instskip(NEXT) | instid1(VALU_DEP_2)
	v_ldexp_f32 v95, v95, 1
	v_sub_f32_e32 v96, v97, v99
	s_delay_alu instid0(VALU_DEP_4) | instskip(NEXT) | instid1(VALU_DEP_1)
	v_fma_f32 v99, 0x3f317218, v94, -v100
	v_dual_sub_f32 v96, v98, v96 :: v_dual_fmac_f32 v99, 0xb102e308, v94
	s_delay_alu instid0(VALU_DEP_1) | instskip(NEXT) | instid1(VALU_DEP_1)
	v_dual_add_f32 v94, v95, v96 :: v_dual_add_f32 v95, v100, v99
	v_add_f32_e32 v96, v97, v94
	s_delay_alu instid0(VALU_DEP_2) | instskip(NEXT) | instid1(VALU_DEP_2)
	v_sub_f32_e32 v100, v95, v100
	v_dual_add_f32 v98, v95, v96 :: v_dual_sub_f32 v97, v96, v97
	s_delay_alu instid0(VALU_DEP_2) | instskip(NEXT) | instid1(VALU_DEP_2)
	v_sub_f32_e32 v99, v99, v100
	v_sub_f32_e32 v101, v98, v95
	s_delay_alu instid0(VALU_DEP_3) | instskip(NEXT) | instid1(VALU_DEP_2)
	v_sub_f32_e32 v94, v94, v97
	v_sub_f32_e32 v102, v98, v101
	s_delay_alu instid0(VALU_DEP_2) | instskip(NEXT) | instid1(VALU_DEP_2)
	v_dual_sub_f32 v96, v96, v101 :: v_dual_add_f32 v97, v99, v94
	v_sub_f32_e32 v95, v95, v102
	s_delay_alu instid0(VALU_DEP_1) | instskip(NEXT) | instid1(VALU_DEP_3)
	v_add_f32_e32 v95, v96, v95
	v_sub_f32_e32 v96, v97, v99
	s_delay_alu instid0(VALU_DEP_2) | instskip(NEXT) | instid1(VALU_DEP_2)
	v_add_f32_e32 v95, v97, v95
	v_sub_f32_e32 v97, v97, v96
	v_sub_f32_e32 v94, v94, v96
	s_delay_alu instid0(VALU_DEP_2) | instskip(NEXT) | instid1(VALU_DEP_1)
	v_dual_add_f32 v100, v98, v95 :: v_dual_sub_f32 v97, v99, v97
	v_sub_f32_e32 v96, v100, v98
	s_delay_alu instid0(VALU_DEP_1) | instskip(NEXT) | instid1(VALU_DEP_1)
	v_dual_add_f32 v94, v94, v97 :: v_dual_sub_f32 v95, v95, v96
	v_add_f32_e32 v94, v94, v95
	s_delay_alu instid0(VALU_DEP_1) | instskip(NEXT) | instid1(VALU_DEP_1)
	v_add_f32_e32 v94, v100, v94
	v_cndmask_b32_e32 v94, v94, v17, vcc_lo
.LBB21_76:                              ;   in Loop: Header=BB21_12 Depth=1
	s_or_b32 exec_lo, exec_lo, s29
	v_and_b32_e32 v12, 0xffff0000, v12
	s_delay_alu instid0(VALU_DEP_1) | instskip(NEXT) | instid1(VALU_DEP_1)
	v_add_f32_e32 v95, s68, v12
	v_cmp_ge_f32_e32 vcc_lo, 0x41a00000, v95
	s_and_b32 s28, s79, vcc_lo
	s_delay_alu instid0(SALU_CYCLE_1)
	s_and_saveexec_b32 s29, s28
	s_cbranch_execz .LBB21_78
; %bb.77:                               ;   in Loop: Header=BB21_12 Depth=1
	v_mul_f32_e32 v12, 0x3fb8aa3b, v95
	v_cmp_ngt_f32_e32 vcc_lo, 0xc2ce8ed0, v95
	s_delay_alu instid0(VALU_DEP_2) | instskip(SKIP_1) | instid1(VALU_DEP_2)
	v_rndne_f32_e32 v17, v12
	v_fma_f32 v96, 0x3fb8aa3b, v95, -v12
	v_sub_f32_e32 v12, v12, v17
	s_delay_alu instid0(VALU_DEP_2) | instskip(SKIP_1) | instid1(VALU_DEP_2)
	v_fmac_f32_e32 v96, 0x32a5705f, v95
	v_cvt_i32_f32_e32 v17, v17
	v_add_f32_e32 v12, v12, v96
	s_delay_alu instid0(VALU_DEP_1) | instskip(SKIP_2) | instid1(VALU_DEP_1)
	v_exp_f32_e32 v12, v12
	s_waitcnt_depctr 0xfff
	v_ldexp_f32 v12, v12, v17
	v_cndmask_b32_e32 v12, 0, v12, vcc_lo
	v_cmp_nlt_f32_e32 vcc_lo, 0x42b17218, v95
	s_delay_alu instid0(VALU_DEP_2) | instskip(NEXT) | instid1(VALU_DEP_1)
	v_cndmask_b32_e32 v12, 0x7f800000, v12, vcc_lo
	v_add_f32_e32 v17, 1.0, v12
	s_delay_alu instid0(VALU_DEP_1) | instskip(NEXT) | instid1(VALU_DEP_1)
	v_cvt_f64_f32_e32 v[95:96], v17
	v_frexp_exp_i32_f64_e32 v95, v[95:96]
	v_frexp_mant_f32_e32 v96, v17
	s_delay_alu instid0(VALU_DEP_1) | instskip(SKIP_1) | instid1(VALU_DEP_1)
	v_cmp_gt_f32_e32 vcc_lo, 0x3f2aaaab, v96
	v_add_f32_e32 v96, -1.0, v17
	v_sub_f32_e32 v98, v96, v17
	v_sub_f32_e32 v96, v12, v96
	s_delay_alu instid0(VALU_DEP_2) | instskip(NEXT) | instid1(VALU_DEP_1)
	v_add_f32_e32 v98, 1.0, v98
	v_add_f32_e32 v96, v96, v98
	v_subrev_co_ci_u32_e32 v95, vcc_lo, 0, v95, vcc_lo
	s_delay_alu instid0(VALU_DEP_1) | instskip(SKIP_1) | instid1(VALU_DEP_2)
	v_sub_nc_u32_e32 v97, 0, v95
	v_cvt_f32_i32_e32 v95, v95
	v_ldexp_f32 v17, v17, v97
	v_ldexp_f32 v96, v96, v97
	s_delay_alu instid0(VALU_DEP_2) | instskip(NEXT) | instid1(VALU_DEP_1)
	v_add_f32_e32 v99, 1.0, v17
	v_dual_add_f32 v97, -1.0, v17 :: v_dual_add_f32 v98, -1.0, v99
	s_delay_alu instid0(VALU_DEP_1) | instskip(NEXT) | instid1(VALU_DEP_2)
	v_add_f32_e32 v100, 1.0, v97
	v_sub_f32_e32 v98, v17, v98
	s_delay_alu instid0(VALU_DEP_2) | instskip(NEXT) | instid1(VALU_DEP_1)
	v_sub_f32_e32 v17, v17, v100
	v_add_f32_e32 v17, v96, v17
	s_delay_alu instid0(VALU_DEP_1) | instskip(SKIP_2) | instid1(VALU_DEP_3)
	v_add_f32_e32 v101, v97, v17
	v_cmp_eq_f32_e32 vcc_lo, 0x7f800000, v12
	v_cmp_gt_f32_e64 s28, 0x33800000, v12
	v_dual_sub_f32 v97, v97, v101 :: v_dual_add_f32 v98, v96, v98
	s_delay_alu instid0(VALU_DEP_2) | instskip(NEXT) | instid1(VALU_DEP_1)
	s_or_b32 vcc_lo, s28, vcc_lo
	v_dual_add_f32 v17, v17, v97 :: v_dual_add_f32 v100, v99, v98
	s_delay_alu instid0(VALU_DEP_1) | instskip(SKIP_1) | instid1(VALU_DEP_1)
	v_rcp_f32_e32 v96, v100
	v_sub_f32_e32 v99, v99, v100
	v_add_f32_e32 v98, v98, v99
	s_waitcnt_depctr 0xfff
	v_mul_f32_e32 v102, v101, v96
	s_delay_alu instid0(VALU_DEP_1) | instskip(NEXT) | instid1(VALU_DEP_1)
	v_mul_f32_e32 v103, v100, v102
	v_fma_f32 v99, v102, v100, -v103
	s_delay_alu instid0(VALU_DEP_1) | instskip(NEXT) | instid1(VALU_DEP_1)
	v_fmac_f32_e32 v99, v102, v98
	v_add_f32_e32 v104, v103, v99
	s_delay_alu instid0(VALU_DEP_1) | instskip(SKIP_1) | instid1(VALU_DEP_2)
	v_sub_f32_e32 v105, v101, v104
	v_sub_f32_e32 v97, v104, v103
	;; [unrolled: 1-line block ×3, first 2 shown]
	s_delay_alu instid0(VALU_DEP_2) | instskip(NEXT) | instid1(VALU_DEP_2)
	v_sub_f32_e32 v97, v97, v99
	v_sub_f32_e32 v101, v101, v104
	s_delay_alu instid0(VALU_DEP_1) | instskip(NEXT) | instid1(VALU_DEP_1)
	v_add_f32_e32 v17, v17, v101
	v_add_f32_e32 v17, v97, v17
	s_delay_alu instid0(VALU_DEP_1) | instskip(NEXT) | instid1(VALU_DEP_1)
	v_add_f32_e32 v97, v105, v17
	v_mul_f32_e32 v99, v96, v97
	s_delay_alu instid0(VALU_DEP_1) | instskip(NEXT) | instid1(VALU_DEP_1)
	v_mul_f32_e32 v101, v100, v99
	v_fma_f32 v100, v99, v100, -v101
	s_delay_alu instid0(VALU_DEP_1) | instskip(SKIP_1) | instid1(VALU_DEP_2)
	v_fmac_f32_e32 v100, v99, v98
	v_sub_f32_e32 v104, v105, v97
	v_add_f32_e32 v98, v101, v100
	s_delay_alu instid0(VALU_DEP_2) | instskip(NEXT) | instid1(VALU_DEP_2)
	v_add_f32_e32 v17, v17, v104
	v_sub_f32_e32 v103, v97, v98
	s_delay_alu instid0(VALU_DEP_1) | instskip(NEXT) | instid1(VALU_DEP_1)
	v_sub_f32_e32 v97, v97, v103
	v_sub_f32_e32 v97, v97, v98
	s_delay_alu instid0(VALU_DEP_1) | instskip(SKIP_2) | instid1(VALU_DEP_1)
	v_add_f32_e32 v17, v17, v97
	v_add_f32_e32 v97, v102, v99
	v_sub_f32_e32 v101, v98, v101
	v_sub_f32_e32 v98, v101, v100
	s_delay_alu instid0(VALU_DEP_1) | instskip(NEXT) | instid1(VALU_DEP_1)
	v_dual_add_f32 v17, v98, v17 :: v_dual_sub_f32 v98, v97, v102
	v_add_f32_e32 v17, v103, v17
	s_delay_alu instid0(VALU_DEP_1) | instskip(NEXT) | instid1(VALU_DEP_1)
	v_dual_sub_f32 v98, v99, v98 :: v_dual_mul_f32 v17, v96, v17
	v_add_f32_e32 v17, v98, v17
	s_delay_alu instid0(VALU_DEP_1) | instskip(NEXT) | instid1(VALU_DEP_1)
	v_add_f32_e32 v96, v97, v17
	v_mul_f32_e32 v98, v96, v96
	s_delay_alu instid0(VALU_DEP_1) | instskip(SKIP_1) | instid1(VALU_DEP_2)
	v_fmaak_f32 v99, s83, v98, 0x3ecc95a3
	v_mul_f32_e32 v100, v96, v98
	v_fmaak_f32 v98, v98, v99, 0x3f2aaada
	v_ldexp_f32 v99, v96, 1
	s_delay_alu instid0(VALU_DEP_2) | instskip(SKIP_1) | instid1(VALU_DEP_2)
	v_mul_f32_e32 v98, v100, v98
	v_sub_f32_e32 v96, v96, v97
	v_dual_mul_f32 v100, 0x3f317218, v95 :: v_dual_add_f32 v97, v99, v98
	s_delay_alu instid0(VALU_DEP_2) | instskip(NEXT) | instid1(VALU_DEP_2)
	v_sub_f32_e32 v17, v17, v96
	v_sub_f32_e32 v96, v97, v99
	s_delay_alu instid0(VALU_DEP_3) | instskip(NEXT) | instid1(VALU_DEP_3)
	v_fma_f32 v99, 0x3f317218, v95, -v100
	v_ldexp_f32 v17, v17, 1
	s_delay_alu instid0(VALU_DEP_2) | instskip(NEXT) | instid1(VALU_DEP_1)
	v_dual_sub_f32 v96, v98, v96 :: v_dual_fmac_f32 v99, 0xb102e308, v95
	v_add_f32_e32 v17, v17, v96
	s_delay_alu instid0(VALU_DEP_1) | instskip(NEXT) | instid1(VALU_DEP_1)
	v_dual_add_f32 v95, v100, v99 :: v_dual_add_f32 v96, v97, v17
	v_sub_f32_e32 v100, v95, v100
	s_delay_alu instid0(VALU_DEP_2) | instskip(NEXT) | instid1(VALU_DEP_2)
	v_dual_add_f32 v98, v95, v96 :: v_dual_sub_f32 v97, v96, v97
	v_sub_f32_e32 v99, v99, v100
	s_delay_alu instid0(VALU_DEP_2) | instskip(NEXT) | instid1(VALU_DEP_1)
	v_sub_f32_e32 v101, v98, v95
	v_sub_f32_e32 v102, v98, v101
	;; [unrolled: 1-line block ×4, first 2 shown]
	s_delay_alu instid0(VALU_DEP_1) | instskip(NEXT) | instid1(VALU_DEP_4)
	v_add_f32_e32 v97, v99, v17
	v_sub_f32_e32 v95, v95, v102
	s_delay_alu instid0(VALU_DEP_1) | instskip(NEXT) | instid1(VALU_DEP_3)
	v_add_f32_e32 v95, v96, v95
	v_sub_f32_e32 v96, v97, v99
	s_delay_alu instid0(VALU_DEP_2) | instskip(NEXT) | instid1(VALU_DEP_2)
	v_add_f32_e32 v95, v97, v95
	v_sub_f32_e32 v97, v97, v96
	s_delay_alu instid0(VALU_DEP_2) | instskip(NEXT) | instid1(VALU_DEP_1)
	v_dual_sub_f32 v17, v17, v96 :: v_dual_add_f32 v100, v98, v95
	v_dual_sub_f32 v96, v100, v98 :: v_dual_sub_f32 v97, v99, v97
	s_delay_alu instid0(VALU_DEP_1) | instskip(NEXT) | instid1(VALU_DEP_2)
	v_sub_f32_e32 v95, v95, v96
	v_add_f32_e32 v17, v17, v97
	s_delay_alu instid0(VALU_DEP_1) | instskip(NEXT) | instid1(VALU_DEP_1)
	v_add_f32_e32 v17, v17, v95
	v_add_f32_e32 v17, v100, v17
	s_delay_alu instid0(VALU_DEP_1)
	v_cndmask_b32_e32 v95, v17, v12, vcc_lo
.LBB21_78:                              ;   in Loop: Header=BB21_12 Depth=1
	s_or_b32 exec_lo, exec_lo, s29
	v_lshlrev_b32_e32 v12, 16, v13
	s_delay_alu instid0(VALU_DEP_1) | instskip(NEXT) | instid1(VALU_DEP_1)
	v_add_f32_e32 v96, s68, v12
	v_cmp_ge_f32_e32 vcc_lo, 0x41a00000, v96
	s_and_b32 s28, s79, vcc_lo
	s_delay_alu instid0(SALU_CYCLE_1)
	s_and_saveexec_b32 s29, s28
	s_cbranch_execz .LBB21_80
; %bb.79:                               ;   in Loop: Header=BB21_12 Depth=1
	v_mul_f32_e32 v12, 0x3fb8aa3b, v96
	v_cmp_ngt_f32_e32 vcc_lo, 0xc2ce8ed0, v96
	s_delay_alu instid0(VALU_DEP_2) | instskip(SKIP_1) | instid1(VALU_DEP_1)
	v_rndne_f32_e32 v17, v12
	v_fma_f32 v97, 0x3fb8aa3b, v96, -v12
	v_dual_sub_f32 v12, v12, v17 :: v_dual_fmac_f32 v97, 0x32a5705f, v96
	v_cvt_i32_f32_e32 v17, v17
	s_delay_alu instid0(VALU_DEP_2) | instskip(NEXT) | instid1(VALU_DEP_1)
	v_add_f32_e32 v12, v12, v97
	v_exp_f32_e32 v12, v12
	s_waitcnt_depctr 0xfff
	v_ldexp_f32 v12, v12, v17
	s_delay_alu instid0(VALU_DEP_1) | instskip(SKIP_1) | instid1(VALU_DEP_2)
	v_cndmask_b32_e32 v12, 0, v12, vcc_lo
	v_cmp_nlt_f32_e32 vcc_lo, 0x42b17218, v96
	v_cndmask_b32_e32 v12, 0x7f800000, v12, vcc_lo
	s_delay_alu instid0(VALU_DEP_1) | instskip(NEXT) | instid1(VALU_DEP_1)
	v_add_f32_e32 v17, 1.0, v12
	v_cvt_f64_f32_e32 v[96:97], v17
	s_delay_alu instid0(VALU_DEP_1) | instskip(SKIP_1) | instid1(VALU_DEP_1)
	v_frexp_exp_i32_f64_e32 v96, v[96:97]
	v_frexp_mant_f32_e32 v97, v17
	v_cmp_gt_f32_e32 vcc_lo, 0x3f2aaaab, v97
	v_add_f32_e32 v97, -1.0, v17
	s_delay_alu instid0(VALU_DEP_1) | instskip(SKIP_1) | instid1(VALU_DEP_2)
	v_sub_f32_e32 v99, v97, v17
	v_sub_f32_e32 v97, v12, v97
	v_add_f32_e32 v99, 1.0, v99
	s_delay_alu instid0(VALU_DEP_1) | instskip(SKIP_3) | instid1(VALU_DEP_2)
	v_add_f32_e32 v97, v97, v99
	v_cmp_gt_f32_e64 s28, 0x33800000, v12
	v_subrev_co_ci_u32_e32 v96, vcc_lo, 0, v96, vcc_lo
	v_cmp_eq_f32_e32 vcc_lo, 0x7f800000, v12
	v_sub_nc_u32_e32 v98, 0, v96
	v_cvt_f32_i32_e32 v96, v96
	s_or_b32 vcc_lo, s28, vcc_lo
	s_delay_alu instid0(VALU_DEP_2) | instskip(SKIP_1) | instid1(VALU_DEP_2)
	v_ldexp_f32 v17, v17, v98
	v_ldexp_f32 v97, v97, v98
	v_add_f32_e32 v100, 1.0, v17
	s_delay_alu instid0(VALU_DEP_1) | instskip(NEXT) | instid1(VALU_DEP_1)
	v_dual_add_f32 v98, -1.0, v17 :: v_dual_add_f32 v99, -1.0, v100
	v_add_f32_e32 v101, 1.0, v98
	s_delay_alu instid0(VALU_DEP_2) | instskip(NEXT) | instid1(VALU_DEP_2)
	v_sub_f32_e32 v99, v17, v99
	v_sub_f32_e32 v17, v17, v101
	s_delay_alu instid0(VALU_DEP_1) | instskip(NEXT) | instid1(VALU_DEP_1)
	v_add_f32_e32 v17, v97, v17
	v_dual_add_f32 v102, v98, v17 :: v_dual_add_f32 v99, v97, v99
	s_delay_alu instid0(VALU_DEP_1) | instskip(NEXT) | instid1(VALU_DEP_1)
	v_dual_sub_f32 v98, v98, v102 :: v_dual_add_f32 v101, v100, v99
	v_rcp_f32_e32 v97, v101
	v_sub_f32_e32 v100, v100, v101
	s_delay_alu instid0(VALU_DEP_1) | instskip(SKIP_2) | instid1(VALU_DEP_1)
	v_add_f32_e32 v99, v99, v100
	s_waitcnt_depctr 0xfff
	v_mul_f32_e32 v103, v102, v97
	v_mul_f32_e32 v104, v101, v103
	s_delay_alu instid0(VALU_DEP_1) | instskip(NEXT) | instid1(VALU_DEP_1)
	v_fma_f32 v100, v103, v101, -v104
	v_fmac_f32_e32 v100, v103, v99
	s_delay_alu instid0(VALU_DEP_1) | instskip(NEXT) | instid1(VALU_DEP_1)
	v_add_f32_e32 v105, v104, v100
	v_sub_f32_e32 v106, v102, v105
	s_delay_alu instid0(VALU_DEP_1) | instskip(SKIP_2) | instid1(VALU_DEP_3)
	v_sub_f32_e32 v102, v102, v106
	v_add_f32_e32 v17, v17, v98
	v_sub_f32_e32 v98, v105, v104
	v_sub_f32_e32 v102, v102, v105
	s_delay_alu instid0(VALU_DEP_1) | instskip(NEXT) | instid1(VALU_DEP_1)
	v_dual_sub_f32 v98, v98, v100 :: v_dual_add_f32 v17, v17, v102
	v_add_f32_e32 v17, v98, v17
	s_delay_alu instid0(VALU_DEP_1) | instskip(NEXT) | instid1(VALU_DEP_1)
	v_add_f32_e32 v98, v106, v17
	v_mul_f32_e32 v100, v97, v98
	s_delay_alu instid0(VALU_DEP_1) | instskip(NEXT) | instid1(VALU_DEP_1)
	v_dual_sub_f32 v105, v106, v98 :: v_dual_mul_f32 v102, v101, v100
	v_add_f32_e32 v17, v17, v105
	s_delay_alu instid0(VALU_DEP_2) | instskip(NEXT) | instid1(VALU_DEP_1)
	v_fma_f32 v101, v100, v101, -v102
	v_fmac_f32_e32 v101, v100, v99
	s_delay_alu instid0(VALU_DEP_1) | instskip(NEXT) | instid1(VALU_DEP_1)
	v_add_f32_e32 v99, v102, v101
	v_sub_f32_e32 v104, v98, v99
	s_delay_alu instid0(VALU_DEP_1) | instskip(NEXT) | instid1(VALU_DEP_1)
	v_sub_f32_e32 v98, v98, v104
	v_sub_f32_e32 v98, v98, v99
	s_delay_alu instid0(VALU_DEP_1) | instskip(SKIP_1) | instid1(VALU_DEP_1)
	v_dual_add_f32 v17, v17, v98 :: v_dual_add_f32 v98, v103, v100
	v_sub_f32_e32 v102, v99, v102
	v_sub_f32_e32 v99, v102, v101
	s_delay_alu instid0(VALU_DEP_1) | instskip(NEXT) | instid1(VALU_DEP_4)
	v_add_f32_e32 v17, v99, v17
	v_sub_f32_e32 v99, v98, v103
	s_delay_alu instid0(VALU_DEP_2) | instskip(NEXT) | instid1(VALU_DEP_2)
	v_add_f32_e32 v17, v104, v17
	v_sub_f32_e32 v99, v100, v99
	s_delay_alu instid0(VALU_DEP_2) | instskip(NEXT) | instid1(VALU_DEP_1)
	v_mul_f32_e32 v17, v97, v17
	v_add_f32_e32 v17, v99, v17
	s_delay_alu instid0(VALU_DEP_1) | instskip(NEXT) | instid1(VALU_DEP_1)
	v_add_f32_e32 v97, v98, v17
	v_mul_f32_e32 v99, v97, v97
	s_delay_alu instid0(VALU_DEP_1) | instskip(SKIP_1) | instid1(VALU_DEP_2)
	v_fmaak_f32 v100, s83, v99, 0x3ecc95a3
	v_mul_f32_e32 v101, v97, v99
	v_fmaak_f32 v99, v99, v100, 0x3f2aaada
	v_ldexp_f32 v100, v97, 1
	v_sub_f32_e32 v97, v97, v98
	s_delay_alu instid0(VALU_DEP_3) | instskip(SKIP_1) | instid1(VALU_DEP_2)
	v_mul_f32_e32 v99, v101, v99
	v_mul_f32_e32 v101, 0x3f317218, v96
	v_dual_sub_f32 v17, v17, v97 :: v_dual_add_f32 v98, v100, v99
	s_delay_alu instid0(VALU_DEP_1) | instskip(NEXT) | instid1(VALU_DEP_2)
	v_ldexp_f32 v17, v17, 1
	v_sub_f32_e32 v97, v98, v100
	s_delay_alu instid0(VALU_DEP_4) | instskip(NEXT) | instid1(VALU_DEP_1)
	v_fma_f32 v100, 0x3f317218, v96, -v101
	v_dual_sub_f32 v97, v99, v97 :: v_dual_fmac_f32 v100, 0xb102e308, v96
	s_delay_alu instid0(VALU_DEP_1) | instskip(NEXT) | instid1(VALU_DEP_1)
	v_add_f32_e32 v17, v17, v97
	v_dual_add_f32 v96, v101, v100 :: v_dual_add_f32 v97, v98, v17
	s_delay_alu instid0(VALU_DEP_1) | instskip(NEXT) | instid1(VALU_DEP_2)
	v_sub_f32_e32 v101, v96, v101
	v_dual_add_f32 v99, v96, v97 :: v_dual_sub_f32 v98, v97, v98
	s_delay_alu instid0(VALU_DEP_2) | instskip(NEXT) | instid1(VALU_DEP_2)
	v_sub_f32_e32 v100, v100, v101
	v_dual_sub_f32 v102, v99, v96 :: v_dual_sub_f32 v17, v17, v98
	s_delay_alu instid0(VALU_DEP_1) | instskip(NEXT) | instid1(VALU_DEP_2)
	v_sub_f32_e32 v103, v99, v102
	v_dual_sub_f32 v97, v97, v102 :: v_dual_add_f32 v98, v100, v17
	s_delay_alu instid0(VALU_DEP_2) | instskip(NEXT) | instid1(VALU_DEP_1)
	v_sub_f32_e32 v96, v96, v103
	v_add_f32_e32 v96, v97, v96
	s_delay_alu instid0(VALU_DEP_3) | instskip(NEXT) | instid1(VALU_DEP_2)
	v_sub_f32_e32 v97, v98, v100
	v_add_f32_e32 v96, v98, v96
	s_delay_alu instid0(VALU_DEP_2) | instskip(SKIP_1) | instid1(VALU_DEP_2)
	v_sub_f32_e32 v98, v98, v97
	v_sub_f32_e32 v17, v17, v97
	v_dual_add_f32 v101, v99, v96 :: v_dual_sub_f32 v98, v100, v98
	s_delay_alu instid0(VALU_DEP_1) | instskip(NEXT) | instid1(VALU_DEP_1)
	v_sub_f32_e32 v97, v101, v99
	v_dual_add_f32 v17, v17, v98 :: v_dual_sub_f32 v96, v96, v97
	s_delay_alu instid0(VALU_DEP_1) | instskip(NEXT) | instid1(VALU_DEP_1)
	v_add_f32_e32 v17, v17, v96
	v_add_f32_e32 v17, v101, v17
	s_delay_alu instid0(VALU_DEP_1)
	v_cndmask_b32_e32 v96, v17, v12, vcc_lo
.LBB21_80:                              ;   in Loop: Header=BB21_12 Depth=1
	s_or_b32 exec_lo, exec_lo, s29
	v_and_b32_e32 v12, 0xffff0000, v13
	s_delay_alu instid0(VALU_DEP_1) | instskip(NEXT) | instid1(VALU_DEP_1)
	v_add_f32_e32 v97, s68, v12
	v_cmp_ge_f32_e32 vcc_lo, 0x41a00000, v97
	s_and_b32 s28, s79, vcc_lo
	s_delay_alu instid0(SALU_CYCLE_1)
	s_and_saveexec_b32 s29, s28
	s_cbranch_execz .LBB21_82
; %bb.81:                               ;   in Loop: Header=BB21_12 Depth=1
	v_mul_f32_e32 v12, 0x3fb8aa3b, v97
	v_cmp_ngt_f32_e32 vcc_lo, 0xc2ce8ed0, v97
	s_delay_alu instid0(VALU_DEP_2) | instskip(SKIP_1) | instid1(VALU_DEP_2)
	v_rndne_f32_e32 v13, v12
	v_fma_f32 v17, 0x3fb8aa3b, v97, -v12
	v_sub_f32_e32 v12, v12, v13
	s_delay_alu instid0(VALU_DEP_2) | instskip(SKIP_1) | instid1(VALU_DEP_2)
	v_fmac_f32_e32 v17, 0x32a5705f, v97
	v_cvt_i32_f32_e32 v13, v13
	v_add_f32_e32 v12, v12, v17
	s_delay_alu instid0(VALU_DEP_1) | instskip(SKIP_2) | instid1(VALU_DEP_1)
	v_exp_f32_e32 v12, v12
	s_waitcnt_depctr 0xfff
	v_ldexp_f32 v12, v12, v13
	v_cndmask_b32_e32 v12, 0, v12, vcc_lo
	v_cmp_nlt_f32_e32 vcc_lo, 0x42b17218, v97
	s_delay_alu instid0(VALU_DEP_2) | instskip(NEXT) | instid1(VALU_DEP_1)
	v_cndmask_b32_e32 v17, 0x7f800000, v12, vcc_lo
	v_add_f32_e32 v97, 1.0, v17
	s_delay_alu instid0(VALU_DEP_1) | instskip(NEXT) | instid1(VALU_DEP_1)
	v_cvt_f64_f32_e32 v[12:13], v97
	v_frexp_exp_i32_f64_e32 v12, v[12:13]
	v_frexp_mant_f32_e32 v13, v97
	s_delay_alu instid0(VALU_DEP_1) | instskip(SKIP_1) | instid1(VALU_DEP_1)
	v_cmp_gt_f32_e32 vcc_lo, 0x3f2aaaab, v13
	v_add_f32_e32 v13, -1.0, v97
	v_sub_f32_e32 v99, v13, v97
	s_delay_alu instid0(VALU_DEP_1) | instskip(SKIP_1) | instid1(VALU_DEP_1)
	v_add_f32_e32 v99, 1.0, v99
	v_subrev_co_ci_u32_e32 v12, vcc_lo, 0, v12, vcc_lo
	v_sub_nc_u32_e32 v98, 0, v12
	v_cvt_f32_i32_e32 v12, v12
	s_delay_alu instid0(VALU_DEP_2) | instskip(NEXT) | instid1(VALU_DEP_1)
	v_ldexp_f32 v97, v97, v98
	v_add_f32_e32 v100, 1.0, v97
	v_sub_f32_e32 v13, v17, v13
	v_cmp_eq_f32_e32 vcc_lo, 0x7f800000, v17
	v_cmp_gt_f32_e64 s28, 0x33800000, v17
	s_delay_alu instid0(VALU_DEP_3) | instskip(SKIP_1) | instid1(VALU_DEP_3)
	v_add_f32_e32 v13, v13, v99
	v_add_f32_e32 v99, -1.0, v100
	s_or_b32 vcc_lo, s28, vcc_lo
	s_delay_alu instid0(VALU_DEP_2) | instskip(NEXT) | instid1(VALU_DEP_2)
	v_ldexp_f32 v13, v13, v98
	v_dual_add_f32 v98, -1.0, v97 :: v_dual_sub_f32 v99, v97, v99
	s_delay_alu instid0(VALU_DEP_1) | instskip(NEXT) | instid1(VALU_DEP_2)
	v_add_f32_e32 v101, 1.0, v98
	v_add_f32_e32 v99, v13, v99
	s_delay_alu instid0(VALU_DEP_2) | instskip(NEXT) | instid1(VALU_DEP_1)
	v_sub_f32_e32 v97, v97, v101
	v_add_f32_e32 v13, v13, v97
	s_delay_alu instid0(VALU_DEP_1) | instskip(NEXT) | instid1(VALU_DEP_1)
	v_dual_add_f32 v102, v98, v13 :: v_dual_add_f32 v101, v100, v99
	v_sub_f32_e32 v98, v98, v102
	s_delay_alu instid0(VALU_DEP_2) | instskip(NEXT) | instid1(VALU_DEP_1)
	v_rcp_f32_e32 v97, v101
	v_dual_sub_f32 v100, v100, v101 :: v_dual_add_f32 v13, v13, v98
	s_delay_alu instid0(VALU_DEP_1) | instskip(SKIP_2) | instid1(VALU_DEP_1)
	v_add_f32_e32 v99, v99, v100
	s_waitcnt_depctr 0xfff
	v_mul_f32_e32 v103, v102, v97
	v_mul_f32_e32 v104, v101, v103
	s_delay_alu instid0(VALU_DEP_1) | instskip(NEXT) | instid1(VALU_DEP_1)
	v_fma_f32 v100, v103, v101, -v104
	v_fmac_f32_e32 v100, v103, v99
	s_delay_alu instid0(VALU_DEP_1) | instskip(NEXT) | instid1(VALU_DEP_1)
	v_add_f32_e32 v105, v104, v100
	v_sub_f32_e32 v106, v102, v105
	v_sub_f32_e32 v98, v105, v104
	s_delay_alu instid0(VALU_DEP_2) | instskip(NEXT) | instid1(VALU_DEP_2)
	v_sub_f32_e32 v102, v102, v106
	v_sub_f32_e32 v98, v98, v100
	s_delay_alu instid0(VALU_DEP_2) | instskip(NEXT) | instid1(VALU_DEP_1)
	v_sub_f32_e32 v102, v102, v105
	v_add_f32_e32 v13, v13, v102
	s_delay_alu instid0(VALU_DEP_1) | instskip(NEXT) | instid1(VALU_DEP_1)
	v_add_f32_e32 v13, v98, v13
	v_add_f32_e32 v98, v106, v13
	s_delay_alu instid0(VALU_DEP_1) | instskip(NEXT) | instid1(VALU_DEP_1)
	v_mul_f32_e32 v100, v97, v98
	v_dual_sub_f32 v105, v106, v98 :: v_dual_mul_f32 v102, v101, v100
	s_delay_alu instid0(VALU_DEP_1) | instskip(NEXT) | instid1(VALU_DEP_1)
	v_fma_f32 v101, v100, v101, -v102
	v_fmac_f32_e32 v101, v100, v99
	s_delay_alu instid0(VALU_DEP_1) | instskip(NEXT) | instid1(VALU_DEP_1)
	v_add_f32_e32 v99, v102, v101
	v_dual_add_f32 v13, v13, v105 :: v_dual_sub_f32 v104, v98, v99
	s_delay_alu instid0(VALU_DEP_1) | instskip(NEXT) | instid1(VALU_DEP_1)
	v_sub_f32_e32 v98, v98, v104
	v_sub_f32_e32 v98, v98, v99
	s_delay_alu instid0(VALU_DEP_1) | instskip(SKIP_1) | instid1(VALU_DEP_1)
	v_dual_add_f32 v13, v13, v98 :: v_dual_add_f32 v98, v103, v100
	v_sub_f32_e32 v102, v99, v102
	v_sub_f32_e32 v99, v102, v101
	s_delay_alu instid0(VALU_DEP_1) | instskip(NEXT) | instid1(VALU_DEP_4)
	v_add_f32_e32 v13, v99, v13
	v_sub_f32_e32 v99, v98, v103
	s_delay_alu instid0(VALU_DEP_2) | instskip(NEXT) | instid1(VALU_DEP_2)
	v_add_f32_e32 v13, v104, v13
	v_sub_f32_e32 v99, v100, v99
	s_delay_alu instid0(VALU_DEP_2) | instskip(NEXT) | instid1(VALU_DEP_1)
	v_mul_f32_e32 v13, v97, v13
	v_add_f32_e32 v13, v99, v13
	s_delay_alu instid0(VALU_DEP_1) | instskip(NEXT) | instid1(VALU_DEP_1)
	v_add_f32_e32 v97, v98, v13
	v_mul_f32_e32 v99, v97, v97
	s_delay_alu instid0(VALU_DEP_1) | instskip(SKIP_1) | instid1(VALU_DEP_2)
	v_fmaak_f32 v100, s83, v99, 0x3ecc95a3
	v_mul_f32_e32 v101, v97, v99
	v_fmaak_f32 v99, v99, v100, 0x3f2aaada
	v_ldexp_f32 v100, v97, 1
	v_sub_f32_e32 v97, v97, v98
	s_delay_alu instid0(VALU_DEP_3) | instskip(SKIP_1) | instid1(VALU_DEP_2)
	v_mul_f32_e32 v99, v101, v99
	v_mul_f32_e32 v101, 0x3f317218, v12
	v_dual_sub_f32 v13, v13, v97 :: v_dual_add_f32 v98, v100, v99
	s_delay_alu instid0(VALU_DEP_1) | instskip(NEXT) | instid1(VALU_DEP_2)
	v_ldexp_f32 v13, v13, 1
	v_sub_f32_e32 v97, v98, v100
	s_delay_alu instid0(VALU_DEP_4) | instskip(NEXT) | instid1(VALU_DEP_1)
	v_fma_f32 v100, 0x3f317218, v12, -v101
	v_dual_sub_f32 v97, v99, v97 :: v_dual_fmac_f32 v100, 0xb102e308, v12
	s_delay_alu instid0(VALU_DEP_1) | instskip(NEXT) | instid1(VALU_DEP_2)
	v_add_f32_e32 v12, v13, v97
	v_add_f32_e32 v13, v101, v100
	s_delay_alu instid0(VALU_DEP_2) | instskip(NEXT) | instid1(VALU_DEP_2)
	v_add_f32_e32 v97, v98, v12
	v_sub_f32_e32 v101, v13, v101
	s_delay_alu instid0(VALU_DEP_2) | instskip(SKIP_1) | instid1(VALU_DEP_3)
	v_add_f32_e32 v99, v13, v97
	v_sub_f32_e32 v98, v97, v98
	v_sub_f32_e32 v100, v100, v101
	s_delay_alu instid0(VALU_DEP_3) | instskip(NEXT) | instid1(VALU_DEP_3)
	v_sub_f32_e32 v102, v99, v13
	v_sub_f32_e32 v12, v12, v98
	s_delay_alu instid0(VALU_DEP_2) | instskip(NEXT) | instid1(VALU_DEP_2)
	v_sub_f32_e32 v103, v99, v102
	v_dual_sub_f32 v97, v97, v102 :: v_dual_add_f32 v98, v100, v12
	s_delay_alu instid0(VALU_DEP_2) | instskip(NEXT) | instid1(VALU_DEP_1)
	v_sub_f32_e32 v13, v13, v103
	v_add_f32_e32 v13, v97, v13
	s_delay_alu instid0(VALU_DEP_3) | instskip(NEXT) | instid1(VALU_DEP_2)
	v_sub_f32_e32 v97, v98, v100
	v_add_f32_e32 v13, v98, v13
	s_delay_alu instid0(VALU_DEP_2) | instskip(SKIP_1) | instid1(VALU_DEP_1)
	v_sub_f32_e32 v12, v12, v97
	v_sub_f32_e32 v98, v98, v97
	v_dual_add_f32 v101, v99, v13 :: v_dual_sub_f32 v98, v100, v98
	s_delay_alu instid0(VALU_DEP_1) | instskip(NEXT) | instid1(VALU_DEP_1)
	v_dual_sub_f32 v97, v101, v99 :: v_dual_add_f32 v12, v12, v98
	v_sub_f32_e32 v13, v13, v97
	s_delay_alu instid0(VALU_DEP_1) | instskip(NEXT) | instid1(VALU_DEP_1)
	v_add_f32_e32 v12, v12, v13
	v_add_f32_e32 v12, v101, v12
	s_delay_alu instid0(VALU_DEP_1)
	v_cndmask_b32_e32 v97, v12, v17, vcc_lo
.LBB21_82:                              ;   in Loop: Header=BB21_12 Depth=1
	s_or_b32 exec_lo, exec_lo, s29
	v_lshlrev_b32_e32 v12, 16, v14
	s_delay_alu instid0(VALU_DEP_1) | instskip(NEXT) | instid1(VALU_DEP_1)
	v_add_f32_e32 v98, s68, v12
	v_cmp_ge_f32_e32 vcc_lo, 0x41a00000, v98
	s_and_b32 s28, s79, vcc_lo
	s_delay_alu instid0(SALU_CYCLE_1)
	s_and_saveexec_b32 s29, s28
	s_cbranch_execz .LBB21_84
; %bb.83:                               ;   in Loop: Header=BB21_12 Depth=1
	v_mul_f32_e32 v12, 0x3fb8aa3b, v98
	v_cmp_ngt_f32_e32 vcc_lo, 0xc2ce8ed0, v98
	s_delay_alu instid0(VALU_DEP_2) | instskip(SKIP_1) | instid1(VALU_DEP_1)
	v_rndne_f32_e32 v13, v12
	v_fma_f32 v17, 0x3fb8aa3b, v98, -v12
	v_dual_sub_f32 v12, v12, v13 :: v_dual_fmac_f32 v17, 0x32a5705f, v98
	v_cvt_i32_f32_e32 v13, v13
	s_delay_alu instid0(VALU_DEP_2) | instskip(NEXT) | instid1(VALU_DEP_1)
	v_add_f32_e32 v12, v12, v17
	v_exp_f32_e32 v12, v12
	s_waitcnt_depctr 0xfff
	v_ldexp_f32 v12, v12, v13
	s_delay_alu instid0(VALU_DEP_1) | instskip(SKIP_1) | instid1(VALU_DEP_2)
	v_cndmask_b32_e32 v12, 0, v12, vcc_lo
	v_cmp_nlt_f32_e32 vcc_lo, 0x42b17218, v98
	v_cndmask_b32_e32 v17, 0x7f800000, v12, vcc_lo
	s_delay_alu instid0(VALU_DEP_1) | instskip(NEXT) | instid1(VALU_DEP_1)
	v_add_f32_e32 v98, 1.0, v17
	v_cvt_f64_f32_e32 v[12:13], v98
	s_delay_alu instid0(VALU_DEP_1) | instskip(SKIP_1) | instid1(VALU_DEP_1)
	v_frexp_exp_i32_f64_e32 v12, v[12:13]
	v_frexp_mant_f32_e32 v13, v98
	v_cmp_gt_f32_e32 vcc_lo, 0x3f2aaaab, v13
	v_add_f32_e32 v13, -1.0, v98
	s_delay_alu instid0(VALU_DEP_1) | instskip(SKIP_2) | instid1(VALU_DEP_3)
	v_sub_f32_e32 v100, v13, v98
	v_sub_f32_e32 v13, v17, v13
	v_cmp_gt_f32_e64 s28, 0x33800000, v17
	v_add_f32_e32 v100, 1.0, v100
	s_delay_alu instid0(VALU_DEP_1) | instskip(SKIP_2) | instid1(VALU_DEP_2)
	v_add_f32_e32 v13, v13, v100
	v_subrev_co_ci_u32_e32 v12, vcc_lo, 0, v12, vcc_lo
	v_cmp_eq_f32_e32 vcc_lo, 0x7f800000, v17
	v_sub_nc_u32_e32 v99, 0, v12
	v_cvt_f32_i32_e32 v12, v12
	s_or_b32 vcc_lo, s28, vcc_lo
	s_delay_alu instid0(VALU_DEP_2) | instskip(SKIP_1) | instid1(VALU_DEP_2)
	v_ldexp_f32 v98, v98, v99
	v_ldexp_f32 v13, v13, v99
	v_add_f32_e32 v99, -1.0, v98
	s_delay_alu instid0(VALU_DEP_1) | instskip(NEXT) | instid1(VALU_DEP_1)
	v_dual_add_f32 v101, 1.0, v98 :: v_dual_add_f32 v102, 1.0, v99
	v_add_f32_e32 v100, -1.0, v101
	s_delay_alu instid0(VALU_DEP_1) | instskip(NEXT) | instid1(VALU_DEP_3)
	v_sub_f32_e32 v100, v98, v100
	v_sub_f32_e32 v98, v98, v102
	s_delay_alu instid0(VALU_DEP_2) | instskip(NEXT) | instid1(VALU_DEP_2)
	v_add_f32_e32 v100, v13, v100
	v_add_f32_e32 v13, v13, v98
	s_delay_alu instid0(VALU_DEP_1) | instskip(NEXT) | instid1(VALU_DEP_1)
	v_dual_add_f32 v103, v99, v13 :: v_dual_add_f32 v102, v101, v100
	v_sub_f32_e32 v99, v99, v103
	s_delay_alu instid0(VALU_DEP_2) | instskip(SKIP_1) | instid1(VALU_DEP_1)
	v_rcp_f32_e32 v98, v102
	v_sub_f32_e32 v101, v101, v102
	v_dual_add_f32 v13, v13, v99 :: v_dual_add_f32 v100, v100, v101
	s_waitcnt_depctr 0xfff
	v_mul_f32_e32 v104, v103, v98
	s_delay_alu instid0(VALU_DEP_1) | instskip(NEXT) | instid1(VALU_DEP_1)
	v_mul_f32_e32 v105, v102, v104
	v_fma_f32 v101, v104, v102, -v105
	s_delay_alu instid0(VALU_DEP_1) | instskip(NEXT) | instid1(VALU_DEP_1)
	v_fmac_f32_e32 v101, v104, v100
	v_add_f32_e32 v106, v105, v101
	s_delay_alu instid0(VALU_DEP_1) | instskip(SKIP_1) | instid1(VALU_DEP_2)
	v_sub_f32_e32 v107, v103, v106
	v_sub_f32_e32 v99, v106, v105
	;; [unrolled: 1-line block ×3, first 2 shown]
	s_delay_alu instid0(VALU_DEP_2) | instskip(NEXT) | instid1(VALU_DEP_2)
	v_sub_f32_e32 v99, v99, v101
	v_sub_f32_e32 v103, v103, v106
	s_delay_alu instid0(VALU_DEP_1) | instskip(NEXT) | instid1(VALU_DEP_1)
	v_add_f32_e32 v13, v13, v103
	v_add_f32_e32 v13, v99, v13
	s_delay_alu instid0(VALU_DEP_1) | instskip(NEXT) | instid1(VALU_DEP_1)
	v_add_f32_e32 v99, v107, v13
	v_mul_f32_e32 v101, v98, v99
	s_delay_alu instid0(VALU_DEP_1) | instskip(NEXT) | instid1(VALU_DEP_1)
	v_dual_sub_f32 v106, v107, v99 :: v_dual_mul_f32 v103, v102, v101
	v_add_f32_e32 v13, v13, v106
	s_delay_alu instid0(VALU_DEP_2) | instskip(NEXT) | instid1(VALU_DEP_1)
	v_fma_f32 v102, v101, v102, -v103
	v_fmac_f32_e32 v102, v101, v100
	s_delay_alu instid0(VALU_DEP_1) | instskip(NEXT) | instid1(VALU_DEP_1)
	v_add_f32_e32 v100, v103, v102
	v_sub_f32_e32 v105, v99, v100
	s_delay_alu instid0(VALU_DEP_1) | instskip(NEXT) | instid1(VALU_DEP_1)
	v_sub_f32_e32 v99, v99, v105
	v_sub_f32_e32 v99, v99, v100
	s_delay_alu instid0(VALU_DEP_1) | instskip(SKIP_2) | instid1(VALU_DEP_1)
	v_add_f32_e32 v13, v13, v99
	v_add_f32_e32 v99, v104, v101
	v_sub_f32_e32 v103, v100, v103
	v_sub_f32_e32 v100, v103, v102
	s_delay_alu instid0(VALU_DEP_1) | instskip(NEXT) | instid1(VALU_DEP_1)
	v_dual_add_f32 v13, v100, v13 :: v_dual_sub_f32 v100, v99, v104
	v_add_f32_e32 v13, v105, v13
	s_delay_alu instid0(VALU_DEP_1) | instskip(NEXT) | instid1(VALU_DEP_1)
	v_dual_sub_f32 v100, v101, v100 :: v_dual_mul_f32 v13, v98, v13
	v_add_f32_e32 v13, v100, v13
	s_delay_alu instid0(VALU_DEP_1) | instskip(NEXT) | instid1(VALU_DEP_1)
	v_add_f32_e32 v98, v99, v13
	v_mul_f32_e32 v100, v98, v98
	s_delay_alu instid0(VALU_DEP_1) | instskip(SKIP_1) | instid1(VALU_DEP_2)
	v_fmaak_f32 v101, s83, v100, 0x3ecc95a3
	v_mul_f32_e32 v102, v98, v100
	v_fmaak_f32 v100, v100, v101, 0x3f2aaada
	v_ldexp_f32 v101, v98, 1
	v_sub_f32_e32 v98, v98, v99
	s_delay_alu instid0(VALU_DEP_3) | instskip(NEXT) | instid1(VALU_DEP_2)
	v_mul_f32_e32 v100, v102, v100
	v_dual_mul_f32 v102, 0x3f317218, v12 :: v_dual_sub_f32 v13, v13, v98
	s_delay_alu instid0(VALU_DEP_2) | instskip(NEXT) | instid1(VALU_DEP_2)
	v_add_f32_e32 v99, v101, v100
	v_ldexp_f32 v13, v13, 1
	s_delay_alu instid0(VALU_DEP_2) | instskip(NEXT) | instid1(VALU_DEP_4)
	v_sub_f32_e32 v98, v99, v101
	v_fma_f32 v101, 0x3f317218, v12, -v102
	s_delay_alu instid0(VALU_DEP_1) | instskip(NEXT) | instid1(VALU_DEP_1)
	v_dual_sub_f32 v98, v100, v98 :: v_dual_fmac_f32 v101, 0xb102e308, v12
	v_add_f32_e32 v12, v13, v98
	s_delay_alu instid0(VALU_DEP_1) | instskip(NEXT) | instid1(VALU_DEP_1)
	v_add_f32_e32 v98, v99, v12
	v_sub_f32_e32 v99, v98, v99
	s_delay_alu instid0(VALU_DEP_1) | instskip(NEXT) | instid1(VALU_DEP_1)
	v_dual_sub_f32 v12, v12, v99 :: v_dual_add_f32 v13, v102, v101
	v_add_f32_e32 v100, v13, v98
	s_delay_alu instid0(VALU_DEP_1) | instskip(NEXT) | instid1(VALU_DEP_1)
	v_dual_sub_f32 v102, v13, v102 :: v_dual_sub_f32 v103, v100, v13
	v_dual_sub_f32 v101, v101, v102 :: v_dual_sub_f32 v104, v100, v103
	s_delay_alu instid0(VALU_DEP_1) | instskip(NEXT) | instid1(VALU_DEP_2)
	v_dual_sub_f32 v98, v98, v103 :: v_dual_add_f32 v99, v101, v12
	v_sub_f32_e32 v13, v13, v104
	s_delay_alu instid0(VALU_DEP_1) | instskip(NEXT) | instid1(VALU_DEP_3)
	v_add_f32_e32 v13, v98, v13
	v_sub_f32_e32 v98, v99, v101
	s_delay_alu instid0(VALU_DEP_2) | instskip(NEXT) | instid1(VALU_DEP_2)
	v_add_f32_e32 v13, v99, v13
	v_sub_f32_e32 v99, v99, v98
	v_sub_f32_e32 v12, v12, v98
	s_delay_alu instid0(VALU_DEP_2) | instskip(NEXT) | instid1(VALU_DEP_1)
	v_dual_add_f32 v102, v100, v13 :: v_dual_sub_f32 v99, v101, v99
	v_sub_f32_e32 v98, v102, v100
	s_delay_alu instid0(VALU_DEP_1) | instskip(NEXT) | instid1(VALU_DEP_1)
	v_dual_add_f32 v12, v12, v99 :: v_dual_sub_f32 v13, v13, v98
	v_add_f32_e32 v12, v12, v13
	s_delay_alu instid0(VALU_DEP_1) | instskip(NEXT) | instid1(VALU_DEP_1)
	v_add_f32_e32 v12, v102, v12
	v_cndmask_b32_e32 v98, v12, v17, vcc_lo
.LBB21_84:                              ;   in Loop: Header=BB21_12 Depth=1
	s_or_b32 exec_lo, exec_lo, s29
	v_and_b32_e32 v12, 0xffff0000, v14
	s_delay_alu instid0(VALU_DEP_1) | instskip(NEXT) | instid1(VALU_DEP_1)
	v_add_f32_e32 v99, s68, v12
	v_cmp_ge_f32_e32 vcc_lo, 0x41a00000, v99
	s_and_b32 s28, s79, vcc_lo
	s_delay_alu instid0(SALU_CYCLE_1)
	s_and_saveexec_b32 s29, s28
	s_cbranch_execz .LBB21_86
; %bb.85:                               ;   in Loop: Header=BB21_12 Depth=1
	v_mul_f32_e32 v12, 0x3fb8aa3b, v99
	v_cmp_ngt_f32_e32 vcc_lo, 0xc2ce8ed0, v99
	s_delay_alu instid0(VALU_DEP_2) | instskip(SKIP_1) | instid1(VALU_DEP_2)
	v_rndne_f32_e32 v13, v12
	v_fma_f32 v14, 0x3fb8aa3b, v99, -v12
	v_sub_f32_e32 v12, v12, v13
	s_delay_alu instid0(VALU_DEP_2) | instskip(SKIP_1) | instid1(VALU_DEP_2)
	v_fmac_f32_e32 v14, 0x32a5705f, v99
	v_cvt_i32_f32_e32 v13, v13
	v_add_f32_e32 v12, v12, v14
	s_delay_alu instid0(VALU_DEP_1) | instskip(SKIP_2) | instid1(VALU_DEP_1)
	v_exp_f32_e32 v12, v12
	s_waitcnt_depctr 0xfff
	v_ldexp_f32 v12, v12, v13
	v_cndmask_b32_e32 v12, 0, v12, vcc_lo
	v_cmp_nlt_f32_e32 vcc_lo, 0x42b17218, v99
	s_delay_alu instid0(VALU_DEP_2) | instskip(NEXT) | instid1(VALU_DEP_1)
	v_cndmask_b32_e32 v14, 0x7f800000, v12, vcc_lo
	v_add_f32_e32 v17, 1.0, v14
	s_delay_alu instid0(VALU_DEP_1) | instskip(NEXT) | instid1(VALU_DEP_1)
	v_cvt_f64_f32_e32 v[12:13], v17
	v_frexp_exp_i32_f64_e32 v12, v[12:13]
	v_frexp_mant_f32_e32 v13, v17
	s_delay_alu instid0(VALU_DEP_1) | instskip(SKIP_1) | instid1(VALU_DEP_1)
	v_cmp_gt_f32_e32 vcc_lo, 0x3f2aaaab, v13
	v_add_f32_e32 v13, -1.0, v17
	v_sub_f32_e32 v100, v13, v17
	v_sub_f32_e32 v13, v14, v13
	v_subrev_co_ci_u32_e32 v12, vcc_lo, 0, v12, vcc_lo
	s_delay_alu instid0(VALU_DEP_1) | instskip(SKIP_1) | instid1(VALU_DEP_2)
	v_sub_nc_u32_e32 v99, 0, v12
	v_cvt_f32_i32_e32 v12, v12
	v_ldexp_f32 v17, v17, v99
	s_delay_alu instid0(VALU_DEP_1) | instskip(NEXT) | instid1(VALU_DEP_1)
	v_dual_add_f32 v100, 1.0, v100 :: v_dual_add_f32 v101, 1.0, v17
	v_dual_add_f32 v13, v13, v100 :: v_dual_add_f32 v100, -1.0, v101
	s_delay_alu instid0(VALU_DEP_1) | instskip(SKIP_4) | instid1(VALU_DEP_4)
	v_ldexp_f32 v13, v13, v99
	v_add_f32_e32 v99, -1.0, v17
	v_cmp_eq_f32_e32 vcc_lo, 0x7f800000, v14
	v_cmp_gt_f32_e64 s28, 0x33800000, v14
	v_sub_f32_e32 v100, v17, v100
	v_add_f32_e32 v102, 1.0, v99
	s_delay_alu instid0(VALU_DEP_3) | instskip(NEXT) | instid1(VALU_DEP_2)
	s_or_b32 vcc_lo, s28, vcc_lo
	v_add_f32_e32 v100, v13, v100
	s_delay_alu instid0(VALU_DEP_2) | instskip(NEXT) | instid1(VALU_DEP_1)
	v_sub_f32_e32 v17, v17, v102
	v_add_f32_e32 v13, v13, v17
	s_delay_alu instid0(VALU_DEP_1) | instskip(NEXT) | instid1(VALU_DEP_1)
	v_dual_add_f32 v103, v99, v13 :: v_dual_add_f32 v102, v101, v100
	v_sub_f32_e32 v99, v99, v103
	s_delay_alu instid0(VALU_DEP_2) | instskip(SKIP_1) | instid1(VALU_DEP_1)
	v_rcp_f32_e32 v17, v102
	v_sub_f32_e32 v101, v101, v102
	v_dual_add_f32 v13, v13, v99 :: v_dual_add_f32 v100, v100, v101
	s_waitcnt_depctr 0xfff
	v_mul_f32_e32 v104, v103, v17
	s_delay_alu instid0(VALU_DEP_1) | instskip(NEXT) | instid1(VALU_DEP_1)
	v_mul_f32_e32 v105, v102, v104
	v_fma_f32 v101, v104, v102, -v105
	s_delay_alu instid0(VALU_DEP_1) | instskip(NEXT) | instid1(VALU_DEP_1)
	v_fmac_f32_e32 v101, v104, v100
	v_add_f32_e32 v106, v105, v101
	s_delay_alu instid0(VALU_DEP_1) | instskip(NEXT) | instid1(VALU_DEP_1)
	v_sub_f32_e32 v107, v103, v106
	v_sub_f32_e32 v103, v103, v107
	;; [unrolled: 1-line block ×3, first 2 shown]
	s_delay_alu instid0(VALU_DEP_2) | instskip(NEXT) | instid1(VALU_DEP_2)
	v_sub_f32_e32 v103, v103, v106
	v_sub_f32_e32 v99, v99, v101
	s_delay_alu instid0(VALU_DEP_2) | instskip(NEXT) | instid1(VALU_DEP_1)
	v_add_f32_e32 v13, v13, v103
	v_add_f32_e32 v13, v99, v13
	s_delay_alu instid0(VALU_DEP_1) | instskip(NEXT) | instid1(VALU_DEP_1)
	v_add_f32_e32 v99, v107, v13
	v_mul_f32_e32 v101, v17, v99
	s_delay_alu instid0(VALU_DEP_1) | instskip(NEXT) | instid1(VALU_DEP_1)
	v_dual_sub_f32 v106, v107, v99 :: v_dual_mul_f32 v103, v102, v101
	v_add_f32_e32 v13, v13, v106
	s_delay_alu instid0(VALU_DEP_2) | instskip(NEXT) | instid1(VALU_DEP_1)
	v_fma_f32 v102, v101, v102, -v103
	v_fmac_f32_e32 v102, v101, v100
	s_delay_alu instid0(VALU_DEP_1) | instskip(NEXT) | instid1(VALU_DEP_1)
	v_add_f32_e32 v100, v103, v102
	v_sub_f32_e32 v105, v99, v100
	v_sub_f32_e32 v103, v100, v103
	s_delay_alu instid0(VALU_DEP_2) | instskip(NEXT) | instid1(VALU_DEP_1)
	v_sub_f32_e32 v99, v99, v105
	v_sub_f32_e32 v99, v99, v100
	s_delay_alu instid0(VALU_DEP_1) | instskip(SKIP_1) | instid1(VALU_DEP_1)
	v_dual_sub_f32 v100, v103, v102 :: v_dual_add_f32 v13, v13, v99
	v_add_f32_e32 v99, v104, v101
	v_dual_add_f32 v13, v100, v13 :: v_dual_sub_f32 v100, v99, v104
	s_delay_alu instid0(VALU_DEP_1) | instskip(NEXT) | instid1(VALU_DEP_2)
	v_add_f32_e32 v13, v105, v13
	v_sub_f32_e32 v100, v101, v100
	s_delay_alu instid0(VALU_DEP_2) | instskip(NEXT) | instid1(VALU_DEP_1)
	v_mul_f32_e32 v13, v17, v13
	v_add_f32_e32 v13, v100, v13
	s_delay_alu instid0(VALU_DEP_1) | instskip(NEXT) | instid1(VALU_DEP_1)
	v_add_f32_e32 v17, v99, v13
	v_mul_f32_e32 v100, v17, v17
	s_delay_alu instid0(VALU_DEP_1) | instskip(SKIP_1) | instid1(VALU_DEP_2)
	v_fmaak_f32 v101, s83, v100, 0x3ecc95a3
	v_mul_f32_e32 v102, v17, v100
	v_fmaak_f32 v100, v100, v101, 0x3f2aaada
	v_ldexp_f32 v101, v17, 1
	s_delay_alu instid0(VALU_DEP_2) | instskip(NEXT) | instid1(VALU_DEP_1)
	v_dual_sub_f32 v17, v17, v99 :: v_dual_mul_f32 v100, v102, v100
	v_dual_mul_f32 v102, 0x3f317218, v12 :: v_dual_sub_f32 v13, v13, v17
	s_delay_alu instid0(VALU_DEP_2) | instskip(NEXT) | instid1(VALU_DEP_2)
	v_add_f32_e32 v99, v101, v100
	v_ldexp_f32 v13, v13, 1
	s_delay_alu instid0(VALU_DEP_2) | instskip(NEXT) | instid1(VALU_DEP_4)
	v_sub_f32_e32 v17, v99, v101
	v_fma_f32 v101, 0x3f317218, v12, -v102
	s_delay_alu instid0(VALU_DEP_2) | instskip(NEXT) | instid1(VALU_DEP_1)
	v_sub_f32_e32 v17, v100, v17
	v_dual_fmac_f32 v101, 0xb102e308, v12 :: v_dual_add_f32 v12, v13, v17
	s_delay_alu instid0(VALU_DEP_1) | instskip(NEXT) | instid1(VALU_DEP_1)
	v_add_f32_e32 v13, v102, v101
	v_dual_add_f32 v17, v99, v12 :: v_dual_sub_f32 v102, v13, v102
	s_delay_alu instid0(VALU_DEP_1) | instskip(SKIP_1) | instid1(VALU_DEP_3)
	v_add_f32_e32 v100, v13, v17
	v_sub_f32_e32 v99, v17, v99
	v_sub_f32_e32 v101, v101, v102
	s_delay_alu instid0(VALU_DEP_3) | instskip(NEXT) | instid1(VALU_DEP_3)
	v_sub_f32_e32 v103, v100, v13
	v_sub_f32_e32 v12, v12, v99
	s_delay_alu instid0(VALU_DEP_2) | instskip(SKIP_1) | instid1(VALU_DEP_3)
	v_sub_f32_e32 v104, v100, v103
	v_sub_f32_e32 v17, v17, v103
	v_add_f32_e32 v99, v101, v12
	s_delay_alu instid0(VALU_DEP_3) | instskip(NEXT) | instid1(VALU_DEP_1)
	v_sub_f32_e32 v13, v13, v104
	v_add_f32_e32 v13, v17, v13
	s_delay_alu instid0(VALU_DEP_3) | instskip(NEXT) | instid1(VALU_DEP_2)
	v_sub_f32_e32 v17, v99, v101
	v_add_f32_e32 v13, v99, v13
	s_delay_alu instid0(VALU_DEP_2) | instskip(SKIP_1) | instid1(VALU_DEP_2)
	v_sub_f32_e32 v99, v99, v17
	v_sub_f32_e32 v12, v12, v17
	v_dual_add_f32 v102, v100, v13 :: v_dual_sub_f32 v99, v101, v99
	s_delay_alu instid0(VALU_DEP_1) | instskip(NEXT) | instid1(VALU_DEP_1)
	v_dual_sub_f32 v17, v102, v100 :: v_dual_add_f32 v12, v12, v99
	v_sub_f32_e32 v13, v13, v17
	s_delay_alu instid0(VALU_DEP_1) | instskip(NEXT) | instid1(VALU_DEP_1)
	v_add_f32_e32 v12, v12, v13
	v_add_f32_e32 v12, v102, v12
	s_delay_alu instid0(VALU_DEP_1)
	v_cndmask_b32_e32 v99, v12, v14, vcc_lo
.LBB21_86:                              ;   in Loop: Header=BB21_12 Depth=1
	s_or_b32 exec_lo, exec_lo, s29
	v_lshlrev_b32_e32 v12, 16, v15
	s_delay_alu instid0(VALU_DEP_1) | instskip(NEXT) | instid1(VALU_DEP_1)
	v_add_f32_e32 v100, s68, v12
	v_cmp_ge_f32_e32 vcc_lo, 0x41a00000, v100
	s_and_b32 s28, s79, vcc_lo
	s_delay_alu instid0(SALU_CYCLE_1)
	s_and_saveexec_b32 s29, s28
	s_cbranch_execz .LBB21_88
; %bb.87:                               ;   in Loop: Header=BB21_12 Depth=1
	v_mul_f32_e32 v12, 0x3fb8aa3b, v100
	v_cmp_ngt_f32_e32 vcc_lo, 0xc2ce8ed0, v100
	s_delay_alu instid0(VALU_DEP_2) | instskip(SKIP_1) | instid1(VALU_DEP_2)
	v_rndne_f32_e32 v13, v12
	v_fma_f32 v14, 0x3fb8aa3b, v100, -v12
	v_sub_f32_e32 v12, v12, v13
	s_delay_alu instid0(VALU_DEP_2) | instskip(SKIP_1) | instid1(VALU_DEP_2)
	v_fmac_f32_e32 v14, 0x32a5705f, v100
	v_cvt_i32_f32_e32 v13, v13
	v_add_f32_e32 v12, v12, v14
	s_delay_alu instid0(VALU_DEP_1) | instskip(SKIP_2) | instid1(VALU_DEP_1)
	v_exp_f32_e32 v12, v12
	s_waitcnt_depctr 0xfff
	v_ldexp_f32 v12, v12, v13
	v_cndmask_b32_e32 v12, 0, v12, vcc_lo
	v_cmp_nlt_f32_e32 vcc_lo, 0x42b17218, v100
	s_delay_alu instid0(VALU_DEP_2) | instskip(NEXT) | instid1(VALU_DEP_1)
	v_cndmask_b32_e32 v14, 0x7f800000, v12, vcc_lo
	v_add_f32_e32 v17, 1.0, v14
	s_delay_alu instid0(VALU_DEP_1) | instskip(NEXT) | instid1(VALU_DEP_1)
	v_cvt_f64_f32_e32 v[12:13], v17
	v_frexp_exp_i32_f64_e32 v12, v[12:13]
	v_frexp_mant_f32_e32 v13, v17
	s_delay_alu instid0(VALU_DEP_1) | instskip(SKIP_1) | instid1(VALU_DEP_1)
	v_cmp_gt_f32_e32 vcc_lo, 0x3f2aaaab, v13
	v_add_f32_e32 v13, -1.0, v17
	v_sub_f32_e32 v101, v13, v17
	s_delay_alu instid0(VALU_DEP_1) | instskip(SKIP_2) | instid1(VALU_DEP_2)
	v_add_f32_e32 v101, 1.0, v101
	v_sub_f32_e32 v13, v14, v13
	v_cmp_gt_f32_e64 s28, 0x33800000, v14
	v_add_f32_e32 v13, v13, v101
	v_subrev_co_ci_u32_e32 v12, vcc_lo, 0, v12, vcc_lo
	v_cmp_eq_f32_e32 vcc_lo, 0x7f800000, v14
	s_delay_alu instid0(VALU_DEP_2) | instskip(SKIP_2) | instid1(VALU_DEP_2)
	v_sub_nc_u32_e32 v100, 0, v12
	v_cvt_f32_i32_e32 v12, v12
	s_or_b32 vcc_lo, s28, vcc_lo
	v_ldexp_f32 v17, v17, v100
	v_ldexp_f32 v13, v13, v100
	s_delay_alu instid0(VALU_DEP_2) | instskip(NEXT) | instid1(VALU_DEP_1)
	v_add_f32_e32 v100, -1.0, v17
	v_dual_add_f32 v102, 1.0, v17 :: v_dual_add_f32 v103, 1.0, v100
	s_delay_alu instid0(VALU_DEP_1) | instskip(NEXT) | instid1(VALU_DEP_1)
	v_add_f32_e32 v101, -1.0, v102
	v_sub_f32_e32 v101, v17, v101
	s_delay_alu instid0(VALU_DEP_3) | instskip(NEXT) | instid1(VALU_DEP_2)
	v_sub_f32_e32 v17, v17, v103
	v_add_f32_e32 v101, v13, v101
	s_delay_alu instid0(VALU_DEP_2) | instskip(NEXT) | instid1(VALU_DEP_1)
	v_add_f32_e32 v13, v13, v17
	v_add_f32_e32 v104, v100, v13
	s_delay_alu instid0(VALU_DEP_1) | instskip(NEXT) | instid1(VALU_DEP_1)
	v_dual_sub_f32 v100, v100, v104 :: v_dual_add_f32 v103, v102, v101
	v_add_f32_e32 v13, v13, v100
	s_delay_alu instid0(VALU_DEP_2) | instskip(SKIP_1) | instid1(VALU_DEP_1)
	v_rcp_f32_e32 v17, v103
	v_sub_f32_e32 v102, v102, v103
	v_add_f32_e32 v101, v101, v102
	s_waitcnt_depctr 0xfff
	v_mul_f32_e32 v105, v104, v17
	s_delay_alu instid0(VALU_DEP_1) | instskip(NEXT) | instid1(VALU_DEP_1)
	v_mul_f32_e32 v106, v103, v105
	v_fma_f32 v102, v105, v103, -v106
	s_delay_alu instid0(VALU_DEP_1) | instskip(NEXT) | instid1(VALU_DEP_1)
	v_fmac_f32_e32 v102, v105, v101
	v_add_f32_e32 v107, v106, v102
	s_delay_alu instid0(VALU_DEP_1) | instskip(SKIP_1) | instid1(VALU_DEP_2)
	v_sub_f32_e32 v108, v104, v107
	v_sub_f32_e32 v100, v107, v106
	;; [unrolled: 1-line block ×3, first 2 shown]
	s_delay_alu instid0(VALU_DEP_1) | instskip(NEXT) | instid1(VALU_DEP_1)
	v_sub_f32_e32 v104, v104, v107
	v_dual_sub_f32 v100, v100, v102 :: v_dual_add_f32 v13, v13, v104
	s_delay_alu instid0(VALU_DEP_1) | instskip(NEXT) | instid1(VALU_DEP_1)
	v_add_f32_e32 v13, v100, v13
	v_add_f32_e32 v100, v108, v13
	s_delay_alu instid0(VALU_DEP_1) | instskip(NEXT) | instid1(VALU_DEP_1)
	v_mul_f32_e32 v102, v17, v100
	v_dual_sub_f32 v107, v108, v100 :: v_dual_mul_f32 v104, v103, v102
	s_delay_alu instid0(VALU_DEP_1) | instskip(NEXT) | instid1(VALU_DEP_2)
	v_add_f32_e32 v13, v13, v107
	v_fma_f32 v103, v102, v103, -v104
	s_delay_alu instid0(VALU_DEP_1) | instskip(NEXT) | instid1(VALU_DEP_1)
	v_fmac_f32_e32 v103, v102, v101
	v_add_f32_e32 v101, v104, v103
	s_delay_alu instid0(VALU_DEP_1) | instskip(NEXT) | instid1(VALU_DEP_1)
	v_sub_f32_e32 v106, v100, v101
	v_sub_f32_e32 v100, v100, v106
	s_delay_alu instid0(VALU_DEP_1) | instskip(NEXT) | instid1(VALU_DEP_1)
	v_sub_f32_e32 v100, v100, v101
	v_add_f32_e32 v13, v13, v100
	v_add_f32_e32 v100, v105, v102
	v_sub_f32_e32 v104, v101, v104
	s_delay_alu instid0(VALU_DEP_1) | instskip(NEXT) | instid1(VALU_DEP_1)
	v_sub_f32_e32 v101, v104, v103
	v_add_f32_e32 v13, v101, v13
	s_delay_alu instid0(VALU_DEP_4) | instskip(NEXT) | instid1(VALU_DEP_2)
	v_sub_f32_e32 v101, v100, v105
	v_add_f32_e32 v13, v106, v13
	s_delay_alu instid0(VALU_DEP_2) | instskip(NEXT) | instid1(VALU_DEP_2)
	v_sub_f32_e32 v101, v102, v101
	v_mul_f32_e32 v13, v17, v13
	s_delay_alu instid0(VALU_DEP_1) | instskip(NEXT) | instid1(VALU_DEP_1)
	v_add_f32_e32 v13, v101, v13
	v_add_f32_e32 v17, v100, v13
	s_delay_alu instid0(VALU_DEP_1) | instskip(NEXT) | instid1(VALU_DEP_1)
	v_mul_f32_e32 v101, v17, v17
	v_fmaak_f32 v102, s83, v101, 0x3ecc95a3
	v_mul_f32_e32 v103, v17, v101
	s_delay_alu instid0(VALU_DEP_2) | instskip(SKIP_1) | instid1(VALU_DEP_2)
	v_fmaak_f32 v101, v101, v102, 0x3f2aaada
	v_ldexp_f32 v102, v17, 1
	v_mul_f32_e32 v101, v103, v101
	s_delay_alu instid0(VALU_DEP_1) | instskip(NEXT) | instid1(VALU_DEP_1)
	v_dual_sub_f32 v17, v17, v100 :: v_dual_add_f32 v100, v102, v101
	v_sub_f32_e32 v13, v13, v17
	s_delay_alu instid0(VALU_DEP_2) | instskip(NEXT) | instid1(VALU_DEP_2)
	v_sub_f32_e32 v17, v100, v102
	v_ldexp_f32 v13, v13, 1
	s_delay_alu instid0(VALU_DEP_2) | instskip(SKIP_1) | instid1(VALU_DEP_1)
	v_sub_f32_e32 v17, v101, v17
	v_mul_f32_e32 v103, 0x3f317218, v12
	v_fma_f32 v102, 0x3f317218, v12, -v103
	s_delay_alu instid0(VALU_DEP_1) | instskip(NEXT) | instid1(VALU_DEP_1)
	v_fmac_f32_e32 v102, 0xb102e308, v12
	v_dual_add_f32 v12, v13, v17 :: v_dual_add_f32 v13, v103, v102
	s_delay_alu instid0(VALU_DEP_1) | instskip(NEXT) | instid1(VALU_DEP_1)
	v_add_f32_e32 v17, v100, v12
	v_add_f32_e32 v101, v13, v17
	v_sub_f32_e32 v100, v17, v100
	s_delay_alu instid0(VALU_DEP_2) | instskip(NEXT) | instid1(VALU_DEP_2)
	v_sub_f32_e32 v104, v101, v13
	v_dual_sub_f32 v12, v12, v100 :: v_dual_sub_f32 v103, v13, v103
	s_delay_alu instid0(VALU_DEP_2) | instskip(NEXT) | instid1(VALU_DEP_2)
	v_sub_f32_e32 v105, v101, v104
	v_dual_sub_f32 v17, v17, v104 :: v_dual_sub_f32 v102, v102, v103
	s_delay_alu instid0(VALU_DEP_1) | instskip(NEXT) | instid1(VALU_DEP_1)
	v_dual_sub_f32 v13, v13, v105 :: v_dual_add_f32 v100, v102, v12
	v_add_f32_e32 v13, v17, v13
	s_delay_alu instid0(VALU_DEP_2) | instskip(NEXT) | instid1(VALU_DEP_2)
	v_sub_f32_e32 v17, v100, v102
	v_add_f32_e32 v13, v100, v13
	s_delay_alu instid0(VALU_DEP_2) | instskip(SKIP_1) | instid1(VALU_DEP_2)
	v_sub_f32_e32 v100, v100, v17
	v_sub_f32_e32 v12, v12, v17
	v_dual_add_f32 v103, v101, v13 :: v_dual_sub_f32 v100, v102, v100
	s_delay_alu instid0(VALU_DEP_1) | instskip(NEXT) | instid1(VALU_DEP_1)
	v_dual_sub_f32 v17, v103, v101 :: v_dual_add_f32 v12, v12, v100
	v_sub_f32_e32 v13, v13, v17
	s_delay_alu instid0(VALU_DEP_1) | instskip(NEXT) | instid1(VALU_DEP_1)
	v_add_f32_e32 v12, v12, v13
	v_add_f32_e32 v12, v103, v12
	s_delay_alu instid0(VALU_DEP_1)
	v_cndmask_b32_e32 v100, v12, v14, vcc_lo
.LBB21_88:                              ;   in Loop: Header=BB21_12 Depth=1
	s_or_b32 exec_lo, exec_lo, s29
	v_and_b32_e32 v12, 0xffff0000, v15
	s_delay_alu instid0(VALU_DEP_1) | instskip(NEXT) | instid1(VALU_DEP_1)
	v_add_f32_e32 v105, s68, v12
	v_cmp_ge_f32_e32 vcc_lo, 0x41a00000, v105
	s_and_b32 s28, s79, vcc_lo
	s_delay_alu instid0(SALU_CYCLE_1)
	s_and_saveexec_b32 s29, s28
	s_cbranch_execz .LBB21_90
; %bb.89:                               ;   in Loop: Header=BB21_12 Depth=1
	v_mul_f32_e32 v12, 0x3fb8aa3b, v105
	v_cmp_ngt_f32_e32 vcc_lo, 0xc2ce8ed0, v105
	s_delay_alu instid0(VALU_DEP_2) | instskip(SKIP_1) | instid1(VALU_DEP_2)
	v_rndne_f32_e32 v13, v12
	v_fma_f32 v14, 0x3fb8aa3b, v105, -v12
	v_sub_f32_e32 v12, v12, v13
	s_delay_alu instid0(VALU_DEP_2) | instskip(SKIP_1) | instid1(VALU_DEP_2)
	v_fmac_f32_e32 v14, 0x32a5705f, v105
	v_cvt_i32_f32_e32 v13, v13
	v_add_f32_e32 v12, v12, v14
	s_delay_alu instid0(VALU_DEP_1) | instskip(SKIP_2) | instid1(VALU_DEP_1)
	v_exp_f32_e32 v12, v12
	s_waitcnt_depctr 0xfff
	v_ldexp_f32 v12, v12, v13
	v_cndmask_b32_e32 v12, 0, v12, vcc_lo
	v_cmp_nlt_f32_e32 vcc_lo, 0x42b17218, v105
	s_delay_alu instid0(VALU_DEP_2) | instskip(NEXT) | instid1(VALU_DEP_1)
	v_cndmask_b32_e32 v14, 0x7f800000, v12, vcc_lo
	v_add_f32_e32 v15, 1.0, v14
	s_delay_alu instid0(VALU_DEP_1) | instskip(NEXT) | instid1(VALU_DEP_1)
	v_cvt_f64_f32_e32 v[12:13], v15
	v_frexp_exp_i32_f64_e32 v12, v[12:13]
	v_frexp_mant_f32_e32 v13, v15
	s_delay_alu instid0(VALU_DEP_1) | instskip(SKIP_1) | instid1(VALU_DEP_1)
	v_cmp_gt_f32_e32 vcc_lo, 0x3f2aaaab, v13
	v_add_f32_e32 v13, -1.0, v15
	v_sub_f32_e32 v101, v13, v15
	v_sub_f32_e32 v13, v14, v13
	s_delay_alu instid0(VALU_DEP_2) | instskip(NEXT) | instid1(VALU_DEP_1)
	v_add_f32_e32 v101, 1.0, v101
	v_add_f32_e32 v13, v13, v101
	v_cmp_gt_f32_e64 s28, 0x33800000, v14
	v_subrev_co_ci_u32_e32 v12, vcc_lo, 0, v12, vcc_lo
	v_cmp_eq_f32_e32 vcc_lo, 0x7f800000, v14
	s_delay_alu instid0(VALU_DEP_2) | instskip(SKIP_2) | instid1(VALU_DEP_2)
	v_sub_nc_u32_e32 v17, 0, v12
	v_cvt_f32_i32_e32 v12, v12
	s_or_b32 vcc_lo, s28, vcc_lo
	v_ldexp_f32 v15, v15, v17
	v_ldexp_f32 v13, v13, v17
	s_delay_alu instid0(VALU_DEP_2) | instskip(SKIP_1) | instid1(VALU_DEP_2)
	v_add_f32_e32 v102, 1.0, v15
	v_add_f32_e32 v17, -1.0, v15
	v_add_f32_e32 v101, -1.0, v102
	s_delay_alu instid0(VALU_DEP_2) | instskip(NEXT) | instid1(VALU_DEP_2)
	v_add_f32_e32 v103, 1.0, v17
	v_sub_f32_e32 v101, v15, v101
	s_delay_alu instid0(VALU_DEP_2) | instskip(NEXT) | instid1(VALU_DEP_2)
	v_sub_f32_e32 v15, v15, v103
	v_add_f32_e32 v101, v13, v101
	s_delay_alu instid0(VALU_DEP_2) | instskip(NEXT) | instid1(VALU_DEP_1)
	v_add_f32_e32 v13, v13, v15
	v_add_f32_e32 v104, v17, v13
	s_delay_alu instid0(VALU_DEP_3) | instskip(NEXT) | instid1(VALU_DEP_1)
	v_add_f32_e32 v103, v102, v101
	v_rcp_f32_e32 v15, v103
	v_sub_f32_e32 v102, v102, v103
	s_delay_alu instid0(VALU_DEP_1) | instskip(SKIP_2) | instid1(VALU_DEP_1)
	v_add_f32_e32 v101, v101, v102
	s_waitcnt_depctr 0xfff
	v_mul_f32_e32 v105, v104, v15
	v_dual_mul_f32 v106, v103, v105 :: v_dual_sub_f32 v17, v17, v104
	s_delay_alu instid0(VALU_DEP_1) | instskip(NEXT) | instid1(VALU_DEP_2)
	v_fma_f32 v102, v105, v103, -v106
	v_add_f32_e32 v13, v13, v17
	s_delay_alu instid0(VALU_DEP_2) | instskip(NEXT) | instid1(VALU_DEP_1)
	v_fmac_f32_e32 v102, v105, v101
	v_add_f32_e32 v107, v106, v102
	s_delay_alu instid0(VALU_DEP_1) | instskip(NEXT) | instid1(VALU_DEP_1)
	v_dual_sub_f32 v108, v104, v107 :: v_dual_sub_f32 v17, v107, v106
	v_dual_sub_f32 v104, v104, v108 :: v_dual_sub_f32 v17, v17, v102
	s_delay_alu instid0(VALU_DEP_1) | instskip(NEXT) | instid1(VALU_DEP_1)
	v_sub_f32_e32 v104, v104, v107
	v_add_f32_e32 v13, v13, v104
	s_delay_alu instid0(VALU_DEP_1) | instskip(NEXT) | instid1(VALU_DEP_1)
	v_add_f32_e32 v13, v17, v13
	v_add_f32_e32 v17, v108, v13
	s_delay_alu instid0(VALU_DEP_1) | instskip(NEXT) | instid1(VALU_DEP_1)
	v_mul_f32_e32 v102, v15, v17
	v_dual_sub_f32 v107, v108, v17 :: v_dual_mul_f32 v104, v103, v102
	s_delay_alu instid0(VALU_DEP_1) | instskip(NEXT) | instid1(VALU_DEP_2)
	v_add_f32_e32 v13, v13, v107
	v_fma_f32 v103, v102, v103, -v104
	s_delay_alu instid0(VALU_DEP_1) | instskip(NEXT) | instid1(VALU_DEP_1)
	v_fmac_f32_e32 v103, v102, v101
	v_add_f32_e32 v101, v104, v103
	s_delay_alu instid0(VALU_DEP_1) | instskip(SKIP_1) | instid1(VALU_DEP_2)
	v_sub_f32_e32 v106, v17, v101
	v_sub_f32_e32 v104, v101, v104
	;; [unrolled: 1-line block ×3, first 2 shown]
	s_delay_alu instid0(VALU_DEP_1) | instskip(NEXT) | instid1(VALU_DEP_3)
	v_sub_f32_e32 v17, v17, v101
	v_sub_f32_e32 v101, v104, v103
	s_delay_alu instid0(VALU_DEP_2) | instskip(SKIP_1) | instid1(VALU_DEP_2)
	v_add_f32_e32 v13, v13, v17
	v_add_f32_e32 v17, v105, v102
	;; [unrolled: 1-line block ×3, first 2 shown]
	s_delay_alu instid0(VALU_DEP_2) | instskip(NEXT) | instid1(VALU_DEP_2)
	v_sub_f32_e32 v101, v17, v105
	v_add_f32_e32 v13, v106, v13
	s_delay_alu instid0(VALU_DEP_2) | instskip(NEXT) | instid1(VALU_DEP_2)
	v_sub_f32_e32 v101, v102, v101
	v_mul_f32_e32 v13, v15, v13
	s_delay_alu instid0(VALU_DEP_1) | instskip(NEXT) | instid1(VALU_DEP_1)
	v_add_f32_e32 v13, v101, v13
	v_add_f32_e32 v15, v17, v13
	s_delay_alu instid0(VALU_DEP_1) | instskip(NEXT) | instid1(VALU_DEP_1)
	v_mul_f32_e32 v101, v15, v15
	v_fmaak_f32 v102, s83, v101, 0x3ecc95a3
	v_mul_f32_e32 v103, v15, v101
	s_delay_alu instid0(VALU_DEP_2) | instskip(SKIP_2) | instid1(VALU_DEP_3)
	v_fmaak_f32 v101, v101, v102, 0x3f2aaada
	v_ldexp_f32 v102, v15, 1
	v_sub_f32_e32 v15, v15, v17
	v_mul_f32_e32 v101, v103, v101
	v_mul_f32_e32 v103, 0x3f317218, v12
	s_delay_alu instid0(VALU_DEP_3) | instskip(NEXT) | instid1(VALU_DEP_3)
	v_sub_f32_e32 v13, v13, v15
	v_add_f32_e32 v17, v102, v101
	s_delay_alu instid0(VALU_DEP_2) | instskip(NEXT) | instid1(VALU_DEP_2)
	v_ldexp_f32 v13, v13, 1
	v_sub_f32_e32 v15, v17, v102
	v_fma_f32 v102, 0x3f317218, v12, -v103
	s_delay_alu instid0(VALU_DEP_1) | instskip(NEXT) | instid1(VALU_DEP_1)
	v_dual_sub_f32 v15, v101, v15 :: v_dual_fmac_f32 v102, 0xb102e308, v12
	v_dual_add_f32 v12, v13, v15 :: v_dual_add_f32 v13, v103, v102
	s_delay_alu instid0(VALU_DEP_1) | instskip(NEXT) | instid1(VALU_DEP_1)
	v_add_f32_e32 v15, v17, v12
	v_add_f32_e32 v101, v13, v15
	v_sub_f32_e32 v17, v15, v17
	s_delay_alu instid0(VALU_DEP_2) | instskip(NEXT) | instid1(VALU_DEP_2)
	v_sub_f32_e32 v104, v101, v13
	v_dual_sub_f32 v103, v13, v103 :: v_dual_sub_f32 v12, v12, v17
	s_delay_alu instid0(VALU_DEP_1) | instskip(SKIP_1) | instid1(VALU_DEP_2)
	v_dual_sub_f32 v105, v101, v104 :: v_dual_sub_f32 v102, v102, v103
	v_sub_f32_e32 v15, v15, v104
	v_sub_f32_e32 v13, v13, v105
	s_delay_alu instid0(VALU_DEP_3) | instskip(NEXT) | instid1(VALU_DEP_2)
	v_add_f32_e32 v17, v102, v12
	v_add_f32_e32 v13, v15, v13
	s_delay_alu instid0(VALU_DEP_2) | instskip(NEXT) | instid1(VALU_DEP_2)
	v_sub_f32_e32 v15, v17, v102
	v_add_f32_e32 v13, v17, v13
	s_delay_alu instid0(VALU_DEP_2) | instskip(NEXT) | instid1(VALU_DEP_2)
	v_sub_f32_e32 v17, v17, v15
	v_dual_sub_f32 v12, v12, v15 :: v_dual_add_f32 v103, v101, v13
	s_delay_alu instid0(VALU_DEP_2) | instskip(NEXT) | instid1(VALU_DEP_2)
	v_sub_f32_e32 v17, v102, v17
	v_sub_f32_e32 v15, v103, v101
	s_delay_alu instid0(VALU_DEP_1) | instskip(NEXT) | instid1(VALU_DEP_1)
	v_dual_add_f32 v12, v12, v17 :: v_dual_sub_f32 v13, v13, v15
	v_add_f32_e32 v12, v12, v13
	s_delay_alu instid0(VALU_DEP_1) | instskip(NEXT) | instid1(VALU_DEP_1)
	v_add_f32_e32 v12, v103, v12
	v_cndmask_b32_e32 v105, v12, v14, vcc_lo
.LBB21_90:                              ;   in Loop: Header=BB21_12 Depth=1
	s_or_b32 exec_lo, exec_lo, s29
	s_waitcnt lgkmcnt(0)
	v_lshlrev_b32_e32 v12, 16, v8
	s_delay_alu instid0(VALU_DEP_1) | instskip(NEXT) | instid1(VALU_DEP_1)
	v_add_f32_e32 v108, s68, v12
	v_cmp_ge_f32_e32 vcc_lo, 0x41a00000, v108
	s_and_b32 s28, s79, vcc_lo
	s_delay_alu instid0(SALU_CYCLE_1)
	s_and_saveexec_b32 s29, s28
	s_cbranch_execz .LBB21_92
; %bb.91:                               ;   in Loop: Header=BB21_12 Depth=1
	v_mul_f32_e32 v12, 0x3fb8aa3b, v108
	v_cmp_ngt_f32_e32 vcc_lo, 0xc2ce8ed0, v108
	s_delay_alu instid0(VALU_DEP_2) | instskip(SKIP_1) | instid1(VALU_DEP_2)
	v_rndne_f32_e32 v13, v12
	v_fma_f32 v14, 0x3fb8aa3b, v108, -v12
	v_sub_f32_e32 v12, v12, v13
	s_delay_alu instid0(VALU_DEP_2) | instskip(SKIP_1) | instid1(VALU_DEP_2)
	v_fmac_f32_e32 v14, 0x32a5705f, v108
	v_cvt_i32_f32_e32 v13, v13
	v_add_f32_e32 v12, v12, v14
	s_delay_alu instid0(VALU_DEP_1) | instskip(SKIP_2) | instid1(VALU_DEP_1)
	v_exp_f32_e32 v12, v12
	s_waitcnt_depctr 0xfff
	v_ldexp_f32 v12, v12, v13
	v_cndmask_b32_e32 v12, 0, v12, vcc_lo
	v_cmp_nlt_f32_e32 vcc_lo, 0x42b17218, v108
	s_delay_alu instid0(VALU_DEP_2) | instskip(NEXT) | instid1(VALU_DEP_1)
	v_cndmask_b32_e32 v14, 0x7f800000, v12, vcc_lo
	v_add_f32_e32 v15, 1.0, v14
	s_delay_alu instid0(VALU_DEP_1) | instskip(NEXT) | instid1(VALU_DEP_1)
	v_cvt_f64_f32_e32 v[12:13], v15
	v_frexp_exp_i32_f64_e32 v12, v[12:13]
	v_frexp_mant_f32_e32 v13, v15
	s_delay_alu instid0(VALU_DEP_1) | instskip(SKIP_1) | instid1(VALU_DEP_1)
	v_cmp_gt_f32_e32 vcc_lo, 0x3f2aaaab, v13
	v_add_f32_e32 v13, -1.0, v15
	v_sub_f32_e32 v101, v13, v15
	v_sub_f32_e32 v13, v14, v13
	s_delay_alu instid0(VALU_DEP_2) | instskip(NEXT) | instid1(VALU_DEP_1)
	v_add_f32_e32 v101, 1.0, v101
	v_add_f32_e32 v13, v13, v101
	v_cmp_gt_f32_e64 s28, 0x33800000, v14
	v_subrev_co_ci_u32_e32 v12, vcc_lo, 0, v12, vcc_lo
	v_cmp_eq_f32_e32 vcc_lo, 0x7f800000, v14
	s_delay_alu instid0(VALU_DEP_2) | instskip(SKIP_2) | instid1(VALU_DEP_2)
	v_sub_nc_u32_e32 v17, 0, v12
	v_cvt_f32_i32_e32 v12, v12
	s_or_b32 vcc_lo, s28, vcc_lo
	v_ldexp_f32 v15, v15, v17
	v_ldexp_f32 v13, v13, v17
	s_delay_alu instid0(VALU_DEP_2) | instskip(SKIP_1) | instid1(VALU_DEP_2)
	v_add_f32_e32 v102, 1.0, v15
	v_add_f32_e32 v17, -1.0, v15
	v_add_f32_e32 v101, -1.0, v102
	s_delay_alu instid0(VALU_DEP_2) | instskip(NEXT) | instid1(VALU_DEP_2)
	v_add_f32_e32 v103, 1.0, v17
	v_sub_f32_e32 v101, v15, v101
	s_delay_alu instid0(VALU_DEP_2) | instskip(NEXT) | instid1(VALU_DEP_2)
	v_sub_f32_e32 v15, v15, v103
	v_add_f32_e32 v101, v13, v101
	s_delay_alu instid0(VALU_DEP_2) | instskip(NEXT) | instid1(VALU_DEP_2)
	v_add_f32_e32 v13, v13, v15
	v_add_f32_e32 v103, v102, v101
	s_delay_alu instid0(VALU_DEP_2) | instskip(NEXT) | instid1(VALU_DEP_2)
	v_add_f32_e32 v104, v17, v13
	v_rcp_f32_e32 v15, v103
	v_sub_f32_e32 v102, v102, v103
	s_waitcnt_depctr 0xfff
	v_dual_add_f32 v101, v101, v102 :: v_dual_mul_f32 v106, v104, v15
	s_delay_alu instid0(VALU_DEP_1) | instskip(NEXT) | instid1(VALU_DEP_1)
	v_mul_f32_e32 v107, v103, v106
	v_fma_f32 v102, v106, v103, -v107
	s_delay_alu instid0(VALU_DEP_1) | instskip(NEXT) | instid1(VALU_DEP_1)
	v_dual_fmac_f32 v102, v106, v101 :: v_dual_sub_f32 v17, v17, v104
	v_add_f32_e32 v108, v107, v102
	s_delay_alu instid0(VALU_DEP_1) | instskip(NEXT) | instid1(VALU_DEP_1)
	v_sub_f32_e32 v109, v104, v108
	v_sub_f32_e32 v104, v104, v109
	s_delay_alu instid0(VALU_DEP_1) | instskip(SKIP_1) | instid1(VALU_DEP_2)
	v_dual_sub_f32 v104, v104, v108 :: v_dual_add_f32 v13, v13, v17
	v_sub_f32_e32 v17, v108, v107
	v_add_f32_e32 v13, v13, v104
	s_delay_alu instid0(VALU_DEP_2) | instskip(NEXT) | instid1(VALU_DEP_1)
	v_sub_f32_e32 v17, v17, v102
	v_add_f32_e32 v13, v17, v13
	s_delay_alu instid0(VALU_DEP_1) | instskip(NEXT) | instid1(VALU_DEP_1)
	v_add_f32_e32 v17, v109, v13
	v_mul_f32_e32 v102, v15, v17
	s_delay_alu instid0(VALU_DEP_1) | instskip(SKIP_1) | instid1(VALU_DEP_2)
	v_mul_f32_e32 v104, v103, v102
	v_sub_f32_e32 v108, v109, v17
	v_fma_f32 v103, v102, v103, -v104
	s_delay_alu instid0(VALU_DEP_2) | instskip(NEXT) | instid1(VALU_DEP_2)
	v_add_f32_e32 v13, v13, v108
	v_fmac_f32_e32 v103, v102, v101
	s_delay_alu instid0(VALU_DEP_1) | instskip(NEXT) | instid1(VALU_DEP_1)
	v_add_f32_e32 v101, v104, v103
	v_sub_f32_e32 v107, v17, v101
	v_sub_f32_e32 v104, v101, v104
	s_delay_alu instid0(VALU_DEP_2) | instskip(NEXT) | instid1(VALU_DEP_1)
	v_sub_f32_e32 v17, v17, v107
	v_sub_f32_e32 v17, v17, v101
	s_delay_alu instid0(VALU_DEP_3) | instskip(NEXT) | instid1(VALU_DEP_2)
	v_sub_f32_e32 v101, v104, v103
	v_add_f32_e32 v13, v13, v17
	v_add_f32_e32 v17, v106, v102
	s_delay_alu instid0(VALU_DEP_2) | instskip(NEXT) | instid1(VALU_DEP_2)
	v_add_f32_e32 v13, v101, v13
	v_sub_f32_e32 v101, v17, v106
	s_delay_alu instid0(VALU_DEP_2) | instskip(NEXT) | instid1(VALU_DEP_2)
	v_add_f32_e32 v13, v107, v13
	v_sub_f32_e32 v101, v102, v101
	s_delay_alu instid0(VALU_DEP_2) | instskip(NEXT) | instid1(VALU_DEP_1)
	v_mul_f32_e32 v13, v15, v13
	v_add_f32_e32 v13, v101, v13
	s_delay_alu instid0(VALU_DEP_1) | instskip(NEXT) | instid1(VALU_DEP_1)
	v_add_f32_e32 v15, v17, v13
	v_mul_f32_e32 v101, v15, v15
	s_delay_alu instid0(VALU_DEP_1) | instskip(SKIP_1) | instid1(VALU_DEP_2)
	v_fmaak_f32 v102, s83, v101, 0x3ecc95a3
	v_mul_f32_e32 v103, v15, v101
	v_fmaak_f32 v101, v101, v102, 0x3f2aaada
	v_ldexp_f32 v102, v15, 1
	v_sub_f32_e32 v15, v15, v17
	s_delay_alu instid0(VALU_DEP_3) | instskip(SKIP_1) | instid1(VALU_DEP_3)
	v_mul_f32_e32 v101, v103, v101
	v_mul_f32_e32 v103, 0x3f317218, v12
	v_sub_f32_e32 v13, v13, v15
	s_delay_alu instid0(VALU_DEP_3) | instskip(NEXT) | instid1(VALU_DEP_2)
	v_add_f32_e32 v17, v102, v101
	v_ldexp_f32 v13, v13, 1
	s_delay_alu instid0(VALU_DEP_2) | instskip(SKIP_1) | instid1(VALU_DEP_1)
	v_sub_f32_e32 v15, v17, v102
	v_fma_f32 v102, 0x3f317218, v12, -v103
	v_dual_sub_f32 v15, v101, v15 :: v_dual_fmac_f32 v102, 0xb102e308, v12
	s_delay_alu instid0(VALU_DEP_1) | instskip(NEXT) | instid1(VALU_DEP_1)
	v_dual_add_f32 v12, v13, v15 :: v_dual_add_f32 v13, v103, v102
	v_add_f32_e32 v15, v17, v12
	s_delay_alu instid0(VALU_DEP_2) | instskip(NEXT) | instid1(VALU_DEP_2)
	v_sub_f32_e32 v103, v13, v103
	v_add_f32_e32 v101, v13, v15
	s_delay_alu instid0(VALU_DEP_2) | instskip(NEXT) | instid1(VALU_DEP_2)
	v_dual_sub_f32 v17, v15, v17 :: v_dual_sub_f32 v102, v102, v103
	v_sub_f32_e32 v104, v101, v13
	s_delay_alu instid0(VALU_DEP_2) | instskip(NEXT) | instid1(VALU_DEP_2)
	v_sub_f32_e32 v12, v12, v17
	v_sub_f32_e32 v106, v101, v104
	;; [unrolled: 1-line block ×3, first 2 shown]
	s_delay_alu instid0(VALU_DEP_3) | instskip(NEXT) | instid1(VALU_DEP_3)
	v_add_f32_e32 v17, v102, v12
	v_sub_f32_e32 v13, v13, v106
	s_delay_alu instid0(VALU_DEP_1) | instskip(NEXT) | instid1(VALU_DEP_3)
	v_add_f32_e32 v13, v15, v13
	v_sub_f32_e32 v15, v17, v102
	s_delay_alu instid0(VALU_DEP_2) | instskip(NEXT) | instid1(VALU_DEP_2)
	v_add_f32_e32 v13, v17, v13
	v_sub_f32_e32 v17, v17, v15
	s_delay_alu instid0(VALU_DEP_2) | instskip(NEXT) | instid1(VALU_DEP_2)
	v_dual_sub_f32 v12, v12, v15 :: v_dual_add_f32 v103, v101, v13
	v_sub_f32_e32 v17, v102, v17
	s_delay_alu instid0(VALU_DEP_2) | instskip(NEXT) | instid1(VALU_DEP_1)
	v_sub_f32_e32 v15, v103, v101
	v_dual_add_f32 v12, v12, v17 :: v_dual_sub_f32 v13, v13, v15
	s_delay_alu instid0(VALU_DEP_1) | instskip(NEXT) | instid1(VALU_DEP_1)
	v_add_f32_e32 v12, v12, v13
	v_add_f32_e32 v12, v103, v12
	s_delay_alu instid0(VALU_DEP_1)
	v_cndmask_b32_e32 v108, v12, v14, vcc_lo
.LBB21_92:                              ;   in Loop: Header=BB21_12 Depth=1
	s_or_b32 exec_lo, exec_lo, s29
	v_and_b32_e32 v8, 0xffff0000, v8
	s_delay_alu instid0(VALU_DEP_1) | instskip(NEXT) | instid1(VALU_DEP_1)
	v_add_f32_e32 v113, s68, v8
	v_cmp_ge_f32_e32 vcc_lo, 0x41a00000, v113
	s_and_b32 s28, s79, vcc_lo
	s_delay_alu instid0(SALU_CYCLE_1)
	s_and_saveexec_b32 s29, s28
	s_cbranch_execz .LBB21_94
; %bb.93:                               ;   in Loop: Header=BB21_12 Depth=1
	v_mul_f32_e32 v8, 0x3fb8aa3b, v113
	v_cmp_ngt_f32_e32 vcc_lo, 0xc2ce8ed0, v113
	s_delay_alu instid0(VALU_DEP_2) | instskip(SKIP_1) | instid1(VALU_DEP_1)
	v_rndne_f32_e32 v12, v8
	v_fma_f32 v13, 0x3fb8aa3b, v113, -v8
	v_dual_sub_f32 v8, v8, v12 :: v_dual_fmac_f32 v13, 0x32a5705f, v113
	v_cvt_i32_f32_e32 v12, v12
	s_delay_alu instid0(VALU_DEP_2) | instskip(NEXT) | instid1(VALU_DEP_1)
	v_add_f32_e32 v8, v8, v13
	v_exp_f32_e32 v8, v8
	s_waitcnt_depctr 0xfff
	v_ldexp_f32 v8, v8, v12
	s_delay_alu instid0(VALU_DEP_1) | instskip(SKIP_1) | instid1(VALU_DEP_2)
	v_cndmask_b32_e32 v8, 0, v8, vcc_lo
	v_cmp_nlt_f32_e32 vcc_lo, 0x42b17218, v113
	v_cndmask_b32_e32 v8, 0x7f800000, v8, vcc_lo
	s_delay_alu instid0(VALU_DEP_1) | instskip(NEXT) | instid1(VALU_DEP_1)
	v_add_f32_e32 v14, 1.0, v8
	v_cvt_f64_f32_e32 v[12:13], v14
	s_delay_alu instid0(VALU_DEP_1) | instskip(SKIP_1) | instid1(VALU_DEP_1)
	v_frexp_exp_i32_f64_e32 v12, v[12:13]
	v_frexp_mant_f32_e32 v13, v14
	v_cmp_gt_f32_e32 vcc_lo, 0x3f2aaaab, v13
	v_add_f32_e32 v13, -1.0, v14
	s_delay_alu instid0(VALU_DEP_1) | instskip(NEXT) | instid1(VALU_DEP_1)
	v_sub_f32_e32 v17, v13, v14
	v_add_f32_e32 v17, 1.0, v17
	v_subrev_co_ci_u32_e32 v12, vcc_lo, 0, v12, vcc_lo
	s_delay_alu instid0(VALU_DEP_1) | instskip(SKIP_1) | instid1(VALU_DEP_2)
	v_sub_nc_u32_e32 v15, 0, v12
	v_cvt_f32_i32_e32 v12, v12
	v_ldexp_f32 v14, v14, v15
	s_delay_alu instid0(VALU_DEP_1) | instskip(SKIP_3) | instid1(VALU_DEP_3)
	v_add_f32_e32 v101, 1.0, v14
	v_sub_f32_e32 v13, v8, v13
	v_cmp_eq_f32_e32 vcc_lo, 0x7f800000, v8
	v_cmp_gt_f32_e64 s28, 0x33800000, v8
	v_add_f32_e32 v13, v13, v17
	s_delay_alu instid0(VALU_DEP_2) | instskip(NEXT) | instid1(VALU_DEP_1)
	s_or_b32 vcc_lo, s28, vcc_lo
	v_ldexp_f32 v13, v13, v15
	v_add_f32_e32 v15, -1.0, v14
	s_delay_alu instid0(VALU_DEP_1) | instskip(NEXT) | instid1(VALU_DEP_1)
	v_dual_add_f32 v102, 1.0, v15 :: v_dual_add_f32 v17, -1.0, v101
	v_sub_f32_e32 v17, v14, v17
	s_delay_alu instid0(VALU_DEP_1) | instskip(NEXT) | instid1(VALU_DEP_1)
	v_dual_sub_f32 v14, v14, v102 :: v_dual_add_f32 v17, v13, v17
	v_add_f32_e32 v13, v13, v14
	s_delay_alu instid0(VALU_DEP_2) | instskip(NEXT) | instid1(VALU_DEP_2)
	v_add_f32_e32 v102, v101, v17
	v_add_f32_e32 v103, v15, v13
	s_delay_alu instid0(VALU_DEP_2) | instskip(SKIP_1) | instid1(VALU_DEP_2)
	v_rcp_f32_e32 v14, v102
	v_sub_f32_e32 v101, v101, v102
	v_sub_f32_e32 v15, v15, v103
	s_waitcnt_depctr 0xfff
	v_dual_add_f32 v13, v13, v15 :: v_dual_mul_f32 v104, v103, v14
	s_delay_alu instid0(VALU_DEP_1) | instskip(NEXT) | instid1(VALU_DEP_1)
	v_dual_mul_f32 v106, v102, v104 :: v_dual_add_f32 v17, v17, v101
	v_fma_f32 v101, v104, v102, -v106
	s_delay_alu instid0(VALU_DEP_1) | instskip(NEXT) | instid1(VALU_DEP_1)
	v_fmac_f32_e32 v101, v104, v17
	v_add_f32_e32 v107, v106, v101
	s_delay_alu instid0(VALU_DEP_1) | instskip(SKIP_1) | instid1(VALU_DEP_2)
	v_sub_f32_e32 v109, v103, v107
	v_sub_f32_e32 v15, v107, v106
	;; [unrolled: 1-line block ×3, first 2 shown]
	s_delay_alu instid0(VALU_DEP_2) | instskip(NEXT) | instid1(VALU_DEP_2)
	v_sub_f32_e32 v15, v15, v101
	v_sub_f32_e32 v103, v103, v107
	s_delay_alu instid0(VALU_DEP_1) | instskip(NEXT) | instid1(VALU_DEP_1)
	v_add_f32_e32 v13, v13, v103
	v_add_f32_e32 v13, v15, v13
	s_delay_alu instid0(VALU_DEP_1) | instskip(NEXT) | instid1(VALU_DEP_1)
	v_add_f32_e32 v15, v109, v13
	v_mul_f32_e32 v101, v14, v15
	s_delay_alu instid0(VALU_DEP_1) | instskip(NEXT) | instid1(VALU_DEP_1)
	v_mul_f32_e32 v103, v102, v101
	v_fma_f32 v102, v101, v102, -v103
	s_delay_alu instid0(VALU_DEP_1) | instskip(SKIP_1) | instid1(VALU_DEP_2)
	v_fmac_f32_e32 v102, v101, v17
	v_sub_f32_e32 v107, v109, v15
	v_add_f32_e32 v17, v103, v102
	s_delay_alu instid0(VALU_DEP_1) | instskip(SKIP_1) | instid1(VALU_DEP_2)
	v_dual_add_f32 v13, v13, v107 :: v_dual_sub_f32 v106, v15, v17
	v_sub_f32_e32 v103, v17, v103
	v_sub_f32_e32 v15, v15, v106
	s_delay_alu instid0(VALU_DEP_1) | instskip(NEXT) | instid1(VALU_DEP_3)
	v_sub_f32_e32 v15, v15, v17
	v_sub_f32_e32 v17, v103, v102
	s_delay_alu instid0(VALU_DEP_2) | instskip(SKIP_1) | instid1(VALU_DEP_2)
	v_add_f32_e32 v13, v13, v15
	v_add_f32_e32 v15, v104, v101
	v_add_f32_e32 v13, v17, v13
	s_delay_alu instid0(VALU_DEP_2) | instskip(NEXT) | instid1(VALU_DEP_2)
	v_sub_f32_e32 v17, v15, v104
	v_add_f32_e32 v13, v106, v13
	s_delay_alu instid0(VALU_DEP_2) | instskip(NEXT) | instid1(VALU_DEP_2)
	v_sub_f32_e32 v17, v101, v17
	v_mul_f32_e32 v13, v14, v13
	s_delay_alu instid0(VALU_DEP_1) | instskip(NEXT) | instid1(VALU_DEP_1)
	v_add_f32_e32 v13, v17, v13
	v_add_f32_e32 v14, v15, v13
	s_delay_alu instid0(VALU_DEP_1) | instskip(NEXT) | instid1(VALU_DEP_1)
	v_mul_f32_e32 v17, v14, v14
	v_fmaak_f32 v101, s83, v17, 0x3ecc95a3
	v_mul_f32_e32 v102, v14, v17
	s_delay_alu instid0(VALU_DEP_2) | instskip(SKIP_2) | instid1(VALU_DEP_3)
	v_fmaak_f32 v17, v17, v101, 0x3f2aaada
	v_ldexp_f32 v101, v14, 1
	v_sub_f32_e32 v14, v14, v15
	v_dual_mul_f32 v17, v102, v17 :: v_dual_mul_f32 v102, 0x3f317218, v12
	s_delay_alu instid0(VALU_DEP_2) | instskip(NEXT) | instid1(VALU_DEP_2)
	v_sub_f32_e32 v13, v13, v14
	v_add_f32_e32 v15, v101, v17
	s_delay_alu instid0(VALU_DEP_2) | instskip(NEXT) | instid1(VALU_DEP_2)
	v_ldexp_f32 v13, v13, 1
	v_sub_f32_e32 v14, v15, v101
	v_fma_f32 v101, 0x3f317218, v12, -v102
	s_delay_alu instid0(VALU_DEP_1) | instskip(NEXT) | instid1(VALU_DEP_1)
	v_dual_sub_f32 v14, v17, v14 :: v_dual_fmac_f32 v101, 0xb102e308, v12
	v_dual_add_f32 v12, v13, v14 :: v_dual_add_f32 v13, v102, v101
	s_delay_alu instid0(VALU_DEP_1) | instskip(NEXT) | instid1(VALU_DEP_2)
	v_add_f32_e32 v14, v15, v12
	v_sub_f32_e32 v102, v13, v102
	s_delay_alu instid0(VALU_DEP_2) | instskip(SKIP_1) | instid1(VALU_DEP_3)
	v_add_f32_e32 v17, v13, v14
	v_sub_f32_e32 v15, v14, v15
	v_sub_f32_e32 v101, v101, v102
	s_delay_alu instid0(VALU_DEP_2) | instskip(NEXT) | instid1(VALU_DEP_1)
	v_dual_sub_f32 v103, v17, v13 :: v_dual_sub_f32 v12, v12, v15
	v_sub_f32_e32 v104, v17, v103
	s_delay_alu instid0(VALU_DEP_2) | instskip(NEXT) | instid1(VALU_DEP_2)
	v_dual_sub_f32 v14, v14, v103 :: v_dual_add_f32 v15, v101, v12
	v_sub_f32_e32 v13, v13, v104
	s_delay_alu instid0(VALU_DEP_1) | instskip(NEXT) | instid1(VALU_DEP_3)
	v_add_f32_e32 v13, v14, v13
	v_sub_f32_e32 v14, v15, v101
	s_delay_alu instid0(VALU_DEP_2) | instskip(NEXT) | instid1(VALU_DEP_2)
	v_add_f32_e32 v13, v15, v13
	v_sub_f32_e32 v15, v15, v14
	v_sub_f32_e32 v12, v12, v14
	s_delay_alu instid0(VALU_DEP_3) | instskip(NEXT) | instid1(VALU_DEP_1)
	v_add_f32_e32 v102, v17, v13
	v_dual_sub_f32 v15, v101, v15 :: v_dual_sub_f32 v14, v102, v17
	s_delay_alu instid0(VALU_DEP_1) | instskip(NEXT) | instid1(VALU_DEP_1)
	v_dual_add_f32 v12, v12, v15 :: v_dual_sub_f32 v13, v13, v14
	v_add_f32_e32 v12, v12, v13
	s_delay_alu instid0(VALU_DEP_1) | instskip(NEXT) | instid1(VALU_DEP_1)
	v_add_f32_e32 v12, v102, v12
	v_cndmask_b32_e32 v113, v12, v8, vcc_lo
.LBB21_94:                              ;   in Loop: Header=BB21_12 Depth=1
	s_or_b32 exec_lo, exec_lo, s29
	v_lshlrev_b32_e32 v8, 16, v9
	s_delay_alu instid0(VALU_DEP_1) | instskip(NEXT) | instid1(VALU_DEP_1)
	v_add_f32_e32 v116, s68, v8
	v_cmp_ge_f32_e32 vcc_lo, 0x41a00000, v116
	s_and_b32 s28, s79, vcc_lo
	s_delay_alu instid0(SALU_CYCLE_1)
	s_and_saveexec_b32 s29, s28
	s_cbranch_execz .LBB21_96
; %bb.95:                               ;   in Loop: Header=BB21_12 Depth=1
	v_mul_f32_e32 v8, 0x3fb8aa3b, v116
	v_cmp_ngt_f32_e32 vcc_lo, 0xc2ce8ed0, v116
	s_delay_alu instid0(VALU_DEP_2) | instskip(SKIP_1) | instid1(VALU_DEP_2)
	v_rndne_f32_e32 v12, v8
	v_fma_f32 v13, 0x3fb8aa3b, v116, -v8
	v_sub_f32_e32 v8, v8, v12
	s_delay_alu instid0(VALU_DEP_2) | instskip(SKIP_1) | instid1(VALU_DEP_2)
	v_fmac_f32_e32 v13, 0x32a5705f, v116
	v_cvt_i32_f32_e32 v12, v12
	v_add_f32_e32 v8, v8, v13
	s_delay_alu instid0(VALU_DEP_1) | instskip(SKIP_2) | instid1(VALU_DEP_1)
	v_exp_f32_e32 v8, v8
	s_waitcnt_depctr 0xfff
	v_ldexp_f32 v8, v8, v12
	v_cndmask_b32_e32 v8, 0, v8, vcc_lo
	v_cmp_nlt_f32_e32 vcc_lo, 0x42b17218, v116
	s_delay_alu instid0(VALU_DEP_2) | instskip(NEXT) | instid1(VALU_DEP_1)
	v_cndmask_b32_e32 v8, 0x7f800000, v8, vcc_lo
	v_add_f32_e32 v14, 1.0, v8
	s_delay_alu instid0(VALU_DEP_1) | instskip(NEXT) | instid1(VALU_DEP_1)
	v_cvt_f64_f32_e32 v[12:13], v14
	v_frexp_exp_i32_f64_e32 v12, v[12:13]
	v_frexp_mant_f32_e32 v13, v14
	s_delay_alu instid0(VALU_DEP_1) | instskip(SKIP_1) | instid1(VALU_DEP_1)
	v_cmp_gt_f32_e32 vcc_lo, 0x3f2aaaab, v13
	v_add_f32_e32 v13, -1.0, v14
	v_sub_f32_e32 v17, v13, v14
	v_sub_f32_e32 v13, v8, v13
	s_delay_alu instid0(VALU_DEP_2) | instskip(NEXT) | instid1(VALU_DEP_1)
	v_add_f32_e32 v17, 1.0, v17
	v_add_f32_e32 v13, v13, v17
	v_cmp_gt_f32_e64 s28, 0x33800000, v8
	v_subrev_co_ci_u32_e32 v12, vcc_lo, 0, v12, vcc_lo
	v_cmp_eq_f32_e32 vcc_lo, 0x7f800000, v8
	s_delay_alu instid0(VALU_DEP_2) | instskip(SKIP_2) | instid1(VALU_DEP_2)
	v_sub_nc_u32_e32 v15, 0, v12
	v_cvt_f32_i32_e32 v12, v12
	s_or_b32 vcc_lo, s28, vcc_lo
	v_ldexp_f32 v14, v14, v15
	v_ldexp_f32 v13, v13, v15
	s_delay_alu instid0(VALU_DEP_2) | instskip(SKIP_1) | instid1(VALU_DEP_1)
	v_add_f32_e32 v101, 1.0, v14
	v_add_f32_e32 v15, -1.0, v14
	v_dual_add_f32 v102, 1.0, v15 :: v_dual_add_f32 v17, -1.0, v101
	s_delay_alu instid0(VALU_DEP_1) | instskip(NEXT) | instid1(VALU_DEP_1)
	v_sub_f32_e32 v17, v14, v17
	v_dual_sub_f32 v14, v14, v102 :: v_dual_add_f32 v17, v13, v17
	s_delay_alu instid0(VALU_DEP_1) | instskip(NEXT) | instid1(VALU_DEP_2)
	v_add_f32_e32 v13, v13, v14
	v_add_f32_e32 v102, v101, v17
	s_delay_alu instid0(VALU_DEP_2) | instskip(NEXT) | instid1(VALU_DEP_2)
	v_add_f32_e32 v103, v15, v13
	v_rcp_f32_e32 v14, v102
	v_sub_f32_e32 v101, v101, v102
	s_delay_alu instid0(VALU_DEP_2) | instskip(SKIP_2) | instid1(VALU_DEP_1)
	v_sub_f32_e32 v15, v15, v103
	s_waitcnt_depctr 0xfff
	v_dual_add_f32 v13, v13, v15 :: v_dual_mul_f32 v104, v103, v14
	v_dual_mul_f32 v106, v102, v104 :: v_dual_add_f32 v17, v17, v101
	s_delay_alu instid0(VALU_DEP_1) | instskip(NEXT) | instid1(VALU_DEP_1)
	v_fma_f32 v101, v104, v102, -v106
	v_fmac_f32_e32 v101, v104, v17
	s_delay_alu instid0(VALU_DEP_1) | instskip(NEXT) | instid1(VALU_DEP_1)
	v_add_f32_e32 v107, v106, v101
	v_sub_f32_e32 v109, v103, v107
	v_sub_f32_e32 v15, v107, v106
	s_delay_alu instid0(VALU_DEP_2) | instskip(NEXT) | instid1(VALU_DEP_2)
	v_sub_f32_e32 v103, v103, v109
	v_sub_f32_e32 v15, v15, v101
	s_delay_alu instid0(VALU_DEP_2) | instskip(NEXT) | instid1(VALU_DEP_1)
	v_sub_f32_e32 v103, v103, v107
	v_add_f32_e32 v13, v13, v103
	s_delay_alu instid0(VALU_DEP_1) | instskip(NEXT) | instid1(VALU_DEP_1)
	v_add_f32_e32 v13, v15, v13
	v_add_f32_e32 v15, v109, v13
	s_delay_alu instid0(VALU_DEP_1) | instskip(NEXT) | instid1(VALU_DEP_1)
	v_mul_f32_e32 v101, v14, v15
	v_mul_f32_e32 v103, v102, v101
	s_delay_alu instid0(VALU_DEP_1) | instskip(NEXT) | instid1(VALU_DEP_1)
	v_fma_f32 v102, v101, v102, -v103
	v_fmac_f32_e32 v102, v101, v17
	v_sub_f32_e32 v107, v109, v15
	s_delay_alu instid0(VALU_DEP_2) | instskip(NEXT) | instid1(VALU_DEP_1)
	v_add_f32_e32 v17, v103, v102
	v_dual_add_f32 v13, v13, v107 :: v_dual_sub_f32 v106, v15, v17
	v_sub_f32_e32 v103, v17, v103
	s_delay_alu instid0(VALU_DEP_2) | instskip(NEXT) | instid1(VALU_DEP_1)
	v_sub_f32_e32 v15, v15, v106
	v_sub_f32_e32 v15, v15, v17
	s_delay_alu instid0(VALU_DEP_3) | instskip(NEXT) | instid1(VALU_DEP_2)
	v_sub_f32_e32 v17, v103, v102
	v_add_f32_e32 v13, v13, v15
	v_add_f32_e32 v15, v104, v101
	s_delay_alu instid0(VALU_DEP_2) | instskip(NEXT) | instid1(VALU_DEP_2)
	v_add_f32_e32 v13, v17, v13
	v_sub_f32_e32 v17, v15, v104
	s_delay_alu instid0(VALU_DEP_2) | instskip(NEXT) | instid1(VALU_DEP_2)
	v_add_f32_e32 v13, v106, v13
	v_sub_f32_e32 v17, v101, v17
	s_delay_alu instid0(VALU_DEP_2) | instskip(NEXT) | instid1(VALU_DEP_1)
	v_mul_f32_e32 v13, v14, v13
	v_add_f32_e32 v13, v17, v13
	s_delay_alu instid0(VALU_DEP_1) | instskip(NEXT) | instid1(VALU_DEP_1)
	v_add_f32_e32 v14, v15, v13
	v_mul_f32_e32 v17, v14, v14
	s_delay_alu instid0(VALU_DEP_1) | instskip(SKIP_1) | instid1(VALU_DEP_2)
	v_fmaak_f32 v101, s83, v17, 0x3ecc95a3
	v_mul_f32_e32 v102, v14, v17
	v_fmaak_f32 v17, v17, v101, 0x3f2aaada
	v_ldexp_f32 v101, v14, 1
	v_sub_f32_e32 v14, v14, v15
	s_delay_alu instid0(VALU_DEP_3) | instskip(NEXT) | instid1(VALU_DEP_2)
	v_dual_mul_f32 v17, v102, v17 :: v_dual_mul_f32 v102, 0x3f317218, v12
	v_sub_f32_e32 v13, v13, v14
	s_delay_alu instid0(VALU_DEP_2) | instskip(NEXT) | instid1(VALU_DEP_2)
	v_add_f32_e32 v15, v101, v17
	v_ldexp_f32 v13, v13, 1
	s_delay_alu instid0(VALU_DEP_2) | instskip(SKIP_1) | instid1(VALU_DEP_1)
	v_sub_f32_e32 v14, v15, v101
	v_fma_f32 v101, 0x3f317218, v12, -v102
	v_dual_sub_f32 v14, v17, v14 :: v_dual_fmac_f32 v101, 0xb102e308, v12
	s_delay_alu instid0(VALU_DEP_1) | instskip(NEXT) | instid1(VALU_DEP_1)
	v_dual_add_f32 v12, v13, v14 :: v_dual_add_f32 v13, v102, v101
	v_add_f32_e32 v14, v15, v12
	s_delay_alu instid0(VALU_DEP_2) | instskip(NEXT) | instid1(VALU_DEP_2)
	v_sub_f32_e32 v102, v13, v102
	v_add_f32_e32 v17, v13, v14
	v_sub_f32_e32 v15, v14, v15
	s_delay_alu instid0(VALU_DEP_3) | instskip(NEXT) | instid1(VALU_DEP_2)
	v_sub_f32_e32 v101, v101, v102
	v_dual_sub_f32 v103, v17, v13 :: v_dual_sub_f32 v12, v12, v15
	s_delay_alu instid0(VALU_DEP_1) | instskip(NEXT) | instid1(VALU_DEP_2)
	v_sub_f32_e32 v104, v17, v103
	v_dual_sub_f32 v14, v14, v103 :: v_dual_add_f32 v15, v101, v12
	s_delay_alu instid0(VALU_DEP_2) | instskip(NEXT) | instid1(VALU_DEP_1)
	v_sub_f32_e32 v13, v13, v104
	v_add_f32_e32 v13, v14, v13
	s_delay_alu instid0(VALU_DEP_3) | instskip(NEXT) | instid1(VALU_DEP_2)
	v_sub_f32_e32 v14, v15, v101
	v_add_f32_e32 v13, v15, v13
	s_delay_alu instid0(VALU_DEP_2) | instskip(SKIP_1) | instid1(VALU_DEP_3)
	v_sub_f32_e32 v15, v15, v14
	v_sub_f32_e32 v12, v12, v14
	v_add_f32_e32 v102, v17, v13
	s_delay_alu instid0(VALU_DEP_1) | instskip(NEXT) | instid1(VALU_DEP_1)
	v_dual_sub_f32 v15, v101, v15 :: v_dual_sub_f32 v14, v102, v17
	v_dual_add_f32 v12, v12, v15 :: v_dual_sub_f32 v13, v13, v14
	s_delay_alu instid0(VALU_DEP_1) | instskip(NEXT) | instid1(VALU_DEP_1)
	v_add_f32_e32 v12, v12, v13
	v_add_f32_e32 v12, v102, v12
	s_delay_alu instid0(VALU_DEP_1)
	v_cndmask_b32_e32 v116, v12, v8, vcc_lo
.LBB21_96:                              ;   in Loop: Header=BB21_12 Depth=1
	s_or_b32 exec_lo, exec_lo, s29
	v_and_b32_e32 v8, 0xffff0000, v9
	s_delay_alu instid0(VALU_DEP_1) | instskip(NEXT) | instid1(VALU_DEP_1)
	v_add_f32_e32 v121, s68, v8
	v_cmp_ge_f32_e32 vcc_lo, 0x41a00000, v121
	s_and_b32 s28, s79, vcc_lo
	s_delay_alu instid0(SALU_CYCLE_1)
	s_and_saveexec_b32 s29, s28
	s_cbranch_execz .LBB21_98
; %bb.97:                               ;   in Loop: Header=BB21_12 Depth=1
	v_mul_f32_e32 v8, 0x3fb8aa3b, v121
	v_cmp_ngt_f32_e32 vcc_lo, 0xc2ce8ed0, v121
	s_delay_alu instid0(VALU_DEP_2) | instskip(SKIP_1) | instid1(VALU_DEP_2)
	v_rndne_f32_e32 v9, v8
	v_fma_f32 v12, 0x3fb8aa3b, v121, -v8
	v_sub_f32_e32 v8, v8, v9
	s_delay_alu instid0(VALU_DEP_2) | instskip(SKIP_1) | instid1(VALU_DEP_2)
	v_fmac_f32_e32 v12, 0x32a5705f, v121
	v_cvt_i32_f32_e32 v9, v9
	v_add_f32_e32 v8, v8, v12
	s_delay_alu instid0(VALU_DEP_1) | instskip(SKIP_2) | instid1(VALU_DEP_1)
	v_exp_f32_e32 v8, v8
	s_waitcnt_depctr 0xfff
	v_ldexp_f32 v8, v8, v9
	v_cndmask_b32_e32 v8, 0, v8, vcc_lo
	v_cmp_nlt_f32_e32 vcc_lo, 0x42b17218, v121
	s_delay_alu instid0(VALU_DEP_2) | instskip(NEXT) | instid1(VALU_DEP_1)
	v_cndmask_b32_e32 v12, 0x7f800000, v8, vcc_lo
	v_add_f32_e32 v13, 1.0, v12
	s_delay_alu instid0(VALU_DEP_1) | instskip(NEXT) | instid1(VALU_DEP_1)
	v_cvt_f64_f32_e32 v[8:9], v13
	v_frexp_exp_i32_f64_e32 v8, v[8:9]
	v_frexp_mant_f32_e32 v9, v13
	s_delay_alu instid0(VALU_DEP_1) | instskip(SKIP_1) | instid1(VALU_DEP_1)
	v_cmp_gt_f32_e32 vcc_lo, 0x3f2aaaab, v9
	v_add_f32_e32 v9, -1.0, v13
	v_sub_f32_e32 v15, v9, v13
	s_delay_alu instid0(VALU_DEP_1) | instskip(SKIP_1) | instid1(VALU_DEP_1)
	v_add_f32_e32 v15, 1.0, v15
	v_subrev_co_ci_u32_e32 v8, vcc_lo, 0, v8, vcc_lo
	v_sub_nc_u32_e32 v14, 0, v8
	v_cvt_f32_i32_e32 v8, v8
	s_delay_alu instid0(VALU_DEP_2) | instskip(NEXT) | instid1(VALU_DEP_1)
	v_ldexp_f32 v13, v13, v14
	v_add_f32_e32 v17, 1.0, v13
	v_sub_f32_e32 v9, v12, v9
	v_cmp_eq_f32_e32 vcc_lo, 0x7f800000, v12
	v_cmp_gt_f32_e64 s28, 0x33800000, v12
	s_delay_alu instid0(VALU_DEP_3) | instskip(NEXT) | instid1(VALU_DEP_2)
	v_add_f32_e32 v9, v9, v15
	s_or_b32 vcc_lo, s28, vcc_lo
	s_delay_alu instid0(VALU_DEP_1) | instskip(SKIP_2) | instid1(VALU_DEP_1)
	v_ldexp_f32 v9, v9, v14
	v_add_f32_e32 v14, -1.0, v13
	v_add_f32_e32 v15, -1.0, v17
	v_sub_f32_e32 v15, v13, v15
	s_delay_alu instid0(VALU_DEP_3) | instskip(NEXT) | instid1(VALU_DEP_2)
	v_add_f32_e32 v101, 1.0, v14
	v_add_f32_e32 v15, v9, v15
	s_delay_alu instid0(VALU_DEP_2) | instskip(NEXT) | instid1(VALU_DEP_2)
	v_sub_f32_e32 v13, v13, v101
	v_add_f32_e32 v101, v17, v15
	s_delay_alu instid0(VALU_DEP_2) | instskip(NEXT) | instid1(VALU_DEP_2)
	v_add_f32_e32 v9, v9, v13
	v_rcp_f32_e32 v13, v101
	s_delay_alu instid0(VALU_DEP_1) | instskip(NEXT) | instid1(VALU_DEP_1)
	v_add_f32_e32 v102, v14, v9
	v_dual_sub_f32 v17, v17, v101 :: v_dual_sub_f32 v14, v14, v102
	s_delay_alu instid0(VALU_DEP_1) | instskip(SKIP_2) | instid1(VALU_DEP_1)
	v_add_f32_e32 v15, v15, v17
	s_waitcnt_depctr 0xfff
	v_mul_f32_e32 v103, v102, v13
	v_mul_f32_e32 v104, v101, v103
	s_delay_alu instid0(VALU_DEP_1) | instskip(NEXT) | instid1(VALU_DEP_1)
	v_fma_f32 v17, v103, v101, -v104
	v_fmac_f32_e32 v17, v103, v15
	s_delay_alu instid0(VALU_DEP_1) | instskip(NEXT) | instid1(VALU_DEP_1)
	v_add_f32_e32 v106, v104, v17
	v_sub_f32_e32 v107, v102, v106
	s_delay_alu instid0(VALU_DEP_1) | instskip(NEXT) | instid1(VALU_DEP_1)
	v_sub_f32_e32 v102, v102, v107
	v_sub_f32_e32 v102, v102, v106
	v_dual_add_f32 v9, v9, v14 :: v_dual_sub_f32 v14, v106, v104
	s_delay_alu instid0(VALU_DEP_1) | instskip(NEXT) | instid1(VALU_DEP_1)
	v_dual_sub_f32 v14, v14, v17 :: v_dual_add_f32 v9, v9, v102
	v_add_f32_e32 v9, v14, v9
	s_delay_alu instid0(VALU_DEP_1) | instskip(NEXT) | instid1(VALU_DEP_1)
	v_add_f32_e32 v14, v107, v9
	v_mul_f32_e32 v17, v13, v14
	s_delay_alu instid0(VALU_DEP_1) | instskip(NEXT) | instid1(VALU_DEP_1)
	v_mul_f32_e32 v102, v101, v17
	v_fma_f32 v101, v17, v101, -v102
	s_delay_alu instid0(VALU_DEP_1) | instskip(NEXT) | instid1(VALU_DEP_1)
	v_dual_fmac_f32 v101, v17, v15 :: v_dual_sub_f32 v106, v107, v14
	v_add_f32_e32 v15, v102, v101
	s_delay_alu instid0(VALU_DEP_1) | instskip(SKIP_1) | instid1(VALU_DEP_2)
	v_sub_f32_e32 v104, v14, v15
	v_sub_f32_e32 v102, v15, v102
	v_dual_add_f32 v9, v9, v106 :: v_dual_sub_f32 v14, v14, v104
	s_delay_alu instid0(VALU_DEP_1) | instskip(NEXT) | instid1(VALU_DEP_3)
	v_sub_f32_e32 v14, v14, v15
	v_sub_f32_e32 v15, v102, v101
	s_delay_alu instid0(VALU_DEP_2) | instskip(NEXT) | instid1(VALU_DEP_1)
	v_dual_add_f32 v9, v9, v14 :: v_dual_add_f32 v14, v103, v17
	v_add_f32_e32 v9, v15, v9
	s_delay_alu instid0(VALU_DEP_2) | instskip(NEXT) | instid1(VALU_DEP_2)
	v_sub_f32_e32 v15, v14, v103
	v_add_f32_e32 v9, v104, v9
	s_delay_alu instid0(VALU_DEP_2) | instskip(NEXT) | instid1(VALU_DEP_2)
	v_sub_f32_e32 v15, v17, v15
	v_mul_f32_e32 v9, v13, v9
	s_delay_alu instid0(VALU_DEP_1) | instskip(NEXT) | instid1(VALU_DEP_1)
	v_add_f32_e32 v9, v15, v9
	v_add_f32_e32 v13, v14, v9
	s_delay_alu instid0(VALU_DEP_1) | instskip(NEXT) | instid1(VALU_DEP_1)
	v_mul_f32_e32 v15, v13, v13
	v_fmaak_f32 v17, s83, v15, 0x3ecc95a3
	v_mul_f32_e32 v101, v13, v15
	s_delay_alu instid0(VALU_DEP_2) | instskip(SKIP_2) | instid1(VALU_DEP_3)
	v_fmaak_f32 v15, v15, v17, 0x3f2aaada
	v_ldexp_f32 v17, v13, 1
	v_sub_f32_e32 v13, v13, v14
	v_mul_f32_e32 v15, v101, v15
	v_mul_f32_e32 v101, 0x3f317218, v8
	s_delay_alu instid0(VALU_DEP_3) | instskip(NEXT) | instid1(VALU_DEP_3)
	v_sub_f32_e32 v9, v9, v13
	v_add_f32_e32 v14, v17, v15
	s_delay_alu instid0(VALU_DEP_2) | instskip(NEXT) | instid1(VALU_DEP_2)
	v_ldexp_f32 v9, v9, 1
	v_sub_f32_e32 v13, v14, v17
	v_fma_f32 v17, 0x3f317218, v8, -v101
	s_delay_alu instid0(VALU_DEP_2) | instskip(NEXT) | instid1(VALU_DEP_1)
	v_sub_f32_e32 v13, v15, v13
	v_dual_fmac_f32 v17, 0xb102e308, v8 :: v_dual_add_f32 v8, v9, v13
	s_delay_alu instid0(VALU_DEP_1) | instskip(NEXT) | instid1(VALU_DEP_2)
	v_add_f32_e32 v9, v101, v17
	v_add_f32_e32 v13, v14, v8
	s_delay_alu instid0(VALU_DEP_2) | instskip(NEXT) | instid1(VALU_DEP_2)
	v_sub_f32_e32 v101, v9, v101
	v_add_f32_e32 v15, v9, v13
	v_sub_f32_e32 v14, v13, v14
	s_delay_alu instid0(VALU_DEP_3) | instskip(NEXT) | instid1(VALU_DEP_3)
	v_sub_f32_e32 v17, v17, v101
	v_sub_f32_e32 v102, v15, v9
	s_delay_alu instid0(VALU_DEP_3) | instskip(NEXT) | instid1(VALU_DEP_2)
	v_sub_f32_e32 v8, v8, v14
	v_sub_f32_e32 v103, v15, v102
	v_sub_f32_e32 v13, v13, v102
	s_delay_alu instid0(VALU_DEP_3) | instskip(NEXT) | instid1(VALU_DEP_3)
	v_add_f32_e32 v14, v17, v8
	v_sub_f32_e32 v9, v9, v103
	s_delay_alu instid0(VALU_DEP_1) | instskip(NEXT) | instid1(VALU_DEP_3)
	v_add_f32_e32 v9, v13, v9
	v_sub_f32_e32 v13, v14, v17
	s_delay_alu instid0(VALU_DEP_2) | instskip(NEXT) | instid1(VALU_DEP_2)
	v_add_f32_e32 v9, v14, v9
	v_sub_f32_e32 v14, v14, v13
	v_sub_f32_e32 v8, v8, v13
	s_delay_alu instid0(VALU_DEP_2) | instskip(NEXT) | instid1(VALU_DEP_1)
	v_dual_add_f32 v101, v15, v9 :: v_dual_sub_f32 v14, v17, v14
	v_dual_sub_f32 v13, v101, v15 :: v_dual_add_f32 v8, v8, v14
	s_delay_alu instid0(VALU_DEP_1) | instskip(NEXT) | instid1(VALU_DEP_1)
	v_sub_f32_e32 v9, v9, v13
	v_add_f32_e32 v8, v8, v9
	s_delay_alu instid0(VALU_DEP_1) | instskip(NEXT) | instid1(VALU_DEP_1)
	v_add_f32_e32 v8, v101, v8
	v_cndmask_b32_e32 v121, v8, v12, vcc_lo
.LBB21_98:                              ;   in Loop: Header=BB21_12 Depth=1
	s_or_b32 exec_lo, exec_lo, s29
	v_lshlrev_b32_e32 v8, 16, v10
	s_delay_alu instid0(VALU_DEP_1) | instskip(NEXT) | instid1(VALU_DEP_1)
	v_add_f32_e32 v122, s68, v8
	v_cmp_ge_f32_e32 vcc_lo, 0x41a00000, v122
	s_and_b32 s28, s79, vcc_lo
	s_delay_alu instid0(SALU_CYCLE_1)
	s_and_saveexec_b32 s29, s28
	s_cbranch_execz .LBB21_100
; %bb.99:                               ;   in Loop: Header=BB21_12 Depth=1
	v_mul_f32_e32 v8, 0x3fb8aa3b, v122
	v_cmp_ngt_f32_e32 vcc_lo, 0xc2ce8ed0, v122
	s_delay_alu instid0(VALU_DEP_2) | instskip(SKIP_1) | instid1(VALU_DEP_2)
	v_rndne_f32_e32 v9, v8
	v_fma_f32 v12, 0x3fb8aa3b, v122, -v8
	v_sub_f32_e32 v8, v8, v9
	s_delay_alu instid0(VALU_DEP_2) | instskip(SKIP_1) | instid1(VALU_DEP_2)
	v_fmac_f32_e32 v12, 0x32a5705f, v122
	v_cvt_i32_f32_e32 v9, v9
	v_add_f32_e32 v8, v8, v12
	s_delay_alu instid0(VALU_DEP_1) | instskip(SKIP_2) | instid1(VALU_DEP_1)
	v_exp_f32_e32 v8, v8
	s_waitcnt_depctr 0xfff
	v_ldexp_f32 v8, v8, v9
	v_cndmask_b32_e32 v8, 0, v8, vcc_lo
	v_cmp_nlt_f32_e32 vcc_lo, 0x42b17218, v122
	s_delay_alu instid0(VALU_DEP_2) | instskip(NEXT) | instid1(VALU_DEP_1)
	v_cndmask_b32_e32 v12, 0x7f800000, v8, vcc_lo
	v_add_f32_e32 v13, 1.0, v12
	s_delay_alu instid0(VALU_DEP_1) | instskip(NEXT) | instid1(VALU_DEP_1)
	v_cvt_f64_f32_e32 v[8:9], v13
	v_frexp_exp_i32_f64_e32 v8, v[8:9]
	v_frexp_mant_f32_e32 v9, v13
	s_delay_alu instid0(VALU_DEP_1) | instskip(SKIP_1) | instid1(VALU_DEP_1)
	v_cmp_gt_f32_e32 vcc_lo, 0x3f2aaaab, v9
	v_add_f32_e32 v9, -1.0, v13
	v_sub_f32_e32 v15, v9, v13
	s_delay_alu instid0(VALU_DEP_1) | instskip(SKIP_1) | instid1(VALU_DEP_1)
	v_add_f32_e32 v15, 1.0, v15
	v_subrev_co_ci_u32_e32 v8, vcc_lo, 0, v8, vcc_lo
	v_sub_nc_u32_e32 v14, 0, v8
	v_cvt_f32_i32_e32 v8, v8
	s_delay_alu instid0(VALU_DEP_2) | instskip(NEXT) | instid1(VALU_DEP_1)
	v_ldexp_f32 v13, v13, v14
	v_add_f32_e32 v17, 1.0, v13
	v_sub_f32_e32 v9, v12, v9
	v_cmp_eq_f32_e32 vcc_lo, 0x7f800000, v12
	v_cmp_gt_f32_e64 s28, 0x33800000, v12
	s_delay_alu instid0(VALU_DEP_3) | instskip(SKIP_1) | instid1(VALU_DEP_3)
	v_add_f32_e32 v9, v9, v15
	v_add_f32_e32 v15, -1.0, v17
	s_or_b32 vcc_lo, s28, vcc_lo
	s_delay_alu instid0(VALU_DEP_2) | instskip(NEXT) | instid1(VALU_DEP_2)
	v_ldexp_f32 v9, v9, v14
	v_dual_add_f32 v14, -1.0, v13 :: v_dual_sub_f32 v15, v13, v15
	s_delay_alu instid0(VALU_DEP_1) | instskip(NEXT) | instid1(VALU_DEP_2)
	v_add_f32_e32 v101, 1.0, v14
	v_add_f32_e32 v15, v9, v15
	s_delay_alu instid0(VALU_DEP_2) | instskip(NEXT) | instid1(VALU_DEP_1)
	v_sub_f32_e32 v13, v13, v101
	v_add_f32_e32 v9, v9, v13
	s_delay_alu instid0(VALU_DEP_1) | instskip(NEXT) | instid1(VALU_DEP_1)
	v_add_f32_e32 v102, v14, v9
	v_dual_sub_f32 v14, v14, v102 :: v_dual_add_f32 v101, v17, v15
	s_delay_alu instid0(VALU_DEP_1) | instskip(SKIP_1) | instid1(VALU_DEP_1)
	v_rcp_f32_e32 v13, v101
	v_sub_f32_e32 v17, v17, v101
	v_add_f32_e32 v15, v15, v17
	s_waitcnt_depctr 0xfff
	v_mul_f32_e32 v103, v102, v13
	s_delay_alu instid0(VALU_DEP_1) | instskip(NEXT) | instid1(VALU_DEP_1)
	v_mul_f32_e32 v104, v101, v103
	v_fma_f32 v17, v103, v101, -v104
	s_delay_alu instid0(VALU_DEP_1) | instskip(NEXT) | instid1(VALU_DEP_1)
	v_fmac_f32_e32 v17, v103, v15
	v_add_f32_e32 v106, v104, v17
	s_delay_alu instid0(VALU_DEP_1) | instskip(NEXT) | instid1(VALU_DEP_1)
	v_sub_f32_e32 v107, v102, v106
	v_sub_f32_e32 v102, v102, v107
	s_delay_alu instid0(VALU_DEP_1) | instskip(SKIP_1) | instid1(VALU_DEP_1)
	v_sub_f32_e32 v102, v102, v106
	v_dual_add_f32 v9, v9, v14 :: v_dual_sub_f32 v14, v106, v104
	v_dual_sub_f32 v14, v14, v17 :: v_dual_add_f32 v9, v9, v102
	s_delay_alu instid0(VALU_DEP_1) | instskip(NEXT) | instid1(VALU_DEP_1)
	v_add_f32_e32 v9, v14, v9
	v_add_f32_e32 v14, v107, v9
	s_delay_alu instid0(VALU_DEP_1) | instskip(NEXT) | instid1(VALU_DEP_1)
	v_mul_f32_e32 v17, v13, v14
	v_mul_f32_e32 v102, v101, v17
	s_delay_alu instid0(VALU_DEP_1) | instskip(NEXT) | instid1(VALU_DEP_1)
	v_fma_f32 v101, v17, v101, -v102
	v_dual_fmac_f32 v101, v17, v15 :: v_dual_sub_f32 v106, v107, v14
	s_delay_alu instid0(VALU_DEP_1) | instskip(NEXT) | instid1(VALU_DEP_1)
	v_add_f32_e32 v15, v102, v101
	v_sub_f32_e32 v104, v14, v15
	v_sub_f32_e32 v102, v15, v102
	s_delay_alu instid0(VALU_DEP_2) | instskip(NEXT) | instid1(VALU_DEP_1)
	v_dual_add_f32 v9, v9, v106 :: v_dual_sub_f32 v14, v14, v104
	v_sub_f32_e32 v14, v14, v15
	s_delay_alu instid0(VALU_DEP_3) | instskip(NEXT) | instid1(VALU_DEP_2)
	v_sub_f32_e32 v15, v102, v101
	v_dual_add_f32 v9, v9, v14 :: v_dual_add_f32 v14, v103, v17
	s_delay_alu instid0(VALU_DEP_1) | instskip(NEXT) | instid1(VALU_DEP_2)
	v_add_f32_e32 v9, v15, v9
	v_sub_f32_e32 v15, v14, v103
	s_delay_alu instid0(VALU_DEP_2) | instskip(NEXT) | instid1(VALU_DEP_2)
	v_add_f32_e32 v9, v104, v9
	v_sub_f32_e32 v15, v17, v15
	s_delay_alu instid0(VALU_DEP_2) | instskip(NEXT) | instid1(VALU_DEP_1)
	v_mul_f32_e32 v9, v13, v9
	v_add_f32_e32 v9, v15, v9
	s_delay_alu instid0(VALU_DEP_1) | instskip(NEXT) | instid1(VALU_DEP_1)
	v_add_f32_e32 v13, v14, v9
	v_mul_f32_e32 v15, v13, v13
	s_delay_alu instid0(VALU_DEP_1) | instskip(SKIP_1) | instid1(VALU_DEP_2)
	v_fmaak_f32 v17, s83, v15, 0x3ecc95a3
	v_mul_f32_e32 v101, v13, v15
	v_fmaak_f32 v15, v15, v17, 0x3f2aaada
	v_ldexp_f32 v17, v13, 1
	v_sub_f32_e32 v13, v13, v14
	s_delay_alu instid0(VALU_DEP_3) | instskip(SKIP_1) | instid1(VALU_DEP_3)
	v_mul_f32_e32 v15, v101, v15
	v_mul_f32_e32 v101, 0x3f317218, v8
	v_sub_f32_e32 v9, v9, v13
	s_delay_alu instid0(VALU_DEP_3) | instskip(NEXT) | instid1(VALU_DEP_2)
	v_add_f32_e32 v14, v17, v15
	v_ldexp_f32 v9, v9, 1
	s_delay_alu instid0(VALU_DEP_2) | instskip(SKIP_1) | instid1(VALU_DEP_2)
	v_sub_f32_e32 v13, v14, v17
	v_fma_f32 v17, 0x3f317218, v8, -v101
	v_sub_f32_e32 v13, v15, v13
	s_delay_alu instid0(VALU_DEP_1) | instskip(NEXT) | instid1(VALU_DEP_1)
	v_dual_fmac_f32 v17, 0xb102e308, v8 :: v_dual_add_f32 v8, v9, v13
	v_add_f32_e32 v9, v101, v17
	s_delay_alu instid0(VALU_DEP_2) | instskip(NEXT) | instid1(VALU_DEP_2)
	v_add_f32_e32 v13, v14, v8
	v_sub_f32_e32 v101, v9, v101
	s_delay_alu instid0(VALU_DEP_2) | instskip(SKIP_1) | instid1(VALU_DEP_3)
	v_add_f32_e32 v15, v9, v13
	v_sub_f32_e32 v14, v13, v14
	v_sub_f32_e32 v17, v17, v101
	s_delay_alu instid0(VALU_DEP_3) | instskip(NEXT) | instid1(VALU_DEP_3)
	v_sub_f32_e32 v102, v15, v9
	v_sub_f32_e32 v8, v8, v14
	s_delay_alu instid0(VALU_DEP_2) | instskip(SKIP_1) | instid1(VALU_DEP_3)
	v_sub_f32_e32 v103, v15, v102
	v_sub_f32_e32 v13, v13, v102
	v_add_f32_e32 v14, v17, v8
	s_delay_alu instid0(VALU_DEP_3) | instskip(NEXT) | instid1(VALU_DEP_1)
	v_sub_f32_e32 v9, v9, v103
	v_add_f32_e32 v9, v13, v9
	s_delay_alu instid0(VALU_DEP_3) | instskip(NEXT) | instid1(VALU_DEP_2)
	v_sub_f32_e32 v13, v14, v17
	v_add_f32_e32 v9, v14, v9
	s_delay_alu instid0(VALU_DEP_2) | instskip(SKIP_1) | instid1(VALU_DEP_2)
	v_sub_f32_e32 v14, v14, v13
	v_sub_f32_e32 v8, v8, v13
	v_dual_add_f32 v101, v15, v9 :: v_dual_sub_f32 v14, v17, v14
	s_delay_alu instid0(VALU_DEP_1) | instskip(NEXT) | instid1(VALU_DEP_1)
	v_dual_sub_f32 v13, v101, v15 :: v_dual_add_f32 v8, v8, v14
	v_sub_f32_e32 v9, v9, v13
	s_delay_alu instid0(VALU_DEP_1) | instskip(NEXT) | instid1(VALU_DEP_1)
	v_add_f32_e32 v8, v8, v9
	v_add_f32_e32 v8, v101, v8
	s_delay_alu instid0(VALU_DEP_1)
	v_cndmask_b32_e32 v122, v8, v12, vcc_lo
.LBB21_100:                             ;   in Loop: Header=BB21_12 Depth=1
	s_or_b32 exec_lo, exec_lo, s29
	v_and_b32_e32 v8, 0xffff0000, v10
	s_delay_alu instid0(VALU_DEP_1) | instskip(NEXT) | instid1(VALU_DEP_1)
	v_add_f32_e32 v123, s68, v8
	v_cmp_ge_f32_e32 vcc_lo, 0x41a00000, v123
	s_and_b32 s28, s79, vcc_lo
	s_delay_alu instid0(SALU_CYCLE_1)
	s_and_saveexec_b32 s29, s28
	s_cbranch_execz .LBB21_102
; %bb.101:                              ;   in Loop: Header=BB21_12 Depth=1
	v_mul_f32_e32 v8, 0x3fb8aa3b, v123
	v_cmp_ngt_f32_e32 vcc_lo, 0xc2ce8ed0, v123
	s_delay_alu instid0(VALU_DEP_2) | instskip(SKIP_1) | instid1(VALU_DEP_2)
	v_rndne_f32_e32 v9, v8
	v_fma_f32 v10, 0x3fb8aa3b, v123, -v8
	v_sub_f32_e32 v8, v8, v9
	s_delay_alu instid0(VALU_DEP_2) | instskip(SKIP_1) | instid1(VALU_DEP_2)
	v_fmac_f32_e32 v10, 0x32a5705f, v123
	v_cvt_i32_f32_e32 v9, v9
	v_add_f32_e32 v8, v8, v10
	s_delay_alu instid0(VALU_DEP_1) | instskip(SKIP_2) | instid1(VALU_DEP_1)
	v_exp_f32_e32 v8, v8
	s_waitcnt_depctr 0xfff
	v_ldexp_f32 v8, v8, v9
	v_cndmask_b32_e32 v8, 0, v8, vcc_lo
	v_cmp_nlt_f32_e32 vcc_lo, 0x42b17218, v123
	s_delay_alu instid0(VALU_DEP_2) | instskip(NEXT) | instid1(VALU_DEP_1)
	v_cndmask_b32_e32 v10, 0x7f800000, v8, vcc_lo
	v_add_f32_e32 v12, 1.0, v10
	s_delay_alu instid0(VALU_DEP_1) | instskip(NEXT) | instid1(VALU_DEP_1)
	v_cvt_f64_f32_e32 v[8:9], v12
	v_frexp_exp_i32_f64_e32 v8, v[8:9]
	v_frexp_mant_f32_e32 v9, v12
	s_delay_alu instid0(VALU_DEP_1) | instskip(SKIP_1) | instid1(VALU_DEP_1)
	v_cmp_gt_f32_e32 vcc_lo, 0x3f2aaaab, v9
	v_add_f32_e32 v9, -1.0, v12
	v_dual_sub_f32 v14, v9, v12 :: v_dual_sub_f32 v9, v10, v9
	v_subrev_co_ci_u32_e32 v8, vcc_lo, 0, v8, vcc_lo
	s_delay_alu instid0(VALU_DEP_1) | instskip(SKIP_1) | instid1(VALU_DEP_2)
	v_sub_nc_u32_e32 v13, 0, v8
	v_cvt_f32_i32_e32 v8, v8
	v_ldexp_f32 v12, v12, v13
	s_delay_alu instid0(VALU_DEP_1) | instskip(NEXT) | instid1(VALU_DEP_1)
	v_dual_add_f32 v14, 1.0, v14 :: v_dual_add_f32 v15, 1.0, v12
	v_add_f32_e32 v9, v9, v14
	s_delay_alu instid0(VALU_DEP_1) | instskip(NEXT) | instid1(VALU_DEP_3)
	v_ldexp_f32 v9, v9, v13
	v_dual_add_f32 v13, -1.0, v12 :: v_dual_add_f32 v14, -1.0, v15
	s_delay_alu instid0(VALU_DEP_1) | instskip(NEXT) | instid1(VALU_DEP_1)
	v_dual_add_f32 v17, 1.0, v13 :: v_dual_sub_f32 v14, v12, v14
	v_sub_f32_e32 v12, v12, v17
	s_delay_alu instid0(VALU_DEP_2) | instskip(NEXT) | instid1(VALU_DEP_2)
	v_add_f32_e32 v14, v9, v14
	v_add_f32_e32 v9, v9, v12
	s_delay_alu instid0(VALU_DEP_2) | instskip(SKIP_2) | instid1(VALU_DEP_4)
	v_add_f32_e32 v17, v15, v14
	v_cmp_eq_f32_e32 vcc_lo, 0x7f800000, v10
	v_cmp_gt_f32_e64 s28, 0x33800000, v10
	v_add_f32_e32 v101, v13, v9
	s_delay_alu instid0(VALU_DEP_4) | instskip(SKIP_1) | instid1(VALU_DEP_3)
	v_rcp_f32_e32 v12, v17
	v_sub_f32_e32 v15, v15, v17
	s_or_b32 vcc_lo, s28, vcc_lo
	s_delay_alu instid0(VALU_DEP_1) | instskip(NEXT) | instid1(VALU_DEP_1)
	v_dual_sub_f32 v13, v13, v101 :: v_dual_add_f32 v14, v14, v15
	v_add_f32_e32 v9, v9, v13
	s_waitcnt_depctr 0xfff
	v_mul_f32_e32 v102, v101, v12
	s_delay_alu instid0(VALU_DEP_1) | instskip(NEXT) | instid1(VALU_DEP_1)
	v_mul_f32_e32 v103, v17, v102
	v_fma_f32 v15, v102, v17, -v103
	s_delay_alu instid0(VALU_DEP_1) | instskip(NEXT) | instid1(VALU_DEP_1)
	v_fmac_f32_e32 v15, v102, v14
	v_add_f32_e32 v104, v103, v15
	s_delay_alu instid0(VALU_DEP_1) | instskip(NEXT) | instid1(VALU_DEP_1)
	v_dual_sub_f32 v106, v101, v104 :: v_dual_sub_f32 v13, v104, v103
	v_sub_f32_e32 v101, v101, v106
	s_delay_alu instid0(VALU_DEP_2) | instskip(NEXT) | instid1(VALU_DEP_2)
	v_sub_f32_e32 v13, v13, v15
	v_sub_f32_e32 v101, v101, v104
	s_delay_alu instid0(VALU_DEP_1) | instskip(NEXT) | instid1(VALU_DEP_1)
	v_add_f32_e32 v9, v9, v101
	v_add_f32_e32 v9, v13, v9
	s_delay_alu instid0(VALU_DEP_1) | instskip(NEXT) | instid1(VALU_DEP_1)
	v_add_f32_e32 v13, v106, v9
	v_mul_f32_e32 v15, v12, v13
	s_delay_alu instid0(VALU_DEP_1) | instskip(NEXT) | instid1(VALU_DEP_1)
	v_dual_sub_f32 v104, v106, v13 :: v_dual_mul_f32 v101, v17, v15
	v_add_f32_e32 v9, v9, v104
	s_delay_alu instid0(VALU_DEP_2) | instskip(NEXT) | instid1(VALU_DEP_1)
	v_fma_f32 v17, v15, v17, -v101
	v_fmac_f32_e32 v17, v15, v14
	s_delay_alu instid0(VALU_DEP_1) | instskip(NEXT) | instid1(VALU_DEP_1)
	v_add_f32_e32 v14, v101, v17
	v_sub_f32_e32 v103, v13, v14
	s_delay_alu instid0(VALU_DEP_1) | instskip(NEXT) | instid1(VALU_DEP_1)
	v_sub_f32_e32 v13, v13, v103
	v_sub_f32_e32 v13, v13, v14
	s_delay_alu instid0(VALU_DEP_1) | instskip(SKIP_2) | instid1(VALU_DEP_1)
	v_add_f32_e32 v9, v9, v13
	v_add_f32_e32 v13, v102, v15
	v_sub_f32_e32 v101, v14, v101
	v_sub_f32_e32 v14, v101, v17
	s_delay_alu instid0(VALU_DEP_1) | instskip(NEXT) | instid1(VALU_DEP_1)
	v_dual_add_f32 v9, v14, v9 :: v_dual_sub_f32 v14, v13, v102
	v_add_f32_e32 v9, v103, v9
	s_delay_alu instid0(VALU_DEP_1) | instskip(NEXT) | instid1(VALU_DEP_1)
	v_dual_sub_f32 v14, v15, v14 :: v_dual_mul_f32 v9, v12, v9
	v_add_f32_e32 v9, v14, v9
	s_delay_alu instid0(VALU_DEP_1) | instskip(NEXT) | instid1(VALU_DEP_1)
	v_add_f32_e32 v12, v13, v9
	v_mul_f32_e32 v14, v12, v12
	s_delay_alu instid0(VALU_DEP_1) | instskip(NEXT) | instid1(VALU_DEP_1)
	v_fmaak_f32 v15, s83, v14, 0x3ecc95a3
	v_dual_mul_f32 v17, v12, v14 :: v_dual_fmaak_f32 v14, v14, v15, 0x3f2aaada
	v_ldexp_f32 v15, v12, 1
	v_sub_f32_e32 v12, v12, v13
	s_delay_alu instid0(VALU_DEP_3) | instskip(NEXT) | instid1(VALU_DEP_2)
	v_dual_mul_f32 v14, v17, v14 :: v_dual_mul_f32 v17, 0x3f317218, v8
	v_sub_f32_e32 v9, v9, v12
	s_delay_alu instid0(VALU_DEP_2) | instskip(NEXT) | instid1(VALU_DEP_2)
	v_add_f32_e32 v13, v15, v14
	v_ldexp_f32 v9, v9, 1
	s_delay_alu instid0(VALU_DEP_2) | instskip(SKIP_1) | instid1(VALU_DEP_2)
	v_sub_f32_e32 v12, v13, v15
	v_fma_f32 v15, 0x3f317218, v8, -v17
	v_sub_f32_e32 v12, v14, v12
	s_delay_alu instid0(VALU_DEP_2) | instskip(NEXT) | instid1(VALU_DEP_2)
	v_fmac_f32_e32 v15, 0xb102e308, v8
	v_add_f32_e32 v8, v9, v12
	s_delay_alu instid0(VALU_DEP_2) | instskip(NEXT) | instid1(VALU_DEP_2)
	v_add_f32_e32 v9, v17, v15
	v_add_f32_e32 v12, v13, v8
	s_delay_alu instid0(VALU_DEP_2) | instskip(NEXT) | instid1(VALU_DEP_2)
	v_sub_f32_e32 v17, v9, v17
	v_dual_add_f32 v14, v9, v12 :: v_dual_sub_f32 v13, v12, v13
	s_delay_alu instid0(VALU_DEP_2) | instskip(NEXT) | instid1(VALU_DEP_2)
	v_sub_f32_e32 v15, v15, v17
	v_sub_f32_e32 v101, v14, v9
	s_delay_alu instid0(VALU_DEP_3) | instskip(NEXT) | instid1(VALU_DEP_2)
	v_sub_f32_e32 v8, v8, v13
	v_sub_f32_e32 v102, v14, v101
	s_delay_alu instid0(VALU_DEP_2) | instskip(NEXT) | instid1(VALU_DEP_2)
	v_dual_sub_f32 v12, v12, v101 :: v_dual_add_f32 v13, v15, v8
	v_sub_f32_e32 v9, v9, v102
	s_delay_alu instid0(VALU_DEP_1) | instskip(NEXT) | instid1(VALU_DEP_1)
	v_dual_add_f32 v9, v12, v9 :: v_dual_sub_f32 v12, v13, v15
	v_add_f32_e32 v9, v13, v9
	s_delay_alu instid0(VALU_DEP_2) | instskip(NEXT) | instid1(VALU_DEP_2)
	v_sub_f32_e32 v13, v13, v12
	v_dual_sub_f32 v8, v8, v12 :: v_dual_add_f32 v17, v14, v9
	s_delay_alu instid0(VALU_DEP_1) | instskip(NEXT) | instid1(VALU_DEP_1)
	v_dual_sub_f32 v13, v15, v13 :: v_dual_sub_f32 v12, v17, v14
	v_dual_add_f32 v8, v8, v13 :: v_dual_sub_f32 v9, v9, v12
	s_delay_alu instid0(VALU_DEP_1) | instskip(NEXT) | instid1(VALU_DEP_1)
	v_add_f32_e32 v8, v8, v9
	v_add_f32_e32 v8, v17, v8
	s_delay_alu instid0(VALU_DEP_1)
	v_cndmask_b32_e32 v123, v8, v10, vcc_lo
.LBB21_102:                             ;   in Loop: Header=BB21_12 Depth=1
	s_or_b32 exec_lo, exec_lo, s29
	v_lshlrev_b32_e32 v8, 16, v11
	s_delay_alu instid0(VALU_DEP_1) | instskip(NEXT) | instid1(VALU_DEP_1)
	v_add_f32_e32 v124, s68, v8
	v_cmp_ge_f32_e32 vcc_lo, 0x41a00000, v124
	s_and_b32 s28, s79, vcc_lo
	s_delay_alu instid0(SALU_CYCLE_1)
	s_and_saveexec_b32 s29, s28
	s_cbranch_execz .LBB21_104
; %bb.103:                              ;   in Loop: Header=BB21_12 Depth=1
	v_mul_f32_e32 v8, 0x3fb8aa3b, v124
	v_cmp_ngt_f32_e32 vcc_lo, 0xc2ce8ed0, v124
	s_delay_alu instid0(VALU_DEP_2) | instskip(SKIP_1) | instid1(VALU_DEP_2)
	v_rndne_f32_e32 v9, v8
	v_fma_f32 v10, 0x3fb8aa3b, v124, -v8
	v_sub_f32_e32 v8, v8, v9
	s_delay_alu instid0(VALU_DEP_2) | instskip(SKIP_1) | instid1(VALU_DEP_2)
	v_fmac_f32_e32 v10, 0x32a5705f, v124
	v_cvt_i32_f32_e32 v9, v9
	v_add_f32_e32 v8, v8, v10
	s_delay_alu instid0(VALU_DEP_1) | instskip(SKIP_2) | instid1(VALU_DEP_1)
	v_exp_f32_e32 v8, v8
	s_waitcnt_depctr 0xfff
	v_ldexp_f32 v8, v8, v9
	v_cndmask_b32_e32 v8, 0, v8, vcc_lo
	v_cmp_nlt_f32_e32 vcc_lo, 0x42b17218, v124
	s_delay_alu instid0(VALU_DEP_2) | instskip(NEXT) | instid1(VALU_DEP_1)
	v_cndmask_b32_e32 v10, 0x7f800000, v8, vcc_lo
	v_add_f32_e32 v12, 1.0, v10
	s_delay_alu instid0(VALU_DEP_1) | instskip(NEXT) | instid1(VALU_DEP_1)
	v_cvt_f64_f32_e32 v[8:9], v12
	v_frexp_exp_i32_f64_e32 v8, v[8:9]
	v_frexp_mant_f32_e32 v9, v12
	s_delay_alu instid0(VALU_DEP_1) | instskip(SKIP_1) | instid1(VALU_DEP_1)
	v_cmp_gt_f32_e32 vcc_lo, 0x3f2aaaab, v9
	v_add_f32_e32 v9, -1.0, v12
	v_dual_sub_f32 v14, v9, v12 :: v_dual_sub_f32 v9, v10, v9
	v_subrev_co_ci_u32_e32 v8, vcc_lo, 0, v8, vcc_lo
	s_delay_alu instid0(VALU_DEP_1) | instskip(SKIP_1) | instid1(VALU_DEP_2)
	v_sub_nc_u32_e32 v13, 0, v8
	v_cvt_f32_i32_e32 v8, v8
	v_ldexp_f32 v12, v12, v13
	s_delay_alu instid0(VALU_DEP_1) | instskip(NEXT) | instid1(VALU_DEP_1)
	v_dual_add_f32 v14, 1.0, v14 :: v_dual_add_f32 v15, 1.0, v12
	v_add_f32_e32 v9, v9, v14
	s_delay_alu instid0(VALU_DEP_1) | instskip(NEXT) | instid1(VALU_DEP_3)
	v_ldexp_f32 v9, v9, v13
	v_dual_add_f32 v13, -1.0, v12 :: v_dual_add_f32 v14, -1.0, v15
	s_delay_alu instid0(VALU_DEP_1) | instskip(NEXT) | instid1(VALU_DEP_1)
	v_dual_add_f32 v17, 1.0, v13 :: v_dual_sub_f32 v14, v12, v14
	v_sub_f32_e32 v12, v12, v17
	s_delay_alu instid0(VALU_DEP_2) | instskip(NEXT) | instid1(VALU_DEP_2)
	v_add_f32_e32 v14, v9, v14
	v_add_f32_e32 v9, v9, v12
	s_delay_alu instid0(VALU_DEP_2) | instskip(SKIP_2) | instid1(VALU_DEP_4)
	v_add_f32_e32 v17, v15, v14
	v_cmp_eq_f32_e32 vcc_lo, 0x7f800000, v10
	v_cmp_gt_f32_e64 s28, 0x33800000, v10
	v_add_f32_e32 v101, v13, v9
	s_delay_alu instid0(VALU_DEP_4) | instskip(SKIP_1) | instid1(VALU_DEP_3)
	v_rcp_f32_e32 v12, v17
	v_sub_f32_e32 v15, v15, v17
	s_or_b32 vcc_lo, s28, vcc_lo
	s_delay_alu instid0(VALU_DEP_1) | instskip(NEXT) | instid1(VALU_DEP_1)
	v_dual_sub_f32 v13, v13, v101 :: v_dual_add_f32 v14, v14, v15
	v_add_f32_e32 v9, v9, v13
	s_waitcnt_depctr 0xfff
	v_mul_f32_e32 v102, v101, v12
	s_delay_alu instid0(VALU_DEP_1) | instskip(NEXT) | instid1(VALU_DEP_1)
	v_mul_f32_e32 v103, v17, v102
	v_fma_f32 v15, v102, v17, -v103
	s_delay_alu instid0(VALU_DEP_1) | instskip(NEXT) | instid1(VALU_DEP_1)
	v_fmac_f32_e32 v15, v102, v14
	v_add_f32_e32 v104, v103, v15
	s_delay_alu instid0(VALU_DEP_1) | instskip(NEXT) | instid1(VALU_DEP_1)
	v_dual_sub_f32 v106, v101, v104 :: v_dual_sub_f32 v13, v104, v103
	v_sub_f32_e32 v101, v101, v106
	s_delay_alu instid0(VALU_DEP_2) | instskip(NEXT) | instid1(VALU_DEP_2)
	v_sub_f32_e32 v13, v13, v15
	v_sub_f32_e32 v101, v101, v104
	s_delay_alu instid0(VALU_DEP_1) | instskip(NEXT) | instid1(VALU_DEP_1)
	v_add_f32_e32 v9, v9, v101
	v_add_f32_e32 v9, v13, v9
	s_delay_alu instid0(VALU_DEP_1) | instskip(NEXT) | instid1(VALU_DEP_1)
	v_add_f32_e32 v13, v106, v9
	v_mul_f32_e32 v15, v12, v13
	s_delay_alu instid0(VALU_DEP_1) | instskip(NEXT) | instid1(VALU_DEP_1)
	v_dual_sub_f32 v104, v106, v13 :: v_dual_mul_f32 v101, v17, v15
	v_add_f32_e32 v9, v9, v104
	s_delay_alu instid0(VALU_DEP_2) | instskip(NEXT) | instid1(VALU_DEP_1)
	v_fma_f32 v17, v15, v17, -v101
	v_fmac_f32_e32 v17, v15, v14
	s_delay_alu instid0(VALU_DEP_1) | instskip(NEXT) | instid1(VALU_DEP_1)
	v_add_f32_e32 v14, v101, v17
	v_sub_f32_e32 v103, v13, v14
	s_delay_alu instid0(VALU_DEP_1) | instskip(NEXT) | instid1(VALU_DEP_1)
	v_sub_f32_e32 v13, v13, v103
	v_sub_f32_e32 v13, v13, v14
	s_delay_alu instid0(VALU_DEP_1) | instskip(SKIP_2) | instid1(VALU_DEP_1)
	v_add_f32_e32 v9, v9, v13
	v_add_f32_e32 v13, v102, v15
	v_sub_f32_e32 v101, v14, v101
	v_sub_f32_e32 v14, v101, v17
	s_delay_alu instid0(VALU_DEP_1) | instskip(NEXT) | instid1(VALU_DEP_1)
	v_dual_add_f32 v9, v14, v9 :: v_dual_sub_f32 v14, v13, v102
	v_add_f32_e32 v9, v103, v9
	s_delay_alu instid0(VALU_DEP_1) | instskip(NEXT) | instid1(VALU_DEP_1)
	v_dual_sub_f32 v14, v15, v14 :: v_dual_mul_f32 v9, v12, v9
	v_add_f32_e32 v9, v14, v9
	s_delay_alu instid0(VALU_DEP_1) | instskip(NEXT) | instid1(VALU_DEP_1)
	v_add_f32_e32 v12, v13, v9
	v_mul_f32_e32 v14, v12, v12
	s_delay_alu instid0(VALU_DEP_1) | instskip(NEXT) | instid1(VALU_DEP_1)
	v_fmaak_f32 v15, s83, v14, 0x3ecc95a3
	v_dual_mul_f32 v17, v12, v14 :: v_dual_fmaak_f32 v14, v14, v15, 0x3f2aaada
	v_ldexp_f32 v15, v12, 1
	v_sub_f32_e32 v12, v12, v13
	s_delay_alu instid0(VALU_DEP_3) | instskip(NEXT) | instid1(VALU_DEP_2)
	v_dual_mul_f32 v14, v17, v14 :: v_dual_mul_f32 v17, 0x3f317218, v8
	v_sub_f32_e32 v9, v9, v12
	s_delay_alu instid0(VALU_DEP_2) | instskip(NEXT) | instid1(VALU_DEP_2)
	v_add_f32_e32 v13, v15, v14
	v_ldexp_f32 v9, v9, 1
	s_delay_alu instid0(VALU_DEP_2) | instskip(SKIP_1) | instid1(VALU_DEP_2)
	v_sub_f32_e32 v12, v13, v15
	v_fma_f32 v15, 0x3f317218, v8, -v17
	v_sub_f32_e32 v12, v14, v12
	s_delay_alu instid0(VALU_DEP_2) | instskip(NEXT) | instid1(VALU_DEP_2)
	v_fmac_f32_e32 v15, 0xb102e308, v8
	v_add_f32_e32 v8, v9, v12
	s_delay_alu instid0(VALU_DEP_2) | instskip(NEXT) | instid1(VALU_DEP_2)
	v_add_f32_e32 v9, v17, v15
	v_add_f32_e32 v12, v13, v8
	s_delay_alu instid0(VALU_DEP_2) | instskip(NEXT) | instid1(VALU_DEP_2)
	v_sub_f32_e32 v17, v9, v17
	v_dual_add_f32 v14, v9, v12 :: v_dual_sub_f32 v13, v12, v13
	s_delay_alu instid0(VALU_DEP_2) | instskip(NEXT) | instid1(VALU_DEP_2)
	v_sub_f32_e32 v15, v15, v17
	v_sub_f32_e32 v101, v14, v9
	s_delay_alu instid0(VALU_DEP_3) | instskip(NEXT) | instid1(VALU_DEP_2)
	v_sub_f32_e32 v8, v8, v13
	v_sub_f32_e32 v102, v14, v101
	s_delay_alu instid0(VALU_DEP_2) | instskip(NEXT) | instid1(VALU_DEP_2)
	v_dual_sub_f32 v12, v12, v101 :: v_dual_add_f32 v13, v15, v8
	v_sub_f32_e32 v9, v9, v102
	s_delay_alu instid0(VALU_DEP_1) | instskip(NEXT) | instid1(VALU_DEP_1)
	v_dual_add_f32 v9, v12, v9 :: v_dual_sub_f32 v12, v13, v15
	v_add_f32_e32 v9, v13, v9
	s_delay_alu instid0(VALU_DEP_2) | instskip(NEXT) | instid1(VALU_DEP_2)
	v_sub_f32_e32 v13, v13, v12
	v_dual_sub_f32 v8, v8, v12 :: v_dual_add_f32 v17, v14, v9
	s_delay_alu instid0(VALU_DEP_1) | instskip(NEXT) | instid1(VALU_DEP_1)
	v_dual_sub_f32 v13, v15, v13 :: v_dual_sub_f32 v12, v17, v14
	v_dual_add_f32 v8, v8, v13 :: v_dual_sub_f32 v9, v9, v12
	s_delay_alu instid0(VALU_DEP_1) | instskip(NEXT) | instid1(VALU_DEP_1)
	v_add_f32_e32 v8, v8, v9
	v_add_f32_e32 v8, v17, v8
	s_delay_alu instid0(VALU_DEP_1)
	v_cndmask_b32_e32 v124, v8, v10, vcc_lo
.LBB21_104:                             ;   in Loop: Header=BB21_12 Depth=1
	s_or_b32 exec_lo, exec_lo, s29
	v_and_b32_e32 v8, 0xffff0000, v11
	s_delay_alu instid0(VALU_DEP_1) | instskip(NEXT) | instid1(VALU_DEP_1)
	v_add_f32_e32 v125, s68, v8
	v_cmp_ge_f32_e32 vcc_lo, 0x41a00000, v125
	s_and_b32 s28, s79, vcc_lo
	s_delay_alu instid0(SALU_CYCLE_1)
	s_and_saveexec_b32 s29, s28
	s_cbranch_execz .LBB21_106
; %bb.105:                              ;   in Loop: Header=BB21_12 Depth=1
	v_mul_f32_e32 v8, 0x3fb8aa3b, v125
	v_cmp_ngt_f32_e32 vcc_lo, 0xc2ce8ed0, v125
	s_delay_alu instid0(VALU_DEP_2) | instskip(SKIP_1) | instid1(VALU_DEP_2)
	v_rndne_f32_e32 v9, v8
	v_fma_f32 v10, 0x3fb8aa3b, v125, -v8
	v_sub_f32_e32 v8, v8, v9
	s_delay_alu instid0(VALU_DEP_2) | instskip(SKIP_1) | instid1(VALU_DEP_2)
	v_fmac_f32_e32 v10, 0x32a5705f, v125
	v_cvt_i32_f32_e32 v9, v9
	v_add_f32_e32 v8, v8, v10
	s_delay_alu instid0(VALU_DEP_1) | instskip(SKIP_2) | instid1(VALU_DEP_1)
	v_exp_f32_e32 v8, v8
	s_waitcnt_depctr 0xfff
	v_ldexp_f32 v8, v8, v9
	v_cndmask_b32_e32 v8, 0, v8, vcc_lo
	v_cmp_nlt_f32_e32 vcc_lo, 0x42b17218, v125
	s_delay_alu instid0(VALU_DEP_2) | instskip(NEXT) | instid1(VALU_DEP_1)
	v_cndmask_b32_e32 v10, 0x7f800000, v8, vcc_lo
	v_add_f32_e32 v11, 1.0, v10
	s_delay_alu instid0(VALU_DEP_1) | instskip(NEXT) | instid1(VALU_DEP_1)
	v_cvt_f64_f32_e32 v[8:9], v11
	v_frexp_exp_i32_f64_e32 v8, v[8:9]
	v_frexp_mant_f32_e32 v9, v11
	s_delay_alu instid0(VALU_DEP_1) | instskip(SKIP_1) | instid1(VALU_DEP_1)
	v_cmp_gt_f32_e32 vcc_lo, 0x3f2aaaab, v9
	v_add_f32_e32 v9, -1.0, v11
	v_sub_f32_e32 v13, v9, v11
	v_sub_f32_e32 v9, v10, v9
	s_delay_alu instid0(VALU_DEP_2) | instskip(NEXT) | instid1(VALU_DEP_1)
	v_add_f32_e32 v13, 1.0, v13
	v_add_f32_e32 v9, v9, v13
	v_cmp_gt_f32_e64 s28, 0x33800000, v10
	v_subrev_co_ci_u32_e32 v8, vcc_lo, 0, v8, vcc_lo
	v_cmp_eq_f32_e32 vcc_lo, 0x7f800000, v10
	s_delay_alu instid0(VALU_DEP_2) | instskip(SKIP_2) | instid1(VALU_DEP_2)
	v_sub_nc_u32_e32 v12, 0, v8
	v_cvt_f32_i32_e32 v8, v8
	s_or_b32 vcc_lo, s28, vcc_lo
	v_ldexp_f32 v11, v11, v12
	v_ldexp_f32 v9, v9, v12
	s_delay_alu instid0(VALU_DEP_2) | instskip(NEXT) | instid1(VALU_DEP_1)
	v_add_f32_e32 v14, 1.0, v11
	v_dual_add_f32 v12, -1.0, v11 :: v_dual_add_f32 v13, -1.0, v14
	s_delay_alu instid0(VALU_DEP_1) | instskip(NEXT) | instid1(VALU_DEP_2)
	v_add_f32_e32 v15, 1.0, v12
	v_sub_f32_e32 v13, v11, v13
	s_delay_alu instid0(VALU_DEP_2) | instskip(NEXT) | instid1(VALU_DEP_2)
	v_sub_f32_e32 v11, v11, v15
	v_add_f32_e32 v13, v9, v13
	s_delay_alu instid0(VALU_DEP_2) | instskip(NEXT) | instid1(VALU_DEP_1)
	v_add_f32_e32 v9, v9, v11
	v_add_f32_e32 v17, v12, v9
	s_delay_alu instid0(VALU_DEP_3) | instskip(NEXT) | instid1(VALU_DEP_2)
	v_add_f32_e32 v15, v14, v13
	v_sub_f32_e32 v12, v12, v17
	s_delay_alu instid0(VALU_DEP_2) | instskip(SKIP_1) | instid1(VALU_DEP_1)
	v_rcp_f32_e32 v11, v15
	v_sub_f32_e32 v14, v14, v15
	v_add_f32_e32 v13, v13, v14
	s_waitcnt_depctr 0xfff
	v_mul_f32_e32 v101, v17, v11
	s_delay_alu instid0(VALU_DEP_1) | instskip(NEXT) | instid1(VALU_DEP_1)
	v_dual_mul_f32 v102, v15, v101 :: v_dual_add_f32 v9, v9, v12
	v_fma_f32 v14, v101, v15, -v102
	s_delay_alu instid0(VALU_DEP_1) | instskip(NEXT) | instid1(VALU_DEP_1)
	v_fmac_f32_e32 v14, v101, v13
	v_add_f32_e32 v103, v102, v14
	s_delay_alu instid0(VALU_DEP_1) | instskip(SKIP_1) | instid1(VALU_DEP_1)
	v_sub_f32_e32 v12, v103, v102
	v_sub_f32_e32 v104, v17, v103
	v_dual_sub_f32 v12, v12, v14 :: v_dual_sub_f32 v17, v17, v104
	s_delay_alu instid0(VALU_DEP_1) | instskip(NEXT) | instid1(VALU_DEP_1)
	v_sub_f32_e32 v17, v17, v103
	v_add_f32_e32 v9, v9, v17
	s_delay_alu instid0(VALU_DEP_1) | instskip(NEXT) | instid1(VALU_DEP_1)
	v_add_f32_e32 v9, v12, v9
	v_add_f32_e32 v12, v104, v9
	s_delay_alu instid0(VALU_DEP_1) | instskip(SKIP_1) | instid1(VALU_DEP_2)
	v_mul_f32_e32 v14, v11, v12
	v_sub_f32_e32 v103, v104, v12
	v_mul_f32_e32 v17, v15, v14
	s_delay_alu instid0(VALU_DEP_2) | instskip(NEXT) | instid1(VALU_DEP_2)
	v_add_f32_e32 v9, v9, v103
	v_fma_f32 v15, v14, v15, -v17
	s_delay_alu instid0(VALU_DEP_1) | instskip(NEXT) | instid1(VALU_DEP_1)
	v_fmac_f32_e32 v15, v14, v13
	v_add_f32_e32 v13, v17, v15
	s_delay_alu instid0(VALU_DEP_1) | instskip(NEXT) | instid1(VALU_DEP_1)
	v_sub_f32_e32 v102, v12, v13
	v_dual_sub_f32 v17, v13, v17 :: v_dual_sub_f32 v12, v12, v102
	s_delay_alu instid0(VALU_DEP_1) | instskip(NEXT) | instid1(VALU_DEP_1)
	v_dual_sub_f32 v12, v12, v13 :: v_dual_sub_f32 v13, v17, v15
	v_add_f32_e32 v9, v9, v12
	v_add_f32_e32 v12, v101, v14
	s_delay_alu instid0(VALU_DEP_2) | instskip(NEXT) | instid1(VALU_DEP_2)
	v_add_f32_e32 v9, v13, v9
	v_sub_f32_e32 v13, v12, v101
	s_delay_alu instid0(VALU_DEP_2) | instskip(NEXT) | instid1(VALU_DEP_2)
	v_add_f32_e32 v9, v102, v9
	v_sub_f32_e32 v13, v14, v13
	s_delay_alu instid0(VALU_DEP_2) | instskip(NEXT) | instid1(VALU_DEP_1)
	v_mul_f32_e32 v9, v11, v9
	v_add_f32_e32 v9, v13, v9
	s_delay_alu instid0(VALU_DEP_1) | instskip(NEXT) | instid1(VALU_DEP_1)
	v_add_f32_e32 v11, v12, v9
	v_mul_f32_e32 v13, v11, v11
	s_delay_alu instid0(VALU_DEP_1) | instskip(SKIP_1) | instid1(VALU_DEP_2)
	v_fmaak_f32 v14, s83, v13, 0x3ecc95a3
	v_mul_f32_e32 v15, v11, v13
	v_fmaak_f32 v13, v13, v14, 0x3f2aaada
	v_ldexp_f32 v14, v11, 1
	v_sub_f32_e32 v11, v11, v12
	s_delay_alu instid0(VALU_DEP_3) | instskip(SKIP_1) | instid1(VALU_DEP_2)
	v_mul_f32_e32 v13, v15, v13
	v_mul_f32_e32 v15, 0x3f317218, v8
	v_dual_sub_f32 v9, v9, v11 :: v_dual_add_f32 v12, v14, v13
	s_delay_alu instid0(VALU_DEP_1) | instskip(NEXT) | instid1(VALU_DEP_2)
	v_ldexp_f32 v9, v9, 1
	v_sub_f32_e32 v11, v12, v14
	s_delay_alu instid0(VALU_DEP_4) | instskip(NEXT) | instid1(VALU_DEP_1)
	v_fma_f32 v14, 0x3f317218, v8, -v15
	v_dual_sub_f32 v11, v13, v11 :: v_dual_fmac_f32 v14, 0xb102e308, v8
	s_delay_alu instid0(VALU_DEP_1) | instskip(NEXT) | instid1(VALU_DEP_1)
	v_dual_add_f32 v8, v9, v11 :: v_dual_add_f32 v9, v15, v14
	v_add_f32_e32 v11, v12, v8
	s_delay_alu instid0(VALU_DEP_2) | instskip(NEXT) | instid1(VALU_DEP_2)
	v_sub_f32_e32 v15, v9, v15
	v_dual_add_f32 v13, v9, v11 :: v_dual_sub_f32 v12, v11, v12
	s_delay_alu instid0(VALU_DEP_1) | instskip(NEXT) | instid1(VALU_DEP_1)
	v_dual_sub_f32 v14, v14, v15 :: v_dual_sub_f32 v17, v13, v9
	v_dual_sub_f32 v8, v8, v12 :: v_dual_sub_f32 v101, v13, v17
	s_delay_alu instid0(VALU_DEP_1) | instskip(NEXT) | instid1(VALU_DEP_2)
	v_dual_sub_f32 v11, v11, v17 :: v_dual_add_f32 v12, v14, v8
	v_sub_f32_e32 v9, v9, v101
	s_delay_alu instid0(VALU_DEP_1) | instskip(NEXT) | instid1(VALU_DEP_3)
	v_add_f32_e32 v9, v11, v9
	v_sub_f32_e32 v11, v12, v14
	s_delay_alu instid0(VALU_DEP_2) | instskip(NEXT) | instid1(VALU_DEP_2)
	v_add_f32_e32 v9, v12, v9
	v_sub_f32_e32 v12, v12, v11
	s_delay_alu instid0(VALU_DEP_2) | instskip(NEXT) | instid1(VALU_DEP_1)
	v_dual_sub_f32 v8, v8, v11 :: v_dual_add_f32 v15, v13, v9
	v_dual_sub_f32 v12, v14, v12 :: v_dual_sub_f32 v11, v15, v13
	s_delay_alu instid0(VALU_DEP_1) | instskip(NEXT) | instid1(VALU_DEP_1)
	v_dual_add_f32 v8, v8, v12 :: v_dual_sub_f32 v9, v9, v11
	v_add_f32_e32 v8, v8, v9
	s_delay_alu instid0(VALU_DEP_1) | instskip(NEXT) | instid1(VALU_DEP_1)
	v_add_f32_e32 v8, v15, v8
	v_cndmask_b32_e32 v125, v8, v10, vcc_lo
.LBB21_106:                             ;   in Loop: Header=BB21_12 Depth=1
	s_or_b32 exec_lo, exec_lo, s29
	v_and_b32_e32 v10, 0xffff0000, v5
	v_lshlrev_b32_e32 v5, 16, v5
	v_and_b32_e32 v9, 0xffff0000, v6
	v_and_b32_e32 v14, 0xffff0000, v7
	;; [unrolled: 1-line block ×4, first 2 shown]
	v_lshlrev_b32_e32 v1, 16, v1
	v_and_b32_e32 v12, 0xffff0000, v2
	v_lshlrev_b32_e32 v0, 16, v0
	v_lshlrev_b32_e32 v2, 16, v2
	v_mul_f32_e32 v106, s69, v5
	v_dual_mul_f32 v103, s69, v9 :: v_dual_lshlrev_b32 v8, 16, v7
	v_lshlrev_b32_e32 v6, 16, v6
	v_mul_f32_e32 v120, s69, v15
	s_delay_alu instid0(VALU_DEP_3)
	v_dual_mul_f32 v118, s69, v13 :: v_dual_mul_f32 v101, s69, v8
	v_mul_f32_e32 v119, s69, v0
	v_dual_mul_f32 v114, s69, v2 :: v_dual_and_b32 v11, 0xffff0000, v3
	v_and_b32_e32 v7, 0xffff0000, v4
	v_lshlrev_b32_e32 v3, 16, v3
	v_lshlrev_b32_e32 v4, 16, v4
	v_mul_f32_e32 v102, s69, v6
	v_mul_f32_e32 v112, s69, v11
	s_and_b32 vcc_lo, exec_lo, s80
	v_mul_f32_e32 v111, s69, v3
	v_mul_f32_e32 v109, s69, v4
	;; [unrolled: 1-line block ×3, first 2 shown]
	v_dual_mul_f32 v104, s69, v14 :: v_dual_mul_f32 v117, s69, v1
	v_dual_mul_f32 v110, s69, v7 :: v_dual_mul_f32 v115, s69, v12
	s_barrier
	buffer_gl0_inv
	s_cbranch_vccz .LBB21_202
; %bb.107:                              ;   in Loop: Header=BB21_12 Depth=1
	v_dual_mul_f32 v126, v125, v14 :: v_dual_mul_f32 v131, v124, v8
	v_add_co_u32 v14, s28, s61, v16
	s_delay_alu instid0(VALU_DEP_1) | instskip(SKIP_1) | instid1(VALU_DEP_1)
	v_add_co_ci_u32_e64 v17, null, s62, 0, s28
	v_add_co_u32 v16, s28, s74, v16
	v_add_co_ci_u32_e64 v130, null, s75, 0, s28
	s_delay_alu instid0(VALU_DEP_4) | instskip(NEXT) | instid1(VALU_DEP_4)
	v_add_co_u32 v127, vcc_lo, v14, v93
	v_add_co_ci_u32_e32 v128, vcc_lo, 0, v17, vcc_lo
	s_delay_alu instid0(VALU_DEP_4) | instskip(NEXT) | instid1(VALU_DEP_4)
	v_add_co_u32 v129, vcc_lo, v16, v93
	v_add_co_ci_u32_e32 v130, vcc_lo, 0, v130, vcc_lo
	v_cmp_gt_u32_e32 vcc_lo, s40, v18
	s_cmp_lg_u32 s85, 0
	v_cmp_gt_u32_e64 s30, s40, v79
	s_cselect_b32 s51, -1, 0
	s_cmp_eq_u32 s85, s82
	v_cmp_gt_u32_e64 s31, s40, v80
	s_cselect_b32 s86, -1, 0
	s_or_b32 s28, s81, vcc_lo
	v_cmp_gt_u32_e32 vcc_lo, s40, v78
	v_cmp_gt_u32_e64 s33, s40, v81
	v_cmp_gt_u32_e64 s34, s40, v82
	;; [unrolled: 1-line block ×4, first 2 shown]
	s_or_b32 s29, s81, vcc_lo
	v_cmp_gt_u32_e32 vcc_lo, s40, v83
	v_cmp_gt_u32_e64 s38, s40, v86
	v_cmp_gt_u32_e64 s39, s40, v87
	;; [unrolled: 1-line block ×4, first 2 shown]
	s_or_b32 s35, s81, vcc_lo
	v_cmp_gt_u32_e32 vcc_lo, s40, v88
	v_cmp_gt_u32_e64 s43, s40, v91
	v_cmp_gt_u32_e64 s44, s40, v92
	v_dual_mul_f32 v132, v123, v9 :: v_dual_mul_f32 v133, v122, v6
	v_dual_mul_f32 v134, v121, v10 :: v_dual_mul_f32 v135, v116, v5
	;; [unrolled: 1-line block ×7, first 2 shown]
	s_mov_b32 s66, 0
	s_or_b32 s30, s81, s30
	s_or_b32 s31, s81, s31
	;; [unrolled: 1-line block ×8, first 2 shown]
	s_or_b32 s40, s81, vcc_lo
	s_or_b32 s41, s81, s41
	s_or_b32 s42, s81, s42
	;; [unrolled: 1-line block ×4, first 2 shown]
	s_mov_b32 s52, s66
	s_mov_b32 s54, s66
	;; [unrolled: 1-line block ×5, first 2 shown]
	s_branch .LBB21_109
.LBB21_108:                             ;   in Loop: Header=BB21_109 Depth=2
	s_or_b32 exec_lo, exec_lo, s45
	v_cndmask_b32_e64 v9, v175, v11, s11
	v_cndmask_b32_e64 v10, v174, v10, s11
	s_add_i32 s87, s87, -1
	s_add_i32 s88, s88, 8
	s_add_i32 s58, s58, s49
	v_fma_f32 v9, v9, v149, v148
	v_mul_f32_e32 v10, v10, v149
	s_add_i32 s54, s54, s48
	s_add_i32 s52, s52, s60
	;; [unrolled: 1-line block ×3, first 2 shown]
	v_cndmask_b32_e64 v9, v9, v148, s10
	v_cndmask_b32_e64 v10, v10, v149, s10
	s_cmp_eq_u32 s87, 0
	s_waitcnt lgkmcnt(0)
	s_delay_alu instid0(VALU_DEP_1) | instskip(NEXT) | instid1(VALU_DEP_1)
	v_dual_fmac_f32 v9, v8, v10 :: v_dual_and_b32 v10, 0xffff0000, v5
	v_dual_fmac_f32 v12, v9, v151 :: v_dual_lshlrev_b32 v5, 16, v5
	s_delay_alu instid0(VALU_DEP_1) | instskip(NEXT) | instid1(VALU_DEP_1)
	v_fmac_f32_e32 v13, v12, v152
	v_fmac_f32_e32 v14, v13, v154
	s_delay_alu instid0(VALU_DEP_3) | instskip(NEXT) | instid1(VALU_DEP_2)
	v_fmac_f32_e32 v117, v13, v5
	v_fmac_f32_e32 v15, v14, v157
	s_delay_alu instid0(VALU_DEP_1) | instskip(NEXT) | instid1(VALU_DEP_1)
	v_fmac_f32_e32 v146, v15, v158
	v_fmac_f32_e32 v147, v146, v159
	s_delay_alu instid0(VALU_DEP_1) | instskip(NEXT) | instid1(VALU_DEP_1)
	v_fmac_f32_e32 v150, v147, v160
	v_dual_fmac_f32 v153, v150, v162 :: v_dual_and_b32 v8, 0xffff0000, v4
	v_lshlrev_b32_e32 v4, 16, v4
	s_delay_alu instid0(VALU_DEP_2) | instskip(SKIP_1) | instid1(VALU_DEP_3)
	v_dual_fmac_f32 v120, v12, v8 :: v_dual_fmac_f32 v155, v153, v163
	v_and_b32_e32 v11, 0xffff0000, v6
	v_dual_fmac_f32 v119, v9, v4 :: v_dual_and_b32 v16, 0xffff0000, v7
	s_delay_alu instid0(VALU_DEP_3) | instskip(NEXT) | instid1(VALU_DEP_3)
	v_dual_fmac_f32 v156, v155, v164 :: v_dual_lshlrev_b32 v7, 16, v7
	v_dual_fmac_f32 v115, v146, v11 :: v_dual_and_b32 v148, 0xffff0000, v1
	s_delay_alu instid0(VALU_DEP_2) | instskip(NEXT) | instid1(VALU_DEP_3)
	v_dual_fmac_f32 v112, v150, v16 :: v_dual_fmac_f32 v111, v147, v7
	v_dual_fmac_f32 v161, v156, v172 :: v_dual_lshlrev_b32 v6, 16, v6
	v_dual_fmac_f32 v118, v14, v10 :: v_dual_lshlrev_b32 v1, 16, v1
	s_delay_alu instid0(VALU_DEP_2) | instskip(SKIP_3) | instid1(VALU_DEP_4)
	v_fmac_f32_e32 v165, v161, v167
	v_and_b32_e32 v17, 0xffff0000, v0
	v_lshlrev_b32_e32 v0, 16, v0
	v_dual_fmac_f32 v114, v15, v6 :: v_dual_and_b32 v151, 0xffff0000, v3
	v_dual_fmac_f32 v166, v165, v169 :: v_dual_and_b32 v149, 0xffff0000, v2
	v_lshlrev_b32_e32 v2, 16, v2
	v_lshlrev_b32_e32 v3, 16, v3
	v_dual_fmac_f32 v109, v153, v0 :: v_dual_fmac_f32 v110, v155, v17
	s_delay_alu instid0(VALU_DEP_4) | instskip(SKIP_2) | instid1(VALU_DEP_3)
	v_fmac_f32_e32 v168, v166, v171
	v_dual_fmac_f32 v106, v156, v1 :: v_dual_fmac_f32 v107, v161, v148
	v_dual_fmac_f32 v102, v165, v2 :: v_dual_fmac_f32 v103, v166, v149
	v_fmac_f32_e32 v170, v168, v173
	v_fmac_f32_e32 v101, v168, v3
	s_delay_alu instid0(VALU_DEP_2)
	v_fmac_f32_e32 v104, v170, v151
	s_cbranch_scc1 .LBB21_202
.LBB21_109:                             ;   Parent Loop BB21_12 Depth=1
                                        ; =>  This Inner Loop Header: Depth=2
	s_lshl_b64 s[90:91], s[66:67], 2
	s_mov_b32 s53, s67
	s_add_u32 s90, s72, s90
	s_addc_u32 s91, s73, s91
	v_dual_mov_b32 v2, 0 :: v_dual_mov_b32 v3, 0
	global_load_b32 v146, v21, s[90:91]
	s_lshl_b64 s[90:91], s[52:53], 1
	s_delay_alu instid0(SALU_CYCLE_1)
	v_add_co_u32 v0, vcc_lo, v127, s90
	v_add_co_ci_u32_e32 v1, vcc_lo, s91, v128, vcc_lo
	s_and_saveexec_b32 s45, s12
	s_cbranch_execz .LBB21_111
; %bb.110:                              ;   in Loop: Header=BB21_109 Depth=2
	global_load_u16 v3, v[0:1], off
.LBB21_111:                             ;   in Loop: Header=BB21_109 Depth=2
	s_or_b32 exec_lo, exec_lo, s45
	s_and_saveexec_b32 s45, s13
	s_cbranch_execz .LBB21_113
; %bb.112:                              ;   in Loop: Header=BB21_109 Depth=2
	global_load_u16 v2, v[0:1], off offset:64
.LBB21_113:                             ;   in Loop: Header=BB21_109 Depth=2
	s_or_b32 exec_lo, exec_lo, s45
	v_dual_mov_b32 v4, 0 :: v_dual_mov_b32 v5, 0
	s_and_saveexec_b32 s45, s14
	s_cbranch_execz .LBB21_115
; %bb.114:                              ;   in Loop: Header=BB21_109 Depth=2
	global_load_u16 v5, v[0:1], off offset:128
.LBB21_115:                             ;   in Loop: Header=BB21_109 Depth=2
	s_or_b32 exec_lo, exec_lo, s45
	s_and_saveexec_b32 s45, s15
	s_cbranch_execz .LBB21_117
; %bb.116:                              ;   in Loop: Header=BB21_109 Depth=2
	global_load_u16 v4, v[0:1], off offset:192
.LBB21_117:                             ;   in Loop: Header=BB21_109 Depth=2
	s_or_b32 exec_lo, exec_lo, s45
	v_dual_mov_b32 v6, 0 :: v_dual_mov_b32 v7, 0
	s_and_saveexec_b32 s45, s16
	s_cbranch_execz .LBB21_119
; %bb.118:                              ;   in Loop: Header=BB21_109 Depth=2
	global_load_u16 v7, v[0:1], off offset:256
.LBB21_119:                             ;   in Loop: Header=BB21_109 Depth=2
	;; [unrolled: 13-line block ×7, first 2 shown]
	s_or_b32 exec_lo, exec_lo, s45
	s_and_saveexec_b32 s45, s27
	s_cbranch_execz .LBB21_141
; %bb.140:                              ;   in Loop: Header=BB21_109 Depth=2
	global_load_u16 v16, v[0:1], off offset:960
.LBB21_141:                             ;   in Loop: Header=BB21_109 Depth=2
	s_or_b32 exec_lo, exec_lo, s45
	s_waitcnt vmcnt(0)
	ds_store_b16 v37, v3
	ds_store_b16 v37, v2 offset:64
	ds_store_b16 v38, v5 offset:128
	;; [unrolled: 1-line block ×15, first 2 shown]
	; wave barrier
	ds_load_b128 v[12:15], v52
	ds_load_b128 v[8:11], v52 offset:16
	s_mov_b32 s55, s67
	v_dual_mov_b32 v2, 0 :: v_dual_mov_b32 v3, 0
	s_lshl_b64 s[90:91], s[54:55], 1
	s_delay_alu instid0(SALU_CYCLE_1)
	v_add_co_u32 v0, vcc_lo, v129, s90
	v_add_co_ci_u32_e32 v1, vcc_lo, s91, v130, vcc_lo
	s_and_saveexec_b32 s45, s12
	s_cbranch_execz .LBB21_143
; %bb.142:                              ;   in Loop: Header=BB21_109 Depth=2
	global_load_u16 v3, v[0:1], off
.LBB21_143:                             ;   in Loop: Header=BB21_109 Depth=2
	s_or_b32 exec_lo, exec_lo, s45
	s_and_saveexec_b32 s45, s13
	s_cbranch_execz .LBB21_145
; %bb.144:                              ;   in Loop: Header=BB21_109 Depth=2
	global_load_u16 v2, v[0:1], off offset:64
.LBB21_145:                             ;   in Loop: Header=BB21_109 Depth=2
	s_or_b32 exec_lo, exec_lo, s45
	v_dual_mov_b32 v4, 0 :: v_dual_mov_b32 v5, 0
	s_and_saveexec_b32 s45, s14
	s_cbranch_execz .LBB21_147
; %bb.146:                              ;   in Loop: Header=BB21_109 Depth=2
	global_load_u16 v5, v[0:1], off offset:128
.LBB21_147:                             ;   in Loop: Header=BB21_109 Depth=2
	s_or_b32 exec_lo, exec_lo, s45
	s_and_saveexec_b32 s45, s15
	s_cbranch_execz .LBB21_149
; %bb.148:                              ;   in Loop: Header=BB21_109 Depth=2
	global_load_u16 v4, v[0:1], off offset:192
.LBB21_149:                             ;   in Loop: Header=BB21_109 Depth=2
	s_or_b32 exec_lo, exec_lo, s45
	v_dual_mov_b32 v6, 0 :: v_dual_mov_b32 v7, 0
	s_and_saveexec_b32 s45, s16
	s_cbranch_execz .LBB21_151
; %bb.150:                              ;   in Loop: Header=BB21_109 Depth=2
	global_load_u16 v7, v[0:1], off offset:256
.LBB21_151:                             ;   in Loop: Header=BB21_109 Depth=2
	;; [unrolled: 13-line block ×7, first 2 shown]
	s_or_b32 exec_lo, exec_lo, s45
	s_and_saveexec_b32 s45, s27
	s_cbranch_execz .LBB21_173
; %bb.172:                              ;   in Loop: Header=BB21_109 Depth=2
	global_load_u16 v153, v[0:1], off offset:960
.LBB21_173:                             ;   in Loop: Header=BB21_109 Depth=2
	s_or_b32 exec_lo, exec_lo, s45
	s_waitcnt vmcnt(0)
	ds_store_b16 v37, v3 offset:2112
	ds_store_b16 v53, v2 offset:64
	;; [unrolled: 1-line block ×16, first 2 shown]
	; wave barrier
	ds_load_b128 v[4:7], v52 offset:2112
	ds_load_b128 v[0:3], v68 offset:16
	s_and_not1_b32 vcc_lo, exec_lo, s51
	s_cbranch_vccnz .LBB21_175
; %bb.174:                              ;   in Loop: Header=BB21_109 Depth=2
	v_mov_b32_e32 v16, s88
	ds_load_b64 v[16:17], v16
	s_cbranch_execz .LBB21_176
	s_branch .LBB21_179
.LBB21_175:                             ;   in Loop: Header=BB21_109 Depth=2
                                        ; implicit-def: $vgpr16
.LBB21_176:                             ;   in Loop: Header=BB21_109 Depth=2
	s_waitcnt lgkmcnt(0)
	v_mov_b32_e32 v17, 0
	s_and_not1_b32 vcc_lo, exec_lo, s47
	s_cbranch_vccnz .LBB21_178
; %bb.177:                              ;   in Loop: Header=BB21_109 Depth=2
	s_mov_b32 s59, s67
	s_delay_alu instid0(SALU_CYCLE_1) | instskip(NEXT) | instid1(SALU_CYCLE_1)
	s_lshl_b64 s[90:91], s[58:59], 1
	s_add_u32 s90, s76, s90
	s_addc_u32 s91, s77, s91
	global_load_u16 v16, v21, s[90:91]
	s_waitcnt vmcnt(0)
	v_lshlrev_b32_e32 v17, 16, v16
.LBB21_178:                             ;   in Loop: Header=BB21_109 Depth=2
	v_mov_b32_e32 v16, 1.0
.LBB21_179:                             ;   in Loop: Header=BB21_109 Depth=2
	s_waitcnt lgkmcnt(19)
	v_dual_mul_f32 v168, 0x3fb8aa3b, v146 :: v_dual_lshlrev_b32 v147, 16, v12
	v_and_b32_e32 v12, 0xffff0000, v12
	v_lshlrev_b32_e32 v146, 16, v13
	v_and_b32_e32 v150, 0xffff0000, v13
	v_lshlrev_b32_e32 v153, 16, v14
	v_mul_f32_e32 v13, v168, v94
	v_dual_mul_f32 v14, v168, v95 :: v_dual_and_b32 v155, 0xffff0000, v14
	v_dual_mul_f32 v149, v168, v97 :: v_dual_lshlrev_b32 v156, 16, v15
	s_delay_alu instid0(VALU_DEP_3) | instskip(SKIP_1) | instid1(VALU_DEP_4)
	v_cmp_gt_f32_e32 vcc_lo, 0xc2fc0000, v13
	v_dual_mul_f32 v12, v144, v12 :: v_dual_and_b32 v159, 0xffff0000, v15
	v_cmp_gt_f32_e64 s45, 0xc2fc0000, v14
	v_mul_f32_e32 v15, v168, v96
	v_cndmask_b32_e64 v13, 0, 0x42800000, vcc_lo
	v_cndmask_b32_e64 v148, 1.0, 0x1f800000, vcc_lo
	s_waitcnt lgkmcnt(18)
	v_lshlrev_b32_e32 v165, 16, v10
	v_cndmask_b32_e64 v14, 0, 0x42800000, s45
	v_mul_f32_e32 v147, v145, v147
	v_fmac_f32_e32 v13, v168, v94
	v_dual_mul_f32 v146, v143, v146 :: v_dual_lshlrev_b32 v161, 16, v8
	v_and_b32_e32 v8, 0xffff0000, v8
	v_fmac_f32_e32 v14, v168, v95
	s_delay_alu instid0(VALU_DEP_4) | instskip(SKIP_2) | instid1(VALU_DEP_3)
	v_exp_f32_e32 v13, v13
	v_cmp_gt_f32_e32 vcc_lo, 0xc2fc0000, v15
	v_dual_mul_f32 v155, v140, v155 :: v_dual_and_b32 v10, 0xffff0000, v10
	v_exp_f32_e32 v14, v14
	v_dual_mul_f32 v161, v137, v161 :: v_dual_mul_f32 v8, v136, v8
	v_cndmask_b32_e64 v15, 0, 0x42800000, vcc_lo
	v_lshlrev_b32_e32 v170, 16, v11
	v_and_b32_e32 v11, 0xffff0000, v11
	s_delay_alu instid0(TRANS32_DEP_2)
	v_mul_f32_e32 v13, v13, v148
	v_cndmask_b32_e64 v148, 0, v147, s28
	v_cndmask_b32_e64 v147, 1.0, 0x1f800000, s45
	v_cmp_gt_f32_e64 s45, 0xc2fc0000, v149
	v_fmac_f32_e32 v15, v168, v96
	v_cndmask_b32_e64 v149, 1.0, v13, s28
	v_cndmask_b32_e64 v12, 0, v12, s29
	v_mul_f32_e32 v13, v14, v147
	v_cndmask_b32_e64 v151, 0, 0x42800000, s45
	v_exp_f32_e32 v14, v15
	v_cndmask_b32_e64 v147, 1.0, 0x1f800000, vcc_lo
	v_lshlrev_b32_e32 v163, 16, v9
	v_mul_f32_e32 v15, v168, v98
	v_fmac_f32_e32 v151, v168, v97
	v_and_b32_e32 v9, 0xffff0000, v9
	v_mul_f32_e32 v171, v168, v123
	v_mul_f32_e32 v173, v168, v125
	v_cmp_gt_f32_e32 vcc_lo, 0xc2fc0000, v15
	v_exp_f32_e32 v154, v151
	v_mul_f32_e32 v14, v14, v147
	v_cndmask_b32_e64 v147, 1.0, 0x1f800000, s45
	v_mul_f32_e32 v157, v168, v105
	v_cndmask_b32_e64 v15, 0, 0x42800000, vcc_lo
	v_mul_f32_e32 v160, v168, v108
	v_cndmask_b32_e64 v152, 1.0, v14, s30
	v_mul_f32_e32 v14, v142, v150
	v_mul_f32_e32 v150, v168, v100
	v_fmac_f32_e32 v15, v168, v98
	v_mul_f32_e32 v147, v154, v147
	v_cmp_gt_f32_e64 s46, 0xc2fc0000, v157
	v_cndmask_b32_e64 v14, 0, v14, s31
	v_mul_f32_e32 v162, v168, v116
	v_exp_f32_e32 v15, v15
	v_cndmask_b32_e64 v154, 1.0, v147, s31
	v_cndmask_b32_e64 v147, 1.0, 0x1f800000, vcc_lo
	v_cmp_gt_f32_e32 vcc_lo, 0xc2fc0000, v150
	v_mul_f32_e32 v170, v131, v170
	v_dual_mul_f32 v10, v132, v10 :: v_dual_mul_f32 v11, v126, v11
	v_cndmask_b32_e64 v150, 0, 0x42800000, vcc_lo
	s_delay_alu instid0(TRANS32_DEP_1) | instskip(SKIP_2) | instid1(VALU_DEP_4)
	v_mul_f32_e32 v147, v15, v147
	v_mul_f32_e32 v15, v141, v153
	v_cndmask_b32_e64 v153, 0, 0x42800000, s46
	v_fmac_f32_e32 v150, v168, v100
	v_cndmask_b32_e64 v151, 1.0, v13, s29
	v_cndmask_b32_e64 v13, 0, v146, s30
	v_mul_f32_e32 v146, v168, v99
	v_cndmask_b32_e64 v157, 1.0, v147, s33
	v_exp_f32_e32 v150, v150
	v_fma_f32 v169, v151, v148, v12
	v_cndmask_b32_e64 v15, 0, v15, s33
	v_cmp_gt_f32_e64 s45, 0xc2fc0000, v146
	s_delay_alu instid0(VALU_DEP_1) | instskip(SKIP_1) | instid1(VALU_DEP_2)
	v_cndmask_b32_e64 v146, 0, 0x42800000, s45
	v_cndmask_b32_e64 v158, 1.0, 0x1f800000, s45
	v_fmac_f32_e32 v146, v168, v99
	s_delay_alu instid0(VALU_DEP_1)
	v_exp_f32_e32 v146, v146
	s_waitcnt_depctr 0xfff
	v_mul_f32_e32 v147, v146, v158
	v_cndmask_b32_e64 v146, 0, v155, s34
	v_cndmask_b32_e64 v155, 1.0, 0x1f800000, vcc_lo
	v_cmp_gt_f32_e32 vcc_lo, 0xc2fc0000, v160
	v_mul_f32_e32 v160, v138, v159
	v_cndmask_b32_e64 v158, 1.0, v147, s34
	s_delay_alu instid0(VALU_DEP_4)
	v_dual_mul_f32 v147, v139, v156 :: v_dual_mul_f32 v150, v150, v155
	v_cndmask_b32_e64 v155, 1.0, 0x1f800000, s46
	v_cmp_gt_f32_e64 s46, 0xc2fc0000, v162
	v_mul_f32_e32 v162, v168, v121
	v_cndmask_b32_e64 v156, 0, 0x42800000, vcc_lo
	v_cndmask_b32_e64 v164, 1.0, 0x1f800000, vcc_lo
	v_cndmask_b32_e64 v159, 1.0, v150, s35
	v_cndmask_b32_e64 v150, 0, v160, s36
	v_cmp_gt_f32_e32 vcc_lo, 0xc2fc0000, v162
	v_fmac_f32_e32 v156, v168, v108
	v_cndmask_b32_e64 v147, 0, v147, s35
	v_cndmask_b32_e64 v166, 0, 0x42800000, vcc_lo
	v_cndmask_b32_e64 v167, 1.0, 0x1f800000, vcc_lo
	s_delay_alu instid0(VALU_DEP_2) | instskip(NEXT) | instid1(VALU_DEP_1)
	v_fmac_f32_e32 v166, v168, v121
	v_exp_f32_e32 v166, v166
	v_fmac_f32_e32 v153, v168, v105
	s_delay_alu instid0(VALU_DEP_1) | instskip(SKIP_3) | instid1(VALU_DEP_2)
	v_exp_f32_e32 v153, v153
	s_waitcnt_depctr 0xfff
	v_mul_f32_e32 v153, v153, v155
	v_mul_f32_e32 v155, v168, v113
	v_cndmask_b32_e64 v160, 1.0, v153, s36
	s_delay_alu instid0(VALU_DEP_2) | instskip(SKIP_2) | instid1(VALU_DEP_2)
	v_cmp_gt_f32_e64 s45, 0xc2fc0000, v155
	v_exp_f32_e32 v153, v156
	v_cndmask_b32_e64 v156, 0, 0x42800000, s46
	v_cndmask_b32_e64 v155, 0, 0x42800000, s45
	s_delay_alu instid0(VALU_DEP_2)
	v_fmac_f32_e32 v156, v168, v116
	s_waitcnt_depctr 0xfff
	v_dual_fmac_f32 v155, v168, v113 :: v_dual_mul_f32 v162, v153, v164
	v_cndmask_b32_e64 v153, 0, v161, s37
	v_exp_f32_e32 v156, v156
	v_cndmask_b32_e64 v161, 1.0, 0x1f800000, s45
	s_delay_alu instid0(VALU_DEP_3) | instskip(SKIP_3) | instid1(VALU_DEP_2)
	v_exp_f32_e32 v155, v155
	v_cndmask_b32_e64 v164, 1.0, 0x1f800000, s46
	v_cmp_gt_f32_e64 s45, 0xc2fc0000, v171
	v_cndmask_b32_e64 v162, 1.0, v162, s37
	v_cndmask_b32_e64 v171, 1.0, 0x1f800000, s45
	s_waitcnt_depctr 0xfff
	v_dual_mul_f32 v164, v156, v164 :: v_dual_mul_f32 v161, v155, v161
	v_cndmask_b32_e64 v155, 0, v8, s38
	v_mul_f32_e32 v8, v135, v163
	s_delay_alu instid0(VALU_DEP_3) | instskip(NEXT) | instid1(VALU_DEP_4)
	v_cndmask_b32_e64 v164, 1.0, v164, s39
	v_cndmask_b32_e64 v163, 1.0, v161, s38
	v_mul_f32_e32 v161, v168, v122
	s_delay_alu instid0(VALU_DEP_4) | instskip(SKIP_1) | instid1(VALU_DEP_3)
	v_cndmask_b32_e64 v156, 0, v8, s39
	v_dual_mul_f32 v8, v166, v167 :: v_dual_mul_f32 v167, v151, v149
	v_cmp_gt_f32_e32 vcc_lo, 0xc2fc0000, v161
	s_delay_alu instid0(VALU_DEP_2) | instskip(SKIP_3) | instid1(VALU_DEP_3)
	v_cndmask_b32_e64 v172, 1.0, v8, s40
	v_cndmask_b32_e64 v166, 0, 0x42800000, vcc_lo
	v_mul_f32_e32 v9, v134, v9
	v_cndmask_b32_e64 v8, 1.0, 0x1f800000, vcc_lo
	v_fmac_f32_e32 v166, v168, v122
	s_delay_alu instid0(VALU_DEP_3)
	v_cndmask_b32_e64 v161, 0, v9, s40
	v_mul_f32_e32 v9, v167, v152
	v_fma_f32 v167, v169, v152, v13
	v_cndmask_b32_e64 v169, 0, 0x42800000, s45
	v_exp_f32_e32 v166, v166
	v_cmp_gt_f32_e64 s45, 0xc2fc0000, v173
	v_mul_f32_e32 v9, v9, v154
	v_fma_f32 v167, v167, v154, v14
	v_fmac_f32_e32 v169, v168, v123
	s_delay_alu instid0(VALU_DEP_3) | instskip(NEXT) | instid1(VALU_DEP_3)
	v_mul_f32_e32 v9, v9, v157
	v_fma_f32 v167, v167, v157, v15
	s_delay_alu instid0(VALU_DEP_3)
	v_exp_f32_e32 v169, v169
	s_delay_alu instid0(TRANS32_DEP_2) | instid1(VALU_DEP_2)
	v_dual_mul_f32 v8, v166, v8 :: v_dual_mul_f32 v9, v9, v158
	s_delay_alu instid0(VALU_DEP_2) | instskip(NEXT) | instid1(VALU_DEP_2)
	v_fma_f32 v166, v167, v158, v146
	v_cndmask_b32_e64 v167, 1.0, v8, s41
	s_delay_alu instid0(VALU_DEP_3) | instskip(NEXT) | instid1(VALU_DEP_3)
	v_mul_f32_e32 v8, v9, v159
	v_fma_f32 v9, v166, v159, v147
	v_mul_f32_e32 v166, v168, v124
	s_delay_alu instid0(VALU_DEP_3) | instskip(NEXT) | instid1(VALU_DEP_3)
	v_mul_f32_e32 v8, v8, v160
	v_fma_f32 v9, v9, v160, v150
	s_delay_alu instid0(VALU_DEP_3)
	v_cmp_gt_f32_e32 vcc_lo, 0xc2fc0000, v166
	v_mul_f32_e32 v165, v133, v165
	v_cndmask_b32_e64 v166, 0, v10, s42
	v_mul_f32_e32 v8, v8, v162
	v_fma_f32 v9, v9, v162, v153
	v_cndmask_b32_e64 v10, 0, 0x42800000, s45
	v_mul_f32_e32 v169, v169, v171
	v_cndmask_b32_e64 v171, 0, 0x42800000, vcc_lo
	v_mul_f32_e32 v8, v8, v163
	v_fma_f32 v9, v9, v163, v155
	v_fmac_f32_e32 v10, v168, v125
	v_cndmask_b32_e64 v165, 0, v165, s41
	v_fmac_f32_e32 v171, v168, v124
	v_mul_f32_e32 v8, v8, v164
	v_fma_f32 v9, v9, v164, v156
	v_cndmask_b32_e64 v168, 1.0, 0x1f800000, vcc_lo
	v_exp_f32_e32 v10, v10
	v_exp_f32_e32 v171, v171
	v_mul_f32_e32 v8, v8, v172
	v_fma_f32 v9, v9, v172, v161
	v_cndmask_b32_e64 v169, 1.0, v169, s42
	s_delay_alu instid0(VALU_DEP_3) | instskip(NEXT) | instid1(VALU_DEP_3)
	v_mul_f32_e32 v8, v8, v167
	v_fma_f32 v9, v9, v167, v165
	s_waitcnt_depctr 0xfff
	v_mul_f32_e32 v171, v171, v168
	v_cndmask_b32_e64 v168, 0, v170, s43
	v_cndmask_b32_e64 v170, 1.0, 0x1f800000, s45
	v_mul_f32_e32 v8, v8, v169
	v_fma_f32 v9, v9, v169, v166
	v_cndmask_b32_e64 v171, 1.0, v171, s43
	s_delay_alu instid0(VALU_DEP_4) | instskip(SKIP_1) | instid1(VALU_DEP_3)
	v_mul_f32_e32 v10, v10, v170
	v_cndmask_b32_e64 v170, 0, v11, s44
	v_mul_f32_e32 v8, v8, v171
	v_fma_f32 v9, v9, v171, v168
	s_delay_alu instid0(VALU_DEP_4) | instskip(NEXT) | instid1(VALU_DEP_1)
	v_cndmask_b32_e64 v173, 1.0, v10, s44
	v_mul_f32_e32 v8, v8, v173
	s_delay_alu instid0(VALU_DEP_3) | instskip(NEXT) | instid1(VALU_DEP_2)
	v_fma_f32 v9, v9, v173, v170
	v_mov_b32_dpp v11, v8 row_shr:1 row_mask:0xf bank_mask:0xf
	s_delay_alu instid0(VALU_DEP_2)
	v_mov_b32_dpp v10, v9 row_shr:1 row_mask:0xf bank_mask:0xf
	s_and_saveexec_b32 s45, s0
; %bb.180:                              ;   in Loop: Header=BB21_109 Depth=2
	s_delay_alu instid0(VALU_DEP_2) | instskip(NEXT) | instid1(VALU_DEP_1)
	v_mul_f32_e32 v11, v8, v11
	v_dual_fmac_f32 v9, v8, v10 :: v_dual_mov_b32 v8, v11
; %bb.181:                              ;   in Loop: Header=BB21_109 Depth=2
	s_or_b32 exec_lo, exec_lo, s45
	s_delay_alu instid0(VALU_DEP_1) | instskip(NEXT) | instid1(VALU_DEP_2)
	v_mov_b32_dpp v10, v8 row_shr:2 row_mask:0xf bank_mask:0xf
	v_mov_b32_dpp v11, v9 row_shr:2 row_mask:0xf bank_mask:0xf
	s_and_saveexec_b32 s45, s1
; %bb.182:                              ;   in Loop: Header=BB21_109 Depth=2
	s_delay_alu instid0(VALU_DEP_1) | instskip(NEXT) | instid1(VALU_DEP_3)
	v_fmac_f32_e32 v9, v8, v11
	v_mul_f32_e32 v8, v8, v10
; %bb.183:                              ;   in Loop: Header=BB21_109 Depth=2
	s_or_b32 exec_lo, exec_lo, s45
	s_delay_alu instid0(VALU_DEP_1) | instskip(NEXT) | instid1(VALU_DEP_3)
	v_mov_b32_dpp v10, v8 row_shr:4 row_mask:0xf bank_mask:0xf
	v_mov_b32_dpp v11, v9 row_shr:4 row_mask:0xf bank_mask:0xf
	s_and_saveexec_b32 s45, s2
; %bb.184:                              ;   in Loop: Header=BB21_109 Depth=2
	s_delay_alu instid0(VALU_DEP_1) | instskip(NEXT) | instid1(VALU_DEP_3)
	v_fmac_f32_e32 v9, v8, v11
	v_mul_f32_e32 v8, v8, v10
; %bb.185:                              ;   in Loop: Header=BB21_109 Depth=2
	s_or_b32 exec_lo, exec_lo, s45
	s_delay_alu instid0(VALU_DEP_1) | instskip(NEXT) | instid1(VALU_DEP_3)
	v_mov_b32_dpp v10, v8 row_shr:8 row_mask:0xf bank_mask:0xf
	v_mov_b32_dpp v11, v9 row_shr:8 row_mask:0xf bank_mask:0xf
	s_and_saveexec_b32 s45, s3
; %bb.186:                              ;   in Loop: Header=BB21_109 Depth=2
	s_delay_alu instid0(VALU_DEP_1) | instskip(NEXT) | instid1(VALU_DEP_3)
	v_fmac_f32_e32 v9, v8, v11
	v_mul_f32_e32 v8, v8, v10
; %bb.187:                              ;   in Loop: Header=BB21_109 Depth=2
	s_or_b32 exec_lo, exec_lo, s45
	ds_swizzle_b32 v11, v8 offset:swizzle(BROADCAST,32,15)
	ds_swizzle_b32 v10, v9 offset:swizzle(BROADCAST,32,15)
	s_and_saveexec_b32 s45, s4
	s_cbranch_execz .LBB21_189
; %bb.188:                              ;   in Loop: Header=BB21_109 Depth=2
	s_waitcnt lgkmcnt(1)
	v_mul_f32_e32 v11, v8, v11
	s_waitcnt lgkmcnt(0)
	s_delay_alu instid0(VALU_DEP_1)
	v_dual_fmac_f32 v9, v8, v10 :: v_dual_mov_b32 v8, v11
.LBB21_189:                             ;   in Loop: Header=BB21_109 Depth=2
	s_or_b32 exec_lo, exec_lo, s45
	s_and_saveexec_b32 s45, s5
	s_cbranch_execz .LBB21_191
; %bb.190:                              ;   in Loop: Header=BB21_109 Depth=2
	ds_store_b64 v69, v[8:9] offset:4224
.LBB21_191:                             ;   in Loop: Header=BB21_109 Depth=2
	s_or_b32 exec_lo, exec_lo, s45
	s_waitcnt lgkmcnt(0)
	s_waitcnt_vscnt null, 0x0
	s_barrier
	buffer_gl0_inv
	s_and_saveexec_b32 s45, s6
	s_cbranch_execz .LBB21_193
; %bb.192:                              ;   in Loop: Header=BB21_109 Depth=2
	ds_load_b64 v[10:11], v70 offset:4224
	s_waitcnt lgkmcnt(0)
	v_mov_b32_dpp v174, v10 row_shr:1 row_mask:0xf bank_mask:0xf
	v_mov_b32_dpp v175, v11 row_shr:1 row_mask:0xf bank_mask:0xf
	s_delay_alu instid0(VALU_DEP_2) | instskip(NEXT) | instid1(VALU_DEP_2)
	v_mul_f32_e32 v174, v10, v174
	v_fma_f32 v175, v10, v175, v11
	s_delay_alu instid0(VALU_DEP_2) | instskip(NEXT) | instid1(VALU_DEP_2)
	v_cndmask_b32_e64 v10, v174, v10, s7
	v_cndmask_b32_e64 v11, v175, v11, s7
	ds_store_b64 v70, v[10:11] offset:4224
.LBB21_193:                             ;   in Loop: Header=BB21_109 Depth=2
	s_or_b32 exec_lo, exec_lo, s45
	s_waitcnt lgkmcnt(0)
	s_barrier
	buffer_gl0_inv
                                        ; implicit-def: $vgpr11
	s_and_saveexec_b32 s45, s9
	s_cbranch_execz .LBB21_195
; %bb.194:                              ;   in Loop: Header=BB21_109 Depth=2
	ds_load_b64 v[10:11], v69 offset:4216
	s_waitcnt lgkmcnt(0)
	v_mul_f32_e32 v174, v8, v10
	s_delay_alu instid0(VALU_DEP_1)
	v_dual_fmac_f32 v9, v8, v11 :: v_dual_mov_b32 v8, v174
.LBB21_195:                             ;   in Loop: Header=BB21_109 Depth=2
	s_or_b32 exec_lo, exec_lo, s45
	ds_bpermute_b32 v174, v71, v8
	ds_bpermute_b32 v175, v71, v9
	s_and_saveexec_b32 s45, s8
	s_cbranch_execz .LBB21_199
; %bb.196:                              ;   in Loop: Header=BB21_109 Depth=2
	ds_load_b64 v[8:9], v21 offset:4232
	s_and_saveexec_b32 s46, s10
	s_cbranch_execz .LBB21_198
; %bb.197:                              ;   in Loop: Header=BB21_109 Depth=2
	ds_store_b64 v21, v[16:17] offset:4232
.LBB21_198:                             ;   in Loop: Header=BB21_109 Depth=2
	s_or_b32 exec_lo, exec_lo, s46
	s_waitcnt lgkmcnt(0)
	v_fmac_f32_e32 v9, v8, v17
	s_delay_alu instid0(VALU_DEP_1)
	v_dual_mul_f32 v16, v16, v8 :: v_dual_mov_b32 v17, v9
.LBB21_199:                             ;   in Loop: Header=BB21_109 Depth=2
	s_or_b32 exec_lo, exec_lo, s45
	s_waitcnt lgkmcnt(0)
	s_barrier
	buffer_gl0_inv
	ds_load_b32 v8, v21 offset:4236
	s_and_saveexec_b32 s45, s10
	s_cbranch_execz .LBB21_108
; %bb.200:                              ;   in Loop: Header=BB21_109 Depth=2
	v_mov_b32_e32 v9, s88
	s_and_not1_b32 vcc_lo, exec_lo, s86
	ds_store_b64 v9, v[16:17]
	s_cbranch_vccnz .LBB21_108
; %bb.201:                              ;   in Loop: Header=BB21_109 Depth=2
	v_bfe_u32 v9, v17, 16, 1
	v_cmp_o_f32_e32 vcc_lo, v17, v17
	s_mov_b32 s59, s67
	s_delay_alu instid0(SALU_CYCLE_1) | instskip(NEXT) | instid1(VALU_DEP_2)
	s_lshl_b64 s[90:91], s[58:59], 1
	v_add3_u32 v9, v17, v9, 0x7fff
	s_add_u32 s90, s76, s90
	s_addc_u32 s91, s77, s91
	s_delay_alu instid0(VALU_DEP_1) | instskip(NEXT) | instid1(VALU_DEP_1)
	v_lshrrev_b32_e32 v9, 16, v9
	v_cndmask_b32_e32 v9, 0x7fc0, v9, vcc_lo
	global_store_b16 v21, v9, s[90:91]
	s_branch .LBB21_108
.LBB21_202:                             ;   in Loop: Header=BB21_12 Depth=1
	v_bfe_u32 v0, v119, 16, 1
	v_bfe_u32 v1, v120, 16, 1
	v_cmp_o_f32_e32 vcc_lo, v119, v119
	v_bfe_u32 v2, v117, 16, 1
	v_bfe_u32 v4, v115, 16, 1
	v_add3_u32 v0, v119, v0, 0x7fff
	v_add3_u32 v1, v120, v1, 0x7fff
	v_bfe_u32 v7, v111, 16, 1
	v_add3_u32 v2, v117, v2, 0x7fff
	v_bfe_u32 v6, v112, 16, 1
	v_lshrrev_b32_e32 v0, 16, v0
	v_lshrrev_b32_e32 v1, 16, v1
	v_add3_u32 v4, v115, v4, 0x7fff
	v_lshrrev_b32_e32 v2, 16, v2
	v_add3_u32 v7, v111, v7, 0x7fff
	v_cndmask_b32_e32 v0, 0x7fc0, v0, vcc_lo
	v_cmp_o_f32_e32 vcc_lo, v120, v120
	v_add3_u32 v6, v112, v6, 0x7fff
	v_bfe_u32 v3, v118, 16, 1
	v_bfe_u32 v10, v107, 16, 1
	;; [unrolled: 1-line block ×3, first 2 shown]
	v_cndmask_b32_e32 v5, 0x7fc0, v1, vcc_lo
	v_bfe_u32 v1, v114, 16, 1
	v_cmp_o_f32_e32 vcc_lo, v117, v117
	v_lshrrev_b32_e32 v6, 16, v6
	v_add3_u32 v3, v118, v3, 0x7fff
	v_bfe_u32 v12, v104, 16, 1
	v_add3_u32 v1, v114, v1, 0x7fff
	v_cndmask_b32_e32 v8, 0x7fc0, v2, vcc_lo
	v_cmp_o_f32_e32 vcc_lo, v114, v114
	v_lshrrev_b32_e32 v2, 16, v4
	v_lshrrev_b32_e32 v4, 16, v7
	v_lshrrev_b32_e32 v1, 16, v1
	v_lshrrev_b32_e32 v3, 16, v3
	v_bfe_u32 v7, v109, 16, 1
	v_add3_u32 v11, v101, v11, 0x7fff
	v_perm_b32 v0, v5, v0, 0x5040100
	v_cndmask_b32_e32 v1, 0x7fc0, v1, vcc_lo
	v_cmp_o_f32_e32 vcc_lo, v111, v111
	s_waitcnt_vscnt null, 0x0
	s_barrier
	buffer_gl0_inv
	s_mov_b32 s51, s67
	v_cndmask_b32_e32 v4, 0x7fc0, v4, vcc_lo
	v_cmp_o_f32_e32 vcc_lo, v112, v112
	s_lshl_b64 s[34:35], s[50:51], 1
	v_cndmask_b32_e32 v6, 0x7fc0, v6, vcc_lo
	v_cmp_o_f32_e32 vcc_lo, v115, v115
	v_cndmask_b32_e32 v2, 0x7fc0, v2, vcc_lo
	v_cmp_o_f32_e32 vcc_lo, v118, v118
	s_delay_alu instid0(VALU_DEP_2)
	v_perm_b32 v2, v2, v1, 0x5040100
	v_cndmask_b32_e32 v9, 0x7fc0, v3, vcc_lo
	v_perm_b32 v3, v6, v4, 0x5040100
	v_add3_u32 v6, v109, v7, 0x7fff
	v_bfe_u32 v7, v106, 16, 1
	v_cmp_o_f32_e32 vcc_lo, v109, v109
	v_perm_b32 v1, v9, v8, 0x5040100
	v_add3_u32 v8, v107, v10, 0x7fff
	v_lshrrev_b32_e32 v6, 16, v6
	v_add3_u32 v7, v106, v7, 0x7fff
	v_bfe_u32 v10, v103, 16, 1
	v_bfe_u32 v4, v110, 16, 1
	s_delay_alu instid0(VALU_DEP_4) | instskip(NEXT) | instid1(VALU_DEP_4)
	v_cndmask_b32_e32 v9, 0x7fc0, v6, vcc_lo
	v_lshrrev_b32_e32 v6, 16, v7
	v_lshrrev_b32_e32 v7, 16, v8
	v_bfe_u32 v8, v102, 16, 1
	v_cmp_o_f32_e32 vcc_lo, v106, v106
	v_add3_u32 v4, v110, v4, 0x7fff
	s_delay_alu instid0(VALU_DEP_3)
	v_add3_u32 v8, v102, v8, 0x7fff
	v_cndmask_b32_e32 v13, 0x7fc0, v6, vcc_lo
	v_cmp_o_f32_e32 vcc_lo, v107, v107
	v_add3_u32 v6, v103, v10, 0x7fff
	v_add3_u32 v10, v104, v12, 0x7fff
	v_lshrrev_b32_e32 v4, 16, v4
	v_cndmask_b32_e32 v12, 0x7fc0, v7, vcc_lo
	v_lshrrev_b32_e32 v7, 16, v8
	v_cmp_o_f32_e32 vcc_lo, v102, v102
	v_lshrrev_b32_e32 v8, 16, v11
	v_lshrrev_b32_e32 v10, 16, v10
	;; [unrolled: 1-line block ×3, first 2 shown]
	v_perm_b32 v5, v12, v13, 0x5040100
	v_cndmask_b32_e32 v11, 0x7fc0, v7, vcc_lo
	v_cmp_o_f32_e32 vcc_lo, v101, v101
	v_cndmask_b32_e32 v7, 0x7fc0, v8, vcc_lo
	v_cmp_o_f32_e32 vcc_lo, v104, v104
	;; [unrolled: 2-line block ×3, first 2 shown]
	s_delay_alu instid0(VALU_DEP_2) | instskip(SKIP_2) | instid1(VALU_DEP_2)
	v_perm_b32 v7, v8, v7, 0x5040100
	v_cndmask_b32_e32 v6, 0x7fc0, v6, vcc_lo
	v_cmp_o_f32_e32 vcc_lo, v110, v110
	v_perm_b32 v6, v6, v11, 0x5040100
	v_cndmask_b32_e32 v4, 0x7fc0, v4, vcc_lo
	s_delay_alu instid0(VALU_DEP_1)
	v_perm_b32 v4, v4, v9, 0x5040100
	ds_store_b128 v52, v[0:3]
	ds_store_b128 v52, v[4:7] offset:16
	; wave barrier
	ds_load_u16 v16, v37 offset:64
	ds_load_u16 v15, v38 offset:128
	;; [unrolled: 1-line block ×15, first 2 shown]
	v_add_co_u32 v0, vcc_lo, v72, s34
	v_add_co_ci_u32_e32 v1, vcc_lo, s35, v73, vcc_lo
	s_and_saveexec_b32 s28, s12
	s_cbranch_execnz .LBB21_269
; %bb.203:                              ;   in Loop: Header=BB21_12 Depth=1
	s_or_b32 exec_lo, exec_lo, s28
	s_and_saveexec_b32 s28, s13
	s_cbranch_execnz .LBB21_270
.LBB21_204:                             ;   in Loop: Header=BB21_12 Depth=1
	s_or_b32 exec_lo, exec_lo, s28
	s_and_saveexec_b32 s28, s14
	s_cbranch_execnz .LBB21_271
.LBB21_205:                             ;   in Loop: Header=BB21_12 Depth=1
	s_or_b32 exec_lo, exec_lo, s28
	s_and_saveexec_b32 s28, s15
	s_cbranch_execnz .LBB21_272
.LBB21_206:                             ;   in Loop: Header=BB21_12 Depth=1
	s_or_b32 exec_lo, exec_lo, s28
	s_and_saveexec_b32 s28, s16
	s_cbranch_execnz .LBB21_273
.LBB21_207:                             ;   in Loop: Header=BB21_12 Depth=1
	s_or_b32 exec_lo, exec_lo, s28
	s_and_saveexec_b32 s28, s17
	s_cbranch_execnz .LBB21_274
.LBB21_208:                             ;   in Loop: Header=BB21_12 Depth=1
	s_or_b32 exec_lo, exec_lo, s28
	s_and_saveexec_b32 s28, s18
	s_cbranch_execnz .LBB21_275
.LBB21_209:                             ;   in Loop: Header=BB21_12 Depth=1
	s_or_b32 exec_lo, exec_lo, s28
	s_and_saveexec_b32 s28, s19
	s_cbranch_execnz .LBB21_276
.LBB21_210:                             ;   in Loop: Header=BB21_12 Depth=1
	s_or_b32 exec_lo, exec_lo, s28
	s_and_saveexec_b32 s28, s20
	s_cbranch_execnz .LBB21_277
.LBB21_211:                             ;   in Loop: Header=BB21_12 Depth=1
	s_or_b32 exec_lo, exec_lo, s28
	s_and_saveexec_b32 s28, s21
	s_cbranch_execnz .LBB21_278
.LBB21_212:                             ;   in Loop: Header=BB21_12 Depth=1
	s_or_b32 exec_lo, exec_lo, s28
	s_and_saveexec_b32 s28, s22
	s_cbranch_execnz .LBB21_279
.LBB21_213:                             ;   in Loop: Header=BB21_12 Depth=1
	s_or_b32 exec_lo, exec_lo, s28
	s_and_saveexec_b32 s28, s23
	s_cbranch_execnz .LBB21_280
.LBB21_214:                             ;   in Loop: Header=BB21_12 Depth=1
	s_or_b32 exec_lo, exec_lo, s28
	s_and_saveexec_b32 s28, s24
	s_cbranch_execnz .LBB21_281
.LBB21_215:                             ;   in Loop: Header=BB21_12 Depth=1
	s_or_b32 exec_lo, exec_lo, s28
	s_and_saveexec_b32 s28, s25
	s_cbranch_execnz .LBB21_282
.LBB21_216:                             ;   in Loop: Header=BB21_12 Depth=1
	s_or_b32 exec_lo, exec_lo, s28
	s_and_saveexec_b32 s28, s26
	s_cbranch_execnz .LBB21_283
.LBB21_217:                             ;   in Loop: Header=BB21_12 Depth=1
	s_or_b32 exec_lo, exec_lo, s28
	s_and_saveexec_b32 s28, s27
	s_cbranch_execz .LBB21_219
.LBB21_218:                             ;   in Loop: Header=BB21_12 Depth=1
	s_waitcnt lgkmcnt(0)
	global_store_b16 v[0:1], v2, off offset:960
.LBB21_219:                             ;   in Loop: Header=BB21_12 Depth=1
	s_or_b32 exec_lo, exec_lo, s28
	v_add_co_u32 v0, vcc_lo, v74, s34
	v_add_co_ci_u32_e32 v1, vcc_lo, s35, v75, vcc_lo
	s_waitcnt lgkmcnt(0)
	v_dual_mov_b32 v2, 0 :: v_dual_mov_b32 v3, 0
	s_waitcnt_vscnt null, 0x0
	s_barrier
	buffer_gl0_inv
	s_and_saveexec_b32 s28, s12
	s_cbranch_execz .LBB21_221
; %bb.220:                              ;   in Loop: Header=BB21_12 Depth=1
	global_load_u16 v3, v[0:1], off
.LBB21_221:                             ;   in Loop: Header=BB21_12 Depth=1
	s_or_b32 exec_lo, exec_lo, s28
	s_and_saveexec_b32 s28, s13
	s_cbranch_execz .LBB21_223
; %bb.222:                              ;   in Loop: Header=BB21_12 Depth=1
	global_load_u16 v2, v[0:1], off offset:64
.LBB21_223:                             ;   in Loop: Header=BB21_12 Depth=1
	s_or_b32 exec_lo, exec_lo, s28
	v_dual_mov_b32 v4, 0 :: v_dual_mov_b32 v5, 0
	s_and_saveexec_b32 s28, s14
	s_cbranch_execz .LBB21_225
; %bb.224:                              ;   in Loop: Header=BB21_12 Depth=1
	global_load_u16 v5, v[0:1], off offset:128
.LBB21_225:                             ;   in Loop: Header=BB21_12 Depth=1
	s_or_b32 exec_lo, exec_lo, s28
	s_and_saveexec_b32 s28, s15
	s_cbranch_execz .LBB21_227
; %bb.226:                              ;   in Loop: Header=BB21_12 Depth=1
	global_load_u16 v4, v[0:1], off offset:192
.LBB21_227:                             ;   in Loop: Header=BB21_12 Depth=1
	s_or_b32 exec_lo, exec_lo, s28
	v_dual_mov_b32 v6, 0 :: v_dual_mov_b32 v7, 0
	s_and_saveexec_b32 s28, s16
	s_cbranch_execz .LBB21_229
; %bb.228:                              ;   in Loop: Header=BB21_12 Depth=1
	global_load_u16 v7, v[0:1], off offset:256
.LBB21_229:                             ;   in Loop: Header=BB21_12 Depth=1
	;; [unrolled: 13-line block ×7, first 2 shown]
	s_or_b32 exec_lo, exec_lo, s28
	s_and_saveexec_b32 s28, s27
	s_cbranch_execz .LBB21_251
; %bb.250:                              ;   in Loop: Header=BB21_12 Depth=1
	global_load_u16 v16, v[0:1], off offset:960
.LBB21_251:                             ;   in Loop: Header=BB21_12 Depth=1
	s_or_b32 exec_lo, exec_lo, s28
	s_waitcnt vmcnt(0)
	ds_store_b16 v37, v3
	ds_store_b16 v37, v2 offset:64
	ds_store_b16 v38, v5 offset:128
	;; [unrolled: 1-line block ×15, first 2 shown]
	; wave barrier
	ds_load_b128 v[4:7], v52
	ds_load_b128 v[0:3], v52 offset:16
	s_waitcnt lgkmcnt(0)
	s_barrier
	buffer_gl0_inv
	v_and_b32_e32 v8, 0xffff0000, v4
	v_and_b32_e32 v15, 0xffff0000, v5
	;; [unrolled: 1-line block ×3, first 2 shown]
	v_lshlrev_b32_e32 v5, 16, v5
	s_delay_alu instid0(VALU_DEP_4) | instskip(NEXT) | instid1(VALU_DEP_3)
	v_mul_f32_e32 v9, 0xbfb8aa3b, v8
	v_mul_f32_e32 v17, 0xbfb8aa3b, v16
	s_delay_alu instid0(VALU_DEP_3) | instskip(NEXT) | instid1(VALU_DEP_3)
	v_cmp_nlt_f32_e64 s29, 0x42ce8ed0, v5
	v_fma_f32 v11, 0xbfb8aa3b, v8, -v9
	v_rndne_f32_e32 v12, v9
	s_delay_alu instid0(VALU_DEP_4) | instskip(NEXT) | instid1(VALU_DEP_3)
	v_rndne_f32_e32 v100, v17
	v_fmac_f32_e32 v11, 0xb2a5705f, v8
	s_delay_alu instid0(VALU_DEP_3) | instskip(SKIP_1) | instid1(VALU_DEP_2)
	v_sub_f32_e32 v9, v9, v12
	v_cvt_i32_f32_e32 v12, v12
	v_add_f32_e32 v9, v9, v11
	v_cmp_nlt_f32_e32 vcc_lo, 0x42ce8ed0, v8
	v_lshlrev_b32_e32 v11, 16, v6
	s_delay_alu instid0(VALU_DEP_3) | instskip(SKIP_2) | instid1(VALU_DEP_1)
	v_exp_f32_e32 v9, v9
	s_waitcnt_depctr 0xfff
	v_ldexp_f32 v9, v9, v12
	v_dual_cndmask_b32 v9, 0, v9 :: v_dual_lshlrev_b32 v4, 16, v4
	s_delay_alu instid0(VALU_DEP_1) | instskip(SKIP_1) | instid1(VALU_DEP_2)
	v_mul_f32_e32 v10, 0xbfb8aa3b, v4
	v_cmp_nlt_f32_e32 vcc_lo, 0x42ce8ed0, v4
	v_rndne_f32_e32 v13, v10
	v_fma_f32 v14, 0xbfb8aa3b, v4, -v10
	s_delay_alu instid0(VALU_DEP_2) | instskip(NEXT) | instid1(VALU_DEP_2)
	v_sub_f32_e32 v10, v10, v13
	v_fmac_f32_e32 v14, 0xb2a5705f, v4
	v_cvt_i32_f32_e32 v13, v13
	s_delay_alu instid0(VALU_DEP_2) | instskip(SKIP_2) | instid1(VALU_DEP_3)
	v_add_f32_e32 v6, v10, v14
	v_mul_f32_e32 v14, 0xbfb8aa3b, v5
	v_mul_f32_e32 v10, 0xbfb8aa3b, v15
	v_exp_f32_e32 v6, v6
	s_delay_alu instid0(VALU_DEP_1) | instskip(SKIP_1) | instid1(VALU_DEP_2)
	v_fma_f32 v94, 0xbfb8aa3b, v15, -v10
	v_rndne_f32_e32 v95, v10
	v_fmac_f32_e32 v94, 0xb2a5705f, v15
	s_waitcnt_depctr 0xfff
	v_ldexp_f32 v6, v6, v13
	v_mul_f32_e32 v13, 0xbfb8aa3b, v11
	v_rndne_f32_e32 v96, v14
	v_fma_f32 v97, 0xbfb8aa3b, v5, -v14
	v_sub_f32_e32 v10, v10, v95
	v_cndmask_b32_e32 v6, 0, v6, vcc_lo
	v_cmp_ngt_f32_e32 vcc_lo, 0xc2b17218, v8
	s_delay_alu instid0(VALU_DEP_4) | instskip(SKIP_4) | instid1(VALU_DEP_2)
	v_dual_sub_f32 v12, v14, v96 :: v_dual_fmac_f32 v97, 0xb2a5705f, v5
	v_cvt_i32_f32_e32 v95, v95
	v_cvt_i32_f32_e32 v96, v96
	v_cndmask_b32_e32 v9, 0x7f800000, v9, vcc_lo
	v_cmp_ngt_f32_e32 vcc_lo, 0xc2b17218, v4
	v_dual_add_f32 v9, 1.0, v9 :: v_dual_cndmask_b32 v6, 0x7f800000, v6
	v_cmp_nlt_f32_e32 vcc_lo, 0x42ce8ed0, v15
	s_delay_alu instid0(VALU_DEP_2) | instskip(NEXT) | instid1(VALU_DEP_3)
	v_div_scale_f32 v14, null, v9, v9, v8
	v_add_f32_e32 v6, 1.0, v6
	s_delay_alu instid0(VALU_DEP_2) | instskip(NEXT) | instid1(VALU_DEP_1)
	v_rcp_f32_e32 v98, v14
	v_div_scale_f32 v113, s28, v4, v6, v4
	v_add_f32_e32 v12, v12, v97
	v_fma_f32 v97, 0xbfb8aa3b, v16, -v17
	v_dual_add_f32 v10, v10, v94 :: v_dual_sub_f32 v17, v17, v100
	v_div_scale_f32 v94, null, v6, v6, v4
	s_delay_alu instid0(VALU_DEP_3) | instskip(NEXT) | instid1(VALU_DEP_3)
	v_fmac_f32_e32 v97, 0xb2a5705f, v16
	v_exp_f32_e32 v10, v10
	v_cvt_i32_f32_e32 v100, v100
	s_delay_alu instid0(VALU_DEP_3) | instskip(NEXT) | instid1(VALU_DEP_2)
	v_rcp_f32_e32 v99, v94
	v_add_f32_e32 v17, v17, v97
	s_waitcnt_depctr 0xfff
	v_ldexp_f32 v10, v10, v95
	v_rndne_f32_e32 v95, v13
	v_fma_f32 v105, -v94, v99, 1.0
	s_delay_alu instid0(VALU_DEP_1) | instskip(NEXT) | instid1(VALU_DEP_1)
	v_fmac_f32_e32 v99, v105, v99
	v_mul_f32_e32 v105, v113, v99
	v_exp_f32_e32 v12, v12
	s_delay_alu instid0(VALU_DEP_1) | instskip(SKIP_2) | instid1(VALU_DEP_3)
	v_fma_f32 v121, -v94, v105, v113
	v_cndmask_b32_e32 v10, 0, v10, vcc_lo
	v_div_scale_f32 v108, vcc_lo, v8, v9, v8
	v_fmac_f32_e32 v105, v121, v99
	s_waitcnt_depctr 0xfff
	v_ldexp_f32 v12, v12, v96
	v_fma_f32 v96, -v14, v98, 1.0
	v_fma_f32 v94, -v94, v105, v113
	s_delay_alu instid0(VALU_DEP_3) | instskip(SKIP_1) | instid1(VALU_DEP_4)
	v_cndmask_b32_e64 v12, 0, v12, s29
	v_cmp_ngt_f32_e64 s29, 0xc2b17218, v15
	v_fmac_f32_e32 v98, v96, v98
	s_delay_alu instid0(VALU_DEP_2) | instskip(SKIP_1) | instid1(VALU_DEP_2)
	v_cndmask_b32_e64 v10, 0x7f800000, v10, s29
	v_cmp_ngt_f32_e64 s29, 0xc2b17218, v5
	v_add_f32_e32 v10, 1.0, v10
	s_delay_alu instid0(VALU_DEP_2) | instskip(SKIP_1) | instid1(VALU_DEP_3)
	v_cndmask_b32_e64 v12, 0x7f800000, v12, s29
	v_cmp_nlt_f32_e64 s29, 0x42ce8ed0, v16
	v_div_scale_f32 v122, null, v10, v10, v15
	s_delay_alu instid0(VALU_DEP_1) | instskip(SKIP_1) | instid1(VALU_DEP_1)
	v_rcp_f32_e32 v121, v122
	v_mul_f32_e32 v96, v108, v98
	v_fma_f32 v116, -v14, v96, v108
	s_delay_alu instid0(VALU_DEP_1) | instskip(NEXT) | instid1(VALU_DEP_1)
	v_fmac_f32_e32 v96, v116, v98
	v_fma_f32 v14, -v14, v96, v108
	v_sub_f32_e32 v108, v13, v95
	v_fma_f32 v13, 0xbfb8aa3b, v11, -v13
	v_add_f32_e32 v12, 1.0, v12
	v_cvt_i32_f32_e32 v95, v95
	v_div_fmas_f32 v14, v14, v98, v96
	s_mov_b32 vcc_lo, s28
	v_fmac_f32_e32 v13, 0xb2a5705f, v11
	v_div_scale_f32 v116, null, v12, v12, v5
	v_div_fmas_f32 v94, v94, v99, v105
	v_div_fixup_f32 v8, v14, v9, v8
	v_fma_f32 v9, -v122, v121, 1.0
	s_delay_alu instid0(VALU_DEP_4) | instskip(SKIP_2) | instid1(VALU_DEP_3)
	v_rcp_f32_e32 v96, v116
	v_div_scale_f32 v98, s28, v5, v12, v5
	v_div_fixup_f32 v4, v94, v6, v4
	v_fmac_f32_e32 v121, v9, v121
	s_delay_alu instid0(VALU_DEP_2)
	v_mul_f32_e32 v9, v119, v4
	v_div_scale_f32 v6, vcc_lo, v15, v10, v15
	s_waitcnt_depctr 0xfff
	v_fma_f32 v14, -v116, v96, 1.0
	v_exp_f32_e32 v4, v17
	v_bfe_u32 v97, v9, 16, 1
	s_delay_alu instid0(VALU_DEP_2) | instskip(NEXT) | instid1(VALU_DEP_2)
	v_fmac_f32_e32 v96, v14, v96
	v_add3_u32 v14, v9, v97, 0x7fff
	s_delay_alu instid0(VALU_DEP_2) | instskip(SKIP_2) | instid1(VALU_DEP_4)
	v_mul_f32_e32 v97, v98, v96
	v_add_f32_e32 v13, v108, v13
	v_mul_f32_e32 v94, v6, v121
	v_lshrrev_b32_e32 v14, 16, v14
	s_delay_alu instid0(TRANS32_DEP_1) | instskip(NEXT) | instid1(VALU_DEP_4)
	v_ldexp_f32 v4, v4, v100
	v_exp_f32_e32 v13, v13
	s_delay_alu instid0(VALU_DEP_3) | instskip(NEXT) | instid1(VALU_DEP_2)
	v_fma_f32 v99, -v122, v94, v6
	v_cndmask_b32_e64 v4, 0, v4, s29
	s_delay_alu instid0(VALU_DEP_2) | instskip(SKIP_1) | instid1(VALU_DEP_2)
	v_fmac_f32_e32 v94, v99, v121
	v_fma_f32 v99, -v116, v97, v98
	v_fma_f32 v6, -v122, v94, v6
	s_delay_alu instid0(VALU_DEP_2) | instskip(SKIP_1) | instid1(VALU_DEP_3)
	v_fmac_f32_e32 v97, v99, v96
	v_lshlrev_b32_e32 v99, 16, v7
	v_div_fmas_f32 v6, v6, v121, v94
	v_cmp_ngt_f32_e32 vcc_lo, 0xc2b17218, v16
	s_delay_alu instid0(VALU_DEP_3) | instskip(NEXT) | instid1(VALU_DEP_3)
	v_mul_f32_e32 v100, 0xbfb8aa3b, v99
	v_div_fixup_f32 v6, v6, v10, v15
	v_cndmask_b32_e32 v94, 0x7f800000, v4, vcc_lo
	v_mul_f32_e32 v8, v120, v8
	v_ldexp_f32 v10, v13, v95
	v_fma_f32 v113, 0xbfb8aa3b, v99, -v100
	s_delay_alu instid0(VALU_DEP_4) | instskip(NEXT) | instid1(VALU_DEP_4)
	v_add_f32_e32 v13, 1.0, v94
	v_bfe_u32 v17, v8, 16, 1
	v_cmp_o_f32_e32 vcc_lo, v8, v8
	s_delay_alu instid0(VALU_DEP_4) | instskip(NEXT) | instid1(VALU_DEP_4)
	v_fmac_f32_e32 v113, 0xb2a5705f, v99
	v_div_scale_f32 v15, null, v13, v13, v16
	s_delay_alu instid0(VALU_DEP_4) | instskip(SKIP_1) | instid1(VALU_DEP_2)
	v_add3_u32 v17, v8, v17, 0x7fff
	v_fma_f32 v8, -v116, v97, v98
	v_lshrrev_b32_e32 v17, 16, v17
	s_delay_alu instid0(VALU_DEP_1) | instskip(SKIP_1) | instid1(VALU_DEP_3)
	v_cndmask_b32_e32 v4, 0x7fc0, v17, vcc_lo
	s_mov_b32 vcc_lo, s28
	v_div_fmas_f32 v8, v8, v96, v97
	v_cmp_nlt_f32_e32 vcc_lo, 0x42ce8ed0, v11
	s_delay_alu instid0(VALU_DEP_2) | instskip(SKIP_3) | instid1(VALU_DEP_3)
	v_div_fixup_f32 v5, v8, v12, v5
	v_cndmask_b32_e32 v10, 0, v10, vcc_lo
	v_cmp_ngt_f32_e32 vcc_lo, 0xc2b17218, v11
	v_rcp_f32_e32 v8, v15
	v_mul_f32_e32 v12, v117, v5
	s_delay_alu instid0(VALU_DEP_3)
	v_cndmask_b32_e32 v10, 0x7f800000, v10, vcc_lo
	v_cmp_o_f32_e32 vcc_lo, v9, v9
	v_cndmask_b32_e32 v5, 0x7fc0, v14, vcc_lo
	v_and_b32_e32 v14, 0xffff0000, v7
	s_waitcnt_depctr 0xfff
	v_fma_f32 v94, -v15, v8, 1.0
	v_div_scale_f32 v7, vcc_lo, v16, v13, v16
	v_mul_f32_e32 v96, 0xbfb8aa3b, v14
	s_delay_alu instid0(VALU_DEP_3) | instskip(NEXT) | instid1(VALU_DEP_2)
	v_fmac_f32_e32 v8, v94, v8
	v_fma_f32 v97, 0xbfb8aa3b, v14, -v96
	v_rndne_f32_e32 v98, v96
	s_delay_alu instid0(VALU_DEP_3) | instskip(NEXT) | instid1(VALU_DEP_3)
	v_mul_f32_e32 v105, v7, v8
	v_fmac_f32_e32 v97, 0xb2a5705f, v14
	v_bfe_u32 v17, v12, 16, 1
	s_delay_alu instid0(VALU_DEP_3) | instskip(SKIP_1) | instid1(VALU_DEP_3)
	v_fma_f32 v116, -v15, v105, v7
	v_mul_f32_e32 v6, v118, v6
	v_add3_u32 v17, v12, v17, 0x7fff
	s_delay_alu instid0(VALU_DEP_3) | instskip(NEXT) | instid1(VALU_DEP_3)
	v_fmac_f32_e32 v105, v116, v8
	v_bfe_u32 v9, v6, 16, 1
	v_cmp_o_f32_e64 s29, v6, v6
	s_delay_alu instid0(VALU_DEP_4) | instskip(SKIP_1) | instid1(VALU_DEP_4)
	v_lshrrev_b32_e32 v17, 16, v17
	v_sub_f32_e32 v96, v96, v98
	v_add3_u32 v9, v6, v9, 0x7fff
	v_cvt_i32_f32_e32 v98, v98
	v_fma_f32 v7, -v15, v105, v7
	s_delay_alu instid0(VALU_DEP_4) | instskip(NEXT) | instid1(VALU_DEP_4)
	v_add_f32_e32 v96, v96, v97
	v_lshrrev_b32_e32 v9, 16, v9
	v_rndne_f32_e32 v97, v100
	s_delay_alu instid0(VALU_DEP_4)
	v_div_fmas_f32 v7, v7, v8, v105
	v_cmp_ngt_f32_e32 vcc_lo, 0xc2b17218, v14
	v_exp_f32_e32 v96, v96
	v_cndmask_b32_e64 v6, 0x7fc0, v9, s29
	v_cmp_nlt_f32_e64 s29, 0x42ce8ed0, v14
	v_sub_f32_e32 v100, v100, v97
	v_cvt_i32_f32_e32 v97, v97
	v_div_fixup_f32 v13, v7, v13, v16
	s_delay_alu instid0(VALU_DEP_3) | instskip(NEXT) | instid1(TRANS32_DEP_1)
	v_add_f32_e32 v100, v100, v113
	v_ldexp_f32 v9, v96, v98
	s_delay_alu instid0(VALU_DEP_2) | instskip(NEXT) | instid1(VALU_DEP_1)
	v_exp_f32_e32 v96, v100
	v_cndmask_b32_e64 v9, 0, v9, s29
	s_delay_alu instid0(VALU_DEP_1) | instskip(NEXT) | instid1(VALU_DEP_1)
	v_dual_add_f32 v10, 1.0, v10 :: v_dual_cndmask_b32 v9, 0x7f800000, v9
	v_div_scale_f32 v95, null, v10, v10, v11
	s_waitcnt_depctr 0xfff
	v_ldexp_f32 v8, v96, v97
	v_cmp_nlt_f32_e32 vcc_lo, 0x42ce8ed0, v99
	v_add_f32_e32 v9, 1.0, v9
	v_rcp_f32_e32 v94, v95
	s_delay_alu instid0(VALU_DEP_3) | instskip(SKIP_2) | instid1(VALU_DEP_1)
	v_cndmask_b32_e32 v8, 0, v8, vcc_lo
	s_waitcnt_depctr 0xfff
	v_fma_f32 v108, -v95, v94, 1.0
	v_fmac_f32_e32 v94, v108, v94
	v_div_scale_f32 v108, s28, v11, v10, v11
	s_delay_alu instid0(VALU_DEP_1) | instskip(NEXT) | instid1(VALU_DEP_1)
	s_mov_b32 vcc_lo, s28
	v_mul_f32_e32 v113, v108, v94
	v_div_scale_f32 v16, null, v9, v9, v14
	s_delay_alu instid0(VALU_DEP_2) | instskip(NEXT) | instid1(VALU_DEP_1)
	v_fma_f32 v15, -v95, v113, v108
	v_fmac_f32_e32 v113, v15, v94
	s_delay_alu instid0(VALU_DEP_1) | instskip(NEXT) | instid1(VALU_DEP_1)
	v_fma_f32 v7, -v95, v113, v108
	v_div_fmas_f32 v15, v7, v94, v113
	v_cmp_ngt_f32_e32 vcc_lo, 0xc2b17218, v99
	s_delay_alu instid0(VALU_DEP_2)
	v_div_fixup_f32 v10, v15, v10, v11
	v_cndmask_b32_e32 v8, 0x7f800000, v8, vcc_lo
	v_cmp_o_f32_e32 vcc_lo, v12, v12
	v_mul_f32_e32 v11, v115, v13
	v_rcp_f32_e32 v12, v16
	v_and_b32_e32 v13, 0xffff0000, v0
	v_dual_cndmask_b32 v7, 0x7fc0, v17 :: v_dual_lshlrev_b32 v0, 16, v0
	v_div_scale_f32 v105, vcc_lo, v14, v9, v14
	s_delay_alu instid0(VALU_DEP_3) | instskip(SKIP_3) | instid1(TRANS32_DEP_1)
	v_mul_f32_e32 v94, 0xbfb8aa3b, v13
	v_mul_f32_e32 v10, v114, v10
	v_cmp_nlt_f32_e64 s29, 0x42ce8ed0, v13
	v_bfe_u32 v15, v11, 16, 1
	v_fma_f32 v96, -v16, v12, 1.0
	v_fma_f32 v98, 0xbfb8aa3b, v13, -v94
	v_rndne_f32_e32 v100, v94
	s_delay_alu instid0(VALU_DEP_4) | instskip(NEXT) | instid1(VALU_DEP_4)
	v_add3_u32 v15, v11, v15, 0x7fff
	v_fmac_f32_e32 v12, v96, v12
	s_delay_alu instid0(VALU_DEP_4) | instskip(NEXT) | instid1(VALU_DEP_4)
	v_fmac_f32_e32 v98, 0xb2a5705f, v13
	v_sub_f32_e32 v94, v94, v100
	v_mul_f32_e32 v96, 0xbfb8aa3b, v0
	v_cvt_i32_f32_e32 v100, v100
	v_lshrrev_b32_e32 v15, 16, v15
	s_delay_alu instid0(VALU_DEP_4) | instskip(NEXT) | instid1(VALU_DEP_4)
	v_add_f32_e32 v94, v94, v98
	v_rndne_f32_e32 v98, v96
	v_fma_f32 v113, 0xbfb8aa3b, v0, -v96
	s_delay_alu instid0(VALU_DEP_1) | instskip(SKIP_1) | instid1(VALU_DEP_2)
	v_dual_sub_f32 v96, v96, v98 :: v_dual_fmac_f32 v113, 0xb2a5705f, v0
	v_cvt_i32_f32_e32 v98, v98
	v_add_f32_e32 v96, v96, v113
	s_delay_alu instid0(VALU_DEP_1) | instskip(SKIP_4) | instid1(VALU_DEP_1)
	v_exp_f32_e32 v96, v96
	s_waitcnt_depctr 0xfff
	v_ldexp_f32 v96, v96, v98
	v_and_b32_e32 v98, 0xffff0000, v1
	v_dual_mul_f32 v114, v105, v12 :: v_dual_lshlrev_b32 v1, 16, v1
	v_fma_f32 v113, -v16, v114, v105
	s_delay_alu instid0(VALU_DEP_1) | instskip(NEXT) | instid1(VALU_DEP_1)
	v_fmac_f32_e32 v114, v113, v12
	v_fma_f32 v16, -v16, v114, v105
	s_delay_alu instid0(VALU_DEP_1) | instskip(SKIP_1) | instid1(VALU_DEP_2)
	v_div_fmas_f32 v12, v16, v12, v114
	v_cmp_nlt_f32_e32 vcc_lo, 0x42ce8ed0, v0
	v_div_fixup_f32 v9, v12, v9, v14
	s_delay_alu instid0(VALU_DEP_1) | instskip(NEXT) | instid1(VALU_DEP_1)
	v_dual_add_f32 v8, 1.0, v8 :: v_dual_mul_f32 v9, v112, v9
	v_div_scale_f32 v17, null, v8, v8, v99
	v_mul_f32_e32 v112, 0xbfb8aa3b, v1
	s_delay_alu instid0(VALU_DEP_2) | instskip(NEXT) | instid1(VALU_DEP_1)
	v_rcp_f32_e32 v97, v17
	v_fma_f32 v113, 0xbfb8aa3b, v1, -v112
	s_delay_alu instid0(VALU_DEP_1) | instskip(SKIP_3) | instid1(VALU_DEP_1)
	v_fmac_f32_e32 v113, 0xb2a5705f, v1
	v_exp_f32_e32 v94, v94
	s_waitcnt_depctr 0xfff
	v_fma_f32 v108, -v17, v97, 1.0
	v_fmac_f32_e32 v97, v108, v97
	v_div_scale_f32 v108, s28, v99, v8, v99
	v_ldexp_f32 v94, v94, v100
	s_delay_alu instid0(VALU_DEP_2) | instskip(NEXT) | instid1(VALU_DEP_2)
	v_mul_f32_e32 v115, v108, v97
	v_cndmask_b32_e64 v94, 0, v94, s29
	v_cmp_ngt_f32_e64 s29, 0xc2b17218, v13
	s_delay_alu instid0(VALU_DEP_3) | instskip(NEXT) | instid1(VALU_DEP_2)
	v_fma_f32 v100, -v17, v115, v108
	v_cndmask_b32_e64 v94, 0x7f800000, v94, s29
	v_cmp_nlt_f32_e64 s29, 0x42ce8ed0, v98
	s_delay_alu instid0(VALU_DEP_3) | instskip(NEXT) | instid1(VALU_DEP_3)
	v_dual_fmac_f32 v115, v100, v97 :: v_dual_mul_f32 v100, 0xbfb8aa3b, v98
	v_add_f32_e32 v16, 1.0, v94
	v_cndmask_b32_e32 v94, 0, v96, vcc_lo
	s_delay_alu instid0(VALU_DEP_3) | instskip(SKIP_3) | instid1(VALU_DEP_3)
	v_fma_f32 v17, -v17, v115, v108
	s_mov_b32 vcc_lo, s28
	v_fma_f32 v14, 0xbfb8aa3b, v98, -v100
	v_div_scale_f32 v96, null, v16, v16, v13
	v_div_fmas_f32 v17, v17, v97, v115
	v_cmp_ngt_f32_e32 vcc_lo, 0xc2b17218, v0
	s_delay_alu instid0(VALU_DEP_4) | instskip(NEXT) | instid1(VALU_DEP_4)
	v_fmac_f32_e32 v14, 0xb2a5705f, v98
	v_rcp_f32_e32 v97, v96
	s_delay_alu instid0(VALU_DEP_3) | instskip(SKIP_2) | instid1(VALU_DEP_3)
	v_div_fixup_f32 v8, v17, v8, v99
	v_cndmask_b32_e32 v94, 0x7f800000, v94, vcc_lo
	v_cmp_o_f32_e32 vcc_lo, v11, v11
	v_mul_f32_e32 v8, v111, v8
	s_delay_alu instid0(VALU_DEP_3) | instskip(SKIP_1) | instid1(TRANS32_DEP_1)
	v_dual_add_f32 v12, 1.0, v94 :: v_dual_cndmask_b32 v11, 0x7fc0, v15
	v_rndne_f32_e32 v15, v100
	v_fma_f32 v17, -v96, v97, 1.0
	s_delay_alu instid0(VALU_DEP_2) | instskip(NEXT) | instid1(VALU_DEP_2)
	v_sub_f32_e32 v99, v100, v15
	v_fmac_f32_e32 v97, v17, v97
	v_bfe_u32 v95, v10, 16, 1
	v_cmp_o_f32_e64 s28, v10, v10
	v_cvt_i32_f32_e32 v15, v15
	v_add_f32_e32 v14, v99, v14
	v_div_scale_f32 v99, vcc_lo, v13, v16, v13
	v_add3_u32 v95, v10, v95, 0x7fff
	v_bfe_u32 v100, v8, 16, 1
	s_delay_alu instid0(VALU_DEP_4) | instskip(NEXT) | instid1(VALU_DEP_3)
	v_exp_f32_e32 v14, v14
	v_mul_f32_e32 v105, v99, v97
	v_div_scale_f32 v94, null, v12, v12, v0
	v_lshrrev_b32_e32 v95, 16, v95
	v_add3_u32 v100, v8, v100, 0x7fff
	s_delay_alu instid0(VALU_DEP_4) | instskip(NEXT) | instid1(VALU_DEP_4)
	v_fma_f32 v111, -v96, v105, v99
	v_rcp_f32_e32 v17, v94
	s_delay_alu instid0(VALU_DEP_3) | instskip(NEXT) | instid1(TRANS32_DEP_2)
	v_cndmask_b32_e64 v10, 0x7fc0, v95, s28
	v_ldexp_f32 v14, v14, v15
	v_div_scale_f32 v15, s28, v0, v12, v0
	v_fmac_f32_e32 v105, v111, v97
	v_bfe_u32 v95, v9, 16, 1
	s_delay_alu instid0(VALU_DEP_4) | instskip(SKIP_1) | instid1(TRANS32_DEP_1)
	v_cndmask_b32_e64 v14, 0, v14, s29
	v_cmp_ngt_f32_e64 s29, 0xc2b17218, v98
	v_fma_f32 v108, -v94, v17, 1.0
	v_fma_f32 v96, -v96, v105, v99
	v_add3_u32 v95, v9, v95, 0x7fff
	s_delay_alu instid0(VALU_DEP_4) | instskip(NEXT) | instid1(VALU_DEP_4)
	v_cndmask_b32_e64 v14, 0x7f800000, v14, s29
	v_fmac_f32_e32 v17, v108, v17
	v_rndne_f32_e32 v108, v112
	v_div_fmas_f32 v96, v96, v97, v105
	s_mov_b32 vcc_lo, s28
	v_add_f32_e32 v14, 1.0, v14
	v_mul_f32_e32 v114, v15, v17
	v_sub_f32_e32 v112, v112, v108
	v_div_fixup_f32 v13, v96, v16, v13
	v_lshrrev_b32_e32 v16, 16, v95
	v_cmp_o_f32_e64 s28, v9, v9
	v_fma_f32 v111, -v94, v114, v15
	v_add_f32_e32 v112, v112, v113
	s_delay_alu instid0(VALU_DEP_3) | instskip(NEXT) | instid1(VALU_DEP_3)
	v_cndmask_b32_e64 v9, 0x7fc0, v16, s28
	v_fmac_f32_e32 v114, v111, v17
	s_delay_alu instid0(VALU_DEP_3) | instskip(SKIP_2) | instid1(VALU_DEP_3)
	v_exp_f32_e32 v99, v112
	v_div_scale_f32 v111, null, v14, v14, v98
	v_cmp_o_f32_e64 s28, v8, v8
	v_fma_f32 v15, -v94, v114, v15
	v_cvt_i32_f32_e32 v94, v108
	s_delay_alu instid0(VALU_DEP_4) | instskip(NEXT) | instid1(VALU_DEP_2)
	v_rcp_f32_e32 v97, v111
	v_div_fmas_f32 v15, v15, v17, v114
	s_delay_alu instid0(TRANS32_DEP_2) | instid1(VALU_DEP_2)
	v_ldexp_f32 v17, v99, v94
	v_cmp_nlt_f32_e32 vcc_lo, 0x42ce8ed0, v1
	v_lshrrev_b32_e32 v94, 16, v100
	v_and_b32_e32 v100, 0xffff0000, v2
	v_div_fixup_f32 v0, v15, v12, v0
	v_mul_f32_e32 v12, v110, v13
	v_cndmask_b32_e32 v13, 0, v17, vcc_lo
	v_cmp_ngt_f32_e32 vcc_lo, 0xc2b17218, v1
	v_fma_f32 v15, -v111, v97, 1.0
	v_mul_f32_e32 v0, v109, v0
	v_bfe_u32 v17, v12, 16, 1
	v_cndmask_b32_e64 v8, 0x7fc0, v94, s28
	v_cndmask_b32_e32 v13, 0x7f800000, v13, vcc_lo
	v_fmac_f32_e32 v97, v15, v97
	v_div_scale_f32 v15, vcc_lo, v98, v14, v98
	v_add3_u32 v17, v12, v17, 0x7fff
	s_delay_alu instid0(VALU_DEP_4) | instskip(SKIP_1) | instid1(VALU_DEP_4)
	v_add_f32_e32 v13, 1.0, v13
	v_bfe_u32 v16, v0, 16, 1
	v_mul_f32_e32 v95, v15, v97
	v_cmp_o_f32_e64 s28, v12, v12
	v_lshrrev_b32_e32 v17, 16, v17
	v_div_scale_f32 v96, null, v13, v13, v1
	s_delay_alu instid0(VALU_DEP_4) | instskip(SKIP_1) | instid1(VALU_DEP_4)
	v_fma_f32 v94, -v111, v95, v15
	v_add3_u32 v16, v0, v16, 0x7fff
	v_cndmask_b32_e64 v12, 0x7fc0, v17, s28
	s_delay_alu instid0(VALU_DEP_4) | instskip(SKIP_4) | instid1(VALU_DEP_3)
	v_rcp_f32_e32 v99, v96
	v_cmp_o_f32_e64 s28, v0, v0
	v_fmac_f32_e32 v95, v94, v97
	v_mul_f32_e32 v17, 0xbfb8aa3b, v100
	v_lshrrev_b32_e32 v16, 16, v16
	v_fma_f32 v0, -v111, v95, v15
	s_delay_alu instid0(VALU_DEP_3) | instskip(SKIP_1) | instid1(TRANS32_DEP_1)
	v_fma_f32 v94, 0xbfb8aa3b, v100, -v17
	v_rndne_f32_e32 v105, v17
	v_fma_f32 v15, -v96, v99, 1.0
	v_cndmask_b32_e64 v16, 0x7fc0, v16, s28
	v_div_fmas_f32 v0, v0, v97, v95
	v_div_scale_f32 v95, vcc_lo, v1, v13, v1
	s_delay_alu instid0(VALU_DEP_4) | instskip(SKIP_3) | instid1(VALU_DEP_4)
	v_dual_fmac_f32 v99, v15, v99 :: v_dual_fmac_f32 v94, 0xb2a5705f, v100
	v_sub_f32_e32 v17, v17, v105
	v_cvt_i32_f32_e32 v105, v105
	v_cmp_nlt_f32_e64 s28, 0x42ce8ed0, v100
	v_mul_f32_e32 v97, v95, v99
	v_div_fixup_f32 v0, v0, v14, v98
	v_dual_add_f32 v17, v17, v94 :: v_dual_and_b32 v98, 0xffff0000, v3
	v_lshlrev_b32_e32 v3, 16, v3
	s_delay_alu instid0(VALU_DEP_4) | instskip(NEXT) | instid1(VALU_DEP_4)
	v_fma_f32 v108, -v96, v97, v95
	v_mul_f32_e32 v0, v107, v0
	s_delay_alu instid0(VALU_DEP_4) | instskip(SKIP_1) | instid1(VALU_DEP_3)
	v_exp_f32_e32 v17, v17
	v_mul_f32_e32 v109, 0xbfb8aa3b, v98
	v_fmac_f32_e32 v97, v108, v99
	s_delay_alu instid0(VALU_DEP_2) | instskip(NEXT) | instid1(VALU_DEP_2)
	v_rndne_f32_e32 v108, v109
	v_fma_f32 v95, -v96, v97, v95
	s_waitcnt_depctr 0xfff
	v_ldexp_f32 v17, v17, v105
	v_mul_f32_e32 v105, 0xbfb8aa3b, v3
	v_div_fmas_f32 v95, v95, v99, v97
	s_delay_alu instid0(VALU_DEP_3) | instskip(SKIP_1) | instid1(VALU_DEP_4)
	v_cndmask_b32_e64 v17, 0, v17, s28
	v_cmp_ngt_f32_e64 s28, 0xc2b17218, v100
	v_rndne_f32_e32 v110, v105
	s_delay_alu instid0(VALU_DEP_4)
	v_div_fixup_f32 v1, v95, v13, v1
	v_lshlrev_b32_e32 v2, 16, v2
	v_fma_f32 v111, 0xbfb8aa3b, v3, -v105
	v_cndmask_b32_e64 v17, 0x7f800000, v17, s28
	v_sub_f32_e32 v105, v105, v110
	v_mul_f32_e32 v1, v106, v1
	v_mul_f32_e32 v15, 0xbfb8aa3b, v2
	v_fmac_f32_e32 v111, 0xb2a5705f, v3
	v_add_f32_e32 v17, 1.0, v17
	v_cmp_nlt_f32_e64 s28, 0x42ce8ed0, v2
	v_bfe_u32 v116, v1, 16, 1
	v_rndne_f32_e32 v14, v15
	v_fma_f32 v94, 0xbfb8aa3b, v2, -v15
	v_div_scale_f32 v99, vcc_lo, v100, v17, v100
	s_delay_alu instid0(VALU_DEP_3) | instskip(NEXT) | instid1(VALU_DEP_3)
	v_sub_f32_e32 v15, v15, v14
	v_fmac_f32_e32 v94, 0xb2a5705f, v2
	v_cvt_i32_f32_e32 v14, v14
	s_delay_alu instid0(VALU_DEP_2) | instskip(SKIP_2) | instid1(VALU_DEP_3)
	v_add_f32_e32 v15, v15, v94
	v_fma_f32 v94, 0xbfb8aa3b, v98, -v109
	v_sub_f32_e32 v109, v109, v108
	v_exp_f32_e32 v15, v15
	s_delay_alu instid0(VALU_DEP_2)
	v_fmac_f32_e32 v94, 0xb2a5705f, v98
	s_waitcnt_depctr 0xfff
	v_ldexp_f32 v14, v15, v14
	v_add_f32_e32 v15, v109, v94
	v_add_f32_e32 v94, v105, v111
	v_cvt_i32_f32_e32 v105, v108
	v_div_scale_f32 v108, null, v17, v17, v100
	v_cvt_i32_f32_e32 v109, v110
	s_delay_alu instid0(VALU_DEP_4) | instskip(SKIP_1) | instid1(VALU_DEP_2)
	v_exp_f32_e32 v94, v94
	v_exp_f32_e32 v15, v15
	v_rcp_f32_e32 v96, v108
	v_cndmask_b32_e64 v14, 0, v14, s28
	v_cmp_ngt_f32_e64 s28, 0xc2b17218, v2
	s_delay_alu instid0(VALU_DEP_1) | instskip(NEXT) | instid1(TRANS32_DEP_3)
	v_cndmask_b32_e64 v14, 0x7f800000, v14, s28
	v_ldexp_f32 v94, v94, v109
	s_waitcnt_depctr 0xfff
	v_ldexp_f32 v15, v15, v105
	v_fma_f32 v109, -v108, v96, 1.0
	s_delay_alu instid0(VALU_DEP_1) | instskip(NEXT) | instid1(VALU_DEP_1)
	v_fmac_f32_e32 v96, v109, v96
	v_mul_f32_e32 v13, v99, v96
	s_delay_alu instid0(VALU_DEP_1) | instskip(NEXT) | instid1(VALU_DEP_1)
	v_fma_f32 v113, -v108, v13, v99
	v_fmac_f32_e32 v13, v113, v96
	v_cmp_nlt_f32_e64 s28, 0x42ce8ed0, v98
	s_delay_alu instid0(VALU_DEP_2) | instskip(NEXT) | instid1(VALU_DEP_2)
	v_fma_f32 v99, -v108, v13, v99
	v_cndmask_b32_e64 v15, 0, v15, s28
	v_cmp_nlt_f32_e64 s28, 0x42ce8ed0, v3
	s_delay_alu instid0(VALU_DEP_1) | instskip(SKIP_1) | instid1(VALU_DEP_1)
	v_cndmask_b32_e64 v94, 0, v94, s28
	v_cmp_ngt_f32_e64 s28, 0xc2b17218, v98
	v_cndmask_b32_e64 v15, 0x7f800000, v15, s28
	v_cmp_ngt_f32_e64 s28, 0xc2b17218, v3
	s_delay_alu instid0(VALU_DEP_2) | instskip(NEXT) | instid1(VALU_DEP_2)
	v_add_f32_e32 v15, 1.0, v15
	v_cndmask_b32_e64 v94, 0x7f800000, v94, s28
	s_delay_alu instid0(VALU_DEP_2) | instskip(NEXT) | instid1(VALU_DEP_2)
	v_div_scale_f32 v97, null, v15, v15, v98
	v_add_f32_e32 v94, 1.0, v94
	s_delay_alu instid0(VALU_DEP_2) | instskip(NEXT) | instid1(VALU_DEP_1)
	v_rcp_f32_e32 v111, v97
	v_div_scale_f32 v112, null, v94, v94, v3
	s_delay_alu instid0(VALU_DEP_1) | instskip(SKIP_2) | instid1(VALU_DEP_1)
	v_rcp_f32_e32 v95, v112
	s_waitcnt_depctr 0xfff
	v_fma_f32 v115, -v112, v95, 1.0
	v_fmac_f32_e32 v95, v115, v95
	v_div_scale_f32 v115, s30, v3, v94, v3
	v_add_f32_e32 v14, 1.0, v14
	s_delay_alu instid0(VALU_DEP_1) | instskip(SKIP_1) | instid1(VALU_DEP_2)
	v_div_scale_f32 v105, null, v14, v14, v2
	v_div_scale_f32 v107, s28, v2, v14, v2
	v_rcp_f32_e32 v110, v105
	s_waitcnt_depctr 0xfff
	v_fma_f32 v109, -v105, v110, 1.0
	s_delay_alu instid0(VALU_DEP_1) | instskip(SKIP_1) | instid1(VALU_DEP_1)
	v_fmac_f32_e32 v110, v109, v110
	v_fma_f32 v109, -v97, v111, 1.0
	v_dual_mul_f32 v114, v107, v110 :: v_dual_fmac_f32 v111, v109, v111
	v_div_scale_f32 v109, s29, v98, v15, v98
	s_delay_alu instid0(VALU_DEP_2) | instskip(NEXT) | instid1(VALU_DEP_2)
	v_fma_f32 v113, -v105, v114, v107
	v_mul_f32_e32 v117, v109, v111
	s_delay_alu instid0(VALU_DEP_2) | instskip(NEXT) | instid1(VALU_DEP_2)
	v_dual_fmac_f32 v114, v113, v110 :: v_dual_mul_f32 v113, v115, v95
	v_fma_f32 v108, -v97, v117, v109
	s_delay_alu instid0(VALU_DEP_1) | instskip(SKIP_1) | instid1(VALU_DEP_4)
	v_fmac_f32_e32 v117, v108, v111
	v_div_fmas_f32 v13, v99, v96, v13
	v_fma_f32 v96, -v105, v114, v107
	s_mov_b32 vcc_lo, s28
	v_fma_f32 v99, -v112, v113, v115
	s_delay_alu instid0(VALU_DEP_3)
	v_div_fixup_f32 v13, v13, v17, v100
	v_fma_f32 v17, -v97, v117, v109
	v_div_fmas_f32 v96, v96, v110, v114
	s_mov_b32 vcc_lo, s29
	v_fmac_f32_e32 v113, v99, v95
	v_mul_f32_e32 v13, v103, v13
	v_div_fmas_f32 v17, v17, v111, v117
	v_div_fixup_f32 v2, v96, v14, v2
	s_mov_b32 vcc_lo, s30
	v_fma_f32 v14, -v112, v113, v115
	v_add3_u32 v99, v1, v116, 0x7fff
	v_div_fixup_f32 v15, v17, v15, v98
	v_mul_f32_e32 v2, v102, v2
	v_bfe_u32 v17, v13, 16, 1
	v_div_fmas_f32 v14, v14, v95, v113
	s_delay_alu instid0(VALU_DEP_4) | instskip(SKIP_2) | instid1(VALU_DEP_4)
	v_mul_f32_e32 v15, v104, v15
	v_bfe_u32 v106, v0, 16, 1
	v_cmp_o_f32_e32 vcc_lo, v0, v0
	v_div_fixup_f32 v3, v14, v94, v3
	v_lshrrev_b32_e32 v14, 16, v99
	v_bfe_u32 v94, v2, 16, 1
	v_add3_u32 v106, v0, v106, 0x7fff
	v_add3_u32 v0, v13, v17, 0x7fff
	v_mul_f32_e32 v3, v101, v3
	s_delay_alu instid0(VALU_DEP_4) | instskip(NEXT) | instid1(VALU_DEP_4)
	v_add3_u32 v17, v2, v94, 0x7fff
	v_lshrrev_b32_e32 v95, 16, v106
	v_bfe_u32 v94, v15, 16, 1
	v_lshrrev_b32_e32 v0, 16, v0
	v_bfe_u32 v96, v3, 16, 1
	v_lshrrev_b32_e32 v17, 16, v17
	v_cndmask_b32_e32 v95, 0x7fc0, v95, vcc_lo
	v_cmp_o_f32_e32 vcc_lo, v1, v1
	v_add3_u32 v1, v15, v94, 0x7fff
	v_add3_u32 v94, v3, v96, 0x7fff
	v_cndmask_b32_e32 v14, 0x7fc0, v14, vcc_lo
	v_cmp_o_f32_e32 vcc_lo, v13, v13
	v_cndmask_b32_e32 v13, 0x7fc0, v0, vcc_lo
	v_cmp_o_f32_e32 vcc_lo, v2, v2
	v_lshrrev_b32_e32 v0, 16, v1
	v_lshrrev_b32_e32 v1, 16, v94
	v_perm_b32 v2, v11, v10, 0x5040100
	v_cndmask_b32_e32 v17, 0x7fc0, v17, vcc_lo
	v_cmp_o_f32_e32 vcc_lo, v15, v15
	v_cndmask_b32_e32 v15, 0x7fc0, v0, vcc_lo
	v_cmp_o_f32_e32 vcc_lo, v3, v3
	v_perm_b32 v3, v9, v8, 0x5040100
	v_perm_b32 v0, v4, v5, 0x5040100
	v_perm_b32 v5, v95, v14, 0x5040100
	v_perm_b32 v4, v12, v16, 0x5040100
	v_cndmask_b32_e32 v94, 0x7fc0, v1, vcc_lo
	v_perm_b32 v1, v6, v7, 0x5040100
	v_perm_b32 v6, v13, v17, 0x5040100
	s_delay_alu instid0(VALU_DEP_3)
	v_perm_b32 v7, v15, v94, 0x5040100
	ds_store_b128 v52, v[0:3]
	ds_store_b128 v52, v[4:7] offset:16
	; wave barrier
	ds_load_u16 v16, v37 offset:64
	ds_load_u16 v15, v38 offset:128
	;; [unrolled: 1-line block ×15, first 2 shown]
	v_add_co_u32 v0, vcc_lo, v76, s34
	v_add_co_ci_u32_e32 v1, vcc_lo, s35, v77, vcc_lo
	s_and_saveexec_b32 s28, s12
	s_cbranch_execnz .LBB21_284
; %bb.252:                              ;   in Loop: Header=BB21_12 Depth=1
	s_or_b32 exec_lo, exec_lo, s28
	s_and_saveexec_b32 s12, s13
	s_cbranch_execnz .LBB21_285
.LBB21_253:                             ;   in Loop: Header=BB21_12 Depth=1
	s_or_b32 exec_lo, exec_lo, s12
	s_and_saveexec_b32 s12, s14
	s_cbranch_execnz .LBB21_286
.LBB21_254:                             ;   in Loop: Header=BB21_12 Depth=1
	s_or_b32 exec_lo, exec_lo, s12
	s_and_saveexec_b32 s12, s15
	s_cbranch_execnz .LBB21_287
.LBB21_255:                             ;   in Loop: Header=BB21_12 Depth=1
	s_or_b32 exec_lo, exec_lo, s12
	s_and_saveexec_b32 s12, s16
	s_cbranch_execnz .LBB21_288
.LBB21_256:                             ;   in Loop: Header=BB21_12 Depth=1
	s_or_b32 exec_lo, exec_lo, s12
	s_and_saveexec_b32 s12, s17
	s_cbranch_execnz .LBB21_289
.LBB21_257:                             ;   in Loop: Header=BB21_12 Depth=1
	s_or_b32 exec_lo, exec_lo, s12
	s_and_saveexec_b32 s12, s18
	s_cbranch_execnz .LBB21_290
.LBB21_258:                             ;   in Loop: Header=BB21_12 Depth=1
	s_or_b32 exec_lo, exec_lo, s12
	s_and_saveexec_b32 s12, s19
	s_cbranch_execnz .LBB21_291
.LBB21_259:                             ;   in Loop: Header=BB21_12 Depth=1
	s_or_b32 exec_lo, exec_lo, s12
	s_and_saveexec_b32 s12, s20
	s_cbranch_execnz .LBB21_292
.LBB21_260:                             ;   in Loop: Header=BB21_12 Depth=1
	s_or_b32 exec_lo, exec_lo, s12
	s_and_saveexec_b32 s12, s21
	s_cbranch_execnz .LBB21_293
.LBB21_261:                             ;   in Loop: Header=BB21_12 Depth=1
	s_or_b32 exec_lo, exec_lo, s12
	s_and_saveexec_b32 s12, s22
	s_cbranch_execnz .LBB21_294
.LBB21_262:                             ;   in Loop: Header=BB21_12 Depth=1
	s_or_b32 exec_lo, exec_lo, s12
	s_and_saveexec_b32 s12, s23
	s_cbranch_execnz .LBB21_295
.LBB21_263:                             ;   in Loop: Header=BB21_12 Depth=1
	s_or_b32 exec_lo, exec_lo, s12
	s_and_saveexec_b32 s12, s24
	s_cbranch_execnz .LBB21_296
.LBB21_264:                             ;   in Loop: Header=BB21_12 Depth=1
	s_or_b32 exec_lo, exec_lo, s12
	s_and_saveexec_b32 s12, s25
	s_cbranch_execnz .LBB21_297
.LBB21_265:                             ;   in Loop: Header=BB21_12 Depth=1
	s_or_b32 exec_lo, exec_lo, s12
	s_and_saveexec_b32 s12, s26
	s_cbranch_execnz .LBB21_298
.LBB21_266:                             ;   in Loop: Header=BB21_12 Depth=1
	s_or_b32 exec_lo, exec_lo, s12
	s_and_saveexec_b32 s12, s27
	s_cbranch_execz .LBB21_11
	s_branch .LBB21_299
.LBB21_267:                             ;   in Loop: Header=BB21_12 Depth=1
	global_load_u16 v101, v[8:9], off offset:832
	s_or_b32 exec_lo, exec_lo, s28
	s_and_saveexec_b32 s28, s26
	s_cbranch_execz .LBB21_72
.LBB21_268:                             ;   in Loop: Header=BB21_12 Depth=1
	global_load_u16 v100, v[8:9], off offset:896
	s_or_b32 exec_lo, exec_lo, s28
	v_mov_b32_e32 v102, 0
	s_and_saveexec_b32 s28, s27
	s_cbranch_execnz .LBB21_73
	s_branch .LBB21_74
.LBB21_269:                             ;   in Loop: Header=BB21_12 Depth=1
	ds_load_u16 v17, v37
	s_waitcnt lgkmcnt(0)
	global_store_b16 v[0:1], v17, off
	s_or_b32 exec_lo, exec_lo, s28
	s_and_saveexec_b32 s28, s13
	s_cbranch_execz .LBB21_204
.LBB21_270:                             ;   in Loop: Header=BB21_12 Depth=1
	s_waitcnt lgkmcnt(14)
	global_store_b16 v[0:1], v16, off offset:64
	s_or_b32 exec_lo, exec_lo, s28
	s_and_saveexec_b32 s28, s14
	s_cbranch_execz .LBB21_205
.LBB21_271:                             ;   in Loop: Header=BB21_12 Depth=1
	s_waitcnt lgkmcnt(13)
	global_store_b16 v[0:1], v15, off offset:128
	s_or_b32 exec_lo, exec_lo, s28
	s_and_saveexec_b32 s28, s15
	s_cbranch_execz .LBB21_206
.LBB21_272:                             ;   in Loop: Header=BB21_12 Depth=1
	s_waitcnt lgkmcnt(12)
	global_store_b16 v[0:1], v14, off offset:192
	s_or_b32 exec_lo, exec_lo, s28
	s_and_saveexec_b32 s28, s16
	s_cbranch_execz .LBB21_207
.LBB21_273:                             ;   in Loop: Header=BB21_12 Depth=1
	s_waitcnt lgkmcnt(11)
	global_store_b16 v[0:1], v13, off offset:256
	s_or_b32 exec_lo, exec_lo, s28
	s_and_saveexec_b32 s28, s17
	s_cbranch_execz .LBB21_208
.LBB21_274:                             ;   in Loop: Header=BB21_12 Depth=1
	s_waitcnt lgkmcnt(10)
	global_store_b16 v[0:1], v12, off offset:320
	s_or_b32 exec_lo, exec_lo, s28
	s_and_saveexec_b32 s28, s18
	s_cbranch_execz .LBB21_209
.LBB21_275:                             ;   in Loop: Header=BB21_12 Depth=1
	s_waitcnt lgkmcnt(9)
	global_store_b16 v[0:1], v11, off offset:384
	s_or_b32 exec_lo, exec_lo, s28
	s_and_saveexec_b32 s28, s19
	s_cbranch_execz .LBB21_210
.LBB21_276:                             ;   in Loop: Header=BB21_12 Depth=1
	s_waitcnt lgkmcnt(8)
	global_store_b16 v[0:1], v10, off offset:448
	s_or_b32 exec_lo, exec_lo, s28
	s_and_saveexec_b32 s28, s20
	s_cbranch_execz .LBB21_211
.LBB21_277:                             ;   in Loop: Header=BB21_12 Depth=1
	s_waitcnt lgkmcnt(7)
	global_store_b16 v[0:1], v9, off offset:512
	s_or_b32 exec_lo, exec_lo, s28
	s_and_saveexec_b32 s28, s21
	s_cbranch_execz .LBB21_212
.LBB21_278:                             ;   in Loop: Header=BB21_12 Depth=1
	s_waitcnt lgkmcnt(6)
	global_store_b16 v[0:1], v8, off offset:576
	s_or_b32 exec_lo, exec_lo, s28
	s_and_saveexec_b32 s28, s22
	s_cbranch_execz .LBB21_213
.LBB21_279:                             ;   in Loop: Header=BB21_12 Depth=1
	s_waitcnt lgkmcnt(5)
	global_store_b16 v[0:1], v7, off offset:640
	s_or_b32 exec_lo, exec_lo, s28
	s_and_saveexec_b32 s28, s23
	s_cbranch_execz .LBB21_214
.LBB21_280:                             ;   in Loop: Header=BB21_12 Depth=1
	s_waitcnt lgkmcnt(4)
	global_store_b16 v[0:1], v6, off offset:704
	s_or_b32 exec_lo, exec_lo, s28
	s_and_saveexec_b32 s28, s24
	s_cbranch_execz .LBB21_215
.LBB21_281:                             ;   in Loop: Header=BB21_12 Depth=1
	s_waitcnt lgkmcnt(3)
	global_store_b16 v[0:1], v5, off offset:768
	s_or_b32 exec_lo, exec_lo, s28
	s_and_saveexec_b32 s28, s25
	s_cbranch_execz .LBB21_216
.LBB21_282:                             ;   in Loop: Header=BB21_12 Depth=1
	s_waitcnt lgkmcnt(2)
	global_store_b16 v[0:1], v4, off offset:832
	s_or_b32 exec_lo, exec_lo, s28
	s_and_saveexec_b32 s28, s26
	s_cbranch_execz .LBB21_217
.LBB21_283:                             ;   in Loop: Header=BB21_12 Depth=1
	s_waitcnt lgkmcnt(1)
	global_store_b16 v[0:1], v3, off offset:896
	s_or_b32 exec_lo, exec_lo, s28
	s_and_saveexec_b32 s28, s27
	s_cbranch_execnz .LBB21_218
	s_branch .LBB21_219
.LBB21_284:                             ;   in Loop: Header=BB21_12 Depth=1
	ds_load_u16 v17, v37
	s_waitcnt lgkmcnt(0)
	global_store_b16 v[0:1], v17, off
	s_or_b32 exec_lo, exec_lo, s28
	s_and_saveexec_b32 s12, s13
	s_cbranch_execz .LBB21_253
.LBB21_285:                             ;   in Loop: Header=BB21_12 Depth=1
	s_waitcnt lgkmcnt(14)
	global_store_b16 v[0:1], v16, off offset:64
	s_or_b32 exec_lo, exec_lo, s12
	s_and_saveexec_b32 s12, s14
	s_cbranch_execz .LBB21_254
.LBB21_286:                             ;   in Loop: Header=BB21_12 Depth=1
	s_waitcnt lgkmcnt(13)
	global_store_b16 v[0:1], v15, off offset:128
	s_or_b32 exec_lo, exec_lo, s12
	s_and_saveexec_b32 s12, s15
	s_cbranch_execz .LBB21_255
.LBB21_287:                             ;   in Loop: Header=BB21_12 Depth=1
	s_waitcnt lgkmcnt(12)
	global_store_b16 v[0:1], v14, off offset:192
	s_or_b32 exec_lo, exec_lo, s12
	s_and_saveexec_b32 s12, s16
	s_cbranch_execz .LBB21_256
.LBB21_288:                             ;   in Loop: Header=BB21_12 Depth=1
	s_waitcnt lgkmcnt(11)
	global_store_b16 v[0:1], v13, off offset:256
	s_or_b32 exec_lo, exec_lo, s12
	s_and_saveexec_b32 s12, s17
	s_cbranch_execz .LBB21_257
.LBB21_289:                             ;   in Loop: Header=BB21_12 Depth=1
	s_waitcnt lgkmcnt(10)
	global_store_b16 v[0:1], v12, off offset:320
	s_or_b32 exec_lo, exec_lo, s12
	s_and_saveexec_b32 s12, s18
	s_cbranch_execz .LBB21_258
.LBB21_290:                             ;   in Loop: Header=BB21_12 Depth=1
	s_waitcnt lgkmcnt(9)
	global_store_b16 v[0:1], v11, off offset:384
	s_or_b32 exec_lo, exec_lo, s12
	s_and_saveexec_b32 s12, s19
	s_cbranch_execz .LBB21_259
.LBB21_291:                             ;   in Loop: Header=BB21_12 Depth=1
	s_waitcnt lgkmcnt(8)
	global_store_b16 v[0:1], v10, off offset:448
	s_or_b32 exec_lo, exec_lo, s12
	s_and_saveexec_b32 s12, s20
	s_cbranch_execz .LBB21_260
.LBB21_292:                             ;   in Loop: Header=BB21_12 Depth=1
	s_waitcnt lgkmcnt(7)
	global_store_b16 v[0:1], v9, off offset:512
	s_or_b32 exec_lo, exec_lo, s12
	s_and_saveexec_b32 s12, s21
	s_cbranch_execz .LBB21_261
.LBB21_293:                             ;   in Loop: Header=BB21_12 Depth=1
	s_waitcnt lgkmcnt(6)
	global_store_b16 v[0:1], v8, off offset:576
	s_or_b32 exec_lo, exec_lo, s12
	s_and_saveexec_b32 s12, s22
	s_cbranch_execz .LBB21_262
.LBB21_294:                             ;   in Loop: Header=BB21_12 Depth=1
	s_waitcnt lgkmcnt(5)
	global_store_b16 v[0:1], v7, off offset:640
	s_or_b32 exec_lo, exec_lo, s12
	s_and_saveexec_b32 s12, s23
	s_cbranch_execz .LBB21_263
.LBB21_295:                             ;   in Loop: Header=BB21_12 Depth=1
	s_waitcnt lgkmcnt(4)
	global_store_b16 v[0:1], v6, off offset:704
	s_or_b32 exec_lo, exec_lo, s12
	s_and_saveexec_b32 s12, s24
	s_cbranch_execz .LBB21_264
.LBB21_296:                             ;   in Loop: Header=BB21_12 Depth=1
	s_waitcnt lgkmcnt(3)
	global_store_b16 v[0:1], v5, off offset:768
	s_or_b32 exec_lo, exec_lo, s12
	s_and_saveexec_b32 s12, s25
	s_cbranch_execz .LBB21_265
.LBB21_297:                             ;   in Loop: Header=BB21_12 Depth=1
	s_waitcnt lgkmcnt(2)
	global_store_b16 v[0:1], v4, off offset:832
	s_or_b32 exec_lo, exec_lo, s12
	s_and_saveexec_b32 s12, s26
	s_cbranch_execz .LBB21_266
.LBB21_298:                             ;   in Loop: Header=BB21_12 Depth=1
	s_waitcnt lgkmcnt(1)
	global_store_b16 v[0:1], v3, off offset:896
	s_or_b32 exec_lo, exec_lo, s12
	s_and_saveexec_b32 s12, s27
	s_cbranch_execz .LBB21_11
.LBB21_299:                             ;   in Loop: Header=BB21_12 Depth=1
	s_waitcnt lgkmcnt(0)
	global_store_b16 v[0:1], v2, off offset:960
	s_branch .LBB21_11
.LBB21_300:
	s_nop 0
	s_sendmsg sendmsg(MSG_DEALLOC_VGPRS)
	s_endpgm
	.section	.rodata,"a",@progbits
	.p2align	6, 0x0
	.amdhsa_kernel _Z25selective_scan_fwd_kernelI32Selective_Scan_fwd_kernel_traitsILi64ELi16ELi1ELb0ELb1ELb1ELb1ELb0EN3c108BFloat16EfS2_EEv13SSMParamsBase
		.amdhsa_group_segment_fixed_size 0
		.amdhsa_private_segment_fixed_size 0
		.amdhsa_kernarg_size 248
		.amdhsa_user_sgpr_count 14
		.amdhsa_user_sgpr_dispatch_ptr 0
		.amdhsa_user_sgpr_queue_ptr 0
		.amdhsa_user_sgpr_kernarg_segment_ptr 1
		.amdhsa_user_sgpr_dispatch_id 0
		.amdhsa_user_sgpr_private_segment_size 0
		.amdhsa_wavefront_size32 1
		.amdhsa_uses_dynamic_stack 0
		.amdhsa_enable_private_segment 0
		.amdhsa_system_sgpr_workgroup_id_x 1
		.amdhsa_system_sgpr_workgroup_id_y 1
		.amdhsa_system_sgpr_workgroup_id_z 0
		.amdhsa_system_sgpr_workgroup_info 0
		.amdhsa_system_vgpr_workitem_id 0
		.amdhsa_next_free_vgpr 176
		.amdhsa_next_free_sgpr 92
		.amdhsa_reserve_vcc 1
		.amdhsa_float_round_mode_32 0
		.amdhsa_float_round_mode_16_64 0
		.amdhsa_float_denorm_mode_32 3
		.amdhsa_float_denorm_mode_16_64 3
		.amdhsa_dx10_clamp 1
		.amdhsa_ieee_mode 1
		.amdhsa_fp16_overflow 0
		.amdhsa_workgroup_processor_mode 1
		.amdhsa_memory_ordered 1
		.amdhsa_forward_progress 0
		.amdhsa_shared_vgpr_count 0
		.amdhsa_exception_fp_ieee_invalid_op 0
		.amdhsa_exception_fp_denorm_src 0
		.amdhsa_exception_fp_ieee_div_zero 0
		.amdhsa_exception_fp_ieee_overflow 0
		.amdhsa_exception_fp_ieee_underflow 0
		.amdhsa_exception_fp_ieee_inexact 0
		.amdhsa_exception_int_div_zero 0
	.end_amdhsa_kernel
	.section	.text._Z25selective_scan_fwd_kernelI32Selective_Scan_fwd_kernel_traitsILi64ELi16ELi1ELb0ELb1ELb1ELb1ELb0EN3c108BFloat16EfS2_EEv13SSMParamsBase,"axG",@progbits,_Z25selective_scan_fwd_kernelI32Selective_Scan_fwd_kernel_traitsILi64ELi16ELi1ELb0ELb1ELb1ELb1ELb0EN3c108BFloat16EfS2_EEv13SSMParamsBase,comdat
.Lfunc_end21:
	.size	_Z25selective_scan_fwd_kernelI32Selective_Scan_fwd_kernel_traitsILi64ELi16ELi1ELb0ELb1ELb1ELb1ELb0EN3c108BFloat16EfS2_EEv13SSMParamsBase, .Lfunc_end21-_Z25selective_scan_fwd_kernelI32Selective_Scan_fwd_kernel_traitsILi64ELi16ELi1ELb0ELb1ELb1ELb1ELb0EN3c108BFloat16EfS2_EEv13SSMParamsBase
                                        ; -- End function
	.section	.AMDGPU.csdata,"",@progbits
; Kernel info:
; codeLenInByte = 27036
; NumSgprs: 94
; NumVgprs: 176
; ScratchSize: 0
; MemoryBound: 0
; FloatMode: 240
; IeeeMode: 1
; LDSByteSize: 0 bytes/workgroup (compile time only)
; SGPRBlocks: 11
; VGPRBlocks: 21
; NumSGPRsForWavesPerEU: 94
; NumVGPRsForWavesPerEU: 176
; Occupancy: 8
; WaveLimiterHint : 0
; COMPUTE_PGM_RSRC2:SCRATCH_EN: 0
; COMPUTE_PGM_RSRC2:USER_SGPR: 14
; COMPUTE_PGM_RSRC2:TRAP_HANDLER: 0
; COMPUTE_PGM_RSRC2:TGID_X_EN: 1
; COMPUTE_PGM_RSRC2:TGID_Y_EN: 1
; COMPUTE_PGM_RSRC2:TGID_Z_EN: 0
; COMPUTE_PGM_RSRC2:TIDIG_COMP_CNT: 0
	.section	.text._Z25selective_scan_fwd_kernelI32Selective_Scan_fwd_kernel_traitsILi64ELi16ELi1ELb0ELb1ELb1ELb0ELb1EN3c108BFloat16EfS2_EEv13SSMParamsBase,"axG",@progbits,_Z25selective_scan_fwd_kernelI32Selective_Scan_fwd_kernel_traitsILi64ELi16ELi1ELb0ELb1ELb1ELb0ELb1EN3c108BFloat16EfS2_EEv13SSMParamsBase,comdat
	.protected	_Z25selective_scan_fwd_kernelI32Selective_Scan_fwd_kernel_traitsILi64ELi16ELi1ELb0ELb1ELb1ELb0ELb1EN3c108BFloat16EfS2_EEv13SSMParamsBase ; -- Begin function _Z25selective_scan_fwd_kernelI32Selective_Scan_fwd_kernel_traitsILi64ELi16ELi1ELb0ELb1ELb1ELb0ELb1EN3c108BFloat16EfS2_EEv13SSMParamsBase
	.globl	_Z25selective_scan_fwd_kernelI32Selective_Scan_fwd_kernel_traitsILi64ELi16ELi1ELb0ELb1ELb1ELb0ELb1EN3c108BFloat16EfS2_EEv13SSMParamsBase
	.p2align	8
	.type	_Z25selective_scan_fwd_kernelI32Selective_Scan_fwd_kernel_traitsILi64ELi16ELi1ELb0ELb1ELb1ELb0ELb1EN3c108BFloat16EfS2_EEv13SSMParamsBase,@function
_Z25selective_scan_fwd_kernelI32Selective_Scan_fwd_kernel_traitsILi64ELi16ELi1ELb0ELb1ELb1ELb0ELb1EN3c108BFloat16EfS2_EEv13SSMParamsBase: ; @_Z25selective_scan_fwd_kernelI32Selective_Scan_fwd_kernel_traitsILi64ELi16ELi1ELb0ELb1ELb1ELb0ELb1EN3c108BFloat16EfS2_EEv13SSMParamsBase
; %bb.0:
	s_clause 0x2
	s_load_b32 s34, s[0:1], 0x18
	s_load_b128 s[4:7], s[0:1], 0xe0
	s_load_b64 s[10:11], s[0:1], 0xf0
	s_mov_b32 s12, s15
	s_ashr_i32 s15, s14, 31
	s_mov_b32 s47, 0
	s_lshl_b64 s[8:9], s[14:15], 2
	s_waitcnt lgkmcnt(0)
	s_abs_i32 s33, s34
	s_add_u32 s2, s4, s8
	v_cvt_f32_u32_e32 v1, s33
	s_addc_u32 s3, s5, s9
	s_cmp_eq_u64 s[10:11], 0
	s_delay_alu instid0(VALU_DEP_1) | instskip(SKIP_2) | instid1(VALU_DEP_1)
	v_rcp_iflag_f32_e32 v1, v1
	s_waitcnt_depctr 0xfff
	v_mul_f32_e32 v1, 0x4f7ffffe, v1
	v_cvt_u32_f32_e32 v1, v1
	s_delay_alu instid0(VALU_DEP_1)
	v_readfirstlane_b32 s35, v1
	s_cbranch_scc1 .LBB22_2
; %bb.1:
	v_mov_b32_e32 v1, 0
	s_add_u32 s4, s10, s14
	s_addc_u32 s5, s11, s15
	global_load_u8 v1, v1, s[4:5]
	s_waitcnt vmcnt(0)
	v_and_b32_e32 v1, 1, v1
	s_delay_alu instid0(VALU_DEP_1)
	v_cmp_eq_u32_e64 s47, 1, v1
.LBB22_2:
	s_load_b64 s[4:5], s[0:1], 0x20
	s_cmp_eq_u64 s[6:7], 0
	s_cbranch_scc1 .LBB22_4
; %bb.3:
	s_add_u32 s6, s6, s8
	s_addc_u32 s7, s7, s9
	s_load_b32 s14, s[6:7], 0x0
	s_waitcnt lgkmcnt(0)
	s_ashr_i32 s15, s14, 31
.LBB22_4:
	s_waitcnt lgkmcnt(0)
	s_cmp_eq_u64 s[4:5], s[14:15]
	s_cbranch_scc1 .LBB22_236
; %bb.5:
	s_load_b512 s[16:31], s[0:1], 0x88
	s_load_b64 s[10:11], s[2:3], 0x0
	s_mov_b32 s66, 0
	s_mov_b32 s67, 0
	s_waitcnt lgkmcnt(0)
	s_cmp_eq_u64 s[22:23], 0
	s_cbranch_scc1 .LBB22_7
; %bb.6:
	s_ashr_i32 s13, s12, 31
	s_delay_alu instid0(SALU_CYCLE_1) | instskip(NEXT) | instid1(SALU_CYCLE_1)
	s_lshl_b64 s[2:3], s[12:13], 2
	s_add_u32 s2, s22, s2
	s_addc_u32 s3, s23, s3
	s_load_b32 s67, s[2:3], 0x0
.LBB22_7:
	s_cmp_eq_u64 s[28:29], 0
	s_cbranch_scc1 .LBB22_9
; %bb.8:
	s_ashr_i32 s13, s12, 31
	s_delay_alu instid0(SALU_CYCLE_1) | instskip(NEXT) | instid1(SALU_CYCLE_1)
	s_lshl_b64 s[2:3], s[12:13], 2
	s_add_u32 s2, s28, s2
	s_addc_u32 s3, s29, s3
	s_load_b32 s66, s[2:3], 0x0
.LBB22_9:
	s_sub_i32 s68, s11, s10
	s_delay_alu instid0(SALU_CYCLE_1)
	s_cmp_lt_i32 s68, 1
	s_cbranch_scc1 .LBB22_236
; %bb.10:
	s_sub_i32 s2, 0, s33
	s_abs_i32 s5, s12
	s_mul_i32 s4, s2, s35
	s_clause 0x1
	s_load_b64 s[2:3], s[0:1], 0x5c
	s_load_b128 s[56:59], s[0:1], 0x4c
	s_mul_hi_u32 s4, s35, s4
	s_ashr_i32 s7, s34, 31
	s_add_i32 s35, s35, s4
	s_ashr_i32 s4, s12, 31
	s_mul_hi_u32 s6, s5, s35
	s_xor_b32 s7, s4, s7
	s_mul_i32 s8, s6, s33
	s_load_b256 s[48:55], s[0:1], 0x2c
	s_sub_i32 s4, s5, s8
	s_add_i32 s5, s6, 1
	s_sub_i32 s8, s4, s33
	s_cmp_ge_u32 s4, s33
	s_mov_b32 s65, 0
	s_cselect_b32 s5, s5, s6
	s_cselect_b32 s4, s8, s4
	s_add_i32 s6, s5, 1
	s_cmp_ge_u32 s4, s33
	s_load_b128 s[60:63], s[0:1], 0x7c
	s_cselect_b32 s4, s6, s5
	s_waitcnt lgkmcnt(0)
	s_mul_i32 s64, s10, s58
	s_xor_b32 s6, s4, s7
	s_lshl_b64 s[4:5], s[64:65], 1
	s_sub_i32 s6, s6, s7
	s_mul_i32 s64, s59, s12
	s_add_u32 s7, s24, s4
	s_addc_u32 s8, s25, s5
	s_lshl_b64 s[4:5], s[64:65], 1
	s_mul_i32 s64, s10, s2
	s_add_u32 s69, s7, s4
	s_addc_u32 s70, s8, s5
	s_lshl_b64 s[4:5], s[64:65], 1
	;; [unrolled: 4-line block ×3, first 2 shown]
	v_dual_mov_b32 v21, 0 :: v_dual_lshlrev_b32 v18, 4, v0
	s_add_u32 s71, s4, s2
	s_mul_i32 s64, s48, s12
	s_addc_u32 s48, s5, s3
	s_load_b64 s[4:5], s[0:1], 0xc8
	s_lshl_b64 s[2:3], s[64:65], 2
	v_mbcnt_lo_u32_b32 v19, -1, 0
	v_and_b32_e32 v1, 0x200, v18
	s_mul_i32 s64, s10, s50
	s_add_u32 s72, s16, s2
	s_addc_u32 s63, s17, s3
	s_lshl_b64 s[2:3], s[64:65], 1
	s_mul_i32 s64, s6, s53
	s_clause 0x2
	s_load_b64 s[16:17], s[0:1], 0x6c
	s_load_b32 s77, s[0:1], 0xc
	s_load_b32 s0, s[0:1], 0x28
	s_add_u32 s7, s18, s2
	v_or_b32_e32 v20, v19, v1
	s_addc_u32 s8, s19, s3
	s_lshl_b64 s[2:3], s[64:65], 1
	s_mul_i32 s64, s10, s54
	s_add_u32 s53, s7, s2
	s_addc_u32 s73, s8, s3
	s_lshl_b64 s[2:3], s[64:65], 1
	s_mul_i32 s64, s6, s57
	v_or_b32_e32 v24, 0x60, v20
	v_and_b32_e32 v14, 32, v0
	s_add_u32 s7, s20, s2
	s_addc_u32 s6, s21, s3
	s_lshl_b64 s[2:3], s[64:65], 1
	s_mul_i32 s64, s14, s60
	s_add_u32 s57, s7, s2
	s_addc_u32 s74, s6, s3
	s_lshl_b64 s[2:3], s[64:65], 1
	v_or_b32_e32 v26, 0xa0, v20
	v_or_b32_e32 v28, 0xe0, v20
	v_or_b32_e32 v30, 0x120, v20
	v_or_b32_e32 v32, 0x160, v20
	v_or_b32_e32 v34, 0x1a0, v20
	v_lshrrev_b32_e32 v2, 5, v24
	v_or_b32_e32 v36, 0x1e0, v20
	v_or_b32_e32 v16, v19, v14
	s_mul_i32 s64, s61, s12
	s_waitcnt lgkmcnt(0)
	s_add_u32 s4, s4, s2
	s_addc_u32 s5, s5, s3
	s_lshl_b64 s[2:3], s[64:65], 1
	v_or_b32_e32 v23, 64, v20
	s_add_u32 s75, s4, s2
	v_or_b32_e32 v25, 0x80, v20
	v_or_b32_e32 v27, 0xc0, v20
	;; [unrolled: 1-line block ×6, first 2 shown]
	v_and_b32_e32 v2, 18, v2
	v_lshrrev_b32_e32 v5, 5, v26
	v_lshrrev_b32_e32 v8, 5, v28
	;; [unrolled: 1-line block ×6, first 2 shown]
	v_lshrrev_b16 v50, 1, v16
	s_addc_u32 s76, s5, s3
	s_add_i32 s2, s68, 0x7ff
	v_lshrrev_b32_e32 v3, 5, v1
	s_lshr_b32 s78, s2, 11
	s_bitcmp1_b32 s0, 0
	v_lshrrev_b32_e32 v4, 5, v23
	v_lshrrev_b32_e32 v6, 5, v25
	v_add_lshl_u32 v2, v2, v20, 1
	v_and_b32_e32 v5, 20, v5
	v_lshrrev_b32_e32 v7, 5, v27
	v_and_b32_e32 v8, 22, v8
	v_lshrrev_b32_e32 v10, 5, v29
	;; [unrolled: 2-line block ×5, first 2 shown]
	v_and_b32_e32 v51, 30, v49
	v_lshlrev_b32_e32 v16, 4, v16
	v_and_b32_e32 v52, 30, v50
	s_cselect_b32 s79, -1, 0
	s_cmp_gt_i32 s77, 0
	v_add_lshl_u32 v3, v3, v20, 1
	s_cselect_b32 s80, -1, 0
	s_add_i32 s0, 0, 0x840
	v_add_lshl_u32 v4, v4, v20, 1
	v_add_lshl_u32 v6, v6, v20, 1
	v_add_nc_u32_e32 v39, 0, v2
	v_add_lshl_u32 v5, v5, v20, 1
	v_add_lshl_u32 v7, v7, v20, 1
	;; [unrolled: 1-line block ×12, first 2 shown]
	v_add_nc_u32_e32 v55, s0, v2
	v_and_b32_e32 v2, 15, v19
	s_and_b32 s1, s68, 0x3ff
	v_add_nc_u32_e32 v51, 0, v67
	v_add_nc_u32_e32 v53, s0, v3
	;; [unrolled: 1-line block ×15, first 2 shown]
	s_cmp_eq_u32 s1, 0
	v_add_nc_u32_e32 v68, s0, v16
	v_cmp_ne_u32_e64 s0, 0, v2
	v_cmp_lt_u32_e64 s1, 1, v2
	v_cmp_lt_u32_e64 s2, 3, v2
	;; [unrolled: 1-line block ×3, first 2 shown]
	v_add_nc_u32_e32 v2, -1, v19
	v_add_nc_u32_e32 v37, 0, v3
	v_lshrrev_b32_e32 v3, 2, v0
	v_add_nc_u32_e32 v41, 0, v5
	v_or_b32_e32 v5, 31, v14
	v_cmp_gt_i32_e32 vcc_lo, 0, v2
	s_mul_i32 s64, s10, s16
	v_and_b32_e32 v3, 8, v3
	s_cselect_b32 s81, -1, 0
	s_lshl_b64 s[14:15], s[64:65], 1
	v_cndmask_b32_e32 v2, v2, v19, vcc_lo
	s_add_i32 s82, s78, -1
	s_mul_i32 s64, s17, s12
	v_cmp_eq_u32_e64 s5, v5, v0
	v_cmp_gt_u32_e64 s6, 2, v0
	v_lshl_add_u32 v70, v0, 3, 0
	v_cmp_gt_u32_e64 s8, 32, v0
	v_cmp_lt_u32_e64 s9, 31, v0
	v_cmp_eq_u32_e64 s10, 0, v0
	s_add_u32 s11, s30, s14
	v_lshlrev_b32_e32 v0, 1, v19
	s_addc_u32 s14, s31, s15
	s_lshl_b64 s[12:13], s[64:65], 1
	v_add_nc_u32_e32 v69, 0, v3
	v_and_b32_e32 v3, 1, v19
	s_add_u32 s11, s11, s12
	v_lshlrev_b32_e32 v71, 2, v2
	s_addc_u32 s12, s14, s13
	v_lshlrev_b32_e32 v2, 1, v1
	v_add_co_u32 v0, s11, s11, v0
	v_add_nc_u32_e32 v38, 0, v4
	v_and_b32_e32 v4, 16, v19
	v_cmp_eq_u32_e64 s7, 0, v3
	v_add_co_ci_u32_e64 v3, null, s12, 0, s11
	v_add_co_u32 v72, vcc_lo, v0, v2
	v_or_b32_e32 v22, 32, v20
	v_add_nc_u32_e32 v40, 0, v6
	v_add_nc_u32_e32 v42, 0, v7
	;; [unrolled: 1-line block ×11, first 2 shown]
	v_cmp_ne_u32_e64 s4, 0, v4
	v_cmp_eq_u32_e64 s11, 0, v19
	v_add_co_ci_u32_e32 v73, vcc_lo, 0, v3, vcc_lo
	v_or_b32_e32 v74, 1, v18
	v_or_b32_e32 v75, 2, v18
	;; [unrolled: 1-line block ×15, first 2 shown]
	v_lshlrev_b32_e32 v89, 1, v1
	s_mov_b32 s83, 0x3e9b6dac
	s_add_i32 s84, 0, 0x1090
	s_mov_b32 s85, 0
	s_branch .LBB22_12
.LBB22_11:                              ;   in Loop: Header=BB22_12 Depth=1
	s_or_b32 exec_lo, exec_lo, s12
	s_add_u32 s71, s71, 0x800
	s_addc_u32 s48, s48, 0
	s_add_u32 s69, s69, 0x800
	s_addc_u32 s70, s70, 0
	;; [unrolled: 2-line block ×4, first 2 shown]
	s_add_i32 s85, s85, 1
	s_delay_alu instid0(SALU_CYCLE_1)
	s_cmp_eq_u32 s85, s78
	s_cbranch_scc1 .LBB22_236
.LBB22_12:                              ; =>This Loop Header: Depth=1
                                        ;     Child Loop BB22_109 Depth 2
	s_waitcnt lgkmcnt(14)
	v_lshlrev_b32_e32 v16, 1, v19
	s_lshl_b32 s50, s85, 10
	s_waitcnt lgkmcnt(0)
	v_mov_b32_e32 v2, 0
	s_sub_i32 s40, s68, s50
	v_add_co_u32 v0, s12, s69, v16
	s_delay_alu instid0(VALU_DEP_1) | instskip(SKIP_1) | instid1(VALU_DEP_3)
	v_add_co_ci_u32_e64 v1, null, s70, 0, s12
	v_cmp_gt_u32_e64 s12, s40, v20
	v_add_co_u32 v0, vcc_lo, v0, v89
	s_delay_alu instid0(VALU_DEP_3)
	v_add_co_ci_u32_e32 v1, vcc_lo, 0, v1, vcc_lo
	s_waitcnt_vscnt null, 0x0
	s_barrier
	buffer_gl0_inv
	s_and_saveexec_b32 s13, s12
	s_cbranch_execz .LBB22_14
; %bb.13:                               ;   in Loop: Header=BB22_12 Depth=1
	global_load_u16 v2, v[0:1], off
.LBB22_14:                              ;   in Loop: Header=BB22_12 Depth=1
	s_or_b32 exec_lo, exec_lo, s13
	v_cmp_gt_u32_e64 s13, s40, v22
	v_dual_mov_b32 v3, 0 :: v_dual_mov_b32 v4, 0
	s_delay_alu instid0(VALU_DEP_2)
	s_and_saveexec_b32 s14, s13
	s_cbranch_execz .LBB22_16
; %bb.15:                               ;   in Loop: Header=BB22_12 Depth=1
	global_load_u16 v4, v[0:1], off offset:64
.LBB22_16:                              ;   in Loop: Header=BB22_12 Depth=1
	s_or_b32 exec_lo, exec_lo, s14
	v_cmp_gt_u32_e64 s14, s40, v23
	s_delay_alu instid0(VALU_DEP_1)
	s_and_saveexec_b32 s15, s14
	s_cbranch_execz .LBB22_18
; %bb.17:                               ;   in Loop: Header=BB22_12 Depth=1
	global_load_u16 v3, v[0:1], off offset:128
.LBB22_18:                              ;   in Loop: Header=BB22_12 Depth=1
	s_or_b32 exec_lo, exec_lo, s15
	v_cmp_gt_u32_e64 s15, s40, v24
	v_dual_mov_b32 v5, 0 :: v_dual_mov_b32 v6, 0
	s_delay_alu instid0(VALU_DEP_2)
	s_and_saveexec_b32 s16, s15
	s_cbranch_execz .LBB22_20
; %bb.19:                               ;   in Loop: Header=BB22_12 Depth=1
	global_load_u16 v6, v[0:1], off offset:192
.LBB22_20:                              ;   in Loop: Header=BB22_12 Depth=1
	s_or_b32 exec_lo, exec_lo, s16
	v_cmp_gt_u32_e64 s16, s40, v25
	s_delay_alu instid0(VALU_DEP_1)
	s_and_saveexec_b32 s17, s16
	s_cbranch_execz .LBB22_22
; %bb.21:                               ;   in Loop: Header=BB22_12 Depth=1
	global_load_u16 v5, v[0:1], off offset:256
.LBB22_22:                              ;   in Loop: Header=BB22_12 Depth=1
	;; [unrolled: 17-line block ×3, first 2 shown]
	s_or_b32 exec_lo, exec_lo, s19
	v_cmp_gt_u32_e64 s19, s40, v28
	v_mov_b32_e32 v9, 0
	v_mov_b32_e32 v11, 0
	s_delay_alu instid0(VALU_DEP_3)
	s_and_saveexec_b32 s20, s19
	s_cbranch_execz .LBB22_28
; %bb.27:                               ;   in Loop: Header=BB22_12 Depth=1
	global_load_u16 v11, v[0:1], off offset:448
.LBB22_28:                              ;   in Loop: Header=BB22_12 Depth=1
	s_or_b32 exec_lo, exec_lo, s20
	v_cmp_gt_u32_e64 s20, s40, v29
	s_delay_alu instid0(VALU_DEP_1)
	s_and_saveexec_b32 s21, s20
	s_cbranch_execz .LBB22_30
; %bb.29:                               ;   in Loop: Header=BB22_12 Depth=1
	global_load_u16 v9, v[0:1], off offset:512
.LBB22_30:                              ;   in Loop: Header=BB22_12 Depth=1
	s_or_b32 exec_lo, exec_lo, s21
	v_cmp_gt_u32_e64 s21, s40, v30
	v_dual_mov_b32 v12, 0 :: v_dual_mov_b32 v13, 0
	s_delay_alu instid0(VALU_DEP_2)
	s_and_saveexec_b32 s22, s21
	s_cbranch_execz .LBB22_32
; %bb.31:                               ;   in Loop: Header=BB22_12 Depth=1
	global_load_u16 v13, v[0:1], off offset:576
.LBB22_32:                              ;   in Loop: Header=BB22_12 Depth=1
	s_or_b32 exec_lo, exec_lo, s22
	v_cmp_gt_u32_e64 s22, s40, v31
	s_delay_alu instid0(VALU_DEP_1)
	s_and_saveexec_b32 s23, s22
	s_cbranch_execz .LBB22_34
; %bb.33:                               ;   in Loop: Header=BB22_12 Depth=1
	global_load_u16 v12, v[0:1], off offset:640
.LBB22_34:                              ;   in Loop: Header=BB22_12 Depth=1
	s_or_b32 exec_lo, exec_lo, s23
	v_cmp_gt_u32_e64 s23, s40, v32
	v_dual_mov_b32 v14, 0 :: v_dual_mov_b32 v15, 0
	s_delay_alu instid0(VALU_DEP_2)
	;; [unrolled: 17-line block ×4, first 2 shown]
	s_and_saveexec_b32 s28, s27
	s_cbranch_execz .LBB22_44
; %bb.43:                               ;   in Loop: Header=BB22_12 Depth=1
	global_load_u16 v91, v[0:1], off offset:960
.LBB22_44:                              ;   in Loop: Header=BB22_12 Depth=1
	s_or_b32 exec_lo, exec_lo, s28
	s_waitcnt vmcnt(0)
	ds_store_b16 v37, v2
	ds_store_b16 v37, v4 offset:64
	ds_store_b16 v38, v3 offset:128
	;; [unrolled: 1-line block ×15, first 2 shown]
	; wave barrier
	ds_load_b128 v[0:3], v52
	ds_load_b128 v[4:7], v52 offset:16
	v_add_co_u32 v8, s28, s71, v16
	s_delay_alu instid0(VALU_DEP_1) | instskip(SKIP_1) | instid1(VALU_DEP_2)
	v_add_co_ci_u32_e64 v9, null, s48, 0, s28
	s_waitcnt lgkmcnt(0)
	v_add_co_u32 v8, vcc_lo, v8, v89
	s_delay_alu instid0(VALU_DEP_2)
	v_add_co_ci_u32_e32 v9, vcc_lo, 0, v9, vcc_lo
	s_barrier
	buffer_gl0_inv
	s_and_saveexec_b32 s28, s12
	s_cbranch_execz .LBB22_46
; %bb.45:                               ;   in Loop: Header=BB22_12 Depth=1
	global_load_u16 v10, v[8:9], off
.LBB22_46:                              ;   in Loop: Header=BB22_12 Depth=1
	s_or_b32 exec_lo, exec_lo, s28
	v_dual_mov_b32 v11, 0 :: v_dual_mov_b32 v12, 0
	s_and_saveexec_b32 s28, s13
	s_cbranch_execz .LBB22_48
; %bb.47:                               ;   in Loop: Header=BB22_12 Depth=1
	global_load_u16 v12, v[8:9], off offset:64
.LBB22_48:                              ;   in Loop: Header=BB22_12 Depth=1
	s_or_b32 exec_lo, exec_lo, s28
	s_and_saveexec_b32 s28, s14
	s_cbranch_execz .LBB22_50
; %bb.49:                               ;   in Loop: Header=BB22_12 Depth=1
	global_load_u16 v11, v[8:9], off offset:128
.LBB22_50:                              ;   in Loop: Header=BB22_12 Depth=1
	s_or_b32 exec_lo, exec_lo, s28
	v_dual_mov_b32 v13, 0 :: v_dual_mov_b32 v14, 0
	s_and_saveexec_b32 s28, s15
	s_cbranch_execz .LBB22_52
; %bb.51:                               ;   in Loop: Header=BB22_12 Depth=1
	global_load_u16 v14, v[8:9], off offset:192
.LBB22_52:                              ;   in Loop: Header=BB22_12 Depth=1
	s_or_b32 exec_lo, exec_lo, s28
	s_and_saveexec_b32 s28, s16
	s_cbranch_execz .LBB22_54
; %bb.53:                               ;   in Loop: Header=BB22_12 Depth=1
	global_load_u16 v13, v[8:9], off offset:256
.LBB22_54:                              ;   in Loop: Header=BB22_12 Depth=1
	s_or_b32 exec_lo, exec_lo, s28
	v_mov_b32_e32 v15, 0
	v_mov_b32_e32 v17, 0
	s_and_saveexec_b32 s28, s17
	s_cbranch_execz .LBB22_56
; %bb.55:                               ;   in Loop: Header=BB22_12 Depth=1
	global_load_u16 v17, v[8:9], off offset:320
.LBB22_56:                              ;   in Loop: Header=BB22_12 Depth=1
	s_or_b32 exec_lo, exec_lo, s28
	s_and_saveexec_b32 s28, s18
	s_cbranch_execz .LBB22_58
; %bb.57:                               ;   in Loop: Header=BB22_12 Depth=1
	global_load_u16 v15, v[8:9], off offset:384
.LBB22_58:                              ;   in Loop: Header=BB22_12 Depth=1
	s_or_b32 exec_lo, exec_lo, s28
	v_dual_mov_b32 v90, 0 :: v_dual_mov_b32 v91, 0
	s_and_saveexec_b32 s28, s19
	s_cbranch_execz .LBB22_60
; %bb.59:                               ;   in Loop: Header=BB22_12 Depth=1
	global_load_u16 v91, v[8:9], off offset:448
.LBB22_60:                              ;   in Loop: Header=BB22_12 Depth=1
	s_or_b32 exec_lo, exec_lo, s28
	s_and_saveexec_b32 s28, s20
	s_cbranch_execz .LBB22_62
; %bb.61:                               ;   in Loop: Header=BB22_12 Depth=1
	global_load_u16 v90, v[8:9], off offset:512
.LBB22_62:                              ;   in Loop: Header=BB22_12 Depth=1
	s_or_b32 exec_lo, exec_lo, s28
	v_dual_mov_b32 v92, 0 :: v_dual_mov_b32 v93, 0
	;; [unrolled: 13-line block ×4, first 2 shown]
	s_and_saveexec_b32 s28, s25
	s_cbranch_execnz .LBB22_218
; %bb.71:                               ;   in Loop: Header=BB22_12 Depth=1
	s_or_b32 exec_lo, exec_lo, s28
	s_and_saveexec_b32 s28, s26
	s_cbranch_execnz .LBB22_219
.LBB22_72:                              ;   in Loop: Header=BB22_12 Depth=1
	s_or_b32 exec_lo, exec_lo, s28
	v_mov_b32_e32 v98, 0
	s_and_saveexec_b32 s28, s27
	s_cbranch_execz .LBB22_74
.LBB22_73:                              ;   in Loop: Header=BB22_12 Depth=1
	global_load_u16 v98, v[8:9], off offset:960
.LBB22_74:                              ;   in Loop: Header=BB22_12 Depth=1
	s_or_b32 exec_lo, exec_lo, s28
	s_waitcnt vmcnt(0)
	ds_store_b16 v37, v10
	ds_store_b16 v37, v12 offset:64
	ds_store_b16 v38, v11 offset:128
	ds_store_b16 v39, v14 offset:192
	ds_store_b16 v40, v13 offset:256
	ds_store_b16 v41, v17 offset:320
	ds_store_b16 v42, v15 offset:384
	ds_store_b16 v43, v91 offset:448
	ds_store_b16 v44, v90 offset:512
	ds_store_b16 v45, v93 offset:576
	ds_store_b16 v46, v92 offset:640
	ds_store_b16 v47, v95 offset:704
	ds_store_b16 v48, v94 offset:768
	ds_store_b16 v49, v97 offset:832
	ds_store_b16 v50, v96 offset:896
	ds_store_b16 v51, v98 offset:960
	; wave barrier
	ds_load_b128 v[12:15], v52
	ds_load_b128 v[8:11], v52 offset:16
	s_waitcnt lgkmcnt(1)
	v_lshlrev_b32_e32 v17, 16, v12
	s_delay_alu instid0(VALU_DEP_1) | instskip(NEXT) | instid1(VALU_DEP_1)
	v_add_f32_e32 v90, s66, v17
	v_cmp_ge_f32_e32 vcc_lo, 0x41a00000, v90
	s_and_b32 s28, s79, vcc_lo
	s_delay_alu instid0(SALU_CYCLE_1)
	s_and_saveexec_b32 s29, s28
	s_cbranch_execz .LBB22_76
; %bb.75:                               ;   in Loop: Header=BB22_12 Depth=1
	v_mul_f32_e32 v17, 0x3fb8aa3b, v90
	v_cmp_ngt_f32_e32 vcc_lo, 0xc2ce8ed0, v90
	s_delay_alu instid0(VALU_DEP_2) | instskip(SKIP_1) | instid1(VALU_DEP_1)
	v_rndne_f32_e32 v91, v17
	v_fma_f32 v92, 0x3fb8aa3b, v90, -v17
	v_dual_sub_f32 v17, v17, v91 :: v_dual_fmac_f32 v92, 0x32a5705f, v90
	v_cvt_i32_f32_e32 v91, v91
	s_delay_alu instid0(VALU_DEP_2) | instskip(NEXT) | instid1(VALU_DEP_1)
	v_add_f32_e32 v17, v17, v92
	v_exp_f32_e32 v17, v17
	s_waitcnt_depctr 0xfff
	v_ldexp_f32 v17, v17, v91
	s_delay_alu instid0(VALU_DEP_1) | instskip(SKIP_1) | instid1(VALU_DEP_2)
	v_cndmask_b32_e32 v17, 0, v17, vcc_lo
	v_cmp_nlt_f32_e32 vcc_lo, 0x42b17218, v90
	v_cndmask_b32_e32 v17, 0x7f800000, v17, vcc_lo
	s_delay_alu instid0(VALU_DEP_1) | instskip(NEXT) | instid1(VALU_DEP_1)
	v_add_f32_e32 v92, 1.0, v17
	v_cvt_f64_f32_e32 v[90:91], v92
	s_delay_alu instid0(VALU_DEP_1) | instskip(SKIP_1) | instid1(VALU_DEP_1)
	v_frexp_exp_i32_f64_e32 v90, v[90:91]
	v_frexp_mant_f32_e32 v91, v92
	v_cmp_gt_f32_e32 vcc_lo, 0x3f2aaaab, v91
	v_add_f32_e32 v91, -1.0, v92
	s_delay_alu instid0(VALU_DEP_1) | instskip(NEXT) | instid1(VALU_DEP_1)
	v_dual_sub_f32 v94, v91, v92 :: v_dual_sub_f32 v91, v17, v91
	v_add_f32_e32 v94, 1.0, v94
	v_subrev_co_ci_u32_e32 v90, vcc_lo, 0, v90, vcc_lo
	s_delay_alu instid0(VALU_DEP_1) | instskip(SKIP_1) | instid1(VALU_DEP_2)
	v_sub_nc_u32_e32 v93, 0, v90
	v_cvt_f32_i32_e32 v90, v90
	v_ldexp_f32 v92, v92, v93
	v_add_f32_e32 v91, v91, v94
	s_delay_alu instid0(VALU_DEP_1) | instskip(NEXT) | instid1(VALU_DEP_3)
	v_ldexp_f32 v91, v91, v93
	v_add_f32_e32 v95, 1.0, v92
	s_delay_alu instid0(VALU_DEP_1) | instskip(NEXT) | instid1(VALU_DEP_1)
	v_add_f32_e32 v94, -1.0, v95
	v_sub_f32_e32 v94, v92, v94
	v_cmp_eq_f32_e32 vcc_lo, 0x7f800000, v17
	v_cmp_gt_f32_e64 s28, 0x33800000, v17
	s_delay_alu instid0(VALU_DEP_3) | instskip(NEXT) | instid1(VALU_DEP_2)
	v_dual_add_f32 v94, v91, v94 :: v_dual_add_f32 v93, -1.0, v92
	s_or_b32 vcc_lo, s28, vcc_lo
	s_delay_alu instid0(VALU_DEP_1) | instskip(NEXT) | instid1(VALU_DEP_1)
	v_add_f32_e32 v96, 1.0, v93
	v_sub_f32_e32 v92, v92, v96
	s_delay_alu instid0(VALU_DEP_3) | instskip(NEXT) | instid1(VALU_DEP_1)
	v_add_f32_e32 v96, v95, v94
	v_sub_f32_e32 v95, v95, v96
	s_delay_alu instid0(VALU_DEP_3) | instskip(SKIP_1) | instid1(VALU_DEP_2)
	v_add_f32_e32 v91, v91, v92
	v_rcp_f32_e32 v92, v96
	v_add_f32_e32 v94, v94, v95
	s_delay_alu instid0(VALU_DEP_2) | instskip(NEXT) | instid1(VALU_DEP_1)
	v_add_f32_e32 v97, v93, v91
	v_sub_f32_e32 v93, v93, v97
	s_waitcnt_depctr 0xfff
	v_dual_mul_f32 v98, v97, v92 :: v_dual_add_f32 v91, v91, v93
	s_delay_alu instid0(VALU_DEP_1) | instskip(NEXT) | instid1(VALU_DEP_1)
	v_mul_f32_e32 v99, v96, v98
	v_fma_f32 v95, v98, v96, -v99
	s_delay_alu instid0(VALU_DEP_1) | instskip(NEXT) | instid1(VALU_DEP_1)
	v_fmac_f32_e32 v95, v98, v94
	v_add_f32_e32 v100, v99, v95
	s_delay_alu instid0(VALU_DEP_1) | instskip(NEXT) | instid1(VALU_DEP_1)
	v_sub_f32_e32 v101, v97, v100
	v_sub_f32_e32 v97, v97, v101
	;; [unrolled: 1-line block ×3, first 2 shown]
	s_delay_alu instid0(VALU_DEP_2) | instskip(NEXT) | instid1(VALU_DEP_2)
	v_sub_f32_e32 v97, v97, v100
	v_sub_f32_e32 v93, v93, v95
	s_delay_alu instid0(VALU_DEP_2) | instskip(NEXT) | instid1(VALU_DEP_1)
	v_add_f32_e32 v91, v91, v97
	v_add_f32_e32 v91, v93, v91
	s_delay_alu instid0(VALU_DEP_1) | instskip(NEXT) | instid1(VALU_DEP_1)
	v_add_f32_e32 v93, v101, v91
	v_mul_f32_e32 v95, v92, v93
	s_delay_alu instid0(VALU_DEP_1) | instskip(NEXT) | instid1(VALU_DEP_1)
	v_dual_sub_f32 v100, v101, v93 :: v_dual_mul_f32 v97, v96, v95
	v_add_f32_e32 v91, v91, v100
	s_delay_alu instid0(VALU_DEP_2) | instskip(NEXT) | instid1(VALU_DEP_1)
	v_fma_f32 v96, v95, v96, -v97
	v_fmac_f32_e32 v96, v95, v94
	s_delay_alu instid0(VALU_DEP_1) | instskip(NEXT) | instid1(VALU_DEP_1)
	v_add_f32_e32 v94, v97, v96
	v_sub_f32_e32 v99, v93, v94
	v_sub_f32_e32 v97, v94, v97
	s_delay_alu instid0(VALU_DEP_2) | instskip(NEXT) | instid1(VALU_DEP_1)
	v_sub_f32_e32 v93, v93, v99
	v_sub_f32_e32 v93, v93, v94
	s_delay_alu instid0(VALU_DEP_1) | instskip(SKIP_1) | instid1(VALU_DEP_1)
	v_dual_sub_f32 v94, v97, v96 :: v_dual_add_f32 v91, v91, v93
	v_add_f32_e32 v93, v98, v95
	v_dual_add_f32 v91, v94, v91 :: v_dual_sub_f32 v94, v93, v98
	s_delay_alu instid0(VALU_DEP_1) | instskip(NEXT) | instid1(VALU_DEP_1)
	v_add_f32_e32 v91, v99, v91
	v_dual_sub_f32 v94, v95, v94 :: v_dual_mul_f32 v91, v92, v91
	s_delay_alu instid0(VALU_DEP_1) | instskip(NEXT) | instid1(VALU_DEP_1)
	v_add_f32_e32 v91, v94, v91
	v_add_f32_e32 v92, v93, v91
	s_delay_alu instid0(VALU_DEP_1) | instskip(NEXT) | instid1(VALU_DEP_1)
	v_mul_f32_e32 v94, v92, v92
	v_fmaak_f32 v95, s83, v94, 0x3ecc95a3
	v_mul_f32_e32 v96, v92, v94
	s_delay_alu instid0(VALU_DEP_2) | instskip(SKIP_2) | instid1(VALU_DEP_3)
	v_fmaak_f32 v94, v94, v95, 0x3f2aaada
	v_ldexp_f32 v95, v92, 1
	v_sub_f32_e32 v92, v92, v93
	v_mul_f32_e32 v94, v96, v94
	s_delay_alu instid0(VALU_DEP_2) | instskip(NEXT) | instid1(VALU_DEP_2)
	v_dual_mul_f32 v96, 0x3f317218, v90 :: v_dual_sub_f32 v91, v91, v92
	v_add_f32_e32 v93, v95, v94
	s_delay_alu instid0(VALU_DEP_2) | instskip(NEXT) | instid1(VALU_DEP_2)
	v_ldexp_f32 v91, v91, 1
	v_sub_f32_e32 v92, v93, v95
	s_delay_alu instid0(VALU_DEP_4) | instskip(NEXT) | instid1(VALU_DEP_1)
	v_fma_f32 v95, 0x3f317218, v90, -v96
	v_dual_sub_f32 v92, v94, v92 :: v_dual_fmac_f32 v95, 0xb102e308, v90
	s_delay_alu instid0(VALU_DEP_1) | instskip(NEXT) | instid1(VALU_DEP_1)
	v_dual_add_f32 v90, v91, v92 :: v_dual_add_f32 v91, v96, v95
	v_add_f32_e32 v92, v93, v90
	s_delay_alu instid0(VALU_DEP_2) | instskip(NEXT) | instid1(VALU_DEP_2)
	v_sub_f32_e32 v96, v91, v96
	v_dual_add_f32 v94, v91, v92 :: v_dual_sub_f32 v93, v92, v93
	s_delay_alu instid0(VALU_DEP_2) | instskip(NEXT) | instid1(VALU_DEP_2)
	v_sub_f32_e32 v95, v95, v96
	v_sub_f32_e32 v97, v94, v91
	s_delay_alu instid0(VALU_DEP_3) | instskip(NEXT) | instid1(VALU_DEP_2)
	v_sub_f32_e32 v90, v90, v93
	v_sub_f32_e32 v98, v94, v97
	s_delay_alu instid0(VALU_DEP_2) | instskip(NEXT) | instid1(VALU_DEP_2)
	v_dual_sub_f32 v92, v92, v97 :: v_dual_add_f32 v93, v95, v90
	v_sub_f32_e32 v91, v91, v98
	s_delay_alu instid0(VALU_DEP_1) | instskip(NEXT) | instid1(VALU_DEP_3)
	v_add_f32_e32 v91, v92, v91
	v_sub_f32_e32 v92, v93, v95
	s_delay_alu instid0(VALU_DEP_2) | instskip(NEXT) | instid1(VALU_DEP_2)
	v_add_f32_e32 v91, v93, v91
	v_sub_f32_e32 v93, v93, v92
	v_sub_f32_e32 v90, v90, v92
	s_delay_alu instid0(VALU_DEP_2) | instskip(NEXT) | instid1(VALU_DEP_1)
	v_dual_add_f32 v96, v94, v91 :: v_dual_sub_f32 v93, v95, v93
	v_sub_f32_e32 v92, v96, v94
	s_delay_alu instid0(VALU_DEP_1) | instskip(NEXT) | instid1(VALU_DEP_1)
	v_dual_add_f32 v90, v90, v93 :: v_dual_sub_f32 v91, v91, v92
	v_add_f32_e32 v90, v90, v91
	s_delay_alu instid0(VALU_DEP_1) | instskip(NEXT) | instid1(VALU_DEP_1)
	v_add_f32_e32 v90, v96, v90
	v_cndmask_b32_e32 v90, v90, v17, vcc_lo
.LBB22_76:                              ;   in Loop: Header=BB22_12 Depth=1
	s_or_b32 exec_lo, exec_lo, s29
	v_and_b32_e32 v12, 0xffff0000, v12
	s_delay_alu instid0(VALU_DEP_1) | instskip(NEXT) | instid1(VALU_DEP_1)
	v_add_f32_e32 v91, s66, v12
	v_cmp_ge_f32_e32 vcc_lo, 0x41a00000, v91
	s_and_b32 s28, s79, vcc_lo
	s_delay_alu instid0(SALU_CYCLE_1)
	s_and_saveexec_b32 s29, s28
	s_cbranch_execz .LBB22_78
; %bb.77:                               ;   in Loop: Header=BB22_12 Depth=1
	v_mul_f32_e32 v12, 0x3fb8aa3b, v91
	v_cmp_ngt_f32_e32 vcc_lo, 0xc2ce8ed0, v91
	s_delay_alu instid0(VALU_DEP_2) | instskip(SKIP_1) | instid1(VALU_DEP_2)
	v_rndne_f32_e32 v17, v12
	v_fma_f32 v92, 0x3fb8aa3b, v91, -v12
	v_sub_f32_e32 v12, v12, v17
	s_delay_alu instid0(VALU_DEP_2) | instskip(SKIP_1) | instid1(VALU_DEP_2)
	v_fmac_f32_e32 v92, 0x32a5705f, v91
	v_cvt_i32_f32_e32 v17, v17
	v_add_f32_e32 v12, v12, v92
	s_delay_alu instid0(VALU_DEP_1) | instskip(SKIP_2) | instid1(VALU_DEP_1)
	v_exp_f32_e32 v12, v12
	s_waitcnt_depctr 0xfff
	v_ldexp_f32 v12, v12, v17
	v_cndmask_b32_e32 v12, 0, v12, vcc_lo
	v_cmp_nlt_f32_e32 vcc_lo, 0x42b17218, v91
	s_delay_alu instid0(VALU_DEP_2) | instskip(NEXT) | instid1(VALU_DEP_1)
	v_cndmask_b32_e32 v12, 0x7f800000, v12, vcc_lo
	v_add_f32_e32 v17, 1.0, v12
	s_delay_alu instid0(VALU_DEP_1) | instskip(NEXT) | instid1(VALU_DEP_1)
	v_cvt_f64_f32_e32 v[91:92], v17
	v_frexp_exp_i32_f64_e32 v91, v[91:92]
	v_frexp_mant_f32_e32 v92, v17
	s_delay_alu instid0(VALU_DEP_1) | instskip(SKIP_1) | instid1(VALU_DEP_1)
	v_cmp_gt_f32_e32 vcc_lo, 0x3f2aaaab, v92
	v_add_f32_e32 v92, -1.0, v17
	v_sub_f32_e32 v94, v92, v17
	v_sub_f32_e32 v92, v12, v92
	s_delay_alu instid0(VALU_DEP_2) | instskip(NEXT) | instid1(VALU_DEP_1)
	v_add_f32_e32 v94, 1.0, v94
	v_add_f32_e32 v92, v92, v94
	v_subrev_co_ci_u32_e32 v91, vcc_lo, 0, v91, vcc_lo
	s_delay_alu instid0(VALU_DEP_1) | instskip(SKIP_1) | instid1(VALU_DEP_2)
	v_sub_nc_u32_e32 v93, 0, v91
	v_cvt_f32_i32_e32 v91, v91
	v_ldexp_f32 v17, v17, v93
	v_ldexp_f32 v92, v92, v93
	s_delay_alu instid0(VALU_DEP_2) | instskip(NEXT) | instid1(VALU_DEP_1)
	v_add_f32_e32 v95, 1.0, v17
	v_dual_add_f32 v93, -1.0, v17 :: v_dual_add_f32 v94, -1.0, v95
	s_delay_alu instid0(VALU_DEP_1) | instskip(NEXT) | instid1(VALU_DEP_2)
	v_add_f32_e32 v96, 1.0, v93
	v_sub_f32_e32 v94, v17, v94
	s_delay_alu instid0(VALU_DEP_2) | instskip(NEXT) | instid1(VALU_DEP_1)
	v_sub_f32_e32 v17, v17, v96
	v_add_f32_e32 v17, v92, v17
	s_delay_alu instid0(VALU_DEP_1) | instskip(SKIP_2) | instid1(VALU_DEP_3)
	v_add_f32_e32 v97, v93, v17
	v_cmp_eq_f32_e32 vcc_lo, 0x7f800000, v12
	v_cmp_gt_f32_e64 s28, 0x33800000, v12
	v_dual_sub_f32 v93, v93, v97 :: v_dual_add_f32 v94, v92, v94
	s_delay_alu instid0(VALU_DEP_2) | instskip(NEXT) | instid1(VALU_DEP_1)
	s_or_b32 vcc_lo, s28, vcc_lo
	v_dual_add_f32 v17, v17, v93 :: v_dual_add_f32 v96, v95, v94
	s_delay_alu instid0(VALU_DEP_1) | instskip(SKIP_1) | instid1(VALU_DEP_1)
	v_rcp_f32_e32 v92, v96
	v_sub_f32_e32 v95, v95, v96
	v_add_f32_e32 v94, v94, v95
	s_waitcnt_depctr 0xfff
	v_mul_f32_e32 v98, v97, v92
	s_delay_alu instid0(VALU_DEP_1) | instskip(NEXT) | instid1(VALU_DEP_1)
	v_mul_f32_e32 v99, v96, v98
	v_fma_f32 v95, v98, v96, -v99
	s_delay_alu instid0(VALU_DEP_1) | instskip(NEXT) | instid1(VALU_DEP_1)
	v_fmac_f32_e32 v95, v98, v94
	v_add_f32_e32 v100, v99, v95
	s_delay_alu instid0(VALU_DEP_1) | instskip(SKIP_1) | instid1(VALU_DEP_2)
	v_sub_f32_e32 v101, v97, v100
	v_sub_f32_e32 v93, v100, v99
	;; [unrolled: 1-line block ×3, first 2 shown]
	s_delay_alu instid0(VALU_DEP_2) | instskip(NEXT) | instid1(VALU_DEP_2)
	v_sub_f32_e32 v93, v93, v95
	v_sub_f32_e32 v97, v97, v100
	s_delay_alu instid0(VALU_DEP_1) | instskip(NEXT) | instid1(VALU_DEP_1)
	v_add_f32_e32 v17, v17, v97
	v_add_f32_e32 v17, v93, v17
	s_delay_alu instid0(VALU_DEP_1) | instskip(NEXT) | instid1(VALU_DEP_1)
	v_add_f32_e32 v93, v101, v17
	v_mul_f32_e32 v95, v92, v93
	s_delay_alu instid0(VALU_DEP_1) | instskip(NEXT) | instid1(VALU_DEP_1)
	v_mul_f32_e32 v97, v96, v95
	v_fma_f32 v96, v95, v96, -v97
	s_delay_alu instid0(VALU_DEP_1) | instskip(SKIP_1) | instid1(VALU_DEP_2)
	v_fmac_f32_e32 v96, v95, v94
	v_sub_f32_e32 v100, v101, v93
	v_add_f32_e32 v94, v97, v96
	s_delay_alu instid0(VALU_DEP_2) | instskip(NEXT) | instid1(VALU_DEP_2)
	v_add_f32_e32 v17, v17, v100
	v_sub_f32_e32 v99, v93, v94
	s_delay_alu instid0(VALU_DEP_1) | instskip(NEXT) | instid1(VALU_DEP_1)
	v_sub_f32_e32 v93, v93, v99
	v_sub_f32_e32 v93, v93, v94
	s_delay_alu instid0(VALU_DEP_1) | instskip(SKIP_2) | instid1(VALU_DEP_1)
	v_add_f32_e32 v17, v17, v93
	v_add_f32_e32 v93, v98, v95
	v_sub_f32_e32 v97, v94, v97
	v_sub_f32_e32 v94, v97, v96
	s_delay_alu instid0(VALU_DEP_1) | instskip(NEXT) | instid1(VALU_DEP_1)
	v_dual_add_f32 v17, v94, v17 :: v_dual_sub_f32 v94, v93, v98
	v_add_f32_e32 v17, v99, v17
	s_delay_alu instid0(VALU_DEP_1) | instskip(NEXT) | instid1(VALU_DEP_1)
	v_dual_sub_f32 v94, v95, v94 :: v_dual_mul_f32 v17, v92, v17
	v_add_f32_e32 v17, v94, v17
	s_delay_alu instid0(VALU_DEP_1) | instskip(NEXT) | instid1(VALU_DEP_1)
	v_add_f32_e32 v92, v93, v17
	v_mul_f32_e32 v94, v92, v92
	s_delay_alu instid0(VALU_DEP_1) | instskip(SKIP_1) | instid1(VALU_DEP_2)
	v_fmaak_f32 v95, s83, v94, 0x3ecc95a3
	v_mul_f32_e32 v96, v92, v94
	v_fmaak_f32 v94, v94, v95, 0x3f2aaada
	v_ldexp_f32 v95, v92, 1
	s_delay_alu instid0(VALU_DEP_2) | instskip(SKIP_1) | instid1(VALU_DEP_2)
	v_mul_f32_e32 v94, v96, v94
	v_sub_f32_e32 v92, v92, v93
	v_dual_mul_f32 v96, 0x3f317218, v91 :: v_dual_add_f32 v93, v95, v94
	s_delay_alu instid0(VALU_DEP_2) | instskip(NEXT) | instid1(VALU_DEP_2)
	v_sub_f32_e32 v17, v17, v92
	v_sub_f32_e32 v92, v93, v95
	s_delay_alu instid0(VALU_DEP_3) | instskip(NEXT) | instid1(VALU_DEP_3)
	v_fma_f32 v95, 0x3f317218, v91, -v96
	v_ldexp_f32 v17, v17, 1
	s_delay_alu instid0(VALU_DEP_2) | instskip(NEXT) | instid1(VALU_DEP_1)
	v_dual_sub_f32 v92, v94, v92 :: v_dual_fmac_f32 v95, 0xb102e308, v91
	v_add_f32_e32 v17, v17, v92
	s_delay_alu instid0(VALU_DEP_1) | instskip(NEXT) | instid1(VALU_DEP_1)
	v_dual_add_f32 v91, v96, v95 :: v_dual_add_f32 v92, v93, v17
	v_sub_f32_e32 v96, v91, v96
	s_delay_alu instid0(VALU_DEP_2) | instskip(NEXT) | instid1(VALU_DEP_2)
	v_dual_add_f32 v94, v91, v92 :: v_dual_sub_f32 v93, v92, v93
	v_sub_f32_e32 v95, v95, v96
	s_delay_alu instid0(VALU_DEP_2) | instskip(NEXT) | instid1(VALU_DEP_1)
	v_sub_f32_e32 v97, v94, v91
	v_sub_f32_e32 v98, v94, v97
	;; [unrolled: 1-line block ×4, first 2 shown]
	s_delay_alu instid0(VALU_DEP_1) | instskip(NEXT) | instid1(VALU_DEP_4)
	v_add_f32_e32 v93, v95, v17
	v_sub_f32_e32 v91, v91, v98
	s_delay_alu instid0(VALU_DEP_1) | instskip(NEXT) | instid1(VALU_DEP_3)
	v_add_f32_e32 v91, v92, v91
	v_sub_f32_e32 v92, v93, v95
	s_delay_alu instid0(VALU_DEP_2) | instskip(NEXT) | instid1(VALU_DEP_2)
	v_add_f32_e32 v91, v93, v91
	v_sub_f32_e32 v93, v93, v92
	s_delay_alu instid0(VALU_DEP_2) | instskip(NEXT) | instid1(VALU_DEP_1)
	v_dual_sub_f32 v17, v17, v92 :: v_dual_add_f32 v96, v94, v91
	v_dual_sub_f32 v92, v96, v94 :: v_dual_sub_f32 v93, v95, v93
	s_delay_alu instid0(VALU_DEP_1) | instskip(NEXT) | instid1(VALU_DEP_2)
	v_sub_f32_e32 v91, v91, v92
	v_add_f32_e32 v17, v17, v93
	s_delay_alu instid0(VALU_DEP_1) | instskip(NEXT) | instid1(VALU_DEP_1)
	v_add_f32_e32 v17, v17, v91
	v_add_f32_e32 v17, v96, v17
	s_delay_alu instid0(VALU_DEP_1)
	v_cndmask_b32_e32 v91, v17, v12, vcc_lo
.LBB22_78:                              ;   in Loop: Header=BB22_12 Depth=1
	s_or_b32 exec_lo, exec_lo, s29
	v_lshlrev_b32_e32 v12, 16, v13
	s_delay_alu instid0(VALU_DEP_1) | instskip(NEXT) | instid1(VALU_DEP_1)
	v_add_f32_e32 v92, s66, v12
	v_cmp_ge_f32_e32 vcc_lo, 0x41a00000, v92
	s_and_b32 s28, s79, vcc_lo
	s_delay_alu instid0(SALU_CYCLE_1)
	s_and_saveexec_b32 s29, s28
	s_cbranch_execz .LBB22_80
; %bb.79:                               ;   in Loop: Header=BB22_12 Depth=1
	v_mul_f32_e32 v12, 0x3fb8aa3b, v92
	v_cmp_ngt_f32_e32 vcc_lo, 0xc2ce8ed0, v92
	s_delay_alu instid0(VALU_DEP_2) | instskip(SKIP_1) | instid1(VALU_DEP_1)
	v_rndne_f32_e32 v17, v12
	v_fma_f32 v93, 0x3fb8aa3b, v92, -v12
	v_dual_sub_f32 v12, v12, v17 :: v_dual_fmac_f32 v93, 0x32a5705f, v92
	v_cvt_i32_f32_e32 v17, v17
	s_delay_alu instid0(VALU_DEP_2) | instskip(NEXT) | instid1(VALU_DEP_1)
	v_add_f32_e32 v12, v12, v93
	v_exp_f32_e32 v12, v12
	s_waitcnt_depctr 0xfff
	v_ldexp_f32 v12, v12, v17
	s_delay_alu instid0(VALU_DEP_1) | instskip(SKIP_1) | instid1(VALU_DEP_2)
	v_cndmask_b32_e32 v12, 0, v12, vcc_lo
	v_cmp_nlt_f32_e32 vcc_lo, 0x42b17218, v92
	v_cndmask_b32_e32 v12, 0x7f800000, v12, vcc_lo
	s_delay_alu instid0(VALU_DEP_1) | instskip(NEXT) | instid1(VALU_DEP_1)
	v_add_f32_e32 v17, 1.0, v12
	v_cvt_f64_f32_e32 v[92:93], v17
	s_delay_alu instid0(VALU_DEP_1) | instskip(SKIP_1) | instid1(VALU_DEP_1)
	v_frexp_exp_i32_f64_e32 v92, v[92:93]
	v_frexp_mant_f32_e32 v93, v17
	v_cmp_gt_f32_e32 vcc_lo, 0x3f2aaaab, v93
	v_add_f32_e32 v93, -1.0, v17
	s_delay_alu instid0(VALU_DEP_1) | instskip(SKIP_1) | instid1(VALU_DEP_2)
	v_sub_f32_e32 v95, v93, v17
	v_sub_f32_e32 v93, v12, v93
	v_add_f32_e32 v95, 1.0, v95
	s_delay_alu instid0(VALU_DEP_1) | instskip(SKIP_3) | instid1(VALU_DEP_2)
	v_add_f32_e32 v93, v93, v95
	v_cmp_gt_f32_e64 s28, 0x33800000, v12
	v_subrev_co_ci_u32_e32 v92, vcc_lo, 0, v92, vcc_lo
	v_cmp_eq_f32_e32 vcc_lo, 0x7f800000, v12
	v_sub_nc_u32_e32 v94, 0, v92
	v_cvt_f32_i32_e32 v92, v92
	s_or_b32 vcc_lo, s28, vcc_lo
	s_delay_alu instid0(VALU_DEP_2) | instskip(SKIP_1) | instid1(VALU_DEP_2)
	v_ldexp_f32 v17, v17, v94
	v_ldexp_f32 v93, v93, v94
	v_add_f32_e32 v96, 1.0, v17
	s_delay_alu instid0(VALU_DEP_1) | instskip(NEXT) | instid1(VALU_DEP_1)
	v_dual_add_f32 v94, -1.0, v17 :: v_dual_add_f32 v95, -1.0, v96
	v_add_f32_e32 v97, 1.0, v94
	s_delay_alu instid0(VALU_DEP_2) | instskip(NEXT) | instid1(VALU_DEP_2)
	v_sub_f32_e32 v95, v17, v95
	v_sub_f32_e32 v17, v17, v97
	s_delay_alu instid0(VALU_DEP_1) | instskip(NEXT) | instid1(VALU_DEP_1)
	v_add_f32_e32 v17, v93, v17
	v_dual_add_f32 v98, v94, v17 :: v_dual_add_f32 v95, v93, v95
	s_delay_alu instid0(VALU_DEP_1) | instskip(NEXT) | instid1(VALU_DEP_1)
	v_dual_sub_f32 v94, v94, v98 :: v_dual_add_f32 v97, v96, v95
	v_rcp_f32_e32 v93, v97
	v_sub_f32_e32 v96, v96, v97
	s_delay_alu instid0(VALU_DEP_1) | instskip(SKIP_2) | instid1(VALU_DEP_1)
	v_add_f32_e32 v95, v95, v96
	s_waitcnt_depctr 0xfff
	v_mul_f32_e32 v99, v98, v93
	v_mul_f32_e32 v100, v97, v99
	s_delay_alu instid0(VALU_DEP_1) | instskip(NEXT) | instid1(VALU_DEP_1)
	v_fma_f32 v96, v99, v97, -v100
	v_fmac_f32_e32 v96, v99, v95
	s_delay_alu instid0(VALU_DEP_1) | instskip(NEXT) | instid1(VALU_DEP_1)
	v_add_f32_e32 v101, v100, v96
	v_sub_f32_e32 v102, v98, v101
	s_delay_alu instid0(VALU_DEP_1) | instskip(SKIP_2) | instid1(VALU_DEP_3)
	v_sub_f32_e32 v98, v98, v102
	v_add_f32_e32 v17, v17, v94
	v_sub_f32_e32 v94, v101, v100
	v_sub_f32_e32 v98, v98, v101
	s_delay_alu instid0(VALU_DEP_1) | instskip(NEXT) | instid1(VALU_DEP_1)
	v_dual_sub_f32 v94, v94, v96 :: v_dual_add_f32 v17, v17, v98
	v_add_f32_e32 v17, v94, v17
	s_delay_alu instid0(VALU_DEP_1) | instskip(NEXT) | instid1(VALU_DEP_1)
	v_add_f32_e32 v94, v102, v17
	v_mul_f32_e32 v96, v93, v94
	s_delay_alu instid0(VALU_DEP_1) | instskip(NEXT) | instid1(VALU_DEP_1)
	v_dual_sub_f32 v101, v102, v94 :: v_dual_mul_f32 v98, v97, v96
	v_add_f32_e32 v17, v17, v101
	s_delay_alu instid0(VALU_DEP_2) | instskip(NEXT) | instid1(VALU_DEP_1)
	v_fma_f32 v97, v96, v97, -v98
	v_fmac_f32_e32 v97, v96, v95
	s_delay_alu instid0(VALU_DEP_1) | instskip(NEXT) | instid1(VALU_DEP_1)
	v_add_f32_e32 v95, v98, v97
	v_sub_f32_e32 v100, v94, v95
	s_delay_alu instid0(VALU_DEP_1) | instskip(NEXT) | instid1(VALU_DEP_1)
	v_sub_f32_e32 v94, v94, v100
	v_sub_f32_e32 v94, v94, v95
	s_delay_alu instid0(VALU_DEP_1) | instskip(SKIP_1) | instid1(VALU_DEP_1)
	v_dual_add_f32 v17, v17, v94 :: v_dual_add_f32 v94, v99, v96
	v_sub_f32_e32 v98, v95, v98
	v_sub_f32_e32 v95, v98, v97
	s_delay_alu instid0(VALU_DEP_1) | instskip(NEXT) | instid1(VALU_DEP_4)
	v_add_f32_e32 v17, v95, v17
	v_sub_f32_e32 v95, v94, v99
	s_delay_alu instid0(VALU_DEP_2) | instskip(NEXT) | instid1(VALU_DEP_2)
	v_add_f32_e32 v17, v100, v17
	v_sub_f32_e32 v95, v96, v95
	s_delay_alu instid0(VALU_DEP_2) | instskip(NEXT) | instid1(VALU_DEP_1)
	v_mul_f32_e32 v17, v93, v17
	v_add_f32_e32 v17, v95, v17
	s_delay_alu instid0(VALU_DEP_1) | instskip(NEXT) | instid1(VALU_DEP_1)
	v_add_f32_e32 v93, v94, v17
	v_mul_f32_e32 v95, v93, v93
	s_delay_alu instid0(VALU_DEP_1) | instskip(SKIP_1) | instid1(VALU_DEP_2)
	v_fmaak_f32 v96, s83, v95, 0x3ecc95a3
	v_mul_f32_e32 v97, v93, v95
	v_fmaak_f32 v95, v95, v96, 0x3f2aaada
	v_ldexp_f32 v96, v93, 1
	v_sub_f32_e32 v93, v93, v94
	s_delay_alu instid0(VALU_DEP_3) | instskip(SKIP_1) | instid1(VALU_DEP_2)
	v_mul_f32_e32 v95, v97, v95
	v_mul_f32_e32 v97, 0x3f317218, v92
	v_dual_sub_f32 v17, v17, v93 :: v_dual_add_f32 v94, v96, v95
	s_delay_alu instid0(VALU_DEP_1) | instskip(NEXT) | instid1(VALU_DEP_2)
	v_ldexp_f32 v17, v17, 1
	v_sub_f32_e32 v93, v94, v96
	s_delay_alu instid0(VALU_DEP_4) | instskip(NEXT) | instid1(VALU_DEP_1)
	v_fma_f32 v96, 0x3f317218, v92, -v97
	v_dual_sub_f32 v93, v95, v93 :: v_dual_fmac_f32 v96, 0xb102e308, v92
	s_delay_alu instid0(VALU_DEP_1) | instskip(NEXT) | instid1(VALU_DEP_1)
	v_add_f32_e32 v17, v17, v93
	v_dual_add_f32 v92, v97, v96 :: v_dual_add_f32 v93, v94, v17
	s_delay_alu instid0(VALU_DEP_1) | instskip(NEXT) | instid1(VALU_DEP_2)
	v_sub_f32_e32 v97, v92, v97
	v_dual_add_f32 v95, v92, v93 :: v_dual_sub_f32 v94, v93, v94
	s_delay_alu instid0(VALU_DEP_2) | instskip(NEXT) | instid1(VALU_DEP_2)
	v_sub_f32_e32 v96, v96, v97
	v_dual_sub_f32 v98, v95, v92 :: v_dual_sub_f32 v17, v17, v94
	s_delay_alu instid0(VALU_DEP_1) | instskip(NEXT) | instid1(VALU_DEP_2)
	v_sub_f32_e32 v99, v95, v98
	v_dual_sub_f32 v93, v93, v98 :: v_dual_add_f32 v94, v96, v17
	s_delay_alu instid0(VALU_DEP_2) | instskip(NEXT) | instid1(VALU_DEP_1)
	v_sub_f32_e32 v92, v92, v99
	v_add_f32_e32 v92, v93, v92
	s_delay_alu instid0(VALU_DEP_3) | instskip(NEXT) | instid1(VALU_DEP_2)
	v_sub_f32_e32 v93, v94, v96
	v_add_f32_e32 v92, v94, v92
	s_delay_alu instid0(VALU_DEP_2) | instskip(SKIP_1) | instid1(VALU_DEP_2)
	v_sub_f32_e32 v94, v94, v93
	v_sub_f32_e32 v17, v17, v93
	v_dual_add_f32 v97, v95, v92 :: v_dual_sub_f32 v94, v96, v94
	s_delay_alu instid0(VALU_DEP_1) | instskip(NEXT) | instid1(VALU_DEP_1)
	v_sub_f32_e32 v93, v97, v95
	v_dual_add_f32 v17, v17, v94 :: v_dual_sub_f32 v92, v92, v93
	s_delay_alu instid0(VALU_DEP_1) | instskip(NEXT) | instid1(VALU_DEP_1)
	v_add_f32_e32 v17, v17, v92
	v_add_f32_e32 v17, v97, v17
	s_delay_alu instid0(VALU_DEP_1)
	v_cndmask_b32_e32 v92, v17, v12, vcc_lo
.LBB22_80:                              ;   in Loop: Header=BB22_12 Depth=1
	s_or_b32 exec_lo, exec_lo, s29
	v_and_b32_e32 v12, 0xffff0000, v13
	s_delay_alu instid0(VALU_DEP_1) | instskip(NEXT) | instid1(VALU_DEP_1)
	v_add_f32_e32 v93, s66, v12
	v_cmp_ge_f32_e32 vcc_lo, 0x41a00000, v93
	s_and_b32 s28, s79, vcc_lo
	s_delay_alu instid0(SALU_CYCLE_1)
	s_and_saveexec_b32 s29, s28
	s_cbranch_execz .LBB22_82
; %bb.81:                               ;   in Loop: Header=BB22_12 Depth=1
	v_mul_f32_e32 v12, 0x3fb8aa3b, v93
	v_cmp_ngt_f32_e32 vcc_lo, 0xc2ce8ed0, v93
	s_delay_alu instid0(VALU_DEP_2) | instskip(SKIP_1) | instid1(VALU_DEP_2)
	v_rndne_f32_e32 v13, v12
	v_fma_f32 v17, 0x3fb8aa3b, v93, -v12
	v_sub_f32_e32 v12, v12, v13
	s_delay_alu instid0(VALU_DEP_2) | instskip(SKIP_1) | instid1(VALU_DEP_2)
	v_fmac_f32_e32 v17, 0x32a5705f, v93
	v_cvt_i32_f32_e32 v13, v13
	v_add_f32_e32 v12, v12, v17
	s_delay_alu instid0(VALU_DEP_1) | instskip(SKIP_2) | instid1(VALU_DEP_1)
	v_exp_f32_e32 v12, v12
	s_waitcnt_depctr 0xfff
	v_ldexp_f32 v12, v12, v13
	v_cndmask_b32_e32 v12, 0, v12, vcc_lo
	v_cmp_nlt_f32_e32 vcc_lo, 0x42b17218, v93
	s_delay_alu instid0(VALU_DEP_2) | instskip(NEXT) | instid1(VALU_DEP_1)
	v_cndmask_b32_e32 v17, 0x7f800000, v12, vcc_lo
	v_add_f32_e32 v93, 1.0, v17
	s_delay_alu instid0(VALU_DEP_1) | instskip(NEXT) | instid1(VALU_DEP_1)
	v_cvt_f64_f32_e32 v[12:13], v93
	v_frexp_exp_i32_f64_e32 v12, v[12:13]
	v_frexp_mant_f32_e32 v13, v93
	s_delay_alu instid0(VALU_DEP_1) | instskip(SKIP_1) | instid1(VALU_DEP_1)
	v_cmp_gt_f32_e32 vcc_lo, 0x3f2aaaab, v13
	v_add_f32_e32 v13, -1.0, v93
	v_sub_f32_e32 v95, v13, v93
	s_delay_alu instid0(VALU_DEP_1) | instskip(SKIP_1) | instid1(VALU_DEP_1)
	v_add_f32_e32 v95, 1.0, v95
	v_subrev_co_ci_u32_e32 v12, vcc_lo, 0, v12, vcc_lo
	v_sub_nc_u32_e32 v94, 0, v12
	v_cvt_f32_i32_e32 v12, v12
	s_delay_alu instid0(VALU_DEP_2) | instskip(NEXT) | instid1(VALU_DEP_1)
	v_ldexp_f32 v93, v93, v94
	v_add_f32_e32 v96, 1.0, v93
	v_sub_f32_e32 v13, v17, v13
	v_cmp_eq_f32_e32 vcc_lo, 0x7f800000, v17
	v_cmp_gt_f32_e64 s28, 0x33800000, v17
	s_delay_alu instid0(VALU_DEP_3) | instskip(SKIP_1) | instid1(VALU_DEP_3)
	v_add_f32_e32 v13, v13, v95
	v_add_f32_e32 v95, -1.0, v96
	s_or_b32 vcc_lo, s28, vcc_lo
	s_delay_alu instid0(VALU_DEP_2) | instskip(NEXT) | instid1(VALU_DEP_2)
	v_ldexp_f32 v13, v13, v94
	v_dual_add_f32 v94, -1.0, v93 :: v_dual_sub_f32 v95, v93, v95
	s_delay_alu instid0(VALU_DEP_1) | instskip(NEXT) | instid1(VALU_DEP_2)
	v_add_f32_e32 v97, 1.0, v94
	v_add_f32_e32 v95, v13, v95
	s_delay_alu instid0(VALU_DEP_2) | instskip(NEXT) | instid1(VALU_DEP_1)
	v_sub_f32_e32 v93, v93, v97
	v_add_f32_e32 v13, v13, v93
	s_delay_alu instid0(VALU_DEP_1) | instskip(NEXT) | instid1(VALU_DEP_1)
	v_dual_add_f32 v98, v94, v13 :: v_dual_add_f32 v97, v96, v95
	v_sub_f32_e32 v94, v94, v98
	s_delay_alu instid0(VALU_DEP_2) | instskip(NEXT) | instid1(VALU_DEP_1)
	v_rcp_f32_e32 v93, v97
	v_dual_sub_f32 v96, v96, v97 :: v_dual_add_f32 v13, v13, v94
	s_delay_alu instid0(VALU_DEP_1) | instskip(SKIP_2) | instid1(VALU_DEP_1)
	v_add_f32_e32 v95, v95, v96
	s_waitcnt_depctr 0xfff
	v_mul_f32_e32 v99, v98, v93
	v_mul_f32_e32 v100, v97, v99
	s_delay_alu instid0(VALU_DEP_1) | instskip(NEXT) | instid1(VALU_DEP_1)
	v_fma_f32 v96, v99, v97, -v100
	v_fmac_f32_e32 v96, v99, v95
	s_delay_alu instid0(VALU_DEP_1) | instskip(NEXT) | instid1(VALU_DEP_1)
	v_add_f32_e32 v101, v100, v96
	v_sub_f32_e32 v102, v98, v101
	v_sub_f32_e32 v94, v101, v100
	s_delay_alu instid0(VALU_DEP_2) | instskip(NEXT) | instid1(VALU_DEP_2)
	v_sub_f32_e32 v98, v98, v102
	v_sub_f32_e32 v94, v94, v96
	s_delay_alu instid0(VALU_DEP_2) | instskip(NEXT) | instid1(VALU_DEP_1)
	v_sub_f32_e32 v98, v98, v101
	v_add_f32_e32 v13, v13, v98
	s_delay_alu instid0(VALU_DEP_1) | instskip(NEXT) | instid1(VALU_DEP_1)
	v_add_f32_e32 v13, v94, v13
	v_add_f32_e32 v94, v102, v13
	s_delay_alu instid0(VALU_DEP_1) | instskip(NEXT) | instid1(VALU_DEP_1)
	v_mul_f32_e32 v96, v93, v94
	v_dual_sub_f32 v101, v102, v94 :: v_dual_mul_f32 v98, v97, v96
	s_delay_alu instid0(VALU_DEP_1) | instskip(NEXT) | instid1(VALU_DEP_1)
	v_fma_f32 v97, v96, v97, -v98
	v_fmac_f32_e32 v97, v96, v95
	s_delay_alu instid0(VALU_DEP_1) | instskip(NEXT) | instid1(VALU_DEP_1)
	v_add_f32_e32 v95, v98, v97
	v_dual_add_f32 v13, v13, v101 :: v_dual_sub_f32 v100, v94, v95
	s_delay_alu instid0(VALU_DEP_1) | instskip(NEXT) | instid1(VALU_DEP_1)
	v_sub_f32_e32 v94, v94, v100
	v_sub_f32_e32 v94, v94, v95
	s_delay_alu instid0(VALU_DEP_1) | instskip(SKIP_1) | instid1(VALU_DEP_1)
	v_dual_add_f32 v13, v13, v94 :: v_dual_add_f32 v94, v99, v96
	v_sub_f32_e32 v98, v95, v98
	v_sub_f32_e32 v95, v98, v97
	s_delay_alu instid0(VALU_DEP_1) | instskip(NEXT) | instid1(VALU_DEP_4)
	v_add_f32_e32 v13, v95, v13
	v_sub_f32_e32 v95, v94, v99
	s_delay_alu instid0(VALU_DEP_2) | instskip(NEXT) | instid1(VALU_DEP_2)
	v_add_f32_e32 v13, v100, v13
	v_sub_f32_e32 v95, v96, v95
	s_delay_alu instid0(VALU_DEP_2) | instskip(NEXT) | instid1(VALU_DEP_1)
	v_mul_f32_e32 v13, v93, v13
	v_add_f32_e32 v13, v95, v13
	s_delay_alu instid0(VALU_DEP_1) | instskip(NEXT) | instid1(VALU_DEP_1)
	v_add_f32_e32 v93, v94, v13
	v_mul_f32_e32 v95, v93, v93
	s_delay_alu instid0(VALU_DEP_1) | instskip(SKIP_1) | instid1(VALU_DEP_2)
	v_fmaak_f32 v96, s83, v95, 0x3ecc95a3
	v_mul_f32_e32 v97, v93, v95
	v_fmaak_f32 v95, v95, v96, 0x3f2aaada
	v_ldexp_f32 v96, v93, 1
	v_sub_f32_e32 v93, v93, v94
	s_delay_alu instid0(VALU_DEP_3) | instskip(SKIP_1) | instid1(VALU_DEP_2)
	v_mul_f32_e32 v95, v97, v95
	v_mul_f32_e32 v97, 0x3f317218, v12
	v_dual_sub_f32 v13, v13, v93 :: v_dual_add_f32 v94, v96, v95
	s_delay_alu instid0(VALU_DEP_1) | instskip(NEXT) | instid1(VALU_DEP_2)
	v_ldexp_f32 v13, v13, 1
	v_sub_f32_e32 v93, v94, v96
	s_delay_alu instid0(VALU_DEP_4) | instskip(NEXT) | instid1(VALU_DEP_1)
	v_fma_f32 v96, 0x3f317218, v12, -v97
	v_dual_sub_f32 v93, v95, v93 :: v_dual_fmac_f32 v96, 0xb102e308, v12
	s_delay_alu instid0(VALU_DEP_1) | instskip(NEXT) | instid1(VALU_DEP_2)
	v_add_f32_e32 v12, v13, v93
	v_add_f32_e32 v13, v97, v96
	s_delay_alu instid0(VALU_DEP_2) | instskip(NEXT) | instid1(VALU_DEP_2)
	v_add_f32_e32 v93, v94, v12
	v_sub_f32_e32 v97, v13, v97
	s_delay_alu instid0(VALU_DEP_2) | instskip(SKIP_1) | instid1(VALU_DEP_3)
	v_add_f32_e32 v95, v13, v93
	v_sub_f32_e32 v94, v93, v94
	v_sub_f32_e32 v96, v96, v97
	s_delay_alu instid0(VALU_DEP_3) | instskip(NEXT) | instid1(VALU_DEP_3)
	v_sub_f32_e32 v98, v95, v13
	v_sub_f32_e32 v12, v12, v94
	s_delay_alu instid0(VALU_DEP_2) | instskip(NEXT) | instid1(VALU_DEP_2)
	v_sub_f32_e32 v99, v95, v98
	v_dual_sub_f32 v93, v93, v98 :: v_dual_add_f32 v94, v96, v12
	s_delay_alu instid0(VALU_DEP_2) | instskip(NEXT) | instid1(VALU_DEP_1)
	v_sub_f32_e32 v13, v13, v99
	v_add_f32_e32 v13, v93, v13
	s_delay_alu instid0(VALU_DEP_3) | instskip(NEXT) | instid1(VALU_DEP_2)
	v_sub_f32_e32 v93, v94, v96
	v_add_f32_e32 v13, v94, v13
	s_delay_alu instid0(VALU_DEP_2) | instskip(SKIP_1) | instid1(VALU_DEP_1)
	v_sub_f32_e32 v12, v12, v93
	v_sub_f32_e32 v94, v94, v93
	v_dual_add_f32 v97, v95, v13 :: v_dual_sub_f32 v94, v96, v94
	s_delay_alu instid0(VALU_DEP_1) | instskip(NEXT) | instid1(VALU_DEP_1)
	v_dual_sub_f32 v93, v97, v95 :: v_dual_add_f32 v12, v12, v94
	v_sub_f32_e32 v13, v13, v93
	s_delay_alu instid0(VALU_DEP_1) | instskip(NEXT) | instid1(VALU_DEP_1)
	v_add_f32_e32 v12, v12, v13
	v_add_f32_e32 v12, v97, v12
	s_delay_alu instid0(VALU_DEP_1)
	v_cndmask_b32_e32 v93, v12, v17, vcc_lo
.LBB22_82:                              ;   in Loop: Header=BB22_12 Depth=1
	s_or_b32 exec_lo, exec_lo, s29
	v_lshlrev_b32_e32 v12, 16, v14
	s_delay_alu instid0(VALU_DEP_1) | instskip(NEXT) | instid1(VALU_DEP_1)
	v_add_f32_e32 v94, s66, v12
	v_cmp_ge_f32_e32 vcc_lo, 0x41a00000, v94
	s_and_b32 s28, s79, vcc_lo
	s_delay_alu instid0(SALU_CYCLE_1)
	s_and_saveexec_b32 s29, s28
	s_cbranch_execz .LBB22_84
; %bb.83:                               ;   in Loop: Header=BB22_12 Depth=1
	v_mul_f32_e32 v12, 0x3fb8aa3b, v94
	v_cmp_ngt_f32_e32 vcc_lo, 0xc2ce8ed0, v94
	s_delay_alu instid0(VALU_DEP_2) | instskip(SKIP_1) | instid1(VALU_DEP_1)
	v_rndne_f32_e32 v13, v12
	v_fma_f32 v17, 0x3fb8aa3b, v94, -v12
	v_dual_sub_f32 v12, v12, v13 :: v_dual_fmac_f32 v17, 0x32a5705f, v94
	v_cvt_i32_f32_e32 v13, v13
	s_delay_alu instid0(VALU_DEP_2) | instskip(NEXT) | instid1(VALU_DEP_1)
	v_add_f32_e32 v12, v12, v17
	v_exp_f32_e32 v12, v12
	s_waitcnt_depctr 0xfff
	v_ldexp_f32 v12, v12, v13
	s_delay_alu instid0(VALU_DEP_1) | instskip(SKIP_1) | instid1(VALU_DEP_2)
	v_cndmask_b32_e32 v12, 0, v12, vcc_lo
	v_cmp_nlt_f32_e32 vcc_lo, 0x42b17218, v94
	v_cndmask_b32_e32 v17, 0x7f800000, v12, vcc_lo
	s_delay_alu instid0(VALU_DEP_1) | instskip(NEXT) | instid1(VALU_DEP_1)
	v_add_f32_e32 v94, 1.0, v17
	v_cvt_f64_f32_e32 v[12:13], v94
	s_delay_alu instid0(VALU_DEP_1) | instskip(SKIP_1) | instid1(VALU_DEP_1)
	v_frexp_exp_i32_f64_e32 v12, v[12:13]
	v_frexp_mant_f32_e32 v13, v94
	v_cmp_gt_f32_e32 vcc_lo, 0x3f2aaaab, v13
	v_add_f32_e32 v13, -1.0, v94
	s_delay_alu instid0(VALU_DEP_1) | instskip(SKIP_2) | instid1(VALU_DEP_3)
	v_sub_f32_e32 v96, v13, v94
	v_sub_f32_e32 v13, v17, v13
	v_cmp_gt_f32_e64 s28, 0x33800000, v17
	v_add_f32_e32 v96, 1.0, v96
	s_delay_alu instid0(VALU_DEP_1) | instskip(SKIP_2) | instid1(VALU_DEP_2)
	v_add_f32_e32 v13, v13, v96
	v_subrev_co_ci_u32_e32 v12, vcc_lo, 0, v12, vcc_lo
	v_cmp_eq_f32_e32 vcc_lo, 0x7f800000, v17
	v_sub_nc_u32_e32 v95, 0, v12
	v_cvt_f32_i32_e32 v12, v12
	s_or_b32 vcc_lo, s28, vcc_lo
	s_delay_alu instid0(VALU_DEP_2) | instskip(SKIP_1) | instid1(VALU_DEP_2)
	v_ldexp_f32 v94, v94, v95
	v_ldexp_f32 v13, v13, v95
	v_add_f32_e32 v95, -1.0, v94
	s_delay_alu instid0(VALU_DEP_1) | instskip(NEXT) | instid1(VALU_DEP_1)
	v_dual_add_f32 v97, 1.0, v94 :: v_dual_add_f32 v98, 1.0, v95
	v_add_f32_e32 v96, -1.0, v97
	s_delay_alu instid0(VALU_DEP_1) | instskip(NEXT) | instid1(VALU_DEP_3)
	v_sub_f32_e32 v96, v94, v96
	v_sub_f32_e32 v94, v94, v98
	s_delay_alu instid0(VALU_DEP_2) | instskip(NEXT) | instid1(VALU_DEP_2)
	v_add_f32_e32 v96, v13, v96
	v_add_f32_e32 v13, v13, v94
	s_delay_alu instid0(VALU_DEP_1) | instskip(NEXT) | instid1(VALU_DEP_1)
	v_dual_add_f32 v99, v95, v13 :: v_dual_add_f32 v98, v97, v96
	v_sub_f32_e32 v95, v95, v99
	s_delay_alu instid0(VALU_DEP_2) | instskip(SKIP_1) | instid1(VALU_DEP_1)
	v_rcp_f32_e32 v94, v98
	v_sub_f32_e32 v97, v97, v98
	v_dual_add_f32 v13, v13, v95 :: v_dual_add_f32 v96, v96, v97
	s_waitcnt_depctr 0xfff
	v_mul_f32_e32 v100, v99, v94
	s_delay_alu instid0(VALU_DEP_1) | instskip(NEXT) | instid1(VALU_DEP_1)
	v_mul_f32_e32 v101, v98, v100
	v_fma_f32 v97, v100, v98, -v101
	s_delay_alu instid0(VALU_DEP_1) | instskip(NEXT) | instid1(VALU_DEP_1)
	v_fmac_f32_e32 v97, v100, v96
	v_add_f32_e32 v102, v101, v97
	s_delay_alu instid0(VALU_DEP_1) | instskip(SKIP_1) | instid1(VALU_DEP_2)
	v_sub_f32_e32 v103, v99, v102
	v_sub_f32_e32 v95, v102, v101
	v_sub_f32_e32 v99, v99, v103
	s_delay_alu instid0(VALU_DEP_2) | instskip(NEXT) | instid1(VALU_DEP_2)
	v_sub_f32_e32 v95, v95, v97
	v_sub_f32_e32 v99, v99, v102
	s_delay_alu instid0(VALU_DEP_1) | instskip(NEXT) | instid1(VALU_DEP_1)
	v_add_f32_e32 v13, v13, v99
	v_add_f32_e32 v13, v95, v13
	s_delay_alu instid0(VALU_DEP_1) | instskip(NEXT) | instid1(VALU_DEP_1)
	v_add_f32_e32 v95, v103, v13
	v_mul_f32_e32 v97, v94, v95
	s_delay_alu instid0(VALU_DEP_1) | instskip(NEXT) | instid1(VALU_DEP_1)
	v_dual_sub_f32 v102, v103, v95 :: v_dual_mul_f32 v99, v98, v97
	v_add_f32_e32 v13, v13, v102
	s_delay_alu instid0(VALU_DEP_2) | instskip(NEXT) | instid1(VALU_DEP_1)
	v_fma_f32 v98, v97, v98, -v99
	v_fmac_f32_e32 v98, v97, v96
	s_delay_alu instid0(VALU_DEP_1) | instskip(NEXT) | instid1(VALU_DEP_1)
	v_add_f32_e32 v96, v99, v98
	v_sub_f32_e32 v101, v95, v96
	s_delay_alu instid0(VALU_DEP_1) | instskip(NEXT) | instid1(VALU_DEP_1)
	v_sub_f32_e32 v95, v95, v101
	v_sub_f32_e32 v95, v95, v96
	s_delay_alu instid0(VALU_DEP_1) | instskip(SKIP_2) | instid1(VALU_DEP_1)
	v_add_f32_e32 v13, v13, v95
	v_add_f32_e32 v95, v100, v97
	v_sub_f32_e32 v99, v96, v99
	v_sub_f32_e32 v96, v99, v98
	s_delay_alu instid0(VALU_DEP_1) | instskip(NEXT) | instid1(VALU_DEP_1)
	v_dual_add_f32 v13, v96, v13 :: v_dual_sub_f32 v96, v95, v100
	v_add_f32_e32 v13, v101, v13
	s_delay_alu instid0(VALU_DEP_1) | instskip(NEXT) | instid1(VALU_DEP_1)
	v_dual_sub_f32 v96, v97, v96 :: v_dual_mul_f32 v13, v94, v13
	v_add_f32_e32 v13, v96, v13
	s_delay_alu instid0(VALU_DEP_1) | instskip(NEXT) | instid1(VALU_DEP_1)
	v_add_f32_e32 v94, v95, v13
	v_mul_f32_e32 v96, v94, v94
	s_delay_alu instid0(VALU_DEP_1) | instskip(SKIP_1) | instid1(VALU_DEP_2)
	v_fmaak_f32 v97, s83, v96, 0x3ecc95a3
	v_mul_f32_e32 v98, v94, v96
	v_fmaak_f32 v96, v96, v97, 0x3f2aaada
	v_ldexp_f32 v97, v94, 1
	v_sub_f32_e32 v94, v94, v95
	s_delay_alu instid0(VALU_DEP_3) | instskip(NEXT) | instid1(VALU_DEP_2)
	v_mul_f32_e32 v96, v98, v96
	v_dual_mul_f32 v98, 0x3f317218, v12 :: v_dual_sub_f32 v13, v13, v94
	s_delay_alu instid0(VALU_DEP_2) | instskip(NEXT) | instid1(VALU_DEP_2)
	v_add_f32_e32 v95, v97, v96
	v_ldexp_f32 v13, v13, 1
	s_delay_alu instid0(VALU_DEP_2) | instskip(NEXT) | instid1(VALU_DEP_4)
	v_sub_f32_e32 v94, v95, v97
	v_fma_f32 v97, 0x3f317218, v12, -v98
	s_delay_alu instid0(VALU_DEP_1) | instskip(NEXT) | instid1(VALU_DEP_1)
	v_dual_sub_f32 v94, v96, v94 :: v_dual_fmac_f32 v97, 0xb102e308, v12
	v_add_f32_e32 v12, v13, v94
	s_delay_alu instid0(VALU_DEP_1) | instskip(NEXT) | instid1(VALU_DEP_1)
	v_add_f32_e32 v94, v95, v12
	v_sub_f32_e32 v95, v94, v95
	s_delay_alu instid0(VALU_DEP_1) | instskip(NEXT) | instid1(VALU_DEP_1)
	v_dual_sub_f32 v12, v12, v95 :: v_dual_add_f32 v13, v98, v97
	v_add_f32_e32 v96, v13, v94
	s_delay_alu instid0(VALU_DEP_1) | instskip(NEXT) | instid1(VALU_DEP_1)
	v_dual_sub_f32 v98, v13, v98 :: v_dual_sub_f32 v99, v96, v13
	v_dual_sub_f32 v97, v97, v98 :: v_dual_sub_f32 v100, v96, v99
	s_delay_alu instid0(VALU_DEP_1) | instskip(NEXT) | instid1(VALU_DEP_2)
	v_dual_sub_f32 v94, v94, v99 :: v_dual_add_f32 v95, v97, v12
	v_sub_f32_e32 v13, v13, v100
	s_delay_alu instid0(VALU_DEP_1) | instskip(NEXT) | instid1(VALU_DEP_3)
	v_add_f32_e32 v13, v94, v13
	v_sub_f32_e32 v94, v95, v97
	s_delay_alu instid0(VALU_DEP_2) | instskip(NEXT) | instid1(VALU_DEP_2)
	v_add_f32_e32 v13, v95, v13
	v_sub_f32_e32 v95, v95, v94
	v_sub_f32_e32 v12, v12, v94
	s_delay_alu instid0(VALU_DEP_2) | instskip(NEXT) | instid1(VALU_DEP_1)
	v_dual_add_f32 v98, v96, v13 :: v_dual_sub_f32 v95, v97, v95
	v_sub_f32_e32 v94, v98, v96
	s_delay_alu instid0(VALU_DEP_1) | instskip(NEXT) | instid1(VALU_DEP_1)
	v_dual_add_f32 v12, v12, v95 :: v_dual_sub_f32 v13, v13, v94
	v_add_f32_e32 v12, v12, v13
	s_delay_alu instid0(VALU_DEP_1) | instskip(NEXT) | instid1(VALU_DEP_1)
	v_add_f32_e32 v12, v98, v12
	v_cndmask_b32_e32 v94, v12, v17, vcc_lo
.LBB22_84:                              ;   in Loop: Header=BB22_12 Depth=1
	s_or_b32 exec_lo, exec_lo, s29
	v_and_b32_e32 v12, 0xffff0000, v14
	s_delay_alu instid0(VALU_DEP_1) | instskip(NEXT) | instid1(VALU_DEP_1)
	v_add_f32_e32 v95, s66, v12
	v_cmp_ge_f32_e32 vcc_lo, 0x41a00000, v95
	s_and_b32 s28, s79, vcc_lo
	s_delay_alu instid0(SALU_CYCLE_1)
	s_and_saveexec_b32 s29, s28
	s_cbranch_execz .LBB22_86
; %bb.85:                               ;   in Loop: Header=BB22_12 Depth=1
	v_mul_f32_e32 v12, 0x3fb8aa3b, v95
	v_cmp_ngt_f32_e32 vcc_lo, 0xc2ce8ed0, v95
	s_delay_alu instid0(VALU_DEP_2) | instskip(SKIP_1) | instid1(VALU_DEP_2)
	v_rndne_f32_e32 v13, v12
	v_fma_f32 v14, 0x3fb8aa3b, v95, -v12
	v_sub_f32_e32 v12, v12, v13
	s_delay_alu instid0(VALU_DEP_2) | instskip(SKIP_1) | instid1(VALU_DEP_2)
	v_fmac_f32_e32 v14, 0x32a5705f, v95
	v_cvt_i32_f32_e32 v13, v13
	v_add_f32_e32 v12, v12, v14
	s_delay_alu instid0(VALU_DEP_1) | instskip(SKIP_2) | instid1(VALU_DEP_1)
	v_exp_f32_e32 v12, v12
	s_waitcnt_depctr 0xfff
	v_ldexp_f32 v12, v12, v13
	v_cndmask_b32_e32 v12, 0, v12, vcc_lo
	v_cmp_nlt_f32_e32 vcc_lo, 0x42b17218, v95
	s_delay_alu instid0(VALU_DEP_2) | instskip(NEXT) | instid1(VALU_DEP_1)
	v_cndmask_b32_e32 v14, 0x7f800000, v12, vcc_lo
	v_add_f32_e32 v17, 1.0, v14
	s_delay_alu instid0(VALU_DEP_1) | instskip(NEXT) | instid1(VALU_DEP_1)
	v_cvt_f64_f32_e32 v[12:13], v17
	v_frexp_exp_i32_f64_e32 v12, v[12:13]
	v_frexp_mant_f32_e32 v13, v17
	s_delay_alu instid0(VALU_DEP_1) | instskip(SKIP_1) | instid1(VALU_DEP_1)
	v_cmp_gt_f32_e32 vcc_lo, 0x3f2aaaab, v13
	v_add_f32_e32 v13, -1.0, v17
	v_sub_f32_e32 v96, v13, v17
	v_sub_f32_e32 v13, v14, v13
	v_subrev_co_ci_u32_e32 v12, vcc_lo, 0, v12, vcc_lo
	s_delay_alu instid0(VALU_DEP_1) | instskip(SKIP_1) | instid1(VALU_DEP_2)
	v_sub_nc_u32_e32 v95, 0, v12
	v_cvt_f32_i32_e32 v12, v12
	v_ldexp_f32 v17, v17, v95
	s_delay_alu instid0(VALU_DEP_1) | instskip(NEXT) | instid1(VALU_DEP_1)
	v_dual_add_f32 v96, 1.0, v96 :: v_dual_add_f32 v97, 1.0, v17
	v_dual_add_f32 v13, v13, v96 :: v_dual_add_f32 v96, -1.0, v97
	s_delay_alu instid0(VALU_DEP_1) | instskip(SKIP_4) | instid1(VALU_DEP_4)
	v_ldexp_f32 v13, v13, v95
	v_add_f32_e32 v95, -1.0, v17
	v_cmp_eq_f32_e32 vcc_lo, 0x7f800000, v14
	v_cmp_gt_f32_e64 s28, 0x33800000, v14
	v_sub_f32_e32 v96, v17, v96
	v_add_f32_e32 v98, 1.0, v95
	s_delay_alu instid0(VALU_DEP_3) | instskip(NEXT) | instid1(VALU_DEP_2)
	s_or_b32 vcc_lo, s28, vcc_lo
	v_add_f32_e32 v96, v13, v96
	s_delay_alu instid0(VALU_DEP_2) | instskip(NEXT) | instid1(VALU_DEP_1)
	v_sub_f32_e32 v17, v17, v98
	v_add_f32_e32 v13, v13, v17
	s_delay_alu instid0(VALU_DEP_1) | instskip(NEXT) | instid1(VALU_DEP_1)
	v_dual_add_f32 v99, v95, v13 :: v_dual_add_f32 v98, v97, v96
	v_sub_f32_e32 v95, v95, v99
	s_delay_alu instid0(VALU_DEP_2) | instskip(SKIP_1) | instid1(VALU_DEP_1)
	v_rcp_f32_e32 v17, v98
	v_sub_f32_e32 v97, v97, v98
	v_dual_add_f32 v13, v13, v95 :: v_dual_add_f32 v96, v96, v97
	s_waitcnt_depctr 0xfff
	v_mul_f32_e32 v100, v99, v17
	s_delay_alu instid0(VALU_DEP_1) | instskip(NEXT) | instid1(VALU_DEP_1)
	v_mul_f32_e32 v101, v98, v100
	v_fma_f32 v97, v100, v98, -v101
	s_delay_alu instid0(VALU_DEP_1) | instskip(NEXT) | instid1(VALU_DEP_1)
	v_fmac_f32_e32 v97, v100, v96
	v_add_f32_e32 v102, v101, v97
	s_delay_alu instid0(VALU_DEP_1) | instskip(NEXT) | instid1(VALU_DEP_1)
	v_sub_f32_e32 v103, v99, v102
	v_sub_f32_e32 v99, v99, v103
	;; [unrolled: 1-line block ×3, first 2 shown]
	s_delay_alu instid0(VALU_DEP_2) | instskip(NEXT) | instid1(VALU_DEP_2)
	v_sub_f32_e32 v99, v99, v102
	v_sub_f32_e32 v95, v95, v97
	s_delay_alu instid0(VALU_DEP_2) | instskip(NEXT) | instid1(VALU_DEP_1)
	v_add_f32_e32 v13, v13, v99
	v_add_f32_e32 v13, v95, v13
	s_delay_alu instid0(VALU_DEP_1) | instskip(NEXT) | instid1(VALU_DEP_1)
	v_add_f32_e32 v95, v103, v13
	v_mul_f32_e32 v97, v17, v95
	s_delay_alu instid0(VALU_DEP_1) | instskip(NEXT) | instid1(VALU_DEP_1)
	v_dual_sub_f32 v102, v103, v95 :: v_dual_mul_f32 v99, v98, v97
	v_add_f32_e32 v13, v13, v102
	s_delay_alu instid0(VALU_DEP_2) | instskip(NEXT) | instid1(VALU_DEP_1)
	v_fma_f32 v98, v97, v98, -v99
	v_fmac_f32_e32 v98, v97, v96
	s_delay_alu instid0(VALU_DEP_1) | instskip(NEXT) | instid1(VALU_DEP_1)
	v_add_f32_e32 v96, v99, v98
	v_sub_f32_e32 v101, v95, v96
	v_sub_f32_e32 v99, v96, v99
	s_delay_alu instid0(VALU_DEP_2) | instskip(NEXT) | instid1(VALU_DEP_1)
	v_sub_f32_e32 v95, v95, v101
	v_sub_f32_e32 v95, v95, v96
	s_delay_alu instid0(VALU_DEP_1) | instskip(SKIP_1) | instid1(VALU_DEP_1)
	v_dual_sub_f32 v96, v99, v98 :: v_dual_add_f32 v13, v13, v95
	v_add_f32_e32 v95, v100, v97
	v_dual_add_f32 v13, v96, v13 :: v_dual_sub_f32 v96, v95, v100
	s_delay_alu instid0(VALU_DEP_1) | instskip(NEXT) | instid1(VALU_DEP_2)
	v_add_f32_e32 v13, v101, v13
	v_sub_f32_e32 v96, v97, v96
	s_delay_alu instid0(VALU_DEP_2) | instskip(NEXT) | instid1(VALU_DEP_1)
	v_mul_f32_e32 v13, v17, v13
	v_add_f32_e32 v13, v96, v13
	s_delay_alu instid0(VALU_DEP_1) | instskip(NEXT) | instid1(VALU_DEP_1)
	v_add_f32_e32 v17, v95, v13
	v_mul_f32_e32 v96, v17, v17
	s_delay_alu instid0(VALU_DEP_1) | instskip(SKIP_1) | instid1(VALU_DEP_2)
	v_fmaak_f32 v97, s83, v96, 0x3ecc95a3
	v_mul_f32_e32 v98, v17, v96
	v_fmaak_f32 v96, v96, v97, 0x3f2aaada
	v_ldexp_f32 v97, v17, 1
	s_delay_alu instid0(VALU_DEP_2) | instskip(NEXT) | instid1(VALU_DEP_1)
	v_dual_sub_f32 v17, v17, v95 :: v_dual_mul_f32 v96, v98, v96
	v_dual_mul_f32 v98, 0x3f317218, v12 :: v_dual_sub_f32 v13, v13, v17
	s_delay_alu instid0(VALU_DEP_2) | instskip(NEXT) | instid1(VALU_DEP_2)
	v_add_f32_e32 v95, v97, v96
	v_ldexp_f32 v13, v13, 1
	s_delay_alu instid0(VALU_DEP_2) | instskip(NEXT) | instid1(VALU_DEP_4)
	v_sub_f32_e32 v17, v95, v97
	v_fma_f32 v97, 0x3f317218, v12, -v98
	s_delay_alu instid0(VALU_DEP_2) | instskip(NEXT) | instid1(VALU_DEP_1)
	v_sub_f32_e32 v17, v96, v17
	v_dual_fmac_f32 v97, 0xb102e308, v12 :: v_dual_add_f32 v12, v13, v17
	s_delay_alu instid0(VALU_DEP_1) | instskip(NEXT) | instid1(VALU_DEP_1)
	v_add_f32_e32 v13, v98, v97
	v_dual_add_f32 v17, v95, v12 :: v_dual_sub_f32 v98, v13, v98
	s_delay_alu instid0(VALU_DEP_1) | instskip(SKIP_1) | instid1(VALU_DEP_3)
	v_add_f32_e32 v96, v13, v17
	v_sub_f32_e32 v95, v17, v95
	v_sub_f32_e32 v97, v97, v98
	s_delay_alu instid0(VALU_DEP_3) | instskip(NEXT) | instid1(VALU_DEP_3)
	v_sub_f32_e32 v99, v96, v13
	v_sub_f32_e32 v12, v12, v95
	s_delay_alu instid0(VALU_DEP_2) | instskip(SKIP_1) | instid1(VALU_DEP_3)
	v_sub_f32_e32 v100, v96, v99
	v_sub_f32_e32 v17, v17, v99
	v_add_f32_e32 v95, v97, v12
	s_delay_alu instid0(VALU_DEP_3) | instskip(NEXT) | instid1(VALU_DEP_1)
	v_sub_f32_e32 v13, v13, v100
	v_add_f32_e32 v13, v17, v13
	s_delay_alu instid0(VALU_DEP_3) | instskip(NEXT) | instid1(VALU_DEP_2)
	v_sub_f32_e32 v17, v95, v97
	v_add_f32_e32 v13, v95, v13
	s_delay_alu instid0(VALU_DEP_2) | instskip(SKIP_1) | instid1(VALU_DEP_2)
	v_sub_f32_e32 v95, v95, v17
	v_sub_f32_e32 v12, v12, v17
	v_dual_add_f32 v98, v96, v13 :: v_dual_sub_f32 v95, v97, v95
	s_delay_alu instid0(VALU_DEP_1) | instskip(NEXT) | instid1(VALU_DEP_1)
	v_dual_sub_f32 v17, v98, v96 :: v_dual_add_f32 v12, v12, v95
	v_sub_f32_e32 v13, v13, v17
	s_delay_alu instid0(VALU_DEP_1) | instskip(NEXT) | instid1(VALU_DEP_1)
	v_add_f32_e32 v12, v12, v13
	v_add_f32_e32 v12, v98, v12
	s_delay_alu instid0(VALU_DEP_1)
	v_cndmask_b32_e32 v95, v12, v14, vcc_lo
.LBB22_86:                              ;   in Loop: Header=BB22_12 Depth=1
	s_or_b32 exec_lo, exec_lo, s29
	v_lshlrev_b32_e32 v12, 16, v15
	s_delay_alu instid0(VALU_DEP_1) | instskip(NEXT) | instid1(VALU_DEP_1)
	v_add_f32_e32 v96, s66, v12
	v_cmp_ge_f32_e32 vcc_lo, 0x41a00000, v96
	s_and_b32 s28, s79, vcc_lo
	s_delay_alu instid0(SALU_CYCLE_1)
	s_and_saveexec_b32 s29, s28
	s_cbranch_execz .LBB22_88
; %bb.87:                               ;   in Loop: Header=BB22_12 Depth=1
	v_mul_f32_e32 v12, 0x3fb8aa3b, v96
	v_cmp_ngt_f32_e32 vcc_lo, 0xc2ce8ed0, v96
	s_delay_alu instid0(VALU_DEP_2) | instskip(SKIP_1) | instid1(VALU_DEP_2)
	v_rndne_f32_e32 v13, v12
	v_fma_f32 v14, 0x3fb8aa3b, v96, -v12
	v_sub_f32_e32 v12, v12, v13
	s_delay_alu instid0(VALU_DEP_2) | instskip(SKIP_1) | instid1(VALU_DEP_2)
	v_fmac_f32_e32 v14, 0x32a5705f, v96
	v_cvt_i32_f32_e32 v13, v13
	v_add_f32_e32 v12, v12, v14
	s_delay_alu instid0(VALU_DEP_1) | instskip(SKIP_2) | instid1(VALU_DEP_1)
	v_exp_f32_e32 v12, v12
	s_waitcnt_depctr 0xfff
	v_ldexp_f32 v12, v12, v13
	v_cndmask_b32_e32 v12, 0, v12, vcc_lo
	v_cmp_nlt_f32_e32 vcc_lo, 0x42b17218, v96
	s_delay_alu instid0(VALU_DEP_2) | instskip(NEXT) | instid1(VALU_DEP_1)
	v_cndmask_b32_e32 v14, 0x7f800000, v12, vcc_lo
	v_add_f32_e32 v17, 1.0, v14
	s_delay_alu instid0(VALU_DEP_1) | instskip(NEXT) | instid1(VALU_DEP_1)
	v_cvt_f64_f32_e32 v[12:13], v17
	v_frexp_exp_i32_f64_e32 v12, v[12:13]
	v_frexp_mant_f32_e32 v13, v17
	s_delay_alu instid0(VALU_DEP_1) | instskip(SKIP_1) | instid1(VALU_DEP_1)
	v_cmp_gt_f32_e32 vcc_lo, 0x3f2aaaab, v13
	v_add_f32_e32 v13, -1.0, v17
	v_sub_f32_e32 v97, v13, v17
	s_delay_alu instid0(VALU_DEP_1) | instskip(SKIP_2) | instid1(VALU_DEP_2)
	v_add_f32_e32 v97, 1.0, v97
	v_sub_f32_e32 v13, v14, v13
	v_cmp_gt_f32_e64 s28, 0x33800000, v14
	v_add_f32_e32 v13, v13, v97
	v_subrev_co_ci_u32_e32 v12, vcc_lo, 0, v12, vcc_lo
	v_cmp_eq_f32_e32 vcc_lo, 0x7f800000, v14
	s_delay_alu instid0(VALU_DEP_2) | instskip(SKIP_2) | instid1(VALU_DEP_2)
	v_sub_nc_u32_e32 v96, 0, v12
	v_cvt_f32_i32_e32 v12, v12
	s_or_b32 vcc_lo, s28, vcc_lo
	v_ldexp_f32 v17, v17, v96
	v_ldexp_f32 v13, v13, v96
	s_delay_alu instid0(VALU_DEP_2) | instskip(NEXT) | instid1(VALU_DEP_1)
	v_add_f32_e32 v96, -1.0, v17
	v_dual_add_f32 v98, 1.0, v17 :: v_dual_add_f32 v99, 1.0, v96
	s_delay_alu instid0(VALU_DEP_1) | instskip(NEXT) | instid1(VALU_DEP_1)
	v_add_f32_e32 v97, -1.0, v98
	v_sub_f32_e32 v97, v17, v97
	s_delay_alu instid0(VALU_DEP_3) | instskip(NEXT) | instid1(VALU_DEP_2)
	v_sub_f32_e32 v17, v17, v99
	v_add_f32_e32 v97, v13, v97
	s_delay_alu instid0(VALU_DEP_2) | instskip(NEXT) | instid1(VALU_DEP_1)
	v_add_f32_e32 v13, v13, v17
	v_add_f32_e32 v100, v96, v13
	s_delay_alu instid0(VALU_DEP_1) | instskip(NEXT) | instid1(VALU_DEP_1)
	v_dual_sub_f32 v96, v96, v100 :: v_dual_add_f32 v99, v98, v97
	v_add_f32_e32 v13, v13, v96
	s_delay_alu instid0(VALU_DEP_2) | instskip(SKIP_1) | instid1(VALU_DEP_1)
	v_rcp_f32_e32 v17, v99
	v_sub_f32_e32 v98, v98, v99
	v_add_f32_e32 v97, v97, v98
	s_waitcnt_depctr 0xfff
	v_mul_f32_e32 v101, v100, v17
	s_delay_alu instid0(VALU_DEP_1) | instskip(NEXT) | instid1(VALU_DEP_1)
	v_mul_f32_e32 v102, v99, v101
	v_fma_f32 v98, v101, v99, -v102
	s_delay_alu instid0(VALU_DEP_1) | instskip(NEXT) | instid1(VALU_DEP_1)
	v_fmac_f32_e32 v98, v101, v97
	v_add_f32_e32 v103, v102, v98
	s_delay_alu instid0(VALU_DEP_1) | instskip(SKIP_1) | instid1(VALU_DEP_2)
	v_sub_f32_e32 v104, v100, v103
	v_sub_f32_e32 v96, v103, v102
	;; [unrolled: 1-line block ×3, first 2 shown]
	s_delay_alu instid0(VALU_DEP_1) | instskip(NEXT) | instid1(VALU_DEP_1)
	v_sub_f32_e32 v100, v100, v103
	v_dual_sub_f32 v96, v96, v98 :: v_dual_add_f32 v13, v13, v100
	s_delay_alu instid0(VALU_DEP_1) | instskip(NEXT) | instid1(VALU_DEP_1)
	v_add_f32_e32 v13, v96, v13
	v_add_f32_e32 v96, v104, v13
	s_delay_alu instid0(VALU_DEP_1) | instskip(NEXT) | instid1(VALU_DEP_1)
	v_mul_f32_e32 v98, v17, v96
	v_dual_sub_f32 v103, v104, v96 :: v_dual_mul_f32 v100, v99, v98
	s_delay_alu instid0(VALU_DEP_1) | instskip(NEXT) | instid1(VALU_DEP_2)
	v_add_f32_e32 v13, v13, v103
	v_fma_f32 v99, v98, v99, -v100
	s_delay_alu instid0(VALU_DEP_1) | instskip(NEXT) | instid1(VALU_DEP_1)
	v_fmac_f32_e32 v99, v98, v97
	v_add_f32_e32 v97, v100, v99
	s_delay_alu instid0(VALU_DEP_1) | instskip(NEXT) | instid1(VALU_DEP_1)
	v_sub_f32_e32 v102, v96, v97
	v_sub_f32_e32 v96, v96, v102
	s_delay_alu instid0(VALU_DEP_1) | instskip(NEXT) | instid1(VALU_DEP_1)
	v_sub_f32_e32 v96, v96, v97
	v_add_f32_e32 v13, v13, v96
	v_add_f32_e32 v96, v101, v98
	v_sub_f32_e32 v100, v97, v100
	s_delay_alu instid0(VALU_DEP_1) | instskip(NEXT) | instid1(VALU_DEP_1)
	v_sub_f32_e32 v97, v100, v99
	v_add_f32_e32 v13, v97, v13
	s_delay_alu instid0(VALU_DEP_4) | instskip(NEXT) | instid1(VALU_DEP_2)
	v_sub_f32_e32 v97, v96, v101
	v_add_f32_e32 v13, v102, v13
	s_delay_alu instid0(VALU_DEP_2) | instskip(NEXT) | instid1(VALU_DEP_2)
	v_sub_f32_e32 v97, v98, v97
	v_mul_f32_e32 v13, v17, v13
	s_delay_alu instid0(VALU_DEP_1) | instskip(NEXT) | instid1(VALU_DEP_1)
	v_add_f32_e32 v13, v97, v13
	v_add_f32_e32 v17, v96, v13
	s_delay_alu instid0(VALU_DEP_1) | instskip(NEXT) | instid1(VALU_DEP_1)
	v_mul_f32_e32 v97, v17, v17
	v_fmaak_f32 v98, s83, v97, 0x3ecc95a3
	v_mul_f32_e32 v99, v17, v97
	s_delay_alu instid0(VALU_DEP_2) | instskip(SKIP_1) | instid1(VALU_DEP_2)
	v_fmaak_f32 v97, v97, v98, 0x3f2aaada
	v_ldexp_f32 v98, v17, 1
	v_mul_f32_e32 v97, v99, v97
	s_delay_alu instid0(VALU_DEP_1) | instskip(NEXT) | instid1(VALU_DEP_1)
	v_dual_sub_f32 v17, v17, v96 :: v_dual_add_f32 v96, v98, v97
	v_sub_f32_e32 v13, v13, v17
	s_delay_alu instid0(VALU_DEP_2) | instskip(NEXT) | instid1(VALU_DEP_2)
	v_sub_f32_e32 v17, v96, v98
	v_ldexp_f32 v13, v13, 1
	s_delay_alu instid0(VALU_DEP_2) | instskip(SKIP_1) | instid1(VALU_DEP_1)
	v_sub_f32_e32 v17, v97, v17
	v_mul_f32_e32 v99, 0x3f317218, v12
	v_fma_f32 v98, 0x3f317218, v12, -v99
	s_delay_alu instid0(VALU_DEP_1) | instskip(NEXT) | instid1(VALU_DEP_1)
	v_fmac_f32_e32 v98, 0xb102e308, v12
	v_dual_add_f32 v12, v13, v17 :: v_dual_add_f32 v13, v99, v98
	s_delay_alu instid0(VALU_DEP_1) | instskip(NEXT) | instid1(VALU_DEP_1)
	v_add_f32_e32 v17, v96, v12
	v_add_f32_e32 v97, v13, v17
	v_sub_f32_e32 v96, v17, v96
	s_delay_alu instid0(VALU_DEP_2) | instskip(NEXT) | instid1(VALU_DEP_2)
	v_sub_f32_e32 v100, v97, v13
	v_dual_sub_f32 v12, v12, v96 :: v_dual_sub_f32 v99, v13, v99
	s_delay_alu instid0(VALU_DEP_2) | instskip(NEXT) | instid1(VALU_DEP_2)
	v_sub_f32_e32 v101, v97, v100
	v_dual_sub_f32 v17, v17, v100 :: v_dual_sub_f32 v98, v98, v99
	s_delay_alu instid0(VALU_DEP_1) | instskip(NEXT) | instid1(VALU_DEP_1)
	v_dual_sub_f32 v13, v13, v101 :: v_dual_add_f32 v96, v98, v12
	v_add_f32_e32 v13, v17, v13
	s_delay_alu instid0(VALU_DEP_2) | instskip(NEXT) | instid1(VALU_DEP_2)
	v_sub_f32_e32 v17, v96, v98
	v_add_f32_e32 v13, v96, v13
	s_delay_alu instid0(VALU_DEP_2) | instskip(SKIP_1) | instid1(VALU_DEP_2)
	v_sub_f32_e32 v96, v96, v17
	v_sub_f32_e32 v12, v12, v17
	v_dual_add_f32 v99, v97, v13 :: v_dual_sub_f32 v96, v98, v96
	s_delay_alu instid0(VALU_DEP_1) | instskip(NEXT) | instid1(VALU_DEP_1)
	v_dual_sub_f32 v17, v99, v97 :: v_dual_add_f32 v12, v12, v96
	v_sub_f32_e32 v13, v13, v17
	s_delay_alu instid0(VALU_DEP_1) | instskip(NEXT) | instid1(VALU_DEP_1)
	v_add_f32_e32 v12, v12, v13
	v_add_f32_e32 v12, v99, v12
	s_delay_alu instid0(VALU_DEP_1)
	v_cndmask_b32_e32 v96, v12, v14, vcc_lo
.LBB22_88:                              ;   in Loop: Header=BB22_12 Depth=1
	s_or_b32 exec_lo, exec_lo, s29
	v_and_b32_e32 v12, 0xffff0000, v15
	s_delay_alu instid0(VALU_DEP_1) | instskip(NEXT) | instid1(VALU_DEP_1)
	v_add_f32_e32 v97, s66, v12
	v_cmp_ge_f32_e32 vcc_lo, 0x41a00000, v97
	s_and_b32 s28, s79, vcc_lo
	s_delay_alu instid0(SALU_CYCLE_1)
	s_and_saveexec_b32 s29, s28
	s_cbranch_execz .LBB22_90
; %bb.89:                               ;   in Loop: Header=BB22_12 Depth=1
	v_mul_f32_e32 v12, 0x3fb8aa3b, v97
	v_cmp_ngt_f32_e32 vcc_lo, 0xc2ce8ed0, v97
	s_delay_alu instid0(VALU_DEP_2) | instskip(SKIP_1) | instid1(VALU_DEP_2)
	v_rndne_f32_e32 v13, v12
	v_fma_f32 v14, 0x3fb8aa3b, v97, -v12
	v_sub_f32_e32 v12, v12, v13
	s_delay_alu instid0(VALU_DEP_2) | instskip(SKIP_1) | instid1(VALU_DEP_2)
	v_fmac_f32_e32 v14, 0x32a5705f, v97
	v_cvt_i32_f32_e32 v13, v13
	v_add_f32_e32 v12, v12, v14
	s_delay_alu instid0(VALU_DEP_1) | instskip(SKIP_2) | instid1(VALU_DEP_1)
	v_exp_f32_e32 v12, v12
	s_waitcnt_depctr 0xfff
	v_ldexp_f32 v12, v12, v13
	v_cndmask_b32_e32 v12, 0, v12, vcc_lo
	v_cmp_nlt_f32_e32 vcc_lo, 0x42b17218, v97
	s_delay_alu instid0(VALU_DEP_2) | instskip(NEXT) | instid1(VALU_DEP_1)
	v_cndmask_b32_e32 v14, 0x7f800000, v12, vcc_lo
	v_add_f32_e32 v15, 1.0, v14
	s_delay_alu instid0(VALU_DEP_1) | instskip(NEXT) | instid1(VALU_DEP_1)
	v_cvt_f64_f32_e32 v[12:13], v15
	v_frexp_exp_i32_f64_e32 v12, v[12:13]
	v_frexp_mant_f32_e32 v13, v15
	s_delay_alu instid0(VALU_DEP_1) | instskip(SKIP_1) | instid1(VALU_DEP_1)
	v_cmp_gt_f32_e32 vcc_lo, 0x3f2aaaab, v13
	v_add_f32_e32 v13, -1.0, v15
	v_sub_f32_e32 v97, v13, v15
	v_sub_f32_e32 v13, v14, v13
	s_delay_alu instid0(VALU_DEP_2) | instskip(NEXT) | instid1(VALU_DEP_1)
	v_add_f32_e32 v97, 1.0, v97
	v_add_f32_e32 v13, v13, v97
	v_cmp_gt_f32_e64 s28, 0x33800000, v14
	v_subrev_co_ci_u32_e32 v12, vcc_lo, 0, v12, vcc_lo
	v_cmp_eq_f32_e32 vcc_lo, 0x7f800000, v14
	s_delay_alu instid0(VALU_DEP_2) | instskip(SKIP_2) | instid1(VALU_DEP_2)
	v_sub_nc_u32_e32 v17, 0, v12
	v_cvt_f32_i32_e32 v12, v12
	s_or_b32 vcc_lo, s28, vcc_lo
	v_ldexp_f32 v15, v15, v17
	v_ldexp_f32 v13, v13, v17
	s_delay_alu instid0(VALU_DEP_2) | instskip(SKIP_1) | instid1(VALU_DEP_2)
	v_add_f32_e32 v98, 1.0, v15
	v_add_f32_e32 v17, -1.0, v15
	v_add_f32_e32 v97, -1.0, v98
	s_delay_alu instid0(VALU_DEP_2) | instskip(NEXT) | instid1(VALU_DEP_2)
	v_add_f32_e32 v99, 1.0, v17
	v_sub_f32_e32 v97, v15, v97
	s_delay_alu instid0(VALU_DEP_2) | instskip(NEXT) | instid1(VALU_DEP_2)
	v_sub_f32_e32 v15, v15, v99
	v_add_f32_e32 v97, v13, v97
	s_delay_alu instid0(VALU_DEP_2) | instskip(NEXT) | instid1(VALU_DEP_1)
	v_add_f32_e32 v13, v13, v15
	v_add_f32_e32 v100, v17, v13
	s_delay_alu instid0(VALU_DEP_3) | instskip(NEXT) | instid1(VALU_DEP_1)
	v_add_f32_e32 v99, v98, v97
	v_rcp_f32_e32 v15, v99
	v_sub_f32_e32 v98, v98, v99
	s_delay_alu instid0(VALU_DEP_1) | instskip(SKIP_2) | instid1(VALU_DEP_1)
	v_add_f32_e32 v97, v97, v98
	s_waitcnt_depctr 0xfff
	v_mul_f32_e32 v101, v100, v15
	v_dual_mul_f32 v102, v99, v101 :: v_dual_sub_f32 v17, v17, v100
	s_delay_alu instid0(VALU_DEP_1) | instskip(NEXT) | instid1(VALU_DEP_2)
	v_fma_f32 v98, v101, v99, -v102
	v_add_f32_e32 v13, v13, v17
	s_delay_alu instid0(VALU_DEP_2) | instskip(NEXT) | instid1(VALU_DEP_1)
	v_fmac_f32_e32 v98, v101, v97
	v_add_f32_e32 v103, v102, v98
	s_delay_alu instid0(VALU_DEP_1) | instskip(NEXT) | instid1(VALU_DEP_1)
	v_dual_sub_f32 v104, v100, v103 :: v_dual_sub_f32 v17, v103, v102
	v_dual_sub_f32 v100, v100, v104 :: v_dual_sub_f32 v17, v17, v98
	s_delay_alu instid0(VALU_DEP_1) | instskip(NEXT) | instid1(VALU_DEP_1)
	v_sub_f32_e32 v100, v100, v103
	v_add_f32_e32 v13, v13, v100
	s_delay_alu instid0(VALU_DEP_1) | instskip(NEXT) | instid1(VALU_DEP_1)
	v_add_f32_e32 v13, v17, v13
	v_add_f32_e32 v17, v104, v13
	s_delay_alu instid0(VALU_DEP_1) | instskip(NEXT) | instid1(VALU_DEP_1)
	v_mul_f32_e32 v98, v15, v17
	v_dual_sub_f32 v103, v104, v17 :: v_dual_mul_f32 v100, v99, v98
	s_delay_alu instid0(VALU_DEP_1) | instskip(NEXT) | instid1(VALU_DEP_2)
	v_add_f32_e32 v13, v13, v103
	v_fma_f32 v99, v98, v99, -v100
	s_delay_alu instid0(VALU_DEP_1) | instskip(NEXT) | instid1(VALU_DEP_1)
	v_fmac_f32_e32 v99, v98, v97
	v_add_f32_e32 v97, v100, v99
	s_delay_alu instid0(VALU_DEP_1) | instskip(SKIP_1) | instid1(VALU_DEP_2)
	v_sub_f32_e32 v102, v17, v97
	v_sub_f32_e32 v100, v97, v100
	;; [unrolled: 1-line block ×3, first 2 shown]
	s_delay_alu instid0(VALU_DEP_1) | instskip(NEXT) | instid1(VALU_DEP_3)
	v_sub_f32_e32 v17, v17, v97
	v_sub_f32_e32 v97, v100, v99
	s_delay_alu instid0(VALU_DEP_2) | instskip(SKIP_1) | instid1(VALU_DEP_2)
	v_add_f32_e32 v13, v13, v17
	v_add_f32_e32 v17, v101, v98
	v_add_f32_e32 v13, v97, v13
	s_delay_alu instid0(VALU_DEP_2) | instskip(NEXT) | instid1(VALU_DEP_2)
	v_sub_f32_e32 v97, v17, v101
	v_add_f32_e32 v13, v102, v13
	s_delay_alu instid0(VALU_DEP_2) | instskip(NEXT) | instid1(VALU_DEP_2)
	v_sub_f32_e32 v97, v98, v97
	v_mul_f32_e32 v13, v15, v13
	s_delay_alu instid0(VALU_DEP_1) | instskip(NEXT) | instid1(VALU_DEP_1)
	v_add_f32_e32 v13, v97, v13
	v_add_f32_e32 v15, v17, v13
	s_delay_alu instid0(VALU_DEP_1) | instskip(NEXT) | instid1(VALU_DEP_1)
	v_mul_f32_e32 v97, v15, v15
	v_fmaak_f32 v98, s83, v97, 0x3ecc95a3
	v_mul_f32_e32 v99, v15, v97
	s_delay_alu instid0(VALU_DEP_2) | instskip(SKIP_2) | instid1(VALU_DEP_3)
	v_fmaak_f32 v97, v97, v98, 0x3f2aaada
	v_ldexp_f32 v98, v15, 1
	v_sub_f32_e32 v15, v15, v17
	v_mul_f32_e32 v97, v99, v97
	v_mul_f32_e32 v99, 0x3f317218, v12
	s_delay_alu instid0(VALU_DEP_3) | instskip(NEXT) | instid1(VALU_DEP_3)
	v_sub_f32_e32 v13, v13, v15
	v_add_f32_e32 v17, v98, v97
	s_delay_alu instid0(VALU_DEP_2) | instskip(NEXT) | instid1(VALU_DEP_2)
	v_ldexp_f32 v13, v13, 1
	v_sub_f32_e32 v15, v17, v98
	v_fma_f32 v98, 0x3f317218, v12, -v99
	s_delay_alu instid0(VALU_DEP_1) | instskip(NEXT) | instid1(VALU_DEP_1)
	v_dual_sub_f32 v15, v97, v15 :: v_dual_fmac_f32 v98, 0xb102e308, v12
	v_dual_add_f32 v12, v13, v15 :: v_dual_add_f32 v13, v99, v98
	s_delay_alu instid0(VALU_DEP_1) | instskip(NEXT) | instid1(VALU_DEP_1)
	v_add_f32_e32 v15, v17, v12
	v_add_f32_e32 v97, v13, v15
	v_sub_f32_e32 v17, v15, v17
	s_delay_alu instid0(VALU_DEP_2) | instskip(NEXT) | instid1(VALU_DEP_2)
	v_sub_f32_e32 v100, v97, v13
	v_dual_sub_f32 v99, v13, v99 :: v_dual_sub_f32 v12, v12, v17
	s_delay_alu instid0(VALU_DEP_1) | instskip(SKIP_1) | instid1(VALU_DEP_2)
	v_dual_sub_f32 v101, v97, v100 :: v_dual_sub_f32 v98, v98, v99
	v_sub_f32_e32 v15, v15, v100
	v_sub_f32_e32 v13, v13, v101
	s_delay_alu instid0(VALU_DEP_3) | instskip(NEXT) | instid1(VALU_DEP_2)
	v_add_f32_e32 v17, v98, v12
	v_add_f32_e32 v13, v15, v13
	s_delay_alu instid0(VALU_DEP_2) | instskip(NEXT) | instid1(VALU_DEP_2)
	v_sub_f32_e32 v15, v17, v98
	v_add_f32_e32 v13, v17, v13
	s_delay_alu instid0(VALU_DEP_2) | instskip(NEXT) | instid1(VALU_DEP_2)
	v_sub_f32_e32 v17, v17, v15
	v_dual_sub_f32 v12, v12, v15 :: v_dual_add_f32 v99, v97, v13
	s_delay_alu instid0(VALU_DEP_2) | instskip(NEXT) | instid1(VALU_DEP_2)
	v_sub_f32_e32 v17, v98, v17
	v_sub_f32_e32 v15, v99, v97
	s_delay_alu instid0(VALU_DEP_1) | instskip(NEXT) | instid1(VALU_DEP_1)
	v_dual_add_f32 v12, v12, v17 :: v_dual_sub_f32 v13, v13, v15
	v_add_f32_e32 v12, v12, v13
	s_delay_alu instid0(VALU_DEP_1) | instskip(NEXT) | instid1(VALU_DEP_1)
	v_add_f32_e32 v12, v99, v12
	v_cndmask_b32_e32 v97, v12, v14, vcc_lo
.LBB22_90:                              ;   in Loop: Header=BB22_12 Depth=1
	s_or_b32 exec_lo, exec_lo, s29
	s_waitcnt lgkmcnt(0)
	v_lshlrev_b32_e32 v12, 16, v8
	s_delay_alu instid0(VALU_DEP_1) | instskip(NEXT) | instid1(VALU_DEP_1)
	v_add_f32_e32 v98, s66, v12
	v_cmp_ge_f32_e32 vcc_lo, 0x41a00000, v98
	s_and_b32 s28, s79, vcc_lo
	s_delay_alu instid0(SALU_CYCLE_1)
	s_and_saveexec_b32 s29, s28
	s_cbranch_execz .LBB22_92
; %bb.91:                               ;   in Loop: Header=BB22_12 Depth=1
	v_mul_f32_e32 v12, 0x3fb8aa3b, v98
	v_cmp_ngt_f32_e32 vcc_lo, 0xc2ce8ed0, v98
	s_delay_alu instid0(VALU_DEP_2) | instskip(SKIP_1) | instid1(VALU_DEP_2)
	v_rndne_f32_e32 v13, v12
	v_fma_f32 v14, 0x3fb8aa3b, v98, -v12
	v_sub_f32_e32 v12, v12, v13
	s_delay_alu instid0(VALU_DEP_2) | instskip(SKIP_1) | instid1(VALU_DEP_2)
	v_fmac_f32_e32 v14, 0x32a5705f, v98
	v_cvt_i32_f32_e32 v13, v13
	v_add_f32_e32 v12, v12, v14
	s_delay_alu instid0(VALU_DEP_1) | instskip(SKIP_2) | instid1(VALU_DEP_1)
	v_exp_f32_e32 v12, v12
	s_waitcnt_depctr 0xfff
	v_ldexp_f32 v12, v12, v13
	v_cndmask_b32_e32 v12, 0, v12, vcc_lo
	v_cmp_nlt_f32_e32 vcc_lo, 0x42b17218, v98
	s_delay_alu instid0(VALU_DEP_2) | instskip(NEXT) | instid1(VALU_DEP_1)
	v_cndmask_b32_e32 v14, 0x7f800000, v12, vcc_lo
	v_add_f32_e32 v15, 1.0, v14
	s_delay_alu instid0(VALU_DEP_1) | instskip(NEXT) | instid1(VALU_DEP_1)
	v_cvt_f64_f32_e32 v[12:13], v15
	v_frexp_exp_i32_f64_e32 v12, v[12:13]
	v_frexp_mant_f32_e32 v13, v15
	s_delay_alu instid0(VALU_DEP_1) | instskip(SKIP_1) | instid1(VALU_DEP_1)
	v_cmp_gt_f32_e32 vcc_lo, 0x3f2aaaab, v13
	v_add_f32_e32 v13, -1.0, v15
	v_dual_sub_f32 v98, v13, v15 :: v_dual_sub_f32 v13, v14, v13
	s_delay_alu instid0(VALU_DEP_1) | instskip(NEXT) | instid1(VALU_DEP_1)
	v_add_f32_e32 v98, 1.0, v98
	v_add_f32_e32 v13, v13, v98
	v_subrev_co_ci_u32_e32 v12, vcc_lo, 0, v12, vcc_lo
	s_delay_alu instid0(VALU_DEP_1) | instskip(SKIP_1) | instid1(VALU_DEP_2)
	v_sub_nc_u32_e32 v17, 0, v12
	v_cvt_f32_i32_e32 v12, v12
	v_ldexp_f32 v15, v15, v17
	v_ldexp_f32 v13, v13, v17
	s_delay_alu instid0(VALU_DEP_2) | instskip(SKIP_3) | instid1(VALU_DEP_4)
	v_add_f32_e32 v99, 1.0, v15
	v_add_f32_e32 v17, -1.0, v15
	v_cmp_eq_f32_e32 vcc_lo, 0x7f800000, v14
	v_cmp_gt_f32_e64 s28, 0x33800000, v14
	v_add_f32_e32 v98, -1.0, v99
	s_delay_alu instid0(VALU_DEP_4) | instskip(NEXT) | instid1(VALU_DEP_3)
	v_add_f32_e32 v100, 1.0, v17
	s_or_b32 vcc_lo, s28, vcc_lo
	s_delay_alu instid0(VALU_DEP_2) | instskip(NEXT) | instid1(VALU_DEP_1)
	v_sub_f32_e32 v98, v15, v98
	v_dual_sub_f32 v15, v15, v100 :: v_dual_add_f32 v98, v13, v98
	s_delay_alu instid0(VALU_DEP_1) | instskip(NEXT) | instid1(VALU_DEP_1)
	v_add_f32_e32 v13, v13, v15
	v_dual_add_f32 v101, v17, v13 :: v_dual_add_f32 v100, v99, v98
	s_delay_alu instid0(VALU_DEP_1) | instskip(NEXT) | instid1(VALU_DEP_2)
	v_sub_f32_e32 v17, v17, v101
	v_rcp_f32_e32 v15, v100
	v_sub_f32_e32 v99, v99, v100
	s_delay_alu instid0(VALU_DEP_1) | instskip(SKIP_2) | instid1(VALU_DEP_1)
	v_dual_add_f32 v98, v98, v99 :: v_dual_add_f32 v13, v13, v17
	s_waitcnt_depctr 0xfff
	v_mul_f32_e32 v102, v101, v15
	v_mul_f32_e32 v103, v100, v102
	s_delay_alu instid0(VALU_DEP_1) | instskip(NEXT) | instid1(VALU_DEP_1)
	v_fma_f32 v99, v102, v100, -v103
	v_fmac_f32_e32 v99, v102, v98
	s_delay_alu instid0(VALU_DEP_1) | instskip(NEXT) | instid1(VALU_DEP_1)
	v_add_f32_e32 v104, v103, v99
	v_sub_f32_e32 v105, v101, v104
	s_delay_alu instid0(VALU_DEP_1) | instskip(SKIP_1) | instid1(VALU_DEP_2)
	v_sub_f32_e32 v101, v101, v105
	v_sub_f32_e32 v17, v104, v103
	;; [unrolled: 1-line block ×3, first 2 shown]
	s_delay_alu instid0(VALU_DEP_2) | instskip(NEXT) | instid1(VALU_DEP_2)
	v_sub_f32_e32 v17, v17, v99
	v_add_f32_e32 v13, v13, v101
	s_delay_alu instid0(VALU_DEP_1) | instskip(NEXT) | instid1(VALU_DEP_1)
	v_add_f32_e32 v13, v17, v13
	v_add_f32_e32 v17, v105, v13
	s_delay_alu instid0(VALU_DEP_1) | instskip(NEXT) | instid1(VALU_DEP_1)
	v_mul_f32_e32 v99, v15, v17
	v_dual_sub_f32 v104, v105, v17 :: v_dual_mul_f32 v101, v100, v99
	s_delay_alu instid0(VALU_DEP_1) | instskip(NEXT) | instid1(VALU_DEP_2)
	v_add_f32_e32 v13, v13, v104
	v_fma_f32 v100, v99, v100, -v101
	s_delay_alu instid0(VALU_DEP_1) | instskip(NEXT) | instid1(VALU_DEP_1)
	v_fmac_f32_e32 v100, v99, v98
	v_add_f32_e32 v98, v101, v100
	s_delay_alu instid0(VALU_DEP_1) | instskip(NEXT) | instid1(VALU_DEP_1)
	v_sub_f32_e32 v103, v17, v98
	v_sub_f32_e32 v17, v17, v103
	s_delay_alu instid0(VALU_DEP_1) | instskip(NEXT) | instid1(VALU_DEP_1)
	v_sub_f32_e32 v17, v17, v98
	v_add_f32_e32 v13, v13, v17
	v_add_f32_e32 v17, v102, v99
	v_sub_f32_e32 v101, v98, v101
	s_delay_alu instid0(VALU_DEP_1) | instskip(NEXT) | instid1(VALU_DEP_1)
	v_sub_f32_e32 v98, v101, v100
	v_dual_add_f32 v13, v98, v13 :: v_dual_sub_f32 v98, v17, v102
	s_delay_alu instid0(VALU_DEP_1) | instskip(NEXT) | instid1(VALU_DEP_2)
	v_add_f32_e32 v13, v103, v13
	v_sub_f32_e32 v98, v99, v98
	s_delay_alu instid0(VALU_DEP_2) | instskip(NEXT) | instid1(VALU_DEP_1)
	v_mul_f32_e32 v13, v15, v13
	v_add_f32_e32 v13, v98, v13
	s_delay_alu instid0(VALU_DEP_1) | instskip(NEXT) | instid1(VALU_DEP_1)
	v_add_f32_e32 v15, v17, v13
	v_mul_f32_e32 v98, v15, v15
	s_delay_alu instid0(VALU_DEP_1) | instskip(SKIP_1) | instid1(VALU_DEP_2)
	v_fmaak_f32 v99, s83, v98, 0x3ecc95a3
	v_mul_f32_e32 v100, v15, v98
	v_fmaak_f32 v98, v98, v99, 0x3f2aaada
	v_ldexp_f32 v99, v15, 1
	s_delay_alu instid0(VALU_DEP_2) | instskip(NEXT) | instid1(VALU_DEP_1)
	v_dual_sub_f32 v15, v15, v17 :: v_dual_mul_f32 v98, v100, v98
	v_dual_mul_f32 v100, 0x3f317218, v12 :: v_dual_sub_f32 v13, v13, v15
	s_delay_alu instid0(VALU_DEP_2) | instskip(NEXT) | instid1(VALU_DEP_2)
	v_add_f32_e32 v17, v99, v98
	v_ldexp_f32 v13, v13, 1
	s_delay_alu instid0(VALU_DEP_2) | instskip(NEXT) | instid1(VALU_DEP_4)
	v_sub_f32_e32 v15, v17, v99
	v_fma_f32 v99, 0x3f317218, v12, -v100
	s_delay_alu instid0(VALU_DEP_2) | instskip(NEXT) | instid1(VALU_DEP_1)
	v_sub_f32_e32 v15, v98, v15
	v_dual_fmac_f32 v99, 0xb102e308, v12 :: v_dual_add_f32 v12, v13, v15
	s_delay_alu instid0(VALU_DEP_1) | instskip(NEXT) | instid1(VALU_DEP_2)
	v_add_f32_e32 v13, v100, v99
	v_add_f32_e32 v15, v17, v12
	s_delay_alu instid0(VALU_DEP_2) | instskip(NEXT) | instid1(VALU_DEP_2)
	v_sub_f32_e32 v100, v13, v100
	v_dual_add_f32 v98, v13, v15 :: v_dual_sub_f32 v17, v15, v17
	s_delay_alu instid0(VALU_DEP_2) | instskip(NEXT) | instid1(VALU_DEP_2)
	v_sub_f32_e32 v99, v99, v100
	v_sub_f32_e32 v101, v98, v13
	s_delay_alu instid0(VALU_DEP_3) | instskip(NEXT) | instid1(VALU_DEP_2)
	v_sub_f32_e32 v12, v12, v17
	v_sub_f32_e32 v102, v98, v101
	;; [unrolled: 1-line block ×3, first 2 shown]
	s_delay_alu instid0(VALU_DEP_3) | instskip(NEXT) | instid1(VALU_DEP_3)
	v_add_f32_e32 v17, v99, v12
	v_sub_f32_e32 v13, v13, v102
	s_delay_alu instid0(VALU_DEP_1) | instskip(NEXT) | instid1(VALU_DEP_3)
	v_add_f32_e32 v13, v15, v13
	v_sub_f32_e32 v15, v17, v99
	s_delay_alu instid0(VALU_DEP_2) | instskip(NEXT) | instid1(VALU_DEP_2)
	v_add_f32_e32 v13, v17, v13
	v_sub_f32_e32 v17, v17, v15
	v_sub_f32_e32 v12, v12, v15
	s_delay_alu instid0(VALU_DEP_3) | instskip(NEXT) | instid1(VALU_DEP_3)
	v_add_f32_e32 v100, v98, v13
	v_sub_f32_e32 v17, v99, v17
	s_delay_alu instid0(VALU_DEP_2) | instskip(NEXT) | instid1(VALU_DEP_1)
	v_sub_f32_e32 v15, v100, v98
	v_dual_add_f32 v12, v12, v17 :: v_dual_sub_f32 v13, v13, v15
	s_delay_alu instid0(VALU_DEP_1) | instskip(NEXT) | instid1(VALU_DEP_1)
	v_add_f32_e32 v12, v12, v13
	v_add_f32_e32 v12, v100, v12
	s_delay_alu instid0(VALU_DEP_1)
	v_cndmask_b32_e32 v98, v12, v14, vcc_lo
.LBB22_92:                              ;   in Loop: Header=BB22_12 Depth=1
	s_or_b32 exec_lo, exec_lo, s29
	v_and_b32_e32 v8, 0xffff0000, v8
	s_delay_alu instid0(VALU_DEP_1) | instskip(NEXT) | instid1(VALU_DEP_1)
	v_add_f32_e32 v99, s66, v8
	v_cmp_ge_f32_e32 vcc_lo, 0x41a00000, v99
	s_and_b32 s28, s79, vcc_lo
	s_delay_alu instid0(SALU_CYCLE_1)
	s_and_saveexec_b32 s29, s28
	s_cbranch_execz .LBB22_94
; %bb.93:                               ;   in Loop: Header=BB22_12 Depth=1
	v_mul_f32_e32 v8, 0x3fb8aa3b, v99
	v_cmp_ngt_f32_e32 vcc_lo, 0xc2ce8ed0, v99
	s_delay_alu instid0(VALU_DEP_2) | instskip(SKIP_1) | instid1(VALU_DEP_1)
	v_rndne_f32_e32 v12, v8
	v_fma_f32 v13, 0x3fb8aa3b, v99, -v8
	v_dual_sub_f32 v8, v8, v12 :: v_dual_fmac_f32 v13, 0x32a5705f, v99
	v_cvt_i32_f32_e32 v12, v12
	s_delay_alu instid0(VALU_DEP_2) | instskip(NEXT) | instid1(VALU_DEP_1)
	v_add_f32_e32 v8, v8, v13
	v_exp_f32_e32 v8, v8
	s_waitcnt_depctr 0xfff
	v_ldexp_f32 v8, v8, v12
	s_delay_alu instid0(VALU_DEP_1) | instskip(SKIP_1) | instid1(VALU_DEP_2)
	v_cndmask_b32_e32 v8, 0, v8, vcc_lo
	v_cmp_nlt_f32_e32 vcc_lo, 0x42b17218, v99
	v_cndmask_b32_e32 v8, 0x7f800000, v8, vcc_lo
	s_delay_alu instid0(VALU_DEP_1) | instskip(NEXT) | instid1(VALU_DEP_1)
	v_add_f32_e32 v14, 1.0, v8
	v_cvt_f64_f32_e32 v[12:13], v14
	s_delay_alu instid0(VALU_DEP_1) | instskip(SKIP_1) | instid1(VALU_DEP_1)
	v_frexp_exp_i32_f64_e32 v12, v[12:13]
	v_frexp_mant_f32_e32 v13, v14
	v_cmp_gt_f32_e32 vcc_lo, 0x3f2aaaab, v13
	v_add_f32_e32 v13, -1.0, v14
	s_delay_alu instid0(VALU_DEP_1) | instskip(NEXT) | instid1(VALU_DEP_1)
	v_sub_f32_e32 v17, v13, v14
	v_add_f32_e32 v17, 1.0, v17
	v_subrev_co_ci_u32_e32 v12, vcc_lo, 0, v12, vcc_lo
	s_delay_alu instid0(VALU_DEP_1) | instskip(SKIP_1) | instid1(VALU_DEP_2)
	v_sub_nc_u32_e32 v15, 0, v12
	v_cvt_f32_i32_e32 v12, v12
	v_ldexp_f32 v14, v14, v15
	s_delay_alu instid0(VALU_DEP_1) | instskip(SKIP_3) | instid1(VALU_DEP_3)
	v_add_f32_e32 v99, 1.0, v14
	v_sub_f32_e32 v13, v8, v13
	v_cmp_eq_f32_e32 vcc_lo, 0x7f800000, v8
	v_cmp_gt_f32_e64 s28, 0x33800000, v8
	v_add_f32_e32 v13, v13, v17
	s_delay_alu instid0(VALU_DEP_2) | instskip(NEXT) | instid1(VALU_DEP_1)
	s_or_b32 vcc_lo, s28, vcc_lo
	v_ldexp_f32 v13, v13, v15
	v_add_f32_e32 v15, -1.0, v14
	s_delay_alu instid0(VALU_DEP_1) | instskip(SKIP_1) | instid1(VALU_DEP_1)
	v_add_f32_e32 v100, 1.0, v15
	v_add_f32_e32 v17, -1.0, v99
	v_sub_f32_e32 v17, v14, v17
	s_delay_alu instid0(VALU_DEP_1) | instskip(NEXT) | instid1(VALU_DEP_1)
	v_dual_sub_f32 v14, v14, v100 :: v_dual_add_f32 v17, v13, v17
	v_add_f32_e32 v100, v99, v17
	s_delay_alu instid0(VALU_DEP_1) | instskip(NEXT) | instid1(VALU_DEP_1)
	v_sub_f32_e32 v99, v99, v100
	v_add_f32_e32 v17, v17, v99
	s_delay_alu instid0(VALU_DEP_4) | instskip(SKIP_1) | instid1(VALU_DEP_1)
	v_add_f32_e32 v13, v13, v14
	v_rcp_f32_e32 v14, v100
	v_add_f32_e32 v101, v15, v13
	s_waitcnt_depctr 0xfff
	v_dual_sub_f32 v15, v15, v101 :: v_dual_mul_f32 v102, v101, v14
	s_delay_alu instid0(VALU_DEP_1) | instskip(NEXT) | instid1(VALU_DEP_2)
	v_add_f32_e32 v13, v13, v15
	v_mul_f32_e32 v103, v100, v102
	s_delay_alu instid0(VALU_DEP_1) | instskip(NEXT) | instid1(VALU_DEP_1)
	v_fma_f32 v99, v102, v100, -v103
	v_fmac_f32_e32 v99, v102, v17
	s_delay_alu instid0(VALU_DEP_1) | instskip(NEXT) | instid1(VALU_DEP_1)
	v_add_f32_e32 v104, v103, v99
	v_sub_f32_e32 v105, v101, v104
	v_sub_f32_e32 v15, v104, v103
	s_delay_alu instid0(VALU_DEP_2) | instskip(NEXT) | instid1(VALU_DEP_2)
	v_sub_f32_e32 v101, v101, v105
	v_sub_f32_e32 v15, v15, v99
	s_delay_alu instid0(VALU_DEP_2) | instskip(NEXT) | instid1(VALU_DEP_1)
	v_sub_f32_e32 v101, v101, v104
	v_add_f32_e32 v13, v13, v101
	s_delay_alu instid0(VALU_DEP_1) | instskip(NEXT) | instid1(VALU_DEP_1)
	v_add_f32_e32 v13, v15, v13
	v_add_f32_e32 v15, v105, v13
	s_delay_alu instid0(VALU_DEP_1) | instskip(SKIP_1) | instid1(VALU_DEP_2)
	v_mul_f32_e32 v99, v14, v15
	v_sub_f32_e32 v104, v105, v15
	v_mul_f32_e32 v101, v100, v99
	s_delay_alu instid0(VALU_DEP_2) | instskip(NEXT) | instid1(VALU_DEP_2)
	v_add_f32_e32 v13, v13, v104
	v_fma_f32 v100, v99, v100, -v101
	s_delay_alu instid0(VALU_DEP_1) | instskip(NEXT) | instid1(VALU_DEP_1)
	v_fmac_f32_e32 v100, v99, v17
	v_add_f32_e32 v17, v101, v100
	s_delay_alu instid0(VALU_DEP_1) | instskip(SKIP_1) | instid1(VALU_DEP_2)
	v_sub_f32_e32 v103, v15, v17
	v_sub_f32_e32 v101, v17, v101
	;; [unrolled: 1-line block ×3, first 2 shown]
	s_delay_alu instid0(VALU_DEP_1) | instskip(NEXT) | instid1(VALU_DEP_3)
	v_sub_f32_e32 v15, v15, v17
	v_sub_f32_e32 v17, v101, v100
	s_delay_alu instid0(VALU_DEP_2) | instskip(SKIP_1) | instid1(VALU_DEP_2)
	v_add_f32_e32 v13, v13, v15
	v_add_f32_e32 v15, v102, v99
	;; [unrolled: 1-line block ×3, first 2 shown]
	s_delay_alu instid0(VALU_DEP_2) | instskip(NEXT) | instid1(VALU_DEP_2)
	v_sub_f32_e32 v17, v15, v102
	v_add_f32_e32 v13, v103, v13
	s_delay_alu instid0(VALU_DEP_2) | instskip(NEXT) | instid1(VALU_DEP_2)
	v_sub_f32_e32 v17, v99, v17
	v_mul_f32_e32 v13, v14, v13
	s_delay_alu instid0(VALU_DEP_1) | instskip(NEXT) | instid1(VALU_DEP_1)
	v_add_f32_e32 v13, v17, v13
	v_add_f32_e32 v14, v15, v13
	s_delay_alu instid0(VALU_DEP_1) | instskip(NEXT) | instid1(VALU_DEP_1)
	v_mul_f32_e32 v17, v14, v14
	v_fmaak_f32 v99, s83, v17, 0x3ecc95a3
	s_delay_alu instid0(VALU_DEP_1) | instskip(SKIP_1) | instid1(VALU_DEP_2)
	v_dual_mul_f32 v100, v14, v17 :: v_dual_fmaak_f32 v17, v17, v99, 0x3f2aaada
	v_ldexp_f32 v99, v14, 1
	v_dual_sub_f32 v14, v14, v15 :: v_dual_mul_f32 v17, v100, v17
	s_delay_alu instid0(VALU_DEP_1) | instskip(NEXT) | instid1(VALU_DEP_2)
	v_dual_mul_f32 v100, 0x3f317218, v12 :: v_dual_sub_f32 v13, v13, v14
	v_add_f32_e32 v15, v99, v17
	s_delay_alu instid0(VALU_DEP_2) | instskip(NEXT) | instid1(VALU_DEP_2)
	v_ldexp_f32 v13, v13, 1
	v_sub_f32_e32 v14, v15, v99
	s_delay_alu instid0(VALU_DEP_4) | instskip(NEXT) | instid1(VALU_DEP_1)
	v_fma_f32 v99, 0x3f317218, v12, -v100
	v_dual_sub_f32 v14, v17, v14 :: v_dual_fmac_f32 v99, 0xb102e308, v12
	s_delay_alu instid0(VALU_DEP_1) | instskip(NEXT) | instid1(VALU_DEP_1)
	v_dual_add_f32 v12, v13, v14 :: v_dual_add_f32 v13, v100, v99
	v_add_f32_e32 v14, v15, v12
	s_delay_alu instid0(VALU_DEP_2) | instskip(NEXT) | instid1(VALU_DEP_2)
	v_sub_f32_e32 v100, v13, v100
	v_add_f32_e32 v17, v13, v14
	v_sub_f32_e32 v15, v14, v15
	s_delay_alu instid0(VALU_DEP_3) | instskip(NEXT) | instid1(VALU_DEP_2)
	v_sub_f32_e32 v99, v99, v100
	v_dual_sub_f32 v101, v17, v13 :: v_dual_sub_f32 v12, v12, v15
	s_delay_alu instid0(VALU_DEP_1) | instskip(NEXT) | instid1(VALU_DEP_2)
	v_sub_f32_e32 v102, v17, v101
	v_dual_sub_f32 v14, v14, v101 :: v_dual_add_f32 v15, v99, v12
	s_delay_alu instid0(VALU_DEP_2) | instskip(NEXT) | instid1(VALU_DEP_1)
	v_sub_f32_e32 v13, v13, v102
	v_dual_add_f32 v13, v14, v13 :: v_dual_sub_f32 v14, v15, v99
	s_delay_alu instid0(VALU_DEP_1) | instskip(NEXT) | instid1(VALU_DEP_2)
	v_add_f32_e32 v13, v15, v13
	v_sub_f32_e32 v15, v15, v14
	v_sub_f32_e32 v12, v12, v14
	s_delay_alu instid0(VALU_DEP_2) | instskip(NEXT) | instid1(VALU_DEP_1)
	v_dual_add_f32 v100, v17, v13 :: v_dual_sub_f32 v15, v99, v15
	v_sub_f32_e32 v14, v100, v17
	s_delay_alu instid0(VALU_DEP_1) | instskip(NEXT) | instid1(VALU_DEP_1)
	v_dual_add_f32 v12, v12, v15 :: v_dual_sub_f32 v13, v13, v14
	v_add_f32_e32 v12, v12, v13
	s_delay_alu instid0(VALU_DEP_1) | instskip(NEXT) | instid1(VALU_DEP_1)
	v_add_f32_e32 v12, v100, v12
	v_cndmask_b32_e32 v99, v12, v8, vcc_lo
.LBB22_94:                              ;   in Loop: Header=BB22_12 Depth=1
	s_or_b32 exec_lo, exec_lo, s29
	v_lshlrev_b32_e32 v8, 16, v9
	s_delay_alu instid0(VALU_DEP_1) | instskip(NEXT) | instid1(VALU_DEP_1)
	v_add_f32_e32 v100, s66, v8
	v_cmp_ge_f32_e32 vcc_lo, 0x41a00000, v100
	s_and_b32 s28, s79, vcc_lo
	s_delay_alu instid0(SALU_CYCLE_1)
	s_and_saveexec_b32 s29, s28
	s_cbranch_execz .LBB22_96
; %bb.95:                               ;   in Loop: Header=BB22_12 Depth=1
	v_mul_f32_e32 v8, 0x3fb8aa3b, v100
	v_cmp_ngt_f32_e32 vcc_lo, 0xc2ce8ed0, v100
	s_delay_alu instid0(VALU_DEP_2) | instskip(SKIP_1) | instid1(VALU_DEP_2)
	v_rndne_f32_e32 v12, v8
	v_fma_f32 v13, 0x3fb8aa3b, v100, -v8
	v_sub_f32_e32 v8, v8, v12
	s_delay_alu instid0(VALU_DEP_2) | instskip(SKIP_1) | instid1(VALU_DEP_2)
	v_fmac_f32_e32 v13, 0x32a5705f, v100
	v_cvt_i32_f32_e32 v12, v12
	v_add_f32_e32 v8, v8, v13
	s_delay_alu instid0(VALU_DEP_1) | instskip(SKIP_2) | instid1(VALU_DEP_1)
	v_exp_f32_e32 v8, v8
	s_waitcnt_depctr 0xfff
	v_ldexp_f32 v8, v8, v12
	v_cndmask_b32_e32 v8, 0, v8, vcc_lo
	v_cmp_nlt_f32_e32 vcc_lo, 0x42b17218, v100
	s_delay_alu instid0(VALU_DEP_2) | instskip(NEXT) | instid1(VALU_DEP_1)
	v_cndmask_b32_e32 v8, 0x7f800000, v8, vcc_lo
	v_add_f32_e32 v14, 1.0, v8
	s_delay_alu instid0(VALU_DEP_1) | instskip(NEXT) | instid1(VALU_DEP_1)
	v_cvt_f64_f32_e32 v[12:13], v14
	v_frexp_exp_i32_f64_e32 v12, v[12:13]
	v_frexp_mant_f32_e32 v13, v14
	s_delay_alu instid0(VALU_DEP_1) | instskip(SKIP_1) | instid1(VALU_DEP_1)
	v_cmp_gt_f32_e32 vcc_lo, 0x3f2aaaab, v13
	v_add_f32_e32 v13, -1.0, v14
	v_sub_f32_e32 v17, v13, v14
	v_sub_f32_e32 v13, v8, v13
	s_delay_alu instid0(VALU_DEP_2) | instskip(NEXT) | instid1(VALU_DEP_1)
	v_add_f32_e32 v17, 1.0, v17
	v_add_f32_e32 v13, v13, v17
	v_cmp_gt_f32_e64 s28, 0x33800000, v8
	v_subrev_co_ci_u32_e32 v12, vcc_lo, 0, v12, vcc_lo
	v_cmp_eq_f32_e32 vcc_lo, 0x7f800000, v8
	s_delay_alu instid0(VALU_DEP_2) | instskip(SKIP_2) | instid1(VALU_DEP_2)
	v_sub_nc_u32_e32 v15, 0, v12
	v_cvt_f32_i32_e32 v12, v12
	s_or_b32 vcc_lo, s28, vcc_lo
	v_ldexp_f32 v14, v14, v15
	v_ldexp_f32 v13, v13, v15
	s_delay_alu instid0(VALU_DEP_2) | instskip(SKIP_1) | instid1(VALU_DEP_2)
	v_add_f32_e32 v100, 1.0, v14
	v_add_f32_e32 v15, -1.0, v14
	v_add_f32_e32 v17, -1.0, v100
	s_delay_alu instid0(VALU_DEP_2) | instskip(NEXT) | instid1(VALU_DEP_2)
	v_add_f32_e32 v101, 1.0, v15
	v_sub_f32_e32 v17, v14, v17
	s_delay_alu instid0(VALU_DEP_2) | instskip(NEXT) | instid1(VALU_DEP_2)
	v_sub_f32_e32 v14, v14, v101
	v_add_f32_e32 v17, v13, v17
	s_delay_alu instid0(VALU_DEP_1) | instskip(NEXT) | instid1(VALU_DEP_1)
	v_add_f32_e32 v101, v100, v17
	v_dual_add_f32 v13, v13, v14 :: v_dual_sub_f32 v100, v100, v101
	v_rcp_f32_e32 v14, v101
	s_delay_alu instid0(VALU_DEP_1) | instskip(NEXT) | instid1(VALU_DEP_1)
	v_dual_add_f32 v102, v15, v13 :: v_dual_add_f32 v17, v17, v100
	v_sub_f32_e32 v15, v15, v102
	s_waitcnt_depctr 0xfff
	v_mul_f32_e32 v103, v102, v14
	v_add_f32_e32 v13, v13, v15
	s_delay_alu instid0(VALU_DEP_2) | instskip(NEXT) | instid1(VALU_DEP_1)
	v_mul_f32_e32 v104, v101, v103
	v_fma_f32 v100, v103, v101, -v104
	s_delay_alu instid0(VALU_DEP_1) | instskip(NEXT) | instid1(VALU_DEP_1)
	v_fmac_f32_e32 v100, v103, v17
	v_add_f32_e32 v105, v104, v100
	s_delay_alu instid0(VALU_DEP_1) | instskip(NEXT) | instid1(VALU_DEP_1)
	v_dual_sub_f32 v106, v102, v105 :: v_dual_sub_f32 v15, v105, v104
	v_dual_sub_f32 v102, v102, v106 :: v_dual_sub_f32 v15, v15, v100
	s_delay_alu instid0(VALU_DEP_1) | instskip(NEXT) | instid1(VALU_DEP_1)
	v_sub_f32_e32 v102, v102, v105
	v_add_f32_e32 v13, v13, v102
	s_delay_alu instid0(VALU_DEP_1) | instskip(NEXT) | instid1(VALU_DEP_1)
	v_add_f32_e32 v13, v15, v13
	v_add_f32_e32 v15, v106, v13
	s_delay_alu instid0(VALU_DEP_1) | instskip(NEXT) | instid1(VALU_DEP_1)
	v_mul_f32_e32 v100, v14, v15
	v_dual_sub_f32 v105, v106, v15 :: v_dual_mul_f32 v102, v101, v100
	s_delay_alu instid0(VALU_DEP_1) | instskip(NEXT) | instid1(VALU_DEP_2)
	v_add_f32_e32 v13, v13, v105
	v_fma_f32 v101, v100, v101, -v102
	s_delay_alu instid0(VALU_DEP_1) | instskip(NEXT) | instid1(VALU_DEP_1)
	v_fmac_f32_e32 v101, v100, v17
	v_add_f32_e32 v17, v102, v101
	s_delay_alu instid0(VALU_DEP_1) | instskip(NEXT) | instid1(VALU_DEP_1)
	v_sub_f32_e32 v104, v15, v17
	v_dual_sub_f32 v102, v17, v102 :: v_dual_sub_f32 v15, v15, v104
	s_delay_alu instid0(VALU_DEP_1) | instskip(NEXT) | instid1(VALU_DEP_2)
	v_sub_f32_e32 v15, v15, v17
	v_sub_f32_e32 v17, v102, v101
	s_delay_alu instid0(VALU_DEP_2) | instskip(SKIP_1) | instid1(VALU_DEP_2)
	v_add_f32_e32 v13, v13, v15
	v_add_f32_e32 v15, v103, v100
	;; [unrolled: 1-line block ×3, first 2 shown]
	s_delay_alu instid0(VALU_DEP_2) | instskip(NEXT) | instid1(VALU_DEP_2)
	v_sub_f32_e32 v17, v15, v103
	v_add_f32_e32 v13, v104, v13
	s_delay_alu instid0(VALU_DEP_2) | instskip(NEXT) | instid1(VALU_DEP_2)
	v_sub_f32_e32 v17, v100, v17
	v_mul_f32_e32 v13, v14, v13
	s_delay_alu instid0(VALU_DEP_1) | instskip(NEXT) | instid1(VALU_DEP_1)
	v_add_f32_e32 v13, v17, v13
	v_add_f32_e32 v14, v15, v13
	s_delay_alu instid0(VALU_DEP_1) | instskip(NEXT) | instid1(VALU_DEP_1)
	v_mul_f32_e32 v17, v14, v14
	v_fmaak_f32 v100, s83, v17, 0x3ecc95a3
	v_mul_f32_e32 v101, v14, v17
	s_delay_alu instid0(VALU_DEP_2) | instskip(SKIP_1) | instid1(VALU_DEP_2)
	v_fmaak_f32 v17, v17, v100, 0x3f2aaada
	v_ldexp_f32 v100, v14, 1
	v_dual_sub_f32 v14, v14, v15 :: v_dual_mul_f32 v17, v101, v17
	v_mul_f32_e32 v101, 0x3f317218, v12
	s_delay_alu instid0(VALU_DEP_2) | instskip(NEXT) | instid1(VALU_DEP_3)
	v_sub_f32_e32 v13, v13, v14
	v_add_f32_e32 v15, v100, v17
	s_delay_alu instid0(VALU_DEP_2) | instskip(NEXT) | instid1(VALU_DEP_2)
	v_ldexp_f32 v13, v13, 1
	v_sub_f32_e32 v14, v15, v100
	v_fma_f32 v100, 0x3f317218, v12, -v101
	s_delay_alu instid0(VALU_DEP_2) | instskip(NEXT) | instid1(VALU_DEP_2)
	v_sub_f32_e32 v14, v17, v14
	v_fmac_f32_e32 v100, 0xb102e308, v12
	s_delay_alu instid0(VALU_DEP_2) | instskip(NEXT) | instid1(VALU_DEP_2)
	v_add_f32_e32 v12, v13, v14
	v_add_f32_e32 v13, v101, v100
	s_delay_alu instid0(VALU_DEP_1) | instskip(NEXT) | instid1(VALU_DEP_1)
	v_dual_add_f32 v14, v15, v12 :: v_dual_sub_f32 v101, v13, v101
	v_add_f32_e32 v17, v13, v14
	s_delay_alu instid0(VALU_DEP_2) | instskip(NEXT) | instid1(VALU_DEP_2)
	v_dual_sub_f32 v15, v14, v15 :: v_dual_sub_f32 v100, v100, v101
	v_sub_f32_e32 v102, v17, v13
	s_delay_alu instid0(VALU_DEP_1) | instskip(NEXT) | instid1(VALU_DEP_1)
	v_dual_sub_f32 v12, v12, v15 :: v_dual_sub_f32 v103, v17, v102
	v_dual_sub_f32 v14, v14, v102 :: v_dual_add_f32 v15, v100, v12
	s_delay_alu instid0(VALU_DEP_2) | instskip(NEXT) | instid1(VALU_DEP_1)
	v_sub_f32_e32 v13, v13, v103
	v_dual_add_f32 v13, v14, v13 :: v_dual_sub_f32 v14, v15, v100
	s_delay_alu instid0(VALU_DEP_1) | instskip(NEXT) | instid1(VALU_DEP_2)
	v_add_f32_e32 v13, v15, v13
	v_sub_f32_e32 v15, v15, v14
	s_delay_alu instid0(VALU_DEP_2) | instskip(NEXT) | instid1(VALU_DEP_1)
	v_dual_sub_f32 v12, v12, v14 :: v_dual_add_f32 v101, v17, v13
	v_dual_sub_f32 v15, v100, v15 :: v_dual_sub_f32 v14, v101, v17
	s_delay_alu instid0(VALU_DEP_1) | instskip(NEXT) | instid1(VALU_DEP_1)
	v_dual_add_f32 v12, v12, v15 :: v_dual_sub_f32 v13, v13, v14
	v_add_f32_e32 v12, v12, v13
	s_delay_alu instid0(VALU_DEP_1) | instskip(NEXT) | instid1(VALU_DEP_1)
	v_add_f32_e32 v12, v101, v12
	v_cndmask_b32_e32 v100, v12, v8, vcc_lo
.LBB22_96:                              ;   in Loop: Header=BB22_12 Depth=1
	s_or_b32 exec_lo, exec_lo, s29
	v_and_b32_e32 v8, 0xffff0000, v9
	s_delay_alu instid0(VALU_DEP_1) | instskip(NEXT) | instid1(VALU_DEP_1)
	v_add_f32_e32 v101, s66, v8
	v_cmp_ge_f32_e32 vcc_lo, 0x41a00000, v101
	s_and_b32 s28, s79, vcc_lo
	s_delay_alu instid0(SALU_CYCLE_1)
	s_and_saveexec_b32 s29, s28
	s_cbranch_execz .LBB22_98
; %bb.97:                               ;   in Loop: Header=BB22_12 Depth=1
	v_mul_f32_e32 v8, 0x3fb8aa3b, v101
	v_cmp_ngt_f32_e32 vcc_lo, 0xc2ce8ed0, v101
	s_delay_alu instid0(VALU_DEP_2) | instskip(SKIP_1) | instid1(VALU_DEP_2)
	v_rndne_f32_e32 v9, v8
	v_fma_f32 v12, 0x3fb8aa3b, v101, -v8
	v_sub_f32_e32 v8, v8, v9
	s_delay_alu instid0(VALU_DEP_2) | instskip(SKIP_1) | instid1(VALU_DEP_2)
	v_fmac_f32_e32 v12, 0x32a5705f, v101
	v_cvt_i32_f32_e32 v9, v9
	v_add_f32_e32 v8, v8, v12
	s_delay_alu instid0(VALU_DEP_1) | instskip(SKIP_2) | instid1(VALU_DEP_1)
	v_exp_f32_e32 v8, v8
	s_waitcnt_depctr 0xfff
	v_ldexp_f32 v8, v8, v9
	v_cndmask_b32_e32 v8, 0, v8, vcc_lo
	v_cmp_nlt_f32_e32 vcc_lo, 0x42b17218, v101
	s_delay_alu instid0(VALU_DEP_2) | instskip(NEXT) | instid1(VALU_DEP_1)
	v_cndmask_b32_e32 v12, 0x7f800000, v8, vcc_lo
	v_add_f32_e32 v13, 1.0, v12
	s_delay_alu instid0(VALU_DEP_1) | instskip(NEXT) | instid1(VALU_DEP_1)
	v_cvt_f64_f32_e32 v[8:9], v13
	v_frexp_exp_i32_f64_e32 v8, v[8:9]
	v_frexp_mant_f32_e32 v9, v13
	s_delay_alu instid0(VALU_DEP_1) | instskip(SKIP_1) | instid1(VALU_DEP_1)
	v_cmp_gt_f32_e32 vcc_lo, 0x3f2aaaab, v9
	v_add_f32_e32 v9, -1.0, v13
	v_sub_f32_e32 v15, v9, v13
	s_delay_alu instid0(VALU_DEP_1) | instskip(SKIP_1) | instid1(VALU_DEP_1)
	v_add_f32_e32 v15, 1.0, v15
	v_subrev_co_ci_u32_e32 v8, vcc_lo, 0, v8, vcc_lo
	v_sub_nc_u32_e32 v14, 0, v8
	v_cvt_f32_i32_e32 v8, v8
	s_delay_alu instid0(VALU_DEP_2) | instskip(NEXT) | instid1(VALU_DEP_1)
	v_ldexp_f32 v13, v13, v14
	v_add_f32_e32 v17, 1.0, v13
	v_sub_f32_e32 v9, v12, v9
	v_cmp_eq_f32_e32 vcc_lo, 0x7f800000, v12
	v_cmp_gt_f32_e64 s28, 0x33800000, v12
	s_delay_alu instid0(VALU_DEP_3) | instskip(NEXT) | instid1(VALU_DEP_2)
	v_add_f32_e32 v9, v9, v15
	s_or_b32 vcc_lo, s28, vcc_lo
	s_delay_alu instid0(VALU_DEP_1) | instskip(SKIP_2) | instid1(VALU_DEP_1)
	v_ldexp_f32 v9, v9, v14
	v_add_f32_e32 v14, -1.0, v13
	v_add_f32_e32 v15, -1.0, v17
	v_sub_f32_e32 v15, v13, v15
	s_delay_alu instid0(VALU_DEP_3) | instskip(NEXT) | instid1(VALU_DEP_2)
	v_add_f32_e32 v101, 1.0, v14
	v_add_f32_e32 v15, v9, v15
	s_delay_alu instid0(VALU_DEP_2) | instskip(NEXT) | instid1(VALU_DEP_2)
	v_sub_f32_e32 v13, v13, v101
	v_add_f32_e32 v101, v17, v15
	s_delay_alu instid0(VALU_DEP_2) | instskip(NEXT) | instid1(VALU_DEP_2)
	v_add_f32_e32 v9, v9, v13
	v_rcp_f32_e32 v13, v101
	s_delay_alu instid0(VALU_DEP_1) | instskip(NEXT) | instid1(VALU_DEP_1)
	v_add_f32_e32 v102, v14, v9
	v_dual_sub_f32 v17, v17, v101 :: v_dual_sub_f32 v14, v14, v102
	s_delay_alu instid0(VALU_DEP_1) | instskip(SKIP_2) | instid1(VALU_DEP_1)
	v_add_f32_e32 v15, v15, v17
	s_waitcnt_depctr 0xfff
	v_mul_f32_e32 v103, v102, v13
	v_mul_f32_e32 v104, v101, v103
	s_delay_alu instid0(VALU_DEP_1) | instskip(NEXT) | instid1(VALU_DEP_1)
	v_fma_f32 v17, v103, v101, -v104
	v_fmac_f32_e32 v17, v103, v15
	v_add_f32_e32 v9, v9, v14
	s_delay_alu instid0(VALU_DEP_2) | instskip(NEXT) | instid1(VALU_DEP_1)
	v_add_f32_e32 v105, v104, v17
	v_sub_f32_e32 v106, v102, v105
	v_sub_f32_e32 v14, v105, v104
	s_delay_alu instid0(VALU_DEP_2) | instskip(NEXT) | instid1(VALU_DEP_2)
	v_sub_f32_e32 v102, v102, v106
	v_sub_f32_e32 v14, v14, v17
	s_delay_alu instid0(VALU_DEP_2) | instskip(NEXT) | instid1(VALU_DEP_1)
	v_sub_f32_e32 v102, v102, v105
	v_add_f32_e32 v9, v9, v102
	s_delay_alu instid0(VALU_DEP_1) | instskip(NEXT) | instid1(VALU_DEP_1)
	v_add_f32_e32 v9, v14, v9
	v_add_f32_e32 v14, v106, v9
	s_delay_alu instid0(VALU_DEP_1) | instskip(NEXT) | instid1(VALU_DEP_1)
	v_mul_f32_e32 v17, v13, v14
	v_dual_sub_f32 v105, v106, v14 :: v_dual_mul_f32 v102, v101, v17
	s_delay_alu instid0(VALU_DEP_1) | instskip(NEXT) | instid1(VALU_DEP_2)
	v_add_f32_e32 v9, v9, v105
	v_fma_f32 v101, v17, v101, -v102
	s_delay_alu instid0(VALU_DEP_1) | instskip(NEXT) | instid1(VALU_DEP_1)
	v_fmac_f32_e32 v101, v17, v15
	v_add_f32_e32 v15, v102, v101
	s_delay_alu instid0(VALU_DEP_1) | instskip(SKIP_1) | instid1(VALU_DEP_2)
	v_sub_f32_e32 v104, v14, v15
	v_sub_f32_e32 v102, v15, v102
	;; [unrolled: 1-line block ×3, first 2 shown]
	s_delay_alu instid0(VALU_DEP_1) | instskip(NEXT) | instid1(VALU_DEP_1)
	v_sub_f32_e32 v14, v14, v15
	v_dual_add_f32 v9, v9, v14 :: v_dual_add_f32 v14, v103, v17
	s_delay_alu instid0(VALU_DEP_4) | instskip(NEXT) | instid1(VALU_DEP_1)
	v_sub_f32_e32 v15, v102, v101
	v_add_f32_e32 v9, v15, v9
	s_delay_alu instid0(VALU_DEP_3) | instskip(NEXT) | instid1(VALU_DEP_2)
	v_sub_f32_e32 v15, v14, v103
	v_add_f32_e32 v9, v104, v9
	s_delay_alu instid0(VALU_DEP_2) | instskip(NEXT) | instid1(VALU_DEP_2)
	v_sub_f32_e32 v15, v17, v15
	v_mul_f32_e32 v9, v13, v9
	s_delay_alu instid0(VALU_DEP_1) | instskip(NEXT) | instid1(VALU_DEP_1)
	v_add_f32_e32 v9, v15, v9
	v_add_f32_e32 v13, v14, v9
	s_delay_alu instid0(VALU_DEP_1) | instskip(NEXT) | instid1(VALU_DEP_1)
	v_mul_f32_e32 v15, v13, v13
	v_fmaak_f32 v17, s83, v15, 0x3ecc95a3
	v_mul_f32_e32 v101, v13, v15
	s_delay_alu instid0(VALU_DEP_2) | instskip(SKIP_2) | instid1(VALU_DEP_3)
	v_fmaak_f32 v15, v15, v17, 0x3f2aaada
	v_ldexp_f32 v17, v13, 1
	v_sub_f32_e32 v13, v13, v14
	v_mul_f32_e32 v15, v101, v15
	v_mul_f32_e32 v101, 0x3f317218, v8
	s_delay_alu instid0(VALU_DEP_3) | instskip(NEXT) | instid1(VALU_DEP_3)
	v_sub_f32_e32 v9, v9, v13
	v_add_f32_e32 v14, v17, v15
	s_delay_alu instid0(VALU_DEP_2) | instskip(NEXT) | instid1(VALU_DEP_2)
	v_ldexp_f32 v9, v9, 1
	v_sub_f32_e32 v13, v14, v17
	v_fma_f32 v17, 0x3f317218, v8, -v101
	s_delay_alu instid0(VALU_DEP_2) | instskip(NEXT) | instid1(VALU_DEP_1)
	v_sub_f32_e32 v13, v15, v13
	v_dual_fmac_f32 v17, 0xb102e308, v8 :: v_dual_add_f32 v8, v9, v13
	s_delay_alu instid0(VALU_DEP_1) | instskip(NEXT) | instid1(VALU_DEP_2)
	v_add_f32_e32 v9, v101, v17
	v_add_f32_e32 v13, v14, v8
	s_delay_alu instid0(VALU_DEP_2) | instskip(NEXT) | instid1(VALU_DEP_2)
	v_sub_f32_e32 v101, v9, v101
	v_add_f32_e32 v15, v9, v13
	v_sub_f32_e32 v14, v13, v14
	s_delay_alu instid0(VALU_DEP_3) | instskip(NEXT) | instid1(VALU_DEP_3)
	v_sub_f32_e32 v17, v17, v101
	v_sub_f32_e32 v102, v15, v9
	s_delay_alu instid0(VALU_DEP_3) | instskip(NEXT) | instid1(VALU_DEP_2)
	v_sub_f32_e32 v8, v8, v14
	v_sub_f32_e32 v103, v15, v102
	;; [unrolled: 1-line block ×3, first 2 shown]
	s_delay_alu instid0(VALU_DEP_3) | instskip(NEXT) | instid1(VALU_DEP_3)
	v_add_f32_e32 v14, v17, v8
	v_sub_f32_e32 v9, v9, v103
	s_delay_alu instid0(VALU_DEP_1) | instskip(NEXT) | instid1(VALU_DEP_3)
	v_add_f32_e32 v9, v13, v9
	v_sub_f32_e32 v13, v14, v17
	s_delay_alu instid0(VALU_DEP_2) | instskip(NEXT) | instid1(VALU_DEP_2)
	v_add_f32_e32 v9, v14, v9
	v_sub_f32_e32 v14, v14, v13
	v_sub_f32_e32 v8, v8, v13
	s_delay_alu instid0(VALU_DEP_2) | instskip(NEXT) | instid1(VALU_DEP_1)
	v_dual_add_f32 v101, v15, v9 :: v_dual_sub_f32 v14, v17, v14
	v_dual_sub_f32 v13, v101, v15 :: v_dual_add_f32 v8, v8, v14
	s_delay_alu instid0(VALU_DEP_1) | instskip(NEXT) | instid1(VALU_DEP_1)
	v_sub_f32_e32 v9, v9, v13
	v_add_f32_e32 v8, v8, v9
	s_delay_alu instid0(VALU_DEP_1) | instskip(NEXT) | instid1(VALU_DEP_1)
	v_add_f32_e32 v8, v101, v8
	v_cndmask_b32_e32 v101, v8, v12, vcc_lo
.LBB22_98:                              ;   in Loop: Header=BB22_12 Depth=1
	s_or_b32 exec_lo, exec_lo, s29
	v_lshlrev_b32_e32 v8, 16, v10
	s_delay_alu instid0(VALU_DEP_1) | instskip(NEXT) | instid1(VALU_DEP_1)
	v_add_f32_e32 v102, s66, v8
	v_cmp_ge_f32_e32 vcc_lo, 0x41a00000, v102
	s_and_b32 s28, s79, vcc_lo
	s_delay_alu instid0(SALU_CYCLE_1)
	s_and_saveexec_b32 s29, s28
	s_cbranch_execz .LBB22_100
; %bb.99:                               ;   in Loop: Header=BB22_12 Depth=1
	v_mul_f32_e32 v8, 0x3fb8aa3b, v102
	v_cmp_ngt_f32_e32 vcc_lo, 0xc2ce8ed0, v102
	s_delay_alu instid0(VALU_DEP_2) | instskip(SKIP_1) | instid1(VALU_DEP_2)
	v_rndne_f32_e32 v9, v8
	v_fma_f32 v12, 0x3fb8aa3b, v102, -v8
	v_sub_f32_e32 v8, v8, v9
	s_delay_alu instid0(VALU_DEP_2) | instskip(SKIP_1) | instid1(VALU_DEP_2)
	v_fmac_f32_e32 v12, 0x32a5705f, v102
	v_cvt_i32_f32_e32 v9, v9
	v_add_f32_e32 v8, v8, v12
	s_delay_alu instid0(VALU_DEP_1) | instskip(SKIP_2) | instid1(VALU_DEP_1)
	v_exp_f32_e32 v8, v8
	s_waitcnt_depctr 0xfff
	v_ldexp_f32 v8, v8, v9
	v_cndmask_b32_e32 v8, 0, v8, vcc_lo
	v_cmp_nlt_f32_e32 vcc_lo, 0x42b17218, v102
	s_delay_alu instid0(VALU_DEP_2) | instskip(NEXT) | instid1(VALU_DEP_1)
	v_cndmask_b32_e32 v12, 0x7f800000, v8, vcc_lo
	v_add_f32_e32 v13, 1.0, v12
	s_delay_alu instid0(VALU_DEP_1) | instskip(NEXT) | instid1(VALU_DEP_1)
	v_cvt_f64_f32_e32 v[8:9], v13
	v_frexp_exp_i32_f64_e32 v8, v[8:9]
	v_frexp_mant_f32_e32 v9, v13
	s_delay_alu instid0(VALU_DEP_1) | instskip(SKIP_1) | instid1(VALU_DEP_1)
	v_cmp_gt_f32_e32 vcc_lo, 0x3f2aaaab, v9
	v_add_f32_e32 v9, -1.0, v13
	v_sub_f32_e32 v15, v9, v13
	s_delay_alu instid0(VALU_DEP_1) | instskip(SKIP_1) | instid1(VALU_DEP_1)
	v_add_f32_e32 v15, 1.0, v15
	v_subrev_co_ci_u32_e32 v8, vcc_lo, 0, v8, vcc_lo
	v_sub_nc_u32_e32 v14, 0, v8
	v_cvt_f32_i32_e32 v8, v8
	s_delay_alu instid0(VALU_DEP_2) | instskip(NEXT) | instid1(VALU_DEP_1)
	v_ldexp_f32 v13, v13, v14
	v_add_f32_e32 v17, 1.0, v13
	v_sub_f32_e32 v9, v12, v9
	v_cmp_eq_f32_e32 vcc_lo, 0x7f800000, v12
	v_cmp_gt_f32_e64 s28, 0x33800000, v12
	s_delay_alu instid0(VALU_DEP_3) | instskip(NEXT) | instid1(VALU_DEP_2)
	v_add_f32_e32 v9, v9, v15
	s_or_b32 vcc_lo, s28, vcc_lo
	s_delay_alu instid0(VALU_DEP_1) | instskip(SKIP_1) | instid1(VALU_DEP_1)
	v_ldexp_f32 v9, v9, v14
	v_add_f32_e32 v14, -1.0, v13
	v_dual_add_f32 v15, -1.0, v17 :: v_dual_add_f32 v102, 1.0, v14
	s_delay_alu instid0(VALU_DEP_1) | instskip(NEXT) | instid1(VALU_DEP_2)
	v_sub_f32_e32 v15, v13, v15
	v_sub_f32_e32 v13, v13, v102
	s_delay_alu instid0(VALU_DEP_2) | instskip(NEXT) | instid1(VALU_DEP_2)
	v_add_f32_e32 v15, v9, v15
	v_add_f32_e32 v9, v9, v13
	s_delay_alu instid0(VALU_DEP_1) | instskip(NEXT) | instid1(VALU_DEP_1)
	v_dual_add_f32 v102, v17, v15 :: v_dual_add_f32 v103, v14, v9
	v_rcp_f32_e32 v13, v102
	s_delay_alu instid0(VALU_DEP_1) | instskip(NEXT) | instid1(VALU_DEP_1)
	v_dual_sub_f32 v17, v17, v102 :: v_dual_sub_f32 v14, v14, v103
	v_add_f32_e32 v15, v15, v17
	s_waitcnt_depctr 0xfff
	v_dual_add_f32 v9, v9, v14 :: v_dual_mul_f32 v104, v103, v13
	s_delay_alu instid0(VALU_DEP_1) | instskip(NEXT) | instid1(VALU_DEP_1)
	v_mul_f32_e32 v105, v102, v104
	v_fma_f32 v17, v104, v102, -v105
	s_delay_alu instid0(VALU_DEP_1) | instskip(NEXT) | instid1(VALU_DEP_1)
	v_fmac_f32_e32 v17, v104, v15
	v_add_f32_e32 v106, v105, v17
	s_delay_alu instid0(VALU_DEP_1) | instskip(NEXT) | instid1(VALU_DEP_1)
	v_sub_f32_e32 v107, v103, v106
	v_dual_sub_f32 v103, v103, v107 :: v_dual_sub_f32 v14, v106, v105
	s_delay_alu instid0(VALU_DEP_1) | instskip(NEXT) | instid1(VALU_DEP_1)
	v_dual_sub_f32 v103, v103, v106 :: v_dual_sub_f32 v14, v14, v17
	v_add_f32_e32 v9, v9, v103
	s_delay_alu instid0(VALU_DEP_1) | instskip(NEXT) | instid1(VALU_DEP_1)
	v_add_f32_e32 v9, v14, v9
	v_add_f32_e32 v14, v107, v9
	s_delay_alu instid0(VALU_DEP_1) | instskip(NEXT) | instid1(VALU_DEP_1)
	v_mul_f32_e32 v17, v13, v14
	v_dual_sub_f32 v106, v107, v14 :: v_dual_mul_f32 v103, v102, v17
	s_delay_alu instid0(VALU_DEP_1) | instskip(NEXT) | instid1(VALU_DEP_2)
	v_add_f32_e32 v9, v9, v106
	v_fma_f32 v102, v17, v102, -v103
	s_delay_alu instid0(VALU_DEP_1) | instskip(NEXT) | instid1(VALU_DEP_1)
	v_fmac_f32_e32 v102, v17, v15
	v_add_f32_e32 v15, v103, v102
	s_delay_alu instid0(VALU_DEP_1) | instskip(NEXT) | instid1(VALU_DEP_1)
	v_sub_f32_e32 v105, v14, v15
	v_dual_sub_f32 v103, v15, v103 :: v_dual_sub_f32 v14, v14, v105
	s_delay_alu instid0(VALU_DEP_1) | instskip(NEXT) | instid1(VALU_DEP_1)
	v_dual_sub_f32 v14, v14, v15 :: v_dual_sub_f32 v15, v103, v102
	v_dual_add_f32 v9, v9, v14 :: v_dual_add_f32 v14, v104, v17
	s_delay_alu instid0(VALU_DEP_1) | instskip(NEXT) | instid1(VALU_DEP_2)
	v_add_f32_e32 v9, v15, v9
	v_sub_f32_e32 v15, v14, v104
	s_delay_alu instid0(VALU_DEP_2) | instskip(NEXT) | instid1(VALU_DEP_2)
	v_add_f32_e32 v9, v105, v9
	v_sub_f32_e32 v15, v17, v15
	s_delay_alu instid0(VALU_DEP_2) | instskip(NEXT) | instid1(VALU_DEP_1)
	v_mul_f32_e32 v9, v13, v9
	v_add_f32_e32 v9, v15, v9
	s_delay_alu instid0(VALU_DEP_1) | instskip(NEXT) | instid1(VALU_DEP_1)
	v_add_f32_e32 v13, v14, v9
	v_mul_f32_e32 v15, v13, v13
	s_delay_alu instid0(VALU_DEP_1) | instskip(NEXT) | instid1(VALU_DEP_1)
	v_fmaak_f32 v17, s83, v15, 0x3ecc95a3
	v_dual_mul_f32 v102, v13, v15 :: v_dual_fmaak_f32 v15, v15, v17, 0x3f2aaada
	v_ldexp_f32 v17, v13, 1
	v_sub_f32_e32 v13, v13, v14
	s_delay_alu instid0(VALU_DEP_3) | instskip(NEXT) | instid1(VALU_DEP_2)
	v_dual_mul_f32 v15, v102, v15 :: v_dual_mul_f32 v102, 0x3f317218, v8
	v_sub_f32_e32 v9, v9, v13
	s_delay_alu instid0(VALU_DEP_2) | instskip(NEXT) | instid1(VALU_DEP_2)
	v_add_f32_e32 v14, v17, v15
	v_ldexp_f32 v9, v9, 1
	s_delay_alu instid0(VALU_DEP_2) | instskip(SKIP_1) | instid1(VALU_DEP_2)
	v_sub_f32_e32 v13, v14, v17
	v_fma_f32 v17, 0x3f317218, v8, -v102
	v_sub_f32_e32 v13, v15, v13
	s_delay_alu instid0(VALU_DEP_1) | instskip(NEXT) | instid1(VALU_DEP_1)
	v_dual_fmac_f32 v17, 0xb102e308, v8 :: v_dual_add_f32 v8, v9, v13
	v_add_f32_e32 v9, v102, v17
	s_delay_alu instid0(VALU_DEP_1) | instskip(NEXT) | instid1(VALU_DEP_1)
	v_dual_add_f32 v13, v14, v8 :: v_dual_sub_f32 v102, v9, v102
	v_add_f32_e32 v15, v9, v13
	v_sub_f32_e32 v14, v13, v14
	s_delay_alu instid0(VALU_DEP_3) | instskip(NEXT) | instid1(VALU_DEP_2)
	v_sub_f32_e32 v17, v17, v102
	v_dual_sub_f32 v103, v15, v9 :: v_dual_sub_f32 v8, v8, v14
	s_delay_alu instid0(VALU_DEP_1) | instskip(SKIP_1) | instid1(VALU_DEP_3)
	v_sub_f32_e32 v104, v15, v103
	v_sub_f32_e32 v13, v13, v103
	v_add_f32_e32 v14, v17, v8
	s_delay_alu instid0(VALU_DEP_3) | instskip(NEXT) | instid1(VALU_DEP_1)
	v_sub_f32_e32 v9, v9, v104
	v_add_f32_e32 v9, v13, v9
	s_delay_alu instid0(VALU_DEP_3) | instskip(NEXT) | instid1(VALU_DEP_2)
	v_sub_f32_e32 v13, v14, v17
	v_add_f32_e32 v9, v14, v9
	s_delay_alu instid0(VALU_DEP_2) | instskip(SKIP_1) | instid1(VALU_DEP_3)
	v_sub_f32_e32 v14, v14, v13
	v_sub_f32_e32 v8, v8, v13
	v_add_f32_e32 v102, v15, v9
	s_delay_alu instid0(VALU_DEP_1) | instskip(NEXT) | instid1(VALU_DEP_1)
	v_dual_sub_f32 v14, v17, v14 :: v_dual_sub_f32 v13, v102, v15
	v_dual_add_f32 v8, v8, v14 :: v_dual_sub_f32 v9, v9, v13
	s_delay_alu instid0(VALU_DEP_1) | instskip(NEXT) | instid1(VALU_DEP_1)
	v_add_f32_e32 v8, v8, v9
	v_add_f32_e32 v8, v102, v8
	s_delay_alu instid0(VALU_DEP_1)
	v_cndmask_b32_e32 v102, v8, v12, vcc_lo
.LBB22_100:                             ;   in Loop: Header=BB22_12 Depth=1
	s_or_b32 exec_lo, exec_lo, s29
	v_and_b32_e32 v8, 0xffff0000, v10
	s_delay_alu instid0(VALU_DEP_1) | instskip(NEXT) | instid1(VALU_DEP_1)
	v_add_f32_e32 v103, s66, v8
	v_cmp_ge_f32_e32 vcc_lo, 0x41a00000, v103
	s_and_b32 s28, s79, vcc_lo
	s_delay_alu instid0(SALU_CYCLE_1)
	s_and_saveexec_b32 s29, s28
	s_cbranch_execz .LBB22_102
; %bb.101:                              ;   in Loop: Header=BB22_12 Depth=1
	v_mul_f32_e32 v8, 0x3fb8aa3b, v103
	v_cmp_ngt_f32_e32 vcc_lo, 0xc2ce8ed0, v103
	s_delay_alu instid0(VALU_DEP_2) | instskip(SKIP_1) | instid1(VALU_DEP_2)
	v_rndne_f32_e32 v9, v8
	v_fma_f32 v10, 0x3fb8aa3b, v103, -v8
	v_sub_f32_e32 v8, v8, v9
	s_delay_alu instid0(VALU_DEP_2) | instskip(SKIP_1) | instid1(VALU_DEP_2)
	v_fmac_f32_e32 v10, 0x32a5705f, v103
	v_cvt_i32_f32_e32 v9, v9
	v_add_f32_e32 v8, v8, v10
	s_delay_alu instid0(VALU_DEP_1) | instskip(SKIP_2) | instid1(VALU_DEP_1)
	v_exp_f32_e32 v8, v8
	s_waitcnt_depctr 0xfff
	v_ldexp_f32 v8, v8, v9
	v_cndmask_b32_e32 v8, 0, v8, vcc_lo
	v_cmp_nlt_f32_e32 vcc_lo, 0x42b17218, v103
	s_delay_alu instid0(VALU_DEP_2) | instskip(NEXT) | instid1(VALU_DEP_1)
	v_cndmask_b32_e32 v10, 0x7f800000, v8, vcc_lo
	v_add_f32_e32 v12, 1.0, v10
	s_delay_alu instid0(VALU_DEP_1) | instskip(NEXT) | instid1(VALU_DEP_1)
	v_cvt_f64_f32_e32 v[8:9], v12
	v_frexp_exp_i32_f64_e32 v8, v[8:9]
	v_frexp_mant_f32_e32 v9, v12
	s_delay_alu instid0(VALU_DEP_1) | instskip(SKIP_1) | instid1(VALU_DEP_1)
	v_cmp_gt_f32_e32 vcc_lo, 0x3f2aaaab, v9
	v_add_f32_e32 v9, -1.0, v12
	v_dual_sub_f32 v14, v9, v12 :: v_dual_sub_f32 v9, v10, v9
	v_subrev_co_ci_u32_e32 v8, vcc_lo, 0, v8, vcc_lo
	s_delay_alu instid0(VALU_DEP_1) | instskip(SKIP_1) | instid1(VALU_DEP_2)
	v_sub_nc_u32_e32 v13, 0, v8
	v_cvt_f32_i32_e32 v8, v8
	v_ldexp_f32 v12, v12, v13
	s_delay_alu instid0(VALU_DEP_1) | instskip(NEXT) | instid1(VALU_DEP_1)
	v_dual_add_f32 v14, 1.0, v14 :: v_dual_add_f32 v15, 1.0, v12
	v_add_f32_e32 v9, v9, v14
	s_delay_alu instid0(VALU_DEP_1) | instskip(NEXT) | instid1(VALU_DEP_3)
	v_ldexp_f32 v9, v9, v13
	v_dual_add_f32 v13, -1.0, v12 :: v_dual_add_f32 v14, -1.0, v15
	s_delay_alu instid0(VALU_DEP_1) | instskip(NEXT) | instid1(VALU_DEP_1)
	v_dual_add_f32 v17, 1.0, v13 :: v_dual_sub_f32 v14, v12, v14
	v_sub_f32_e32 v12, v12, v17
	s_delay_alu instid0(VALU_DEP_2) | instskip(NEXT) | instid1(VALU_DEP_2)
	v_add_f32_e32 v14, v9, v14
	v_add_f32_e32 v9, v9, v12
	s_delay_alu instid0(VALU_DEP_2) | instskip(SKIP_2) | instid1(VALU_DEP_4)
	v_add_f32_e32 v17, v15, v14
	v_cmp_eq_f32_e32 vcc_lo, 0x7f800000, v10
	v_cmp_gt_f32_e64 s28, 0x33800000, v10
	v_add_f32_e32 v103, v13, v9
	s_delay_alu instid0(VALU_DEP_4) | instskip(SKIP_1) | instid1(VALU_DEP_3)
	v_rcp_f32_e32 v12, v17
	v_sub_f32_e32 v15, v15, v17
	s_or_b32 vcc_lo, s28, vcc_lo
	s_delay_alu instid0(VALU_DEP_2) | instskip(NEXT) | instid1(VALU_DEP_1)
	v_sub_f32_e32 v13, v13, v103
	v_dual_add_f32 v14, v14, v15 :: v_dual_add_f32 v9, v9, v13
	s_waitcnt_depctr 0xfff
	v_mul_f32_e32 v104, v103, v12
	s_delay_alu instid0(VALU_DEP_1) | instskip(NEXT) | instid1(VALU_DEP_1)
	v_mul_f32_e32 v105, v17, v104
	v_fma_f32 v15, v104, v17, -v105
	s_delay_alu instid0(VALU_DEP_1) | instskip(NEXT) | instid1(VALU_DEP_1)
	v_fmac_f32_e32 v15, v104, v14
	v_add_f32_e32 v106, v105, v15
	s_delay_alu instid0(VALU_DEP_1) | instskip(SKIP_1) | instid1(VALU_DEP_2)
	v_sub_f32_e32 v107, v103, v106
	v_sub_f32_e32 v13, v106, v105
	;; [unrolled: 1-line block ×3, first 2 shown]
	s_delay_alu instid0(VALU_DEP_2) | instskip(NEXT) | instid1(VALU_DEP_2)
	v_sub_f32_e32 v13, v13, v15
	v_sub_f32_e32 v103, v103, v106
	s_delay_alu instid0(VALU_DEP_1) | instskip(NEXT) | instid1(VALU_DEP_1)
	v_add_f32_e32 v9, v9, v103
	v_add_f32_e32 v9, v13, v9
	s_delay_alu instid0(VALU_DEP_1) | instskip(NEXT) | instid1(VALU_DEP_1)
	v_add_f32_e32 v13, v107, v9
	v_mul_f32_e32 v15, v12, v13
	s_delay_alu instid0(VALU_DEP_1) | instskip(NEXT) | instid1(VALU_DEP_1)
	v_dual_sub_f32 v106, v107, v13 :: v_dual_mul_f32 v103, v17, v15
	v_add_f32_e32 v9, v9, v106
	s_delay_alu instid0(VALU_DEP_2) | instskip(NEXT) | instid1(VALU_DEP_1)
	v_fma_f32 v17, v15, v17, -v103
	v_fmac_f32_e32 v17, v15, v14
	s_delay_alu instid0(VALU_DEP_1) | instskip(NEXT) | instid1(VALU_DEP_1)
	v_add_f32_e32 v14, v103, v17
	v_sub_f32_e32 v105, v13, v14
	v_sub_f32_e32 v103, v14, v103
	s_delay_alu instid0(VALU_DEP_2) | instskip(NEXT) | instid1(VALU_DEP_1)
	v_sub_f32_e32 v13, v13, v105
	v_dual_sub_f32 v13, v13, v14 :: v_dual_sub_f32 v14, v103, v17
	s_delay_alu instid0(VALU_DEP_1) | instskip(SKIP_1) | instid1(VALU_DEP_1)
	v_add_f32_e32 v9, v9, v13
	v_add_f32_e32 v13, v104, v15
	v_dual_add_f32 v9, v14, v9 :: v_dual_sub_f32 v14, v13, v104
	s_delay_alu instid0(VALU_DEP_1) | instskip(NEXT) | instid1(VALU_DEP_1)
	v_dual_add_f32 v9, v105, v9 :: v_dual_sub_f32 v14, v15, v14
	v_mul_f32_e32 v9, v12, v9
	s_delay_alu instid0(VALU_DEP_1) | instskip(NEXT) | instid1(VALU_DEP_1)
	v_add_f32_e32 v9, v14, v9
	v_add_f32_e32 v12, v13, v9
	s_delay_alu instid0(VALU_DEP_1) | instskip(NEXT) | instid1(VALU_DEP_1)
	v_mul_f32_e32 v14, v12, v12
	v_fmaak_f32 v15, s83, v14, 0x3ecc95a3
	s_delay_alu instid0(VALU_DEP_1) | instskip(SKIP_2) | instid1(VALU_DEP_3)
	v_dual_mul_f32 v17, v12, v14 :: v_dual_fmaak_f32 v14, v14, v15, 0x3f2aaada
	v_ldexp_f32 v15, v12, 1
	v_sub_f32_e32 v12, v12, v13
	v_dual_mul_f32 v14, v17, v14 :: v_dual_mul_f32 v17, 0x3f317218, v8
	s_delay_alu instid0(VALU_DEP_2) | instskip(NEXT) | instid1(VALU_DEP_2)
	v_sub_f32_e32 v9, v9, v12
	v_add_f32_e32 v13, v15, v14
	s_delay_alu instid0(VALU_DEP_2) | instskip(NEXT) | instid1(VALU_DEP_2)
	v_ldexp_f32 v9, v9, 1
	v_sub_f32_e32 v12, v13, v15
	v_fma_f32 v15, 0x3f317218, v8, -v17
	s_delay_alu instid0(VALU_DEP_2) | instskip(NEXT) | instid1(VALU_DEP_2)
	v_sub_f32_e32 v12, v14, v12
	v_fmac_f32_e32 v15, 0xb102e308, v8
	s_delay_alu instid0(VALU_DEP_2) | instskip(NEXT) | instid1(VALU_DEP_2)
	v_add_f32_e32 v8, v9, v12
	v_add_f32_e32 v9, v17, v15
	s_delay_alu instid0(VALU_DEP_2) | instskip(NEXT) | instid1(VALU_DEP_2)
	v_add_f32_e32 v12, v13, v8
	v_sub_f32_e32 v17, v9, v17
	s_delay_alu instid0(VALU_DEP_2) | instskip(NEXT) | instid1(VALU_DEP_2)
	v_dual_add_f32 v14, v9, v12 :: v_dual_sub_f32 v13, v12, v13
	v_sub_f32_e32 v15, v15, v17
	s_delay_alu instid0(VALU_DEP_2) | instskip(NEXT) | instid1(VALU_DEP_3)
	v_sub_f32_e32 v103, v14, v9
	v_sub_f32_e32 v8, v8, v13
	s_delay_alu instid0(VALU_DEP_2) | instskip(NEXT) | instid1(VALU_DEP_2)
	v_sub_f32_e32 v104, v14, v103
	v_dual_sub_f32 v12, v12, v103 :: v_dual_add_f32 v13, v15, v8
	s_delay_alu instid0(VALU_DEP_2) | instskip(NEXT) | instid1(VALU_DEP_1)
	v_sub_f32_e32 v9, v9, v104
	v_dual_add_f32 v9, v12, v9 :: v_dual_sub_f32 v12, v13, v15
	s_delay_alu instid0(VALU_DEP_1) | instskip(NEXT) | instid1(VALU_DEP_2)
	v_add_f32_e32 v9, v13, v9
	v_sub_f32_e32 v13, v13, v12
	s_delay_alu instid0(VALU_DEP_2) | instskip(NEXT) | instid1(VALU_DEP_1)
	v_dual_sub_f32 v8, v8, v12 :: v_dual_add_f32 v17, v14, v9
	v_dual_sub_f32 v13, v15, v13 :: v_dual_sub_f32 v12, v17, v14
	s_delay_alu instid0(VALU_DEP_1) | instskip(NEXT) | instid1(VALU_DEP_1)
	v_dual_add_f32 v8, v8, v13 :: v_dual_sub_f32 v9, v9, v12
	v_add_f32_e32 v8, v8, v9
	s_delay_alu instid0(VALU_DEP_1) | instskip(NEXT) | instid1(VALU_DEP_1)
	v_add_f32_e32 v8, v17, v8
	v_cndmask_b32_e32 v103, v8, v10, vcc_lo
.LBB22_102:                             ;   in Loop: Header=BB22_12 Depth=1
	s_or_b32 exec_lo, exec_lo, s29
	v_lshlrev_b32_e32 v8, 16, v11
	s_delay_alu instid0(VALU_DEP_1) | instskip(NEXT) | instid1(VALU_DEP_1)
	v_add_f32_e32 v104, s66, v8
	v_cmp_ge_f32_e32 vcc_lo, 0x41a00000, v104
	s_and_b32 s28, s79, vcc_lo
	s_delay_alu instid0(SALU_CYCLE_1)
	s_and_saveexec_b32 s29, s28
	s_cbranch_execz .LBB22_104
; %bb.103:                              ;   in Loop: Header=BB22_12 Depth=1
	v_mul_f32_e32 v8, 0x3fb8aa3b, v104
	v_cmp_ngt_f32_e32 vcc_lo, 0xc2ce8ed0, v104
	s_delay_alu instid0(VALU_DEP_2) | instskip(SKIP_1) | instid1(VALU_DEP_2)
	v_rndne_f32_e32 v9, v8
	v_fma_f32 v10, 0x3fb8aa3b, v104, -v8
	v_sub_f32_e32 v8, v8, v9
	s_delay_alu instid0(VALU_DEP_2) | instskip(SKIP_1) | instid1(VALU_DEP_2)
	v_fmac_f32_e32 v10, 0x32a5705f, v104
	v_cvt_i32_f32_e32 v9, v9
	v_add_f32_e32 v8, v8, v10
	s_delay_alu instid0(VALU_DEP_1) | instskip(SKIP_2) | instid1(VALU_DEP_1)
	v_exp_f32_e32 v8, v8
	s_waitcnt_depctr 0xfff
	v_ldexp_f32 v8, v8, v9
	v_cndmask_b32_e32 v8, 0, v8, vcc_lo
	v_cmp_nlt_f32_e32 vcc_lo, 0x42b17218, v104
	s_delay_alu instid0(VALU_DEP_2) | instskip(NEXT) | instid1(VALU_DEP_1)
	v_cndmask_b32_e32 v10, 0x7f800000, v8, vcc_lo
	v_add_f32_e32 v12, 1.0, v10
	s_delay_alu instid0(VALU_DEP_1) | instskip(NEXT) | instid1(VALU_DEP_1)
	v_cvt_f64_f32_e32 v[8:9], v12
	v_frexp_exp_i32_f64_e32 v8, v[8:9]
	v_frexp_mant_f32_e32 v9, v12
	s_delay_alu instid0(VALU_DEP_1) | instskip(SKIP_1) | instid1(VALU_DEP_1)
	v_cmp_gt_f32_e32 vcc_lo, 0x3f2aaaab, v9
	v_add_f32_e32 v9, -1.0, v12
	v_dual_sub_f32 v14, v9, v12 :: v_dual_sub_f32 v9, v10, v9
	v_subrev_co_ci_u32_e32 v8, vcc_lo, 0, v8, vcc_lo
	s_delay_alu instid0(VALU_DEP_1) | instskip(SKIP_1) | instid1(VALU_DEP_2)
	v_sub_nc_u32_e32 v13, 0, v8
	v_cvt_f32_i32_e32 v8, v8
	v_ldexp_f32 v12, v12, v13
	s_delay_alu instid0(VALU_DEP_1) | instskip(NEXT) | instid1(VALU_DEP_1)
	v_dual_add_f32 v14, 1.0, v14 :: v_dual_add_f32 v15, 1.0, v12
	v_add_f32_e32 v9, v9, v14
	s_delay_alu instid0(VALU_DEP_1) | instskip(NEXT) | instid1(VALU_DEP_3)
	v_ldexp_f32 v9, v9, v13
	v_dual_add_f32 v13, -1.0, v12 :: v_dual_add_f32 v14, -1.0, v15
	s_delay_alu instid0(VALU_DEP_1) | instskip(NEXT) | instid1(VALU_DEP_1)
	v_dual_add_f32 v17, 1.0, v13 :: v_dual_sub_f32 v14, v12, v14
	v_sub_f32_e32 v12, v12, v17
	s_delay_alu instid0(VALU_DEP_2) | instskip(NEXT) | instid1(VALU_DEP_2)
	v_add_f32_e32 v14, v9, v14
	v_add_f32_e32 v9, v9, v12
	s_delay_alu instid0(VALU_DEP_2) | instskip(SKIP_2) | instid1(VALU_DEP_4)
	v_add_f32_e32 v17, v15, v14
	v_cmp_eq_f32_e32 vcc_lo, 0x7f800000, v10
	v_cmp_gt_f32_e64 s28, 0x33800000, v10
	v_add_f32_e32 v104, v13, v9
	s_delay_alu instid0(VALU_DEP_4) | instskip(SKIP_1) | instid1(VALU_DEP_3)
	v_rcp_f32_e32 v12, v17
	v_sub_f32_e32 v15, v15, v17
	s_or_b32 vcc_lo, s28, vcc_lo
	s_delay_alu instid0(VALU_DEP_2) | instskip(NEXT) | instid1(VALU_DEP_1)
	v_sub_f32_e32 v13, v13, v104
	v_add_f32_e32 v9, v9, v13
	s_waitcnt_depctr 0xfff
	v_dual_mul_f32 v105, v104, v12 :: v_dual_add_f32 v14, v14, v15
	s_delay_alu instid0(VALU_DEP_1) | instskip(NEXT) | instid1(VALU_DEP_1)
	v_mul_f32_e32 v106, v17, v105
	v_fma_f32 v15, v105, v17, -v106
	s_delay_alu instid0(VALU_DEP_1) | instskip(NEXT) | instid1(VALU_DEP_1)
	v_fmac_f32_e32 v15, v105, v14
	v_add_f32_e32 v107, v106, v15
	s_delay_alu instid0(VALU_DEP_1) | instskip(NEXT) | instid1(VALU_DEP_1)
	v_dual_sub_f32 v13, v107, v106 :: v_dual_sub_f32 v108, v104, v107
	v_dual_sub_f32 v13, v13, v15 :: v_dual_sub_f32 v104, v104, v108
	s_delay_alu instid0(VALU_DEP_1) | instskip(NEXT) | instid1(VALU_DEP_1)
	v_sub_f32_e32 v104, v104, v107
	v_add_f32_e32 v9, v9, v104
	s_delay_alu instid0(VALU_DEP_1) | instskip(NEXT) | instid1(VALU_DEP_1)
	v_add_f32_e32 v9, v13, v9
	v_add_f32_e32 v13, v108, v9
	s_delay_alu instid0(VALU_DEP_1) | instskip(NEXT) | instid1(VALU_DEP_1)
	v_mul_f32_e32 v15, v12, v13
	v_mul_f32_e32 v104, v17, v15
	s_delay_alu instid0(VALU_DEP_1) | instskip(NEXT) | instid1(VALU_DEP_1)
	v_fma_f32 v17, v15, v17, -v104
	v_fmac_f32_e32 v17, v15, v14
	s_delay_alu instid0(VALU_DEP_1) | instskip(NEXT) | instid1(VALU_DEP_1)
	v_add_f32_e32 v14, v104, v17
	v_dual_sub_f32 v107, v108, v13 :: v_dual_sub_f32 v106, v13, v14
	s_delay_alu instid0(VALU_DEP_1) | instskip(NEXT) | instid1(VALU_DEP_2)
	v_dual_sub_f32 v13, v13, v106 :: v_dual_sub_f32 v104, v14, v104
	v_add_f32_e32 v9, v9, v107
	s_delay_alu instid0(VALU_DEP_2) | instskip(NEXT) | instid1(VALU_DEP_1)
	v_dual_sub_f32 v13, v13, v14 :: v_dual_sub_f32 v14, v104, v17
	v_add_f32_e32 v9, v9, v13
	v_add_f32_e32 v13, v105, v15
	s_delay_alu instid0(VALU_DEP_2) | instskip(NEXT) | instid1(VALU_DEP_2)
	v_add_f32_e32 v9, v14, v9
	v_sub_f32_e32 v14, v13, v105
	s_delay_alu instid0(VALU_DEP_1) | instskip(NEXT) | instid1(VALU_DEP_1)
	v_dual_add_f32 v9, v106, v9 :: v_dual_sub_f32 v14, v15, v14
	v_mul_f32_e32 v9, v12, v9
	s_delay_alu instid0(VALU_DEP_1) | instskip(NEXT) | instid1(VALU_DEP_1)
	v_add_f32_e32 v9, v14, v9
	v_add_f32_e32 v12, v13, v9
	s_delay_alu instid0(VALU_DEP_1) | instskip(NEXT) | instid1(VALU_DEP_1)
	v_mul_f32_e32 v14, v12, v12
	v_fmaak_f32 v15, s83, v14, 0x3ecc95a3
	s_delay_alu instid0(VALU_DEP_1) | instskip(SKIP_1) | instid1(VALU_DEP_2)
	v_dual_mul_f32 v17, v12, v14 :: v_dual_fmaak_f32 v14, v14, v15, 0x3f2aaada
	v_ldexp_f32 v15, v12, 1
	v_mul_f32_e32 v14, v17, v14
	v_dual_sub_f32 v12, v12, v13 :: v_dual_mul_f32 v17, 0x3f317218, v8
	s_delay_alu instid0(VALU_DEP_2) | instskip(NEXT) | instid1(VALU_DEP_2)
	v_add_f32_e32 v13, v15, v14
	v_sub_f32_e32 v9, v9, v12
	s_delay_alu instid0(VALU_DEP_2) | instskip(NEXT) | instid1(VALU_DEP_4)
	v_sub_f32_e32 v12, v13, v15
	v_fma_f32 v15, 0x3f317218, v8, -v17
	s_delay_alu instid0(VALU_DEP_3) | instskip(NEXT) | instid1(VALU_DEP_3)
	v_ldexp_f32 v9, v9, 1
	v_sub_f32_e32 v12, v14, v12
	s_delay_alu instid0(VALU_DEP_3) | instskip(NEXT) | instid1(VALU_DEP_2)
	v_fmac_f32_e32 v15, 0xb102e308, v8
	v_add_f32_e32 v8, v9, v12
	s_delay_alu instid0(VALU_DEP_1) | instskip(NEXT) | instid1(VALU_DEP_3)
	v_add_f32_e32 v12, v13, v8
	v_add_f32_e32 v9, v17, v15
	s_delay_alu instid0(VALU_DEP_1) | instskip(NEXT) | instid1(VALU_DEP_1)
	v_dual_sub_f32 v13, v12, v13 :: v_dual_add_f32 v14, v9, v12
	v_sub_f32_e32 v8, v8, v13
	s_delay_alu instid0(VALU_DEP_2) | instskip(NEXT) | instid1(VALU_DEP_1)
	v_sub_f32_e32 v104, v14, v9
	v_dual_sub_f32 v12, v12, v104 :: v_dual_sub_f32 v17, v9, v17
	s_delay_alu instid0(VALU_DEP_1) | instskip(NEXT) | instid1(VALU_DEP_1)
	v_sub_f32_e32 v15, v15, v17
	v_add_f32_e32 v13, v15, v8
	v_sub_f32_e32 v105, v14, v104
	s_delay_alu instid0(VALU_DEP_1) | instskip(NEXT) | instid1(VALU_DEP_1)
	v_sub_f32_e32 v9, v9, v105
	v_dual_add_f32 v9, v12, v9 :: v_dual_sub_f32 v12, v13, v15
	s_delay_alu instid0(VALU_DEP_1) | instskip(NEXT) | instid1(VALU_DEP_2)
	v_add_f32_e32 v9, v13, v9
	v_sub_f32_e32 v13, v13, v12
	s_delay_alu instid0(VALU_DEP_2) | instskip(NEXT) | instid1(VALU_DEP_1)
	v_dual_sub_f32 v8, v8, v12 :: v_dual_add_f32 v17, v14, v9
	v_dual_sub_f32 v12, v17, v14 :: v_dual_sub_f32 v13, v15, v13
	s_delay_alu instid0(VALU_DEP_1) | instskip(NEXT) | instid1(VALU_DEP_1)
	v_dual_sub_f32 v9, v9, v12 :: v_dual_add_f32 v8, v8, v13
	v_add_f32_e32 v8, v8, v9
	s_delay_alu instid0(VALU_DEP_1) | instskip(NEXT) | instid1(VALU_DEP_1)
	v_add_f32_e32 v8, v17, v8
	v_cndmask_b32_e32 v104, v8, v10, vcc_lo
.LBB22_104:                             ;   in Loop: Header=BB22_12 Depth=1
	s_or_b32 exec_lo, exec_lo, s29
	v_and_b32_e32 v8, 0xffff0000, v11
	s_delay_alu instid0(VALU_DEP_1) | instskip(NEXT) | instid1(VALU_DEP_1)
	v_add_f32_e32 v121, s66, v8
	v_cmp_ge_f32_e32 vcc_lo, 0x41a00000, v121
	s_and_b32 s28, s79, vcc_lo
	s_delay_alu instid0(SALU_CYCLE_1)
	s_and_saveexec_b32 s29, s28
	s_cbranch_execz .LBB22_106
; %bb.105:                              ;   in Loop: Header=BB22_12 Depth=1
	v_mul_f32_e32 v8, 0x3fb8aa3b, v121
	v_cmp_ngt_f32_e32 vcc_lo, 0xc2ce8ed0, v121
	s_delay_alu instid0(VALU_DEP_2) | instskip(SKIP_1) | instid1(VALU_DEP_2)
	v_rndne_f32_e32 v9, v8
	v_fma_f32 v10, 0x3fb8aa3b, v121, -v8
	v_sub_f32_e32 v8, v8, v9
	s_delay_alu instid0(VALU_DEP_2) | instskip(SKIP_1) | instid1(VALU_DEP_2)
	v_fmac_f32_e32 v10, 0x32a5705f, v121
	v_cvt_i32_f32_e32 v9, v9
	v_add_f32_e32 v8, v8, v10
	s_delay_alu instid0(VALU_DEP_1) | instskip(SKIP_2) | instid1(VALU_DEP_1)
	v_exp_f32_e32 v8, v8
	s_waitcnt_depctr 0xfff
	v_ldexp_f32 v8, v8, v9
	v_cndmask_b32_e32 v8, 0, v8, vcc_lo
	v_cmp_nlt_f32_e32 vcc_lo, 0x42b17218, v121
	s_delay_alu instid0(VALU_DEP_2) | instskip(NEXT) | instid1(VALU_DEP_1)
	v_cndmask_b32_e32 v10, 0x7f800000, v8, vcc_lo
	v_add_f32_e32 v11, 1.0, v10
	s_delay_alu instid0(VALU_DEP_1) | instskip(NEXT) | instid1(VALU_DEP_1)
	v_cvt_f64_f32_e32 v[8:9], v11
	v_frexp_exp_i32_f64_e32 v8, v[8:9]
	v_frexp_mant_f32_e32 v9, v11
	s_delay_alu instid0(VALU_DEP_1) | instskip(SKIP_1) | instid1(VALU_DEP_1)
	v_cmp_gt_f32_e32 vcc_lo, 0x3f2aaaab, v9
	v_add_f32_e32 v9, -1.0, v11
	v_sub_f32_e32 v13, v9, v11
	v_sub_f32_e32 v9, v10, v9
	s_delay_alu instid0(VALU_DEP_2) | instskip(NEXT) | instid1(VALU_DEP_1)
	v_add_f32_e32 v13, 1.0, v13
	v_add_f32_e32 v9, v9, v13
	v_cmp_gt_f32_e64 s28, 0x33800000, v10
	v_subrev_co_ci_u32_e32 v8, vcc_lo, 0, v8, vcc_lo
	v_cmp_eq_f32_e32 vcc_lo, 0x7f800000, v10
	s_delay_alu instid0(VALU_DEP_2) | instskip(SKIP_2) | instid1(VALU_DEP_2)
	v_sub_nc_u32_e32 v12, 0, v8
	v_cvt_f32_i32_e32 v8, v8
	s_or_b32 vcc_lo, s28, vcc_lo
	v_ldexp_f32 v11, v11, v12
	v_ldexp_f32 v9, v9, v12
	s_delay_alu instid0(VALU_DEP_2) | instskip(NEXT) | instid1(VALU_DEP_1)
	v_add_f32_e32 v14, 1.0, v11
	v_dual_add_f32 v12, -1.0, v11 :: v_dual_add_f32 v13, -1.0, v14
	s_delay_alu instid0(VALU_DEP_1) | instskip(NEXT) | instid1(VALU_DEP_2)
	v_add_f32_e32 v15, 1.0, v12
	v_sub_f32_e32 v13, v11, v13
	s_delay_alu instid0(VALU_DEP_2) | instskip(NEXT) | instid1(VALU_DEP_2)
	v_sub_f32_e32 v11, v11, v15
	v_add_f32_e32 v13, v9, v13
	s_delay_alu instid0(VALU_DEP_2) | instskip(NEXT) | instid1(VALU_DEP_1)
	v_add_f32_e32 v9, v9, v11
	v_add_f32_e32 v17, v12, v9
	s_delay_alu instid0(VALU_DEP_3) | instskip(NEXT) | instid1(VALU_DEP_2)
	v_add_f32_e32 v15, v14, v13
	v_sub_f32_e32 v12, v12, v17
	s_delay_alu instid0(VALU_DEP_2) | instskip(SKIP_1) | instid1(VALU_DEP_1)
	v_rcp_f32_e32 v11, v15
	v_sub_f32_e32 v14, v14, v15
	v_add_f32_e32 v13, v13, v14
	s_waitcnt_depctr 0xfff
	v_mul_f32_e32 v105, v17, v11
	s_delay_alu instid0(VALU_DEP_1) | instskip(NEXT) | instid1(VALU_DEP_1)
	v_dual_mul_f32 v106, v15, v105 :: v_dual_add_f32 v9, v9, v12
	v_fma_f32 v14, v105, v15, -v106
	s_delay_alu instid0(VALU_DEP_1) | instskip(NEXT) | instid1(VALU_DEP_1)
	v_fmac_f32_e32 v14, v105, v13
	v_add_f32_e32 v107, v106, v14
	s_delay_alu instid0(VALU_DEP_1) | instskip(SKIP_1) | instid1(VALU_DEP_1)
	v_sub_f32_e32 v12, v107, v106
	v_sub_f32_e32 v108, v17, v107
	v_dual_sub_f32 v12, v12, v14 :: v_dual_sub_f32 v17, v17, v108
	s_delay_alu instid0(VALU_DEP_1) | instskip(NEXT) | instid1(VALU_DEP_1)
	v_sub_f32_e32 v17, v17, v107
	v_add_f32_e32 v9, v9, v17
	s_delay_alu instid0(VALU_DEP_1) | instskip(NEXT) | instid1(VALU_DEP_1)
	v_add_f32_e32 v9, v12, v9
	v_add_f32_e32 v12, v108, v9
	s_delay_alu instid0(VALU_DEP_1) | instskip(SKIP_1) | instid1(VALU_DEP_2)
	v_mul_f32_e32 v14, v11, v12
	v_sub_f32_e32 v107, v108, v12
	v_mul_f32_e32 v17, v15, v14
	s_delay_alu instid0(VALU_DEP_2) | instskip(NEXT) | instid1(VALU_DEP_2)
	v_add_f32_e32 v9, v9, v107
	v_fma_f32 v15, v14, v15, -v17
	s_delay_alu instid0(VALU_DEP_1) | instskip(NEXT) | instid1(VALU_DEP_1)
	v_fmac_f32_e32 v15, v14, v13
	v_add_f32_e32 v13, v17, v15
	s_delay_alu instid0(VALU_DEP_1) | instskip(NEXT) | instid1(VALU_DEP_1)
	v_sub_f32_e32 v106, v12, v13
	v_dual_sub_f32 v17, v13, v17 :: v_dual_sub_f32 v12, v12, v106
	s_delay_alu instid0(VALU_DEP_1) | instskip(NEXT) | instid1(VALU_DEP_1)
	v_dual_sub_f32 v12, v12, v13 :: v_dual_sub_f32 v13, v17, v15
	v_add_f32_e32 v9, v9, v12
	v_add_f32_e32 v12, v105, v14
	s_delay_alu instid0(VALU_DEP_2) | instskip(NEXT) | instid1(VALU_DEP_2)
	v_add_f32_e32 v9, v13, v9
	v_sub_f32_e32 v13, v12, v105
	s_delay_alu instid0(VALU_DEP_2) | instskip(NEXT) | instid1(VALU_DEP_2)
	v_add_f32_e32 v9, v106, v9
	v_sub_f32_e32 v13, v14, v13
	s_delay_alu instid0(VALU_DEP_2) | instskip(NEXT) | instid1(VALU_DEP_1)
	v_mul_f32_e32 v9, v11, v9
	v_add_f32_e32 v9, v13, v9
	s_delay_alu instid0(VALU_DEP_1) | instskip(NEXT) | instid1(VALU_DEP_1)
	v_add_f32_e32 v11, v12, v9
	v_mul_f32_e32 v13, v11, v11
	s_delay_alu instid0(VALU_DEP_1) | instskip(SKIP_1) | instid1(VALU_DEP_2)
	v_fmaak_f32 v14, s83, v13, 0x3ecc95a3
	v_mul_f32_e32 v15, v11, v13
	v_fmaak_f32 v13, v13, v14, 0x3f2aaada
	v_ldexp_f32 v14, v11, 1
	v_sub_f32_e32 v11, v11, v12
	s_delay_alu instid0(VALU_DEP_3) | instskip(SKIP_1) | instid1(VALU_DEP_2)
	v_mul_f32_e32 v13, v15, v13
	v_mul_f32_e32 v15, 0x3f317218, v8
	v_dual_sub_f32 v9, v9, v11 :: v_dual_add_f32 v12, v14, v13
	s_delay_alu instid0(VALU_DEP_1) | instskip(NEXT) | instid1(VALU_DEP_2)
	v_ldexp_f32 v9, v9, 1
	v_sub_f32_e32 v11, v12, v14
	s_delay_alu instid0(VALU_DEP_4) | instskip(NEXT) | instid1(VALU_DEP_1)
	v_fma_f32 v14, 0x3f317218, v8, -v15
	v_dual_sub_f32 v11, v13, v11 :: v_dual_fmac_f32 v14, 0xb102e308, v8
	s_delay_alu instid0(VALU_DEP_1) | instskip(NEXT) | instid1(VALU_DEP_1)
	v_dual_add_f32 v8, v9, v11 :: v_dual_add_f32 v9, v15, v14
	v_add_f32_e32 v11, v12, v8
	s_delay_alu instid0(VALU_DEP_2) | instskip(NEXT) | instid1(VALU_DEP_2)
	v_sub_f32_e32 v15, v9, v15
	v_dual_add_f32 v13, v9, v11 :: v_dual_sub_f32 v12, v11, v12
	s_delay_alu instid0(VALU_DEP_1) | instskip(NEXT) | instid1(VALU_DEP_1)
	v_dual_sub_f32 v14, v14, v15 :: v_dual_sub_f32 v17, v13, v9
	v_dual_sub_f32 v8, v8, v12 :: v_dual_sub_f32 v105, v13, v17
	s_delay_alu instid0(VALU_DEP_1) | instskip(NEXT) | instid1(VALU_DEP_2)
	v_dual_sub_f32 v11, v11, v17 :: v_dual_add_f32 v12, v14, v8
	v_sub_f32_e32 v9, v9, v105
	s_delay_alu instid0(VALU_DEP_1) | instskip(NEXT) | instid1(VALU_DEP_3)
	v_add_f32_e32 v9, v11, v9
	v_sub_f32_e32 v11, v12, v14
	s_delay_alu instid0(VALU_DEP_2) | instskip(NEXT) | instid1(VALU_DEP_2)
	v_add_f32_e32 v9, v12, v9
	v_sub_f32_e32 v12, v12, v11
	s_delay_alu instid0(VALU_DEP_2) | instskip(NEXT) | instid1(VALU_DEP_1)
	v_dual_sub_f32 v8, v8, v11 :: v_dual_add_f32 v15, v13, v9
	v_dual_sub_f32 v12, v14, v12 :: v_dual_sub_f32 v11, v15, v13
	s_delay_alu instid0(VALU_DEP_1) | instskip(NEXT) | instid1(VALU_DEP_1)
	v_dual_add_f32 v8, v8, v12 :: v_dual_sub_f32 v9, v9, v11
	v_add_f32_e32 v8, v8, v9
	s_delay_alu instid0(VALU_DEP_1) | instskip(NEXT) | instid1(VALU_DEP_1)
	v_add_f32_e32 v8, v15, v8
	v_cndmask_b32_e32 v121, v8, v10, vcc_lo
.LBB22_106:                             ;   in Loop: Header=BB22_12 Depth=1
	s_or_b32 exec_lo, exec_lo, s29
	v_and_b32_e32 v11, 0xffff0000, v3
	v_and_b32_e32 v9, 0xffff0000, v6
	v_lshlrev_b32_e32 v6, 16, v6
	v_and_b32_e32 v15, 0xffff0000, v0
	v_lshlrev_b32_e32 v8, 16, v7
	v_mul_f32_e32 v115, s67, v11
	v_mul_f32_e32 v105, s67, v9
	v_dual_mul_f32 v107, s67, v6 :: v_dual_and_b32 v10, 0xffff0000, v5
	v_and_b32_e32 v14, 0xffff0000, v7
	v_and_b32_e32 v7, 0xffff0000, v4
	v_lshlrev_b32_e32 v5, 16, v5
	s_delay_alu instid0(VALU_DEP_4) | instskip(NEXT) | instid1(VALU_DEP_4)
	v_dual_mul_f32 v109, s67, v10 :: v_dual_lshlrev_b32 v0, 16, v0
	v_mul_f32_e32 v111, s67, v14
	v_and_b32_e32 v13, 0xffff0000, v1
	v_lshlrev_b32_e32 v3, 16, v3
	v_mul_f32_e32 v108, s67, v7
	v_mul_f32_e32 v120, s67, v0
	s_delay_alu instid0(VALU_DEP_4) | instskip(SKIP_3) | instid1(VALU_DEP_4)
	v_dual_mul_f32 v113, s67, v13 :: v_dual_and_b32 v12, 0xffff0000, v2
	v_lshlrev_b32_e32 v1, 16, v1
	v_mul_f32_e32 v110, s67, v5
	v_mul_f32_e32 v106, s67, v8
	;; [unrolled: 1-line block ×5, first 2 shown]
	v_dual_mul_f32 v119, s67, v15 :: v_dual_lshlrev_b32 v2, 16, v2
	v_lshlrev_b32_e32 v4, 16, v4
	s_and_b32 vcc_lo, exec_lo, s80
	s_delay_alu instid0(VALU_DEP_2) | instskip(SKIP_1) | instid1(VALU_DEP_2)
	v_mul_f32_e32 v117, s67, v2
	s_barrier
	v_mul_f32_e32 v112, s67, v4
	buffer_gl0_inv
	s_cbranch_vccz .LBB22_202
; %bb.107:                              ;   in Loop: Header=BB22_12 Depth=1
	v_dual_mul_f32 v122, v121, v14 :: v_dual_mul_f32 v127, v104, v8
	v_add_co_u32 v14, s28, s53, v16
	s_delay_alu instid0(VALU_DEP_1) | instskip(SKIP_1) | instid1(VALU_DEP_1)
	v_add_co_ci_u32_e64 v17, null, s73, 0, s28
	v_add_co_u32 v16, s28, s57, v16
	v_add_co_ci_u32_e64 v126, null, s74, 0, s28
	s_delay_alu instid0(VALU_DEP_4) | instskip(NEXT) | instid1(VALU_DEP_4)
	v_add_co_u32 v123, vcc_lo, v14, v89
	v_add_co_ci_u32_e32 v124, vcc_lo, 0, v17, vcc_lo
	s_delay_alu instid0(VALU_DEP_4) | instskip(NEXT) | instid1(VALU_DEP_4)
	v_add_co_u32 v125, vcc_lo, v16, v89
	v_add_co_ci_u32_e32 v126, vcc_lo, 0, v126, vcc_lo
	v_cmp_gt_u32_e32 vcc_lo, s40, v18
	s_cmp_lg_u32 s85, 0
	v_cmp_gt_u32_e64 s30, s40, v75
	s_cselect_b32 s51, -1, 0
	s_cmp_eq_u32 s85, s82
	v_cmp_gt_u32_e64 s31, s40, v76
	s_cselect_b32 s86, -1, 0
	s_or_b32 s28, s81, vcc_lo
	v_cmp_gt_u32_e32 vcc_lo, s40, v74
	v_cmp_gt_u32_e64 s33, s40, v77
	v_cmp_gt_u32_e64 s34, s40, v78
	;; [unrolled: 1-line block ×4, first 2 shown]
	s_or_b32 s29, s81, vcc_lo
	v_cmp_gt_u32_e32 vcc_lo, s40, v79
	v_cmp_gt_u32_e64 s38, s40, v82
	v_cmp_gt_u32_e64 s39, s40, v83
	v_cmp_gt_u32_e64 s41, s40, v85
	v_cmp_gt_u32_e64 s42, s40, v86
	s_or_b32 s35, s81, vcc_lo
	v_cmp_gt_u32_e32 vcc_lo, s40, v84
	v_cmp_gt_u32_e64 s43, s40, v87
	v_cmp_gt_u32_e64 s44, s40, v88
	v_dual_mul_f32 v128, v103, v9 :: v_dual_mul_f32 v129, v102, v6
	v_dual_mul_f32 v130, v101, v10 :: v_dual_mul_f32 v131, v100, v5
	;; [unrolled: 1-line block ×7, first 2 shown]
	s_mov_b32 s64, 0
	s_or_b32 s30, s81, s30
	s_or_b32 s31, s81, s31
	;; [unrolled: 1-line block ×8, first 2 shown]
	s_or_b32 s40, s81, vcc_lo
	s_or_b32 s41, s81, s41
	s_or_b32 s42, s81, s42
	;; [unrolled: 1-line block ×4, first 2 shown]
	s_mov_b32 s54, s64
	s_mov_b32 s58, s64
	;; [unrolled: 1-line block ×5, first 2 shown]
	s_branch .LBB22_109
.LBB22_108:                             ;   in Loop: Header=BB22_109 Depth=2
	s_or_b32 exec_lo, exec_lo, s45
	v_cndmask_b32_e64 v9, v171, v11, s11
	v_cndmask_b32_e64 v10, v170, v10, s11
	s_add_i32 s87, s87, -1
	s_add_i32 s88, s88, 8
	s_add_i32 s60, s60, s62
	v_fma_f32 v9, v9, v145, v144
	v_mul_f32_e32 v10, v10, v145
	s_add_i32 s58, s58, s56
	s_add_i32 s54, s54, s52
	;; [unrolled: 1-line block ×3, first 2 shown]
	v_cndmask_b32_e64 v9, v9, v144, s10
	v_cndmask_b32_e64 v10, v10, v145, s10
	s_cmp_eq_u32 s87, 0
	s_waitcnt lgkmcnt(0)
	s_delay_alu instid0(VALU_DEP_1) | instskip(NEXT) | instid1(VALU_DEP_1)
	v_dual_fmac_f32 v9, v8, v10 :: v_dual_and_b32 v10, 0xffff0000, v5
	v_dual_fmac_f32 v12, v9, v147 :: v_dual_lshlrev_b32 v5, 16, v5
	s_delay_alu instid0(VALU_DEP_1) | instskip(NEXT) | instid1(VALU_DEP_1)
	v_fmac_f32_e32 v13, v12, v148
	v_dual_fmac_f32 v118, v13, v5 :: v_dual_and_b32 v17, 0xffff0000, v0
	v_fmac_f32_e32 v14, v13, v150
	s_delay_alu instid0(VALU_DEP_1) | instskip(NEXT) | instid1(VALU_DEP_1)
	v_fmac_f32_e32 v15, v14, v153
	v_fmac_f32_e32 v142, v15, v154
	s_delay_alu instid0(VALU_DEP_1) | instskip(NEXT) | instid1(VALU_DEP_1)
	v_fmac_f32_e32 v143, v142, v155
	v_fmac_f32_e32 v146, v143, v156
	s_delay_alu instid0(VALU_DEP_1) | instskip(SKIP_1) | instid1(VALU_DEP_2)
	v_dual_fmac_f32 v149, v146, v158 :: v_dual_and_b32 v8, 0xffff0000, v4
	v_lshlrev_b32_e32 v4, 16, v4
	v_dual_fmac_f32 v119, v12, v8 :: v_dual_and_b32 v16, 0xffff0000, v7
	s_delay_alu instid0(VALU_DEP_3) | instskip(SKIP_1) | instid1(VALU_DEP_4)
	v_fmac_f32_e32 v151, v149, v159
	v_and_b32_e32 v11, 0xffff0000, v6
	v_dual_fmac_f32 v120, v9, v4 :: v_dual_lshlrev_b32 v7, 16, v7
	s_delay_alu instid0(VALU_DEP_4) | instskip(NEXT) | instid1(VALU_DEP_4)
	v_fmac_f32_e32 v115, v146, v16
	v_fmac_f32_e32 v152, v151, v160
	s_delay_alu instid0(VALU_DEP_4) | instskip(NEXT) | instid1(VALU_DEP_2)
	v_fmac_f32_e32 v114, v142, v11
	v_dual_fmac_f32 v108, v151, v17 :: v_dual_fmac_f32 v157, v152, v168
	v_lshlrev_b32_e32 v6, 16, v6
	v_dual_fmac_f32 v113, v14, v10 :: v_dual_lshlrev_b32 v0, 16, v0
	v_and_b32_e32 v147, 0xffff0000, v3
	s_delay_alu instid0(VALU_DEP_4) | instskip(SKIP_3) | instid1(VALU_DEP_4)
	v_fmac_f32_e32 v161, v157, v163
	v_and_b32_e32 v145, 0xffff0000, v2
	v_lshlrev_b32_e32 v2, 16, v2
	v_dual_fmac_f32 v117, v15, v6 :: v_dual_and_b32 v144, 0xffff0000, v1
	v_fmac_f32_e32 v162, v161, v165
	v_lshlrev_b32_e32 v1, 16, v1
	v_lshlrev_b32_e32 v3, 16, v3
	v_dual_fmac_f32 v107, v161, v2 :: v_dual_fmac_f32 v116, v143, v7
	s_delay_alu instid0(VALU_DEP_4) | instskip(SKIP_1) | instid1(VALU_DEP_2)
	v_dual_fmac_f32 v109, v157, v144 :: v_dual_fmac_f32 v164, v162, v167
	v_dual_fmac_f32 v112, v149, v0 :: v_dual_fmac_f32 v105, v162, v145
	v_fmac_f32_e32 v106, v164, v3
	v_fmac_f32_e32 v166, v164, v169
	s_delay_alu instid0(VALU_DEP_1)
	v_dual_fmac_f32 v110, v152, v1 :: v_dual_fmac_f32 v111, v166, v147
	s_cbranch_scc1 .LBB22_202
.LBB22_109:                             ;   Parent Loop BB22_12 Depth=1
                                        ; =>  This Inner Loop Header: Depth=2
	s_lshl_b64 s[90:91], s[64:65], 2
	s_mov_b32 s55, s65
	s_add_u32 s90, s72, s90
	s_addc_u32 s91, s63, s91
	v_dual_mov_b32 v2, 0 :: v_dual_mov_b32 v3, 0
	global_load_b32 v142, v21, s[90:91]
	s_lshl_b64 s[90:91], s[54:55], 1
	s_delay_alu instid0(SALU_CYCLE_1)
	v_add_co_u32 v0, vcc_lo, v123, s90
	v_add_co_ci_u32_e32 v1, vcc_lo, s91, v124, vcc_lo
	s_and_saveexec_b32 s45, s12
	s_cbranch_execz .LBB22_111
; %bb.110:                              ;   in Loop: Header=BB22_109 Depth=2
	global_load_u16 v3, v[0:1], off
.LBB22_111:                             ;   in Loop: Header=BB22_109 Depth=2
	s_or_b32 exec_lo, exec_lo, s45
	s_and_saveexec_b32 s45, s13
	s_cbranch_execz .LBB22_113
; %bb.112:                              ;   in Loop: Header=BB22_109 Depth=2
	global_load_u16 v2, v[0:1], off offset:64
.LBB22_113:                             ;   in Loop: Header=BB22_109 Depth=2
	s_or_b32 exec_lo, exec_lo, s45
	v_dual_mov_b32 v4, 0 :: v_dual_mov_b32 v5, 0
	s_and_saveexec_b32 s45, s14
	s_cbranch_execz .LBB22_115
; %bb.114:                              ;   in Loop: Header=BB22_109 Depth=2
	global_load_u16 v5, v[0:1], off offset:128
.LBB22_115:                             ;   in Loop: Header=BB22_109 Depth=2
	s_or_b32 exec_lo, exec_lo, s45
	s_and_saveexec_b32 s45, s15
	s_cbranch_execz .LBB22_117
; %bb.116:                              ;   in Loop: Header=BB22_109 Depth=2
	global_load_u16 v4, v[0:1], off offset:192
.LBB22_117:                             ;   in Loop: Header=BB22_109 Depth=2
	s_or_b32 exec_lo, exec_lo, s45
	v_dual_mov_b32 v6, 0 :: v_dual_mov_b32 v7, 0
	s_and_saveexec_b32 s45, s16
	s_cbranch_execz .LBB22_119
; %bb.118:                              ;   in Loop: Header=BB22_109 Depth=2
	global_load_u16 v7, v[0:1], off offset:256
.LBB22_119:                             ;   in Loop: Header=BB22_109 Depth=2
	s_or_b32 exec_lo, exec_lo, s45
	s_and_saveexec_b32 s45, s17
	s_cbranch_execz .LBB22_121
; %bb.120:                              ;   in Loop: Header=BB22_109 Depth=2
	global_load_u16 v6, v[0:1], off offset:320
.LBB22_121:                             ;   in Loop: Header=BB22_109 Depth=2
	s_or_b32 exec_lo, exec_lo, s45
	v_dual_mov_b32 v8, 0 :: v_dual_mov_b32 v9, 0
	s_and_saveexec_b32 s45, s18
	s_cbranch_execz .LBB22_123
; %bb.122:                              ;   in Loop: Header=BB22_109 Depth=2
	global_load_u16 v9, v[0:1], off offset:384
.LBB22_123:                             ;   in Loop: Header=BB22_109 Depth=2
	s_or_b32 exec_lo, exec_lo, s45
	s_and_saveexec_b32 s45, s19
	s_cbranch_execz .LBB22_125
; %bb.124:                              ;   in Loop: Header=BB22_109 Depth=2
	global_load_u16 v8, v[0:1], off offset:448
.LBB22_125:                             ;   in Loop: Header=BB22_109 Depth=2
	s_or_b32 exec_lo, exec_lo, s45
	v_dual_mov_b32 v10, 0 :: v_dual_mov_b32 v11, 0
	s_and_saveexec_b32 s45, s20
	s_cbranch_execz .LBB22_127
; %bb.126:                              ;   in Loop: Header=BB22_109 Depth=2
	global_load_u16 v11, v[0:1], off offset:512
.LBB22_127:                             ;   in Loop: Header=BB22_109 Depth=2
	s_or_b32 exec_lo, exec_lo, s45
	s_and_saveexec_b32 s45, s21
	s_cbranch_execz .LBB22_129
; %bb.128:                              ;   in Loop: Header=BB22_109 Depth=2
	global_load_u16 v10, v[0:1], off offset:576
.LBB22_129:                             ;   in Loop: Header=BB22_109 Depth=2
	s_or_b32 exec_lo, exec_lo, s45
	v_dual_mov_b32 v12, 0 :: v_dual_mov_b32 v13, 0
	s_and_saveexec_b32 s45, s22
	s_cbranch_execz .LBB22_131
; %bb.130:                              ;   in Loop: Header=BB22_109 Depth=2
	global_load_u16 v13, v[0:1], off offset:640
.LBB22_131:                             ;   in Loop: Header=BB22_109 Depth=2
	s_or_b32 exec_lo, exec_lo, s45
	s_and_saveexec_b32 s45, s23
	s_cbranch_execz .LBB22_133
; %bb.132:                              ;   in Loop: Header=BB22_109 Depth=2
	global_load_u16 v12, v[0:1], off offset:704
.LBB22_133:                             ;   in Loop: Header=BB22_109 Depth=2
	s_or_b32 exec_lo, exec_lo, s45
	v_dual_mov_b32 v14, 0 :: v_dual_mov_b32 v15, 0
	s_and_saveexec_b32 s45, s24
	s_cbranch_execz .LBB22_135
; %bb.134:                              ;   in Loop: Header=BB22_109 Depth=2
	global_load_u16 v15, v[0:1], off offset:768
.LBB22_135:                             ;   in Loop: Header=BB22_109 Depth=2
	s_or_b32 exec_lo, exec_lo, s45
	s_and_saveexec_b32 s45, s25
	s_cbranch_execz .LBB22_137
; %bb.136:                              ;   in Loop: Header=BB22_109 Depth=2
	global_load_u16 v14, v[0:1], off offset:832
.LBB22_137:                             ;   in Loop: Header=BB22_109 Depth=2
	s_or_b32 exec_lo, exec_lo, s45
	v_dual_mov_b32 v16, 0 :: v_dual_mov_b32 v17, 0
	s_and_saveexec_b32 s45, s26
	s_cbranch_execz .LBB22_139
; %bb.138:                              ;   in Loop: Header=BB22_109 Depth=2
	global_load_u16 v17, v[0:1], off offset:896
.LBB22_139:                             ;   in Loop: Header=BB22_109 Depth=2
	s_or_b32 exec_lo, exec_lo, s45
	s_and_saveexec_b32 s45, s27
	s_cbranch_execz .LBB22_141
; %bb.140:                              ;   in Loop: Header=BB22_109 Depth=2
	global_load_u16 v16, v[0:1], off offset:960
.LBB22_141:                             ;   in Loop: Header=BB22_109 Depth=2
	s_or_b32 exec_lo, exec_lo, s45
	s_waitcnt vmcnt(0)
	ds_store_b16 v37, v3
	ds_store_b16 v37, v2 offset:64
	ds_store_b16 v38, v5 offset:128
	;; [unrolled: 1-line block ×15, first 2 shown]
	; wave barrier
	ds_load_b128 v[12:15], v52
	ds_load_b128 v[8:11], v52 offset:16
	s_mov_b32 s59, s65
	v_dual_mov_b32 v2, 0 :: v_dual_mov_b32 v3, 0
	s_lshl_b64 s[90:91], s[58:59], 1
	s_delay_alu instid0(SALU_CYCLE_1)
	v_add_co_u32 v0, vcc_lo, v125, s90
	v_add_co_ci_u32_e32 v1, vcc_lo, s91, v126, vcc_lo
	s_and_saveexec_b32 s45, s12
	s_cbranch_execz .LBB22_143
; %bb.142:                              ;   in Loop: Header=BB22_109 Depth=2
	global_load_u16 v3, v[0:1], off
.LBB22_143:                             ;   in Loop: Header=BB22_109 Depth=2
	s_or_b32 exec_lo, exec_lo, s45
	s_and_saveexec_b32 s45, s13
	s_cbranch_execz .LBB22_145
; %bb.144:                              ;   in Loop: Header=BB22_109 Depth=2
	global_load_u16 v2, v[0:1], off offset:64
.LBB22_145:                             ;   in Loop: Header=BB22_109 Depth=2
	s_or_b32 exec_lo, exec_lo, s45
	v_dual_mov_b32 v4, 0 :: v_dual_mov_b32 v5, 0
	s_and_saveexec_b32 s45, s14
	s_cbranch_execz .LBB22_147
; %bb.146:                              ;   in Loop: Header=BB22_109 Depth=2
	global_load_u16 v5, v[0:1], off offset:128
.LBB22_147:                             ;   in Loop: Header=BB22_109 Depth=2
	s_or_b32 exec_lo, exec_lo, s45
	s_and_saveexec_b32 s45, s15
	s_cbranch_execz .LBB22_149
; %bb.148:                              ;   in Loop: Header=BB22_109 Depth=2
	global_load_u16 v4, v[0:1], off offset:192
.LBB22_149:                             ;   in Loop: Header=BB22_109 Depth=2
	s_or_b32 exec_lo, exec_lo, s45
	v_dual_mov_b32 v6, 0 :: v_dual_mov_b32 v7, 0
	s_and_saveexec_b32 s45, s16
	s_cbranch_execz .LBB22_151
; %bb.150:                              ;   in Loop: Header=BB22_109 Depth=2
	global_load_u16 v7, v[0:1], off offset:256
.LBB22_151:                             ;   in Loop: Header=BB22_109 Depth=2
	;; [unrolled: 13-line block ×7, first 2 shown]
	s_or_b32 exec_lo, exec_lo, s45
	s_and_saveexec_b32 s45, s27
	s_cbranch_execz .LBB22_173
; %bb.172:                              ;   in Loop: Header=BB22_109 Depth=2
	global_load_u16 v149, v[0:1], off offset:960
.LBB22_173:                             ;   in Loop: Header=BB22_109 Depth=2
	s_or_b32 exec_lo, exec_lo, s45
	s_waitcnt vmcnt(0)
	ds_store_b16 v37, v3 offset:2112
	ds_store_b16 v53, v2 offset:64
	;; [unrolled: 1-line block ×16, first 2 shown]
	; wave barrier
	ds_load_b128 v[4:7], v52 offset:2112
	ds_load_b128 v[0:3], v68 offset:16
	s_and_not1_b32 vcc_lo, exec_lo, s51
	s_cbranch_vccnz .LBB22_175
; %bb.174:                              ;   in Loop: Header=BB22_109 Depth=2
	v_mov_b32_e32 v16, s88
	ds_load_b64 v[16:17], v16
	s_cbranch_execz .LBB22_176
	s_branch .LBB22_179
.LBB22_175:                             ;   in Loop: Header=BB22_109 Depth=2
                                        ; implicit-def: $vgpr16
.LBB22_176:                             ;   in Loop: Header=BB22_109 Depth=2
	s_waitcnt lgkmcnt(0)
	v_mov_b32_e32 v17, 0
	s_and_not1_b32 vcc_lo, exec_lo, s47
	s_cbranch_vccnz .LBB22_178
; %bb.177:                              ;   in Loop: Header=BB22_109 Depth=2
	s_mov_b32 s61, s65
	s_delay_alu instid0(SALU_CYCLE_1) | instskip(NEXT) | instid1(SALU_CYCLE_1)
	s_lshl_b64 s[90:91], s[60:61], 1
	s_add_u32 s90, s75, s90
	s_addc_u32 s91, s76, s91
	global_load_u16 v16, v21, s[90:91]
	s_waitcnt vmcnt(0)
	v_lshlrev_b32_e32 v17, 16, v16
.LBB22_178:                             ;   in Loop: Header=BB22_109 Depth=2
	v_mov_b32_e32 v16, 1.0
.LBB22_179:                             ;   in Loop: Header=BB22_109 Depth=2
	s_waitcnt lgkmcnt(19)
	v_dual_mul_f32 v164, 0x3fb8aa3b, v142 :: v_dual_lshlrev_b32 v143, 16, v12
	v_and_b32_e32 v12, 0xffff0000, v12
	v_lshlrev_b32_e32 v142, 16, v13
	v_and_b32_e32 v146, 0xffff0000, v13
	v_lshlrev_b32_e32 v149, 16, v14
	v_mul_f32_e32 v13, v164, v90
	v_dual_mul_f32 v14, v164, v91 :: v_dual_and_b32 v151, 0xffff0000, v14
	v_dual_mul_f32 v145, v164, v93 :: v_dual_lshlrev_b32 v152, 16, v15
	s_delay_alu instid0(VALU_DEP_3) | instskip(SKIP_1) | instid1(VALU_DEP_4)
	v_cmp_gt_f32_e32 vcc_lo, 0xc2fc0000, v13
	v_dual_mul_f32 v12, v140, v12 :: v_dual_and_b32 v155, 0xffff0000, v15
	v_cmp_gt_f32_e64 s45, 0xc2fc0000, v14
	v_mul_f32_e32 v15, v164, v92
	v_cndmask_b32_e64 v13, 0, 0x42800000, vcc_lo
	v_cndmask_b32_e64 v144, 1.0, 0x1f800000, vcc_lo
	s_waitcnt lgkmcnt(18)
	v_lshlrev_b32_e32 v161, 16, v10
	v_cndmask_b32_e64 v14, 0, 0x42800000, s45
	v_mul_f32_e32 v143, v141, v143
	v_fmac_f32_e32 v13, v164, v90
	v_dual_mul_f32 v142, v139, v142 :: v_dual_lshlrev_b32 v157, 16, v8
	v_and_b32_e32 v8, 0xffff0000, v8
	v_fmac_f32_e32 v14, v164, v91
	s_delay_alu instid0(VALU_DEP_4) | instskip(SKIP_2) | instid1(VALU_DEP_3)
	v_exp_f32_e32 v13, v13
	v_cmp_gt_f32_e32 vcc_lo, 0xc2fc0000, v15
	v_dual_mul_f32 v151, v136, v151 :: v_dual_and_b32 v10, 0xffff0000, v10
	v_exp_f32_e32 v14, v14
	v_dual_mul_f32 v157, v133, v157 :: v_dual_mul_f32 v8, v132, v8
	v_cndmask_b32_e64 v15, 0, 0x42800000, vcc_lo
	v_lshlrev_b32_e32 v166, 16, v11
	v_and_b32_e32 v11, 0xffff0000, v11
	s_delay_alu instid0(TRANS32_DEP_2)
	v_mul_f32_e32 v13, v13, v144
	v_cndmask_b32_e64 v144, 0, v143, s28
	v_cndmask_b32_e64 v143, 1.0, 0x1f800000, s45
	v_cmp_gt_f32_e64 s45, 0xc2fc0000, v145
	v_fmac_f32_e32 v15, v164, v92
	v_cndmask_b32_e64 v145, 1.0, v13, s28
	v_cndmask_b32_e64 v12, 0, v12, s29
	v_mul_f32_e32 v13, v14, v143
	v_cndmask_b32_e64 v147, 0, 0x42800000, s45
	v_exp_f32_e32 v14, v15
	v_cndmask_b32_e64 v143, 1.0, 0x1f800000, vcc_lo
	v_lshlrev_b32_e32 v159, 16, v9
	v_mul_f32_e32 v15, v164, v94
	v_fmac_f32_e32 v147, v164, v93
	v_and_b32_e32 v9, 0xffff0000, v9
	v_mul_f32_e32 v167, v164, v103
	v_mul_f32_e32 v169, v164, v121
	v_cmp_gt_f32_e32 vcc_lo, 0xc2fc0000, v15
	v_exp_f32_e32 v150, v147
	v_mul_f32_e32 v14, v14, v143
	v_cndmask_b32_e64 v143, 1.0, 0x1f800000, s45
	v_mul_f32_e32 v153, v164, v97
	v_cndmask_b32_e64 v15, 0, 0x42800000, vcc_lo
	v_mul_f32_e32 v156, v164, v98
	v_cndmask_b32_e64 v148, 1.0, v14, s30
	v_mul_f32_e32 v14, v138, v146
	v_mul_f32_e32 v146, v164, v96
	v_fmac_f32_e32 v15, v164, v94
	v_mul_f32_e32 v143, v150, v143
	v_cmp_gt_f32_e64 s46, 0xc2fc0000, v153
	v_cndmask_b32_e64 v14, 0, v14, s31
	v_mul_f32_e32 v158, v164, v100
	v_exp_f32_e32 v15, v15
	v_cndmask_b32_e64 v150, 1.0, v143, s31
	v_cndmask_b32_e64 v143, 1.0, 0x1f800000, vcc_lo
	v_cmp_gt_f32_e32 vcc_lo, 0xc2fc0000, v146
	v_mul_f32_e32 v166, v127, v166
	v_dual_mul_f32 v10, v128, v10 :: v_dual_mul_f32 v11, v122, v11
	v_cndmask_b32_e64 v146, 0, 0x42800000, vcc_lo
	s_delay_alu instid0(TRANS32_DEP_1) | instskip(SKIP_2) | instid1(VALU_DEP_4)
	v_mul_f32_e32 v143, v15, v143
	v_mul_f32_e32 v15, v137, v149
	v_cndmask_b32_e64 v149, 0, 0x42800000, s46
	v_fmac_f32_e32 v146, v164, v96
	v_cndmask_b32_e64 v147, 1.0, v13, s29
	v_cndmask_b32_e64 v13, 0, v142, s30
	v_mul_f32_e32 v142, v164, v95
	v_cndmask_b32_e64 v153, 1.0, v143, s33
	v_exp_f32_e32 v146, v146
	v_fma_f32 v165, v147, v144, v12
	v_cndmask_b32_e64 v15, 0, v15, s33
	v_cmp_gt_f32_e64 s45, 0xc2fc0000, v142
	s_delay_alu instid0(VALU_DEP_1) | instskip(SKIP_1) | instid1(VALU_DEP_2)
	v_cndmask_b32_e64 v142, 0, 0x42800000, s45
	v_cndmask_b32_e64 v154, 1.0, 0x1f800000, s45
	v_fmac_f32_e32 v142, v164, v95
	s_delay_alu instid0(VALU_DEP_1)
	v_exp_f32_e32 v142, v142
	s_waitcnt_depctr 0xfff
	v_mul_f32_e32 v143, v142, v154
	v_cndmask_b32_e64 v142, 0, v151, s34
	v_cndmask_b32_e64 v151, 1.0, 0x1f800000, vcc_lo
	v_cmp_gt_f32_e32 vcc_lo, 0xc2fc0000, v156
	v_mul_f32_e32 v156, v134, v155
	v_cndmask_b32_e64 v154, 1.0, v143, s34
	s_delay_alu instid0(VALU_DEP_4)
	v_dual_mul_f32 v143, v135, v152 :: v_dual_mul_f32 v146, v146, v151
	v_cndmask_b32_e64 v151, 1.0, 0x1f800000, s46
	v_cmp_gt_f32_e64 s46, 0xc2fc0000, v158
	v_mul_f32_e32 v158, v164, v101
	v_cndmask_b32_e64 v152, 0, 0x42800000, vcc_lo
	v_cndmask_b32_e64 v160, 1.0, 0x1f800000, vcc_lo
	v_cndmask_b32_e64 v155, 1.0, v146, s35
	v_cndmask_b32_e64 v146, 0, v156, s36
	v_cmp_gt_f32_e32 vcc_lo, 0xc2fc0000, v158
	v_fmac_f32_e32 v152, v164, v98
	v_cndmask_b32_e64 v143, 0, v143, s35
	v_cndmask_b32_e64 v162, 0, 0x42800000, vcc_lo
	v_cndmask_b32_e64 v163, 1.0, 0x1f800000, vcc_lo
	s_delay_alu instid0(VALU_DEP_2) | instskip(NEXT) | instid1(VALU_DEP_1)
	v_fmac_f32_e32 v162, v164, v101
	v_exp_f32_e32 v162, v162
	v_fmac_f32_e32 v149, v164, v97
	s_delay_alu instid0(VALU_DEP_1) | instskip(SKIP_3) | instid1(VALU_DEP_2)
	v_exp_f32_e32 v149, v149
	s_waitcnt_depctr 0xfff
	v_mul_f32_e32 v149, v149, v151
	v_mul_f32_e32 v151, v164, v99
	v_cndmask_b32_e64 v156, 1.0, v149, s36
	s_delay_alu instid0(VALU_DEP_2) | instskip(SKIP_2) | instid1(VALU_DEP_2)
	v_cmp_gt_f32_e64 s45, 0xc2fc0000, v151
	v_exp_f32_e32 v149, v152
	v_cndmask_b32_e64 v152, 0, 0x42800000, s46
	v_cndmask_b32_e64 v151, 0, 0x42800000, s45
	s_delay_alu instid0(VALU_DEP_2)
	v_fmac_f32_e32 v152, v164, v100
	s_waitcnt_depctr 0xfff
	v_dual_fmac_f32 v151, v164, v99 :: v_dual_mul_f32 v158, v149, v160
	v_cndmask_b32_e64 v149, 0, v157, s37
	v_exp_f32_e32 v152, v152
	v_cndmask_b32_e64 v157, 1.0, 0x1f800000, s45
	s_delay_alu instid0(VALU_DEP_3) | instskip(SKIP_3) | instid1(VALU_DEP_2)
	v_exp_f32_e32 v151, v151
	v_cndmask_b32_e64 v160, 1.0, 0x1f800000, s46
	v_cmp_gt_f32_e64 s45, 0xc2fc0000, v167
	v_cndmask_b32_e64 v158, 1.0, v158, s37
	v_cndmask_b32_e64 v167, 1.0, 0x1f800000, s45
	s_waitcnt_depctr 0xfff
	v_dual_mul_f32 v160, v152, v160 :: v_dual_mul_f32 v157, v151, v157
	v_cndmask_b32_e64 v151, 0, v8, s38
	v_mul_f32_e32 v8, v131, v159
	s_delay_alu instid0(VALU_DEP_3) | instskip(NEXT) | instid1(VALU_DEP_4)
	v_cndmask_b32_e64 v160, 1.0, v160, s39
	v_cndmask_b32_e64 v159, 1.0, v157, s38
	v_mul_f32_e32 v157, v164, v102
	s_delay_alu instid0(VALU_DEP_4) | instskip(SKIP_1) | instid1(VALU_DEP_3)
	v_cndmask_b32_e64 v152, 0, v8, s39
	v_dual_mul_f32 v8, v162, v163 :: v_dual_mul_f32 v163, v147, v145
	v_cmp_gt_f32_e32 vcc_lo, 0xc2fc0000, v157
	s_delay_alu instid0(VALU_DEP_2) | instskip(SKIP_3) | instid1(VALU_DEP_3)
	v_cndmask_b32_e64 v168, 1.0, v8, s40
	v_cndmask_b32_e64 v162, 0, 0x42800000, vcc_lo
	v_mul_f32_e32 v9, v130, v9
	v_cndmask_b32_e64 v8, 1.0, 0x1f800000, vcc_lo
	v_fmac_f32_e32 v162, v164, v102
	s_delay_alu instid0(VALU_DEP_3)
	v_cndmask_b32_e64 v157, 0, v9, s40
	v_mul_f32_e32 v9, v163, v148
	v_fma_f32 v163, v165, v148, v13
	v_cndmask_b32_e64 v165, 0, 0x42800000, s45
	v_exp_f32_e32 v162, v162
	v_cmp_gt_f32_e64 s45, 0xc2fc0000, v169
	v_mul_f32_e32 v9, v9, v150
	v_fma_f32 v163, v163, v150, v14
	v_fmac_f32_e32 v165, v164, v103
	s_delay_alu instid0(VALU_DEP_3) | instskip(NEXT) | instid1(VALU_DEP_3)
	v_mul_f32_e32 v9, v9, v153
	v_fma_f32 v163, v163, v153, v15
	s_delay_alu instid0(VALU_DEP_3)
	v_exp_f32_e32 v165, v165
	s_delay_alu instid0(TRANS32_DEP_2) | instid1(VALU_DEP_2)
	v_dual_mul_f32 v8, v162, v8 :: v_dual_mul_f32 v9, v9, v154
	s_delay_alu instid0(VALU_DEP_2) | instskip(NEXT) | instid1(VALU_DEP_2)
	v_fma_f32 v162, v163, v154, v142
	v_cndmask_b32_e64 v163, 1.0, v8, s41
	s_delay_alu instid0(VALU_DEP_3) | instskip(NEXT) | instid1(VALU_DEP_3)
	v_mul_f32_e32 v8, v9, v155
	v_fma_f32 v9, v162, v155, v143
	v_mul_f32_e32 v162, v164, v104
	s_delay_alu instid0(VALU_DEP_3) | instskip(NEXT) | instid1(VALU_DEP_3)
	v_mul_f32_e32 v8, v8, v156
	v_fma_f32 v9, v9, v156, v146
	s_delay_alu instid0(VALU_DEP_3)
	v_cmp_gt_f32_e32 vcc_lo, 0xc2fc0000, v162
	v_mul_f32_e32 v161, v129, v161
	v_cndmask_b32_e64 v162, 0, v10, s42
	v_mul_f32_e32 v8, v8, v158
	v_fma_f32 v9, v9, v158, v149
	v_cndmask_b32_e64 v10, 0, 0x42800000, s45
	v_mul_f32_e32 v165, v165, v167
	v_cndmask_b32_e64 v167, 0, 0x42800000, vcc_lo
	v_mul_f32_e32 v8, v8, v159
	v_fma_f32 v9, v9, v159, v151
	v_fmac_f32_e32 v10, v164, v121
	v_cndmask_b32_e64 v161, 0, v161, s41
	v_fmac_f32_e32 v167, v164, v104
	v_mul_f32_e32 v8, v8, v160
	v_fma_f32 v9, v9, v160, v152
	v_cndmask_b32_e64 v164, 1.0, 0x1f800000, vcc_lo
	v_exp_f32_e32 v10, v10
	v_exp_f32_e32 v167, v167
	v_mul_f32_e32 v8, v8, v168
	v_fma_f32 v9, v9, v168, v157
	v_cndmask_b32_e64 v165, 1.0, v165, s42
	s_delay_alu instid0(VALU_DEP_3) | instskip(NEXT) | instid1(VALU_DEP_3)
	v_mul_f32_e32 v8, v8, v163
	v_fma_f32 v9, v9, v163, v161
	s_waitcnt_depctr 0xfff
	v_mul_f32_e32 v167, v167, v164
	v_cndmask_b32_e64 v164, 0, v166, s43
	v_cndmask_b32_e64 v166, 1.0, 0x1f800000, s45
	v_mul_f32_e32 v8, v8, v165
	v_fma_f32 v9, v9, v165, v162
	v_cndmask_b32_e64 v167, 1.0, v167, s43
	s_delay_alu instid0(VALU_DEP_4) | instskip(SKIP_1) | instid1(VALU_DEP_3)
	v_mul_f32_e32 v10, v10, v166
	v_cndmask_b32_e64 v166, 0, v11, s44
	v_mul_f32_e32 v8, v8, v167
	v_fma_f32 v9, v9, v167, v164
	s_delay_alu instid0(VALU_DEP_4) | instskip(NEXT) | instid1(VALU_DEP_1)
	v_cndmask_b32_e64 v169, 1.0, v10, s44
	v_mul_f32_e32 v8, v8, v169
	s_delay_alu instid0(VALU_DEP_3) | instskip(NEXT) | instid1(VALU_DEP_2)
	v_fma_f32 v9, v9, v169, v166
	v_mov_b32_dpp v11, v8 row_shr:1 row_mask:0xf bank_mask:0xf
	s_delay_alu instid0(VALU_DEP_2)
	v_mov_b32_dpp v10, v9 row_shr:1 row_mask:0xf bank_mask:0xf
	s_and_saveexec_b32 s45, s0
; %bb.180:                              ;   in Loop: Header=BB22_109 Depth=2
	s_delay_alu instid0(VALU_DEP_2) | instskip(NEXT) | instid1(VALU_DEP_1)
	v_mul_f32_e32 v11, v8, v11
	v_dual_fmac_f32 v9, v8, v10 :: v_dual_mov_b32 v8, v11
; %bb.181:                              ;   in Loop: Header=BB22_109 Depth=2
	s_or_b32 exec_lo, exec_lo, s45
	s_delay_alu instid0(VALU_DEP_1) | instskip(NEXT) | instid1(VALU_DEP_2)
	v_mov_b32_dpp v10, v8 row_shr:2 row_mask:0xf bank_mask:0xf
	v_mov_b32_dpp v11, v9 row_shr:2 row_mask:0xf bank_mask:0xf
	s_and_saveexec_b32 s45, s1
; %bb.182:                              ;   in Loop: Header=BB22_109 Depth=2
	s_delay_alu instid0(VALU_DEP_1) | instskip(NEXT) | instid1(VALU_DEP_3)
	v_fmac_f32_e32 v9, v8, v11
	v_mul_f32_e32 v8, v8, v10
; %bb.183:                              ;   in Loop: Header=BB22_109 Depth=2
	s_or_b32 exec_lo, exec_lo, s45
	s_delay_alu instid0(VALU_DEP_1) | instskip(NEXT) | instid1(VALU_DEP_3)
	v_mov_b32_dpp v10, v8 row_shr:4 row_mask:0xf bank_mask:0xf
	v_mov_b32_dpp v11, v9 row_shr:4 row_mask:0xf bank_mask:0xf
	s_and_saveexec_b32 s45, s2
; %bb.184:                              ;   in Loop: Header=BB22_109 Depth=2
	s_delay_alu instid0(VALU_DEP_1) | instskip(NEXT) | instid1(VALU_DEP_3)
	v_fmac_f32_e32 v9, v8, v11
	v_mul_f32_e32 v8, v8, v10
; %bb.185:                              ;   in Loop: Header=BB22_109 Depth=2
	s_or_b32 exec_lo, exec_lo, s45
	s_delay_alu instid0(VALU_DEP_1) | instskip(NEXT) | instid1(VALU_DEP_3)
	v_mov_b32_dpp v10, v8 row_shr:8 row_mask:0xf bank_mask:0xf
	v_mov_b32_dpp v11, v9 row_shr:8 row_mask:0xf bank_mask:0xf
	s_and_saveexec_b32 s45, s3
; %bb.186:                              ;   in Loop: Header=BB22_109 Depth=2
	s_delay_alu instid0(VALU_DEP_1) | instskip(NEXT) | instid1(VALU_DEP_3)
	v_fmac_f32_e32 v9, v8, v11
	v_mul_f32_e32 v8, v8, v10
; %bb.187:                              ;   in Loop: Header=BB22_109 Depth=2
	s_or_b32 exec_lo, exec_lo, s45
	ds_swizzle_b32 v11, v8 offset:swizzle(BROADCAST,32,15)
	ds_swizzle_b32 v10, v9 offset:swizzle(BROADCAST,32,15)
	s_and_saveexec_b32 s45, s4
	s_cbranch_execz .LBB22_189
; %bb.188:                              ;   in Loop: Header=BB22_109 Depth=2
	s_waitcnt lgkmcnt(1)
	v_mul_f32_e32 v11, v8, v11
	s_waitcnt lgkmcnt(0)
	s_delay_alu instid0(VALU_DEP_1)
	v_dual_fmac_f32 v9, v8, v10 :: v_dual_mov_b32 v8, v11
.LBB22_189:                             ;   in Loop: Header=BB22_109 Depth=2
	s_or_b32 exec_lo, exec_lo, s45
	s_and_saveexec_b32 s45, s5
	s_cbranch_execz .LBB22_191
; %bb.190:                              ;   in Loop: Header=BB22_109 Depth=2
	ds_store_b64 v69, v[8:9] offset:4224
.LBB22_191:                             ;   in Loop: Header=BB22_109 Depth=2
	s_or_b32 exec_lo, exec_lo, s45
	s_waitcnt lgkmcnt(0)
	s_waitcnt_vscnt null, 0x0
	s_barrier
	buffer_gl0_inv
	s_and_saveexec_b32 s45, s6
	s_cbranch_execz .LBB22_193
; %bb.192:                              ;   in Loop: Header=BB22_109 Depth=2
	ds_load_b64 v[10:11], v70 offset:4224
	s_waitcnt lgkmcnt(0)
	v_mov_b32_dpp v170, v10 row_shr:1 row_mask:0xf bank_mask:0xf
	v_mov_b32_dpp v171, v11 row_shr:1 row_mask:0xf bank_mask:0xf
	s_delay_alu instid0(VALU_DEP_2) | instskip(NEXT) | instid1(VALU_DEP_2)
	v_mul_f32_e32 v170, v10, v170
	v_fma_f32 v171, v10, v171, v11
	s_delay_alu instid0(VALU_DEP_2) | instskip(NEXT) | instid1(VALU_DEP_2)
	v_cndmask_b32_e64 v10, v170, v10, s7
	v_cndmask_b32_e64 v11, v171, v11, s7
	ds_store_b64 v70, v[10:11] offset:4224
.LBB22_193:                             ;   in Loop: Header=BB22_109 Depth=2
	s_or_b32 exec_lo, exec_lo, s45
	s_waitcnt lgkmcnt(0)
	s_barrier
	buffer_gl0_inv
                                        ; implicit-def: $vgpr11
	s_and_saveexec_b32 s45, s9
	s_cbranch_execz .LBB22_195
; %bb.194:                              ;   in Loop: Header=BB22_109 Depth=2
	ds_load_b64 v[10:11], v69 offset:4216
	s_waitcnt lgkmcnt(0)
	v_mul_f32_e32 v170, v8, v10
	s_delay_alu instid0(VALU_DEP_1)
	v_dual_fmac_f32 v9, v8, v11 :: v_dual_mov_b32 v8, v170
.LBB22_195:                             ;   in Loop: Header=BB22_109 Depth=2
	s_or_b32 exec_lo, exec_lo, s45
	ds_bpermute_b32 v170, v71, v8
	ds_bpermute_b32 v171, v71, v9
	s_and_saveexec_b32 s45, s8
	s_cbranch_execz .LBB22_199
; %bb.196:                              ;   in Loop: Header=BB22_109 Depth=2
	ds_load_b64 v[8:9], v21 offset:4232
	s_and_saveexec_b32 s46, s10
	s_cbranch_execz .LBB22_198
; %bb.197:                              ;   in Loop: Header=BB22_109 Depth=2
	ds_store_b64 v21, v[16:17] offset:4232
.LBB22_198:                             ;   in Loop: Header=BB22_109 Depth=2
	s_or_b32 exec_lo, exec_lo, s46
	s_waitcnt lgkmcnt(0)
	v_fmac_f32_e32 v9, v8, v17
	s_delay_alu instid0(VALU_DEP_1)
	v_dual_mul_f32 v16, v16, v8 :: v_dual_mov_b32 v17, v9
.LBB22_199:                             ;   in Loop: Header=BB22_109 Depth=2
	s_or_b32 exec_lo, exec_lo, s45
	s_waitcnt lgkmcnt(0)
	s_barrier
	buffer_gl0_inv
	ds_load_b32 v8, v21 offset:4236
	s_and_saveexec_b32 s45, s10
	s_cbranch_execz .LBB22_108
; %bb.200:                              ;   in Loop: Header=BB22_109 Depth=2
	v_mov_b32_e32 v9, s88
	s_and_not1_b32 vcc_lo, exec_lo, s86
	ds_store_b64 v9, v[16:17]
	s_cbranch_vccnz .LBB22_108
; %bb.201:                              ;   in Loop: Header=BB22_109 Depth=2
	v_bfe_u32 v9, v17, 16, 1
	v_cmp_o_f32_e32 vcc_lo, v17, v17
	s_mov_b32 s61, s65
	s_delay_alu instid0(SALU_CYCLE_1) | instskip(NEXT) | instid1(VALU_DEP_2)
	s_lshl_b64 s[90:91], s[60:61], 1
	v_add3_u32 v9, v17, v9, 0x7fff
	s_add_u32 s90, s75, s90
	s_addc_u32 s91, s76, s91
	s_delay_alu instid0(VALU_DEP_1) | instskip(NEXT) | instid1(VALU_DEP_1)
	v_lshrrev_b32_e32 v9, 16, v9
	v_cndmask_b32_e32 v9, 0x7fc0, v9, vcc_lo
	global_store_b16 v21, v9, s[90:91]
	s_branch .LBB22_108
.LBB22_202:                             ;   in Loop: Header=BB22_12 Depth=1
	v_bfe_u32 v0, v120, 16, 1
	v_bfe_u32 v1, v119, 16, 1
	v_cmp_o_f32_e32 vcc_lo, v120, v120
	v_bfe_u32 v2, v118, 16, 1
	v_bfe_u32 v4, v114, 16, 1
	v_add3_u32 v0, v120, v0, 0x7fff
	v_add3_u32 v1, v119, v1, 0x7fff
	v_bfe_u32 v7, v116, 16, 1
	v_add3_u32 v2, v118, v2, 0x7fff
	v_bfe_u32 v6, v115, 16, 1
	v_lshrrev_b32_e32 v0, 16, v0
	v_lshrrev_b32_e32 v1, 16, v1
	v_add3_u32 v4, v114, v4, 0x7fff
	v_lshrrev_b32_e32 v2, 16, v2
	v_add3_u32 v7, v116, v7, 0x7fff
	v_cndmask_b32_e32 v0, 0x7fc0, v0, vcc_lo
	v_cmp_o_f32_e32 vcc_lo, v119, v119
	v_add3_u32 v6, v115, v6, 0x7fff
	v_bfe_u32 v3, v113, 16, 1
	v_bfe_u32 v10, v109, 16, 1
	;; [unrolled: 1-line block ×3, first 2 shown]
	v_cndmask_b32_e32 v5, 0x7fc0, v1, vcc_lo
	v_bfe_u32 v1, v117, 16, 1
	v_cmp_o_f32_e32 vcc_lo, v118, v118
	v_lshrrev_b32_e32 v6, 16, v6
	v_add3_u32 v3, v113, v3, 0x7fff
	v_bfe_u32 v12, v111, 16, 1
	v_add3_u32 v1, v117, v1, 0x7fff
	v_cndmask_b32_e32 v8, 0x7fc0, v2, vcc_lo
	v_cmp_o_f32_e32 vcc_lo, v117, v117
	v_lshrrev_b32_e32 v2, 16, v4
	v_lshrrev_b32_e32 v4, 16, v7
	;; [unrolled: 1-line block ×4, first 2 shown]
	v_bfe_u32 v7, v112, 16, 1
	v_add3_u32 v11, v106, v11, 0x7fff
	v_perm_b32 v0, v5, v0, 0x5040100
	v_cndmask_b32_e32 v1, 0x7fc0, v1, vcc_lo
	v_cmp_o_f32_e32 vcc_lo, v116, v116
	s_waitcnt_vscnt null, 0x0
	s_barrier
	buffer_gl0_inv
	s_mov_b32 s51, s65
	v_cndmask_b32_e32 v4, 0x7fc0, v4, vcc_lo
	v_cmp_o_f32_e32 vcc_lo, v115, v115
	s_lshl_b64 s[28:29], s[50:51], 1
	v_cndmask_b32_e32 v6, 0x7fc0, v6, vcc_lo
	v_cmp_o_f32_e32 vcc_lo, v114, v114
	v_cndmask_b32_e32 v2, 0x7fc0, v2, vcc_lo
	v_cmp_o_f32_e32 vcc_lo, v113, v113
	s_delay_alu instid0(VALU_DEP_2)
	v_perm_b32 v2, v2, v1, 0x5040100
	v_cndmask_b32_e32 v9, 0x7fc0, v3, vcc_lo
	v_perm_b32 v3, v6, v4, 0x5040100
	v_add3_u32 v6, v112, v7, 0x7fff
	v_bfe_u32 v7, v110, 16, 1
	v_cmp_o_f32_e32 vcc_lo, v112, v112
	v_perm_b32 v1, v9, v8, 0x5040100
	v_add3_u32 v8, v109, v10, 0x7fff
	v_lshrrev_b32_e32 v6, 16, v6
	v_add3_u32 v7, v110, v7, 0x7fff
	v_bfe_u32 v10, v105, 16, 1
	v_bfe_u32 v4, v108, 16, 1
	s_delay_alu instid0(VALU_DEP_4) | instskip(NEXT) | instid1(VALU_DEP_4)
	v_cndmask_b32_e32 v9, 0x7fc0, v6, vcc_lo
	v_lshrrev_b32_e32 v6, 16, v7
	v_lshrrev_b32_e32 v7, 16, v8
	v_bfe_u32 v8, v107, 16, 1
	v_cmp_o_f32_e32 vcc_lo, v110, v110
	v_add3_u32 v4, v108, v4, 0x7fff
	s_delay_alu instid0(VALU_DEP_3)
	v_add3_u32 v8, v107, v8, 0x7fff
	v_cndmask_b32_e32 v13, 0x7fc0, v6, vcc_lo
	v_cmp_o_f32_e32 vcc_lo, v109, v109
	v_add3_u32 v6, v105, v10, 0x7fff
	v_add3_u32 v10, v111, v12, 0x7fff
	v_lshrrev_b32_e32 v4, 16, v4
	v_cndmask_b32_e32 v12, 0x7fc0, v7, vcc_lo
	v_lshrrev_b32_e32 v7, 16, v8
	v_cmp_o_f32_e32 vcc_lo, v107, v107
	v_lshrrev_b32_e32 v8, 16, v11
	v_lshrrev_b32_e32 v10, 16, v10
	;; [unrolled: 1-line block ×3, first 2 shown]
	v_perm_b32 v5, v12, v13, 0x5040100
	v_cndmask_b32_e32 v11, 0x7fc0, v7, vcc_lo
	v_cmp_o_f32_e32 vcc_lo, v106, v106
	v_cndmask_b32_e32 v7, 0x7fc0, v8, vcc_lo
	v_cmp_o_f32_e32 vcc_lo, v111, v111
	;; [unrolled: 2-line block ×3, first 2 shown]
	s_delay_alu instid0(VALU_DEP_2) | instskip(SKIP_2) | instid1(VALU_DEP_2)
	v_perm_b32 v7, v8, v7, 0x5040100
	v_cndmask_b32_e32 v6, 0x7fc0, v6, vcc_lo
	v_cmp_o_f32_e32 vcc_lo, v108, v108
	v_perm_b32 v6, v6, v11, 0x5040100
	v_cndmask_b32_e32 v4, 0x7fc0, v4, vcc_lo
	s_delay_alu instid0(VALU_DEP_1)
	v_perm_b32 v4, v4, v9, 0x5040100
	ds_store_b128 v52, v[0:3]
	ds_store_b128 v52, v[4:7] offset:16
	; wave barrier
	ds_load_u16 v16, v37 offset:64
	ds_load_u16 v15, v38 offset:128
	;; [unrolled: 1-line block ×15, first 2 shown]
	v_add_co_u32 v0, vcc_lo, v72, s28
	v_add_co_ci_u32_e32 v1, vcc_lo, s29, v73, vcc_lo
	s_and_saveexec_b32 s28, s12
	s_cbranch_execnz .LBB22_220
; %bb.203:                              ;   in Loop: Header=BB22_12 Depth=1
	s_or_b32 exec_lo, exec_lo, s28
	s_and_saveexec_b32 s12, s13
	s_cbranch_execnz .LBB22_221
.LBB22_204:                             ;   in Loop: Header=BB22_12 Depth=1
	s_or_b32 exec_lo, exec_lo, s12
	s_and_saveexec_b32 s12, s14
	s_cbranch_execnz .LBB22_222
.LBB22_205:                             ;   in Loop: Header=BB22_12 Depth=1
	s_or_b32 exec_lo, exec_lo, s12
	s_and_saveexec_b32 s12, s15
	s_cbranch_execnz .LBB22_223
.LBB22_206:                             ;   in Loop: Header=BB22_12 Depth=1
	s_or_b32 exec_lo, exec_lo, s12
	s_and_saveexec_b32 s12, s16
	s_cbranch_execnz .LBB22_224
.LBB22_207:                             ;   in Loop: Header=BB22_12 Depth=1
	s_or_b32 exec_lo, exec_lo, s12
	s_and_saveexec_b32 s12, s17
	s_cbranch_execnz .LBB22_225
.LBB22_208:                             ;   in Loop: Header=BB22_12 Depth=1
	s_or_b32 exec_lo, exec_lo, s12
	s_and_saveexec_b32 s12, s18
	s_cbranch_execnz .LBB22_226
.LBB22_209:                             ;   in Loop: Header=BB22_12 Depth=1
	s_or_b32 exec_lo, exec_lo, s12
	s_and_saveexec_b32 s12, s19
	s_cbranch_execnz .LBB22_227
.LBB22_210:                             ;   in Loop: Header=BB22_12 Depth=1
	s_or_b32 exec_lo, exec_lo, s12
	s_and_saveexec_b32 s12, s20
	s_cbranch_execnz .LBB22_228
.LBB22_211:                             ;   in Loop: Header=BB22_12 Depth=1
	s_or_b32 exec_lo, exec_lo, s12
	s_and_saveexec_b32 s12, s21
	s_cbranch_execnz .LBB22_229
.LBB22_212:                             ;   in Loop: Header=BB22_12 Depth=1
	s_or_b32 exec_lo, exec_lo, s12
	s_and_saveexec_b32 s12, s22
	s_cbranch_execnz .LBB22_230
.LBB22_213:                             ;   in Loop: Header=BB22_12 Depth=1
	s_or_b32 exec_lo, exec_lo, s12
	s_and_saveexec_b32 s12, s23
	s_cbranch_execnz .LBB22_231
.LBB22_214:                             ;   in Loop: Header=BB22_12 Depth=1
	s_or_b32 exec_lo, exec_lo, s12
	s_and_saveexec_b32 s12, s24
	s_cbranch_execnz .LBB22_232
.LBB22_215:                             ;   in Loop: Header=BB22_12 Depth=1
	s_or_b32 exec_lo, exec_lo, s12
	s_and_saveexec_b32 s12, s25
	s_cbranch_execnz .LBB22_233
.LBB22_216:                             ;   in Loop: Header=BB22_12 Depth=1
	s_or_b32 exec_lo, exec_lo, s12
	s_and_saveexec_b32 s12, s26
	s_cbranch_execnz .LBB22_234
.LBB22_217:                             ;   in Loop: Header=BB22_12 Depth=1
	s_or_b32 exec_lo, exec_lo, s12
	s_and_saveexec_b32 s12, s27
	s_cbranch_execz .LBB22_11
	s_branch .LBB22_235
.LBB22_218:                             ;   in Loop: Header=BB22_12 Depth=1
	global_load_u16 v97, v[8:9], off offset:832
	s_or_b32 exec_lo, exec_lo, s28
	s_and_saveexec_b32 s28, s26
	s_cbranch_execz .LBB22_72
.LBB22_219:                             ;   in Loop: Header=BB22_12 Depth=1
	global_load_u16 v96, v[8:9], off offset:896
	s_or_b32 exec_lo, exec_lo, s28
	v_mov_b32_e32 v98, 0
	s_and_saveexec_b32 s28, s27
	s_cbranch_execnz .LBB22_73
	s_branch .LBB22_74
.LBB22_220:                             ;   in Loop: Header=BB22_12 Depth=1
	ds_load_u16 v17, v37
	s_waitcnt lgkmcnt(0)
	global_store_b16 v[0:1], v17, off
	s_or_b32 exec_lo, exec_lo, s28
	s_and_saveexec_b32 s12, s13
	s_cbranch_execz .LBB22_204
.LBB22_221:                             ;   in Loop: Header=BB22_12 Depth=1
	s_waitcnt lgkmcnt(14)
	global_store_b16 v[0:1], v16, off offset:64
	s_or_b32 exec_lo, exec_lo, s12
	s_and_saveexec_b32 s12, s14
	s_cbranch_execz .LBB22_205
.LBB22_222:                             ;   in Loop: Header=BB22_12 Depth=1
	s_waitcnt lgkmcnt(13)
	global_store_b16 v[0:1], v15, off offset:128
	s_or_b32 exec_lo, exec_lo, s12
	s_and_saveexec_b32 s12, s15
	s_cbranch_execz .LBB22_206
.LBB22_223:                             ;   in Loop: Header=BB22_12 Depth=1
	s_waitcnt lgkmcnt(12)
	global_store_b16 v[0:1], v14, off offset:192
	s_or_b32 exec_lo, exec_lo, s12
	s_and_saveexec_b32 s12, s16
	s_cbranch_execz .LBB22_207
.LBB22_224:                             ;   in Loop: Header=BB22_12 Depth=1
	s_waitcnt lgkmcnt(11)
	global_store_b16 v[0:1], v13, off offset:256
	s_or_b32 exec_lo, exec_lo, s12
	s_and_saveexec_b32 s12, s17
	s_cbranch_execz .LBB22_208
.LBB22_225:                             ;   in Loop: Header=BB22_12 Depth=1
	s_waitcnt lgkmcnt(10)
	global_store_b16 v[0:1], v12, off offset:320
	s_or_b32 exec_lo, exec_lo, s12
	s_and_saveexec_b32 s12, s18
	s_cbranch_execz .LBB22_209
.LBB22_226:                             ;   in Loop: Header=BB22_12 Depth=1
	s_waitcnt lgkmcnt(9)
	global_store_b16 v[0:1], v11, off offset:384
	s_or_b32 exec_lo, exec_lo, s12
	s_and_saveexec_b32 s12, s19
	s_cbranch_execz .LBB22_210
.LBB22_227:                             ;   in Loop: Header=BB22_12 Depth=1
	s_waitcnt lgkmcnt(8)
	global_store_b16 v[0:1], v10, off offset:448
	s_or_b32 exec_lo, exec_lo, s12
	s_and_saveexec_b32 s12, s20
	s_cbranch_execz .LBB22_211
.LBB22_228:                             ;   in Loop: Header=BB22_12 Depth=1
	s_waitcnt lgkmcnt(7)
	global_store_b16 v[0:1], v9, off offset:512
	s_or_b32 exec_lo, exec_lo, s12
	s_and_saveexec_b32 s12, s21
	s_cbranch_execz .LBB22_212
.LBB22_229:                             ;   in Loop: Header=BB22_12 Depth=1
	s_waitcnt lgkmcnt(6)
	global_store_b16 v[0:1], v8, off offset:576
	s_or_b32 exec_lo, exec_lo, s12
	s_and_saveexec_b32 s12, s22
	s_cbranch_execz .LBB22_213
.LBB22_230:                             ;   in Loop: Header=BB22_12 Depth=1
	s_waitcnt lgkmcnt(5)
	global_store_b16 v[0:1], v7, off offset:640
	s_or_b32 exec_lo, exec_lo, s12
	s_and_saveexec_b32 s12, s23
	s_cbranch_execz .LBB22_214
.LBB22_231:                             ;   in Loop: Header=BB22_12 Depth=1
	s_waitcnt lgkmcnt(4)
	global_store_b16 v[0:1], v6, off offset:704
	s_or_b32 exec_lo, exec_lo, s12
	s_and_saveexec_b32 s12, s24
	s_cbranch_execz .LBB22_215
.LBB22_232:                             ;   in Loop: Header=BB22_12 Depth=1
	s_waitcnt lgkmcnt(3)
	global_store_b16 v[0:1], v5, off offset:768
	s_or_b32 exec_lo, exec_lo, s12
	s_and_saveexec_b32 s12, s25
	s_cbranch_execz .LBB22_216
.LBB22_233:                             ;   in Loop: Header=BB22_12 Depth=1
	s_waitcnt lgkmcnt(2)
	global_store_b16 v[0:1], v4, off offset:832
	s_or_b32 exec_lo, exec_lo, s12
	s_and_saveexec_b32 s12, s26
	s_cbranch_execz .LBB22_217
.LBB22_234:                             ;   in Loop: Header=BB22_12 Depth=1
	s_waitcnt lgkmcnt(1)
	global_store_b16 v[0:1], v3, off offset:896
	s_or_b32 exec_lo, exec_lo, s12
	s_and_saveexec_b32 s12, s27
	s_cbranch_execz .LBB22_11
.LBB22_235:                             ;   in Loop: Header=BB22_12 Depth=1
	s_waitcnt lgkmcnt(0)
	global_store_b16 v[0:1], v2, off offset:960
	s_branch .LBB22_11
.LBB22_236:
	s_nop 0
	s_sendmsg sendmsg(MSG_DEALLOC_VGPRS)
	s_endpgm
	.section	.rodata,"a",@progbits
	.p2align	6, 0x0
	.amdhsa_kernel _Z25selective_scan_fwd_kernelI32Selective_Scan_fwd_kernel_traitsILi64ELi16ELi1ELb0ELb1ELb1ELb0ELb1EN3c108BFloat16EfS2_EEv13SSMParamsBase
		.amdhsa_group_segment_fixed_size 0
		.amdhsa_private_segment_fixed_size 0
		.amdhsa_kernarg_size 248
		.amdhsa_user_sgpr_count 14
		.amdhsa_user_sgpr_dispatch_ptr 0
		.amdhsa_user_sgpr_queue_ptr 0
		.amdhsa_user_sgpr_kernarg_segment_ptr 1
		.amdhsa_user_sgpr_dispatch_id 0
		.amdhsa_user_sgpr_private_segment_size 0
		.amdhsa_wavefront_size32 1
		.amdhsa_uses_dynamic_stack 0
		.amdhsa_enable_private_segment 0
		.amdhsa_system_sgpr_workgroup_id_x 1
		.amdhsa_system_sgpr_workgroup_id_y 1
		.amdhsa_system_sgpr_workgroup_id_z 0
		.amdhsa_system_sgpr_workgroup_info 0
		.amdhsa_system_vgpr_workitem_id 0
		.amdhsa_next_free_vgpr 172
		.amdhsa_next_free_sgpr 92
		.amdhsa_reserve_vcc 1
		.amdhsa_float_round_mode_32 0
		.amdhsa_float_round_mode_16_64 0
		.amdhsa_float_denorm_mode_32 3
		.amdhsa_float_denorm_mode_16_64 3
		.amdhsa_dx10_clamp 1
		.amdhsa_ieee_mode 1
		.amdhsa_fp16_overflow 0
		.amdhsa_workgroup_processor_mode 1
		.amdhsa_memory_ordered 1
		.amdhsa_forward_progress 0
		.amdhsa_shared_vgpr_count 0
		.amdhsa_exception_fp_ieee_invalid_op 0
		.amdhsa_exception_fp_denorm_src 0
		.amdhsa_exception_fp_ieee_div_zero 0
		.amdhsa_exception_fp_ieee_overflow 0
		.amdhsa_exception_fp_ieee_underflow 0
		.amdhsa_exception_fp_ieee_inexact 0
		.amdhsa_exception_int_div_zero 0
	.end_amdhsa_kernel
	.section	.text._Z25selective_scan_fwd_kernelI32Selective_Scan_fwd_kernel_traitsILi64ELi16ELi1ELb0ELb1ELb1ELb0ELb1EN3c108BFloat16EfS2_EEv13SSMParamsBase,"axG",@progbits,_Z25selective_scan_fwd_kernelI32Selective_Scan_fwd_kernel_traitsILi64ELi16ELi1ELb0ELb1ELb1ELb0ELb1EN3c108BFloat16EfS2_EEv13SSMParamsBase,comdat
.Lfunc_end22:
	.size	_Z25selective_scan_fwd_kernelI32Selective_Scan_fwd_kernel_traitsILi64ELi16ELi1ELb0ELb1ELb1ELb0ELb1EN3c108BFloat16EfS2_EEv13SSMParamsBase, .Lfunc_end22-_Z25selective_scan_fwd_kernelI32Selective_Scan_fwd_kernel_traitsILi64ELi16ELi1ELb0ELb1ELb1ELb0ELb1EN3c108BFloat16EfS2_EEv13SSMParamsBase
                                        ; -- End function
	.section	.AMDGPU.csdata,"",@progbits
; Kernel info:
; codeLenInByte = 21492
; NumSgprs: 94
; NumVgprs: 172
; ScratchSize: 0
; MemoryBound: 0
; FloatMode: 240
; IeeeMode: 1
; LDSByteSize: 0 bytes/workgroup (compile time only)
; SGPRBlocks: 11
; VGPRBlocks: 21
; NumSGPRsForWavesPerEU: 94
; NumVGPRsForWavesPerEU: 172
; Occupancy: 8
; WaveLimiterHint : 1
; COMPUTE_PGM_RSRC2:SCRATCH_EN: 0
; COMPUTE_PGM_RSRC2:USER_SGPR: 14
; COMPUTE_PGM_RSRC2:TRAP_HANDLER: 0
; COMPUTE_PGM_RSRC2:TGID_X_EN: 1
; COMPUTE_PGM_RSRC2:TGID_Y_EN: 1
; COMPUTE_PGM_RSRC2:TGID_Z_EN: 0
; COMPUTE_PGM_RSRC2:TIDIG_COMP_CNT: 0
	.section	.text._Z25selective_scan_fwd_kernelI32Selective_Scan_fwd_kernel_traitsILi64ELi16ELi1ELb0ELb1ELb1ELb0ELb0EN3c108BFloat16EfS2_EEv13SSMParamsBase,"axG",@progbits,_Z25selective_scan_fwd_kernelI32Selective_Scan_fwd_kernel_traitsILi64ELi16ELi1ELb0ELb1ELb1ELb0ELb0EN3c108BFloat16EfS2_EEv13SSMParamsBase,comdat
	.protected	_Z25selective_scan_fwd_kernelI32Selective_Scan_fwd_kernel_traitsILi64ELi16ELi1ELb0ELb1ELb1ELb0ELb0EN3c108BFloat16EfS2_EEv13SSMParamsBase ; -- Begin function _Z25selective_scan_fwd_kernelI32Selective_Scan_fwd_kernel_traitsILi64ELi16ELi1ELb0ELb1ELb1ELb0ELb0EN3c108BFloat16EfS2_EEv13SSMParamsBase
	.globl	_Z25selective_scan_fwd_kernelI32Selective_Scan_fwd_kernel_traitsILi64ELi16ELi1ELb0ELb1ELb1ELb0ELb0EN3c108BFloat16EfS2_EEv13SSMParamsBase
	.p2align	8
	.type	_Z25selective_scan_fwd_kernelI32Selective_Scan_fwd_kernel_traitsILi64ELi16ELi1ELb0ELb1ELb1ELb0ELb0EN3c108BFloat16EfS2_EEv13SSMParamsBase,@function
_Z25selective_scan_fwd_kernelI32Selective_Scan_fwd_kernel_traitsILi64ELi16ELi1ELb0ELb1ELb1ELb0ELb0EN3c108BFloat16EfS2_EEv13SSMParamsBase: ; @_Z25selective_scan_fwd_kernelI32Selective_Scan_fwd_kernel_traitsILi64ELi16ELi1ELb0ELb1ELb1ELb0ELb0EN3c108BFloat16EfS2_EEv13SSMParamsBase
; %bb.0:
	s_clause 0x1
	s_load_b32 s9, s[0:1], 0x18
	s_load_b128 s[4:7], s[0:1], 0xe8
	s_mov_b32 s12, s15
	s_mov_b32 s47, 0
	s_waitcnt lgkmcnt(0)
	s_abs_i32 s8, s9
	s_cmp_eq_u64 s[6:7], 0
	v_cvt_f32_u32_e32 v1, s8
	s_delay_alu instid0(VALU_DEP_1) | instskip(SKIP_2) | instid1(VALU_DEP_1)
	v_rcp_iflag_f32_e32 v1, v1
	s_waitcnt_depctr 0xfff
	v_mul_f32_e32 v1, 0x4f7ffffe, v1
	v_cvt_u32_f32_e32 v1, v1
	s_delay_alu instid0(VALU_DEP_1)
	v_readfirstlane_b32 s10, v1
	s_cbranch_scc1 .LBB23_2
; %bb.1:
	v_mov_b32_e32 v1, 0
	s_ashr_i32 s3, s14, 31
	s_add_u32 s2, s6, s14
	s_addc_u32 s3, s7, s3
	global_load_u8 v1, v1, s[2:3]
	s_waitcnt vmcnt(0)
	v_and_b32_e32 v1, 1, v1
	s_delay_alu instid0(VALU_DEP_1)
	v_cmp_eq_u32_e64 s47, 1, v1
.LBB23_2:
	s_load_b64 s[6:7], s[0:1], 0x20
	s_cmp_eq_u64 s[4:5], 0
	s_cbranch_scc1 .LBB23_4
; %bb.3:
	s_ashr_i32 s15, s14, 31
	s_delay_alu instid0(SALU_CYCLE_1) | instskip(NEXT) | instid1(SALU_CYCLE_1)
	s_lshl_b64 s[2:3], s[14:15], 2
	s_add_u32 s2, s4, s2
	s_addc_u32 s3, s5, s3
	s_load_b32 s2, s[2:3], 0x0
	s_waitcnt lgkmcnt(0)
	s_ashr_i32 s3, s2, 31
	s_delay_alu instid0(SALU_CYCLE_1)
	s_cmp_eq_u64 s[6:7], s[2:3]
	s_cbranch_scc0 .LBB23_5
	s_branch .LBB23_236
.LBB23_4:
	s_mov_b32 s2, s14
	s_delay_alu instid0(SALU_CYCLE_1)
	s_ashr_i32 s3, s2, 31
	s_waitcnt lgkmcnt(0)
	s_cmp_eq_u64 s[6:7], s[2:3]
	s_cbranch_scc1 .LBB23_236
.LBB23_5:
	s_clause 0x1
	s_load_b512 s[16:31], s[0:1], 0x88
	s_load_b64 s[64:65], s[0:1], 0x8
	s_mov_b32 s68, 0
	s_mov_b32 s69, 0
	s_waitcnt lgkmcnt(0)
	s_cmp_eq_u64 s[22:23], 0
	s_cbranch_scc1 .LBB23_7
; %bb.6:
	s_ashr_i32 s13, s12, 31
	s_delay_alu instid0(SALU_CYCLE_1) | instskip(NEXT) | instid1(SALU_CYCLE_1)
	s_lshl_b64 s[4:5], s[12:13], 2
	s_add_u32 s4, s22, s4
	s_addc_u32 s5, s23, s5
	s_load_b32 s69, s[4:5], 0x0
.LBB23_7:
	s_cmp_eq_u64 s[28:29], 0
	s_cbranch_scc1 .LBB23_9
; %bb.8:
	s_ashr_i32 s13, s12, 31
	s_delay_alu instid0(SALU_CYCLE_1) | instskip(NEXT) | instid1(SALU_CYCLE_1)
	s_lshl_b64 s[4:5], s[12:13], 2
	s_add_u32 s4, s28, s4
	s_addc_u32 s5, s29, s5
	s_load_b32 s68, s[4:5], 0x0
.LBB23_9:
	s_cmp_lt_i32 s64, 1
	s_cbranch_scc1 .LBB23_236
; %bb.10:
	s_sub_i32 s3, 0, s8
	s_clause 0x1
	s_load_b64 s[4:5], s[0:1], 0x5c
	s_load_b128 s[56:59], s[0:1], 0x4c
	s_mul_i32 s3, s3, s10
	s_abs_i32 s6, s12
	s_mul_hi_u32 s3, s10, s3
	s_ashr_i32 s9, s9, 31
	s_add_i32 s10, s10, s3
	s_ashr_i32 s3, s12, 31
	s_mul_hi_u32 s7, s6, s10
	s_xor_b32 s3, s3, s9
	s_mul_i32 s10, s7, s8
	s_add_i32 s9, s7, 1
	s_sub_i32 s6, s6, s10
	s_load_b256 s[48:55], s[0:1], 0x2c
	s_sub_i32 s10, s6, s8
	s_cmp_ge_u32 s6, s8
	s_mov_b32 s67, 0
	s_cselect_b32 s7, s9, s7
	s_cselect_b32 s6, s10, s6
	s_add_i32 s9, s7, 1
	s_cmp_ge_u32 s6, s8
	s_waitcnt lgkmcnt(0)
	s_mul_i32 s66, s58, s14
	s_cselect_b32 s6, s9, s7
	s_clause 0x1
	s_load_b128 s[60:63], s[0:1], 0x7c
	s_load_b64 s[10:11], s[0:1], 0x6c
	s_xor_b32 s8, s6, s3
	s_lshl_b64 s[6:7], s[66:67], 1
	s_sub_i32 s3, s8, s3
	s_mul_i32 s66, s59, s12
	s_add_u32 s8, s24, s6
	s_addc_u32 s9, s25, s7
	s_lshl_b64 s[6:7], s[66:67], 1
	s_mul_i32 s66, s4, s14
	s_add_u32 s70, s8, s6
	s_addc_u32 s71, s9, s7
	s_lshl_b64 s[6:7], s[66:67], 1
	;; [unrolled: 4-line block ×3, first 2 shown]
	v_dual_mov_b32 v21, 0 :: v_dual_lshlrev_b32 v18, 4, v0
	s_add_u32 s72, s6, s4
	s_mul_i32 s66, s48, s12
	s_addc_u32 s48, s7, s5
	s_load_b64 s[6:7], s[0:1], 0xc8
	s_lshl_b64 s[4:5], s[66:67], 2
	v_mbcnt_lo_u32_b32 v19, -1, 0
	v_and_b32_e32 v1, 0x200, v18
	s_mul_i32 s66, s50, s14
	s_add_u32 s73, s16, s4
	s_waitcnt lgkmcnt(0)
	s_addc_u32 s63, s17, s5
	s_lshl_b64 s[4:5], s[66:67], 1
	s_mul_i32 s66, s3, s53
	s_load_b32 s0, s[0:1], 0x28
	s_add_u32 s8, s18, s4
	v_or_b32_e32 v20, v19, v1
	s_addc_u32 s9, s19, s5
	s_lshl_b64 s[4:5], s[66:67], 1
	s_mul_i32 s66, s54, s14
	s_add_u32 s53, s8, s4
	s_addc_u32 s74, s9, s5
	s_lshl_b64 s[4:5], s[66:67], 1
	s_mul_i32 s66, s3, s57
	v_or_b32_e32 v24, 0x60, v20
	v_and_b32_e32 v14, 32, v0
	s_add_u32 s8, s20, s4
	s_addc_u32 s3, s21, s5
	s_lshl_b64 s[4:5], s[66:67], 1
	s_mul_i32 s66, s2, s60
	s_add_u32 s57, s8, s4
	s_addc_u32 s75, s3, s5
	s_lshl_b64 s[2:3], s[66:67], 1
	v_or_b32_e32 v26, 0xa0, v20
	v_or_b32_e32 v28, 0xe0, v20
	;; [unrolled: 1-line block ×5, first 2 shown]
	v_lshrrev_b32_e32 v2, 5, v24
	v_or_b32_e32 v36, 0x1e0, v20
	v_or_b32_e32 v16, v19, v14
	s_mul_i32 s66, s61, s12
	s_add_u32 s4, s6, s2
	s_addc_u32 s5, s7, s3
	s_lshl_b64 s[2:3], s[66:67], 1
	v_or_b32_e32 v23, 64, v20
	s_add_u32 s76, s4, s2
	v_or_b32_e32 v25, 0x80, v20
	v_or_b32_e32 v27, 0xc0, v20
	v_or_b32_e32 v29, 0x100, v20
	v_or_b32_e32 v31, 0x140, v20
	v_or_b32_e32 v33, 0x180, v20
	v_or_b32_e32 v35, 0x1c0, v20
	v_and_b32_e32 v2, 18, v2
	v_lshrrev_b32_e32 v5, 5, v26
	v_lshrrev_b32_e32 v8, 5, v28
	;; [unrolled: 1-line block ×6, first 2 shown]
	v_lshrrev_b16 v50, 1, v16
	s_addc_u32 s77, s5, s3
	s_add_i32 s2, s64, 0x7ff
	v_lshrrev_b32_e32 v3, 5, v1
	s_lshr_b32 s78, s2, 11
	s_waitcnt lgkmcnt(0)
	s_bitcmp1_b32 s0, 0
	v_lshrrev_b32_e32 v4, 5, v23
	v_lshrrev_b32_e32 v6, 5, v25
	v_add_lshl_u32 v2, v2, v20, 1
	v_and_b32_e32 v5, 20, v5
	v_lshrrev_b32_e32 v7, 5, v27
	v_and_b32_e32 v8, 22, v8
	v_lshrrev_b32_e32 v10, 5, v29
	;; [unrolled: 2-line block ×5, first 2 shown]
	v_and_b32_e32 v51, 30, v49
	v_lshlrev_b32_e32 v16, 4, v16
	v_and_b32_e32 v52, 30, v50
	s_cselect_b32 s79, -1, 0
	s_cmp_gt_i32 s65, 0
	v_add_lshl_u32 v3, v3, v20, 1
	s_cselect_b32 s80, -1, 0
	s_add_i32 s0, 0, 0x840
	v_add_lshl_u32 v4, v4, v20, 1
	v_add_lshl_u32 v6, v6, v20, 1
	v_add_nc_u32_e32 v39, 0, v2
	v_add_lshl_u32 v5, v5, v20, 1
	v_add_lshl_u32 v7, v7, v20, 1
	;; [unrolled: 1-line block ×12, first 2 shown]
	v_add_nc_u32_e32 v55, s0, v2
	v_and_b32_e32 v2, 15, v19
	s_and_b32 s1, s64, 0x3ff
	v_add_nc_u32_e32 v51, 0, v67
	v_add_nc_u32_e32 v53, s0, v3
	;; [unrolled: 1-line block ×15, first 2 shown]
	s_cmp_eq_u32 s1, 0
	v_add_nc_u32_e32 v68, s0, v16
	v_cmp_ne_u32_e64 s0, 0, v2
	v_cmp_lt_u32_e64 s1, 1, v2
	v_cmp_lt_u32_e64 s2, 3, v2
	;; [unrolled: 1-line block ×3, first 2 shown]
	v_add_nc_u32_e32 v2, -1, v19
	v_add_nc_u32_e32 v37, 0, v3
	v_lshrrev_b32_e32 v3, 2, v0
	v_add_nc_u32_e32 v41, 0, v5
	v_or_b32_e32 v5, 31, v14
	v_cmp_gt_i32_e32 vcc_lo, 0, v2
	s_mul_i32 s66, s10, s14
	v_and_b32_e32 v3, 8, v3
	s_cselect_b32 s81, -1, 0
	s_lshl_b64 s[14:15], s[66:67], 1
	v_cndmask_b32_e32 v2, v2, v19, vcc_lo
	s_add_i32 s82, s78, -1
	s_mul_i32 s66, s11, s12
	v_cmp_eq_u32_e64 s5, v5, v0
	v_cmp_gt_u32_e64 s6, 2, v0
	v_lshl_add_u32 v70, v0, 3, 0
	v_cmp_gt_u32_e64 s8, 32, v0
	v_cmp_lt_u32_e64 s9, 31, v0
	v_cmp_eq_u32_e64 s10, 0, v0
	s_add_u32 s14, s30, s14
	v_lshlrev_b32_e32 v0, 1, v19
	s_addc_u32 s11, s31, s15
	s_lshl_b64 s[12:13], s[66:67], 1
	v_add_nc_u32_e32 v69, 0, v3
	v_and_b32_e32 v3, 1, v19
	s_add_u32 s12, s14, s12
	v_lshlrev_b32_e32 v71, 2, v2
	s_addc_u32 s11, s11, s13
	v_lshlrev_b32_e32 v2, 1, v1
	v_add_co_u32 v0, s12, s12, v0
	v_add_nc_u32_e32 v38, 0, v4
	v_and_b32_e32 v4, 16, v19
	v_cmp_eq_u32_e64 s7, 0, v3
	v_add_co_ci_u32_e64 v3, null, s11, 0, s12
	v_add_co_u32 v72, vcc_lo, v0, v2
	v_or_b32_e32 v22, 32, v20
	v_add_nc_u32_e32 v40, 0, v6
	v_add_nc_u32_e32 v42, 0, v7
	;; [unrolled: 1-line block ×11, first 2 shown]
	v_cmp_ne_u32_e64 s4, 0, v4
	v_cmp_eq_u32_e64 s11, 0, v19
	v_add_co_ci_u32_e32 v73, vcc_lo, 0, v3, vcc_lo
	v_or_b32_e32 v74, 1, v18
	v_or_b32_e32 v75, 2, v18
	;; [unrolled: 1-line block ×15, first 2 shown]
	v_lshlrev_b32_e32 v89, 1, v1
	s_mov_b32 s83, 0x3e9b6dac
	s_add_i32 s84, 0, 0x1090
	s_mov_b32 s85, 0
	s_branch .LBB23_12
.LBB23_11:                              ;   in Loop: Header=BB23_12 Depth=1
	s_or_b32 exec_lo, exec_lo, s12
	s_add_u32 s72, s72, 0x800
	s_addc_u32 s48, s48, 0
	s_add_u32 s70, s70, 0x800
	s_addc_u32 s71, s71, 0
	;; [unrolled: 2-line block ×4, first 2 shown]
	s_add_i32 s85, s85, 1
	s_delay_alu instid0(SALU_CYCLE_1)
	s_cmp_eq_u32 s85, s78
	s_cbranch_scc1 .LBB23_236
.LBB23_12:                              ; =>This Loop Header: Depth=1
                                        ;     Child Loop BB23_109 Depth 2
	s_waitcnt lgkmcnt(14)
	v_lshlrev_b32_e32 v16, 1, v19
	s_lshl_b32 s50, s85, 10
	s_waitcnt lgkmcnt(0)
	v_mov_b32_e32 v2, 0
	s_sub_i32 s40, s64, s50
	v_add_co_u32 v0, s12, s70, v16
	s_delay_alu instid0(VALU_DEP_1) | instskip(SKIP_1) | instid1(VALU_DEP_3)
	v_add_co_ci_u32_e64 v1, null, s71, 0, s12
	v_cmp_gt_u32_e64 s12, s40, v20
	v_add_co_u32 v0, vcc_lo, v0, v89
	s_delay_alu instid0(VALU_DEP_3)
	v_add_co_ci_u32_e32 v1, vcc_lo, 0, v1, vcc_lo
	s_waitcnt_vscnt null, 0x0
	s_barrier
	buffer_gl0_inv
	s_and_saveexec_b32 s13, s12
	s_cbranch_execz .LBB23_14
; %bb.13:                               ;   in Loop: Header=BB23_12 Depth=1
	global_load_u16 v2, v[0:1], off
.LBB23_14:                              ;   in Loop: Header=BB23_12 Depth=1
	s_or_b32 exec_lo, exec_lo, s13
	v_cmp_gt_u32_e64 s13, s40, v22
	v_dual_mov_b32 v3, 0 :: v_dual_mov_b32 v4, 0
	s_delay_alu instid0(VALU_DEP_2)
	s_and_saveexec_b32 s14, s13
	s_cbranch_execz .LBB23_16
; %bb.15:                               ;   in Loop: Header=BB23_12 Depth=1
	global_load_u16 v4, v[0:1], off offset:64
.LBB23_16:                              ;   in Loop: Header=BB23_12 Depth=1
	s_or_b32 exec_lo, exec_lo, s14
	v_cmp_gt_u32_e64 s14, s40, v23
	s_delay_alu instid0(VALU_DEP_1)
	s_and_saveexec_b32 s15, s14
	s_cbranch_execz .LBB23_18
; %bb.17:                               ;   in Loop: Header=BB23_12 Depth=1
	global_load_u16 v3, v[0:1], off offset:128
.LBB23_18:                              ;   in Loop: Header=BB23_12 Depth=1
	s_or_b32 exec_lo, exec_lo, s15
	v_cmp_gt_u32_e64 s15, s40, v24
	v_dual_mov_b32 v5, 0 :: v_dual_mov_b32 v6, 0
	s_delay_alu instid0(VALU_DEP_2)
	s_and_saveexec_b32 s16, s15
	s_cbranch_execz .LBB23_20
; %bb.19:                               ;   in Loop: Header=BB23_12 Depth=1
	global_load_u16 v6, v[0:1], off offset:192
.LBB23_20:                              ;   in Loop: Header=BB23_12 Depth=1
	s_or_b32 exec_lo, exec_lo, s16
	v_cmp_gt_u32_e64 s16, s40, v25
	s_delay_alu instid0(VALU_DEP_1)
	s_and_saveexec_b32 s17, s16
	s_cbranch_execz .LBB23_22
; %bb.21:                               ;   in Loop: Header=BB23_12 Depth=1
	global_load_u16 v5, v[0:1], off offset:256
.LBB23_22:                              ;   in Loop: Header=BB23_12 Depth=1
	;; [unrolled: 17-line block ×3, first 2 shown]
	s_or_b32 exec_lo, exec_lo, s19
	v_cmp_gt_u32_e64 s19, s40, v28
	v_mov_b32_e32 v9, 0
	v_mov_b32_e32 v11, 0
	s_delay_alu instid0(VALU_DEP_3)
	s_and_saveexec_b32 s20, s19
	s_cbranch_execz .LBB23_28
; %bb.27:                               ;   in Loop: Header=BB23_12 Depth=1
	global_load_u16 v11, v[0:1], off offset:448
.LBB23_28:                              ;   in Loop: Header=BB23_12 Depth=1
	s_or_b32 exec_lo, exec_lo, s20
	v_cmp_gt_u32_e64 s20, s40, v29
	s_delay_alu instid0(VALU_DEP_1)
	s_and_saveexec_b32 s21, s20
	s_cbranch_execz .LBB23_30
; %bb.29:                               ;   in Loop: Header=BB23_12 Depth=1
	global_load_u16 v9, v[0:1], off offset:512
.LBB23_30:                              ;   in Loop: Header=BB23_12 Depth=1
	s_or_b32 exec_lo, exec_lo, s21
	v_cmp_gt_u32_e64 s21, s40, v30
	v_dual_mov_b32 v12, 0 :: v_dual_mov_b32 v13, 0
	s_delay_alu instid0(VALU_DEP_2)
	s_and_saveexec_b32 s22, s21
	s_cbranch_execz .LBB23_32
; %bb.31:                               ;   in Loop: Header=BB23_12 Depth=1
	global_load_u16 v13, v[0:1], off offset:576
.LBB23_32:                              ;   in Loop: Header=BB23_12 Depth=1
	s_or_b32 exec_lo, exec_lo, s22
	v_cmp_gt_u32_e64 s22, s40, v31
	s_delay_alu instid0(VALU_DEP_1)
	s_and_saveexec_b32 s23, s22
	s_cbranch_execz .LBB23_34
; %bb.33:                               ;   in Loop: Header=BB23_12 Depth=1
	global_load_u16 v12, v[0:1], off offset:640
.LBB23_34:                              ;   in Loop: Header=BB23_12 Depth=1
	s_or_b32 exec_lo, exec_lo, s23
	v_cmp_gt_u32_e64 s23, s40, v32
	v_dual_mov_b32 v14, 0 :: v_dual_mov_b32 v15, 0
	s_delay_alu instid0(VALU_DEP_2)
	;; [unrolled: 17-line block ×4, first 2 shown]
	s_and_saveexec_b32 s28, s27
	s_cbranch_execz .LBB23_44
; %bb.43:                               ;   in Loop: Header=BB23_12 Depth=1
	global_load_u16 v91, v[0:1], off offset:960
.LBB23_44:                              ;   in Loop: Header=BB23_12 Depth=1
	s_or_b32 exec_lo, exec_lo, s28
	s_waitcnt vmcnt(0)
	ds_store_b16 v37, v2
	ds_store_b16 v37, v4 offset:64
	ds_store_b16 v38, v3 offset:128
	;; [unrolled: 1-line block ×15, first 2 shown]
	; wave barrier
	ds_load_b128 v[0:3], v52
	ds_load_b128 v[4:7], v52 offset:16
	v_add_co_u32 v8, s28, s72, v16
	s_delay_alu instid0(VALU_DEP_1) | instskip(SKIP_1) | instid1(VALU_DEP_2)
	v_add_co_ci_u32_e64 v9, null, s48, 0, s28
	s_waitcnt lgkmcnt(0)
	v_add_co_u32 v8, vcc_lo, v8, v89
	s_delay_alu instid0(VALU_DEP_2)
	v_add_co_ci_u32_e32 v9, vcc_lo, 0, v9, vcc_lo
	s_barrier
	buffer_gl0_inv
	s_and_saveexec_b32 s28, s12
	s_cbranch_execz .LBB23_46
; %bb.45:                               ;   in Loop: Header=BB23_12 Depth=1
	global_load_u16 v10, v[8:9], off
.LBB23_46:                              ;   in Loop: Header=BB23_12 Depth=1
	s_or_b32 exec_lo, exec_lo, s28
	v_dual_mov_b32 v11, 0 :: v_dual_mov_b32 v12, 0
	s_and_saveexec_b32 s28, s13
	s_cbranch_execz .LBB23_48
; %bb.47:                               ;   in Loop: Header=BB23_12 Depth=1
	global_load_u16 v12, v[8:9], off offset:64
.LBB23_48:                              ;   in Loop: Header=BB23_12 Depth=1
	s_or_b32 exec_lo, exec_lo, s28
	s_and_saveexec_b32 s28, s14
	s_cbranch_execz .LBB23_50
; %bb.49:                               ;   in Loop: Header=BB23_12 Depth=1
	global_load_u16 v11, v[8:9], off offset:128
.LBB23_50:                              ;   in Loop: Header=BB23_12 Depth=1
	s_or_b32 exec_lo, exec_lo, s28
	v_dual_mov_b32 v13, 0 :: v_dual_mov_b32 v14, 0
	s_and_saveexec_b32 s28, s15
	s_cbranch_execz .LBB23_52
; %bb.51:                               ;   in Loop: Header=BB23_12 Depth=1
	global_load_u16 v14, v[8:9], off offset:192
.LBB23_52:                              ;   in Loop: Header=BB23_12 Depth=1
	s_or_b32 exec_lo, exec_lo, s28
	s_and_saveexec_b32 s28, s16
	s_cbranch_execz .LBB23_54
; %bb.53:                               ;   in Loop: Header=BB23_12 Depth=1
	global_load_u16 v13, v[8:9], off offset:256
.LBB23_54:                              ;   in Loop: Header=BB23_12 Depth=1
	s_or_b32 exec_lo, exec_lo, s28
	v_mov_b32_e32 v15, 0
	v_mov_b32_e32 v17, 0
	s_and_saveexec_b32 s28, s17
	s_cbranch_execz .LBB23_56
; %bb.55:                               ;   in Loop: Header=BB23_12 Depth=1
	global_load_u16 v17, v[8:9], off offset:320
.LBB23_56:                              ;   in Loop: Header=BB23_12 Depth=1
	s_or_b32 exec_lo, exec_lo, s28
	s_and_saveexec_b32 s28, s18
	s_cbranch_execz .LBB23_58
; %bb.57:                               ;   in Loop: Header=BB23_12 Depth=1
	global_load_u16 v15, v[8:9], off offset:384
.LBB23_58:                              ;   in Loop: Header=BB23_12 Depth=1
	s_or_b32 exec_lo, exec_lo, s28
	v_dual_mov_b32 v90, 0 :: v_dual_mov_b32 v91, 0
	s_and_saveexec_b32 s28, s19
	s_cbranch_execz .LBB23_60
; %bb.59:                               ;   in Loop: Header=BB23_12 Depth=1
	global_load_u16 v91, v[8:9], off offset:448
.LBB23_60:                              ;   in Loop: Header=BB23_12 Depth=1
	s_or_b32 exec_lo, exec_lo, s28
	s_and_saveexec_b32 s28, s20
	s_cbranch_execz .LBB23_62
; %bb.61:                               ;   in Loop: Header=BB23_12 Depth=1
	global_load_u16 v90, v[8:9], off offset:512
.LBB23_62:                              ;   in Loop: Header=BB23_12 Depth=1
	s_or_b32 exec_lo, exec_lo, s28
	v_dual_mov_b32 v92, 0 :: v_dual_mov_b32 v93, 0
	;; [unrolled: 13-line block ×4, first 2 shown]
	s_and_saveexec_b32 s28, s25
	s_cbranch_execnz .LBB23_218
; %bb.71:                               ;   in Loop: Header=BB23_12 Depth=1
	s_or_b32 exec_lo, exec_lo, s28
	s_and_saveexec_b32 s28, s26
	s_cbranch_execnz .LBB23_219
.LBB23_72:                              ;   in Loop: Header=BB23_12 Depth=1
	s_or_b32 exec_lo, exec_lo, s28
	v_mov_b32_e32 v98, 0
	s_and_saveexec_b32 s28, s27
	s_cbranch_execz .LBB23_74
.LBB23_73:                              ;   in Loop: Header=BB23_12 Depth=1
	global_load_u16 v98, v[8:9], off offset:960
.LBB23_74:                              ;   in Loop: Header=BB23_12 Depth=1
	s_or_b32 exec_lo, exec_lo, s28
	s_waitcnt vmcnt(0)
	ds_store_b16 v37, v10
	ds_store_b16 v37, v12 offset:64
	ds_store_b16 v38, v11 offset:128
	;; [unrolled: 1-line block ×15, first 2 shown]
	; wave barrier
	ds_load_b128 v[12:15], v52
	ds_load_b128 v[8:11], v52 offset:16
	s_waitcnt lgkmcnt(1)
	v_lshlrev_b32_e32 v17, 16, v12
	s_delay_alu instid0(VALU_DEP_1) | instskip(NEXT) | instid1(VALU_DEP_1)
	v_add_f32_e32 v90, s68, v17
	v_cmp_ge_f32_e32 vcc_lo, 0x41a00000, v90
	s_and_b32 s28, s79, vcc_lo
	s_delay_alu instid0(SALU_CYCLE_1)
	s_and_saveexec_b32 s29, s28
	s_cbranch_execz .LBB23_76
; %bb.75:                               ;   in Loop: Header=BB23_12 Depth=1
	v_mul_f32_e32 v17, 0x3fb8aa3b, v90
	v_cmp_ngt_f32_e32 vcc_lo, 0xc2ce8ed0, v90
	s_delay_alu instid0(VALU_DEP_2) | instskip(SKIP_1) | instid1(VALU_DEP_1)
	v_rndne_f32_e32 v91, v17
	v_fma_f32 v92, 0x3fb8aa3b, v90, -v17
	v_dual_sub_f32 v17, v17, v91 :: v_dual_fmac_f32 v92, 0x32a5705f, v90
	v_cvt_i32_f32_e32 v91, v91
	s_delay_alu instid0(VALU_DEP_2) | instskip(NEXT) | instid1(VALU_DEP_1)
	v_add_f32_e32 v17, v17, v92
	v_exp_f32_e32 v17, v17
	s_waitcnt_depctr 0xfff
	v_ldexp_f32 v17, v17, v91
	s_delay_alu instid0(VALU_DEP_1) | instskip(SKIP_1) | instid1(VALU_DEP_2)
	v_cndmask_b32_e32 v17, 0, v17, vcc_lo
	v_cmp_nlt_f32_e32 vcc_lo, 0x42b17218, v90
	v_cndmask_b32_e32 v17, 0x7f800000, v17, vcc_lo
	s_delay_alu instid0(VALU_DEP_1) | instskip(NEXT) | instid1(VALU_DEP_1)
	v_add_f32_e32 v92, 1.0, v17
	v_cvt_f64_f32_e32 v[90:91], v92
	s_delay_alu instid0(VALU_DEP_1) | instskip(SKIP_1) | instid1(VALU_DEP_1)
	v_frexp_exp_i32_f64_e32 v90, v[90:91]
	v_frexp_mant_f32_e32 v91, v92
	v_cmp_gt_f32_e32 vcc_lo, 0x3f2aaaab, v91
	v_add_f32_e32 v91, -1.0, v92
	s_delay_alu instid0(VALU_DEP_1) | instskip(NEXT) | instid1(VALU_DEP_1)
	v_dual_sub_f32 v94, v91, v92 :: v_dual_sub_f32 v91, v17, v91
	v_add_f32_e32 v94, 1.0, v94
	v_subrev_co_ci_u32_e32 v90, vcc_lo, 0, v90, vcc_lo
	s_delay_alu instid0(VALU_DEP_1) | instskip(SKIP_1) | instid1(VALU_DEP_2)
	v_sub_nc_u32_e32 v93, 0, v90
	v_cvt_f32_i32_e32 v90, v90
	v_ldexp_f32 v92, v92, v93
	v_add_f32_e32 v91, v91, v94
	s_delay_alu instid0(VALU_DEP_1) | instskip(NEXT) | instid1(VALU_DEP_3)
	v_ldexp_f32 v91, v91, v93
	v_add_f32_e32 v95, 1.0, v92
	s_delay_alu instid0(VALU_DEP_1) | instskip(NEXT) | instid1(VALU_DEP_1)
	v_add_f32_e32 v94, -1.0, v95
	v_sub_f32_e32 v94, v92, v94
	v_cmp_eq_f32_e32 vcc_lo, 0x7f800000, v17
	v_cmp_gt_f32_e64 s28, 0x33800000, v17
	s_delay_alu instid0(VALU_DEP_3) | instskip(NEXT) | instid1(VALU_DEP_2)
	v_dual_add_f32 v94, v91, v94 :: v_dual_add_f32 v93, -1.0, v92
	s_or_b32 vcc_lo, s28, vcc_lo
	s_delay_alu instid0(VALU_DEP_1) | instskip(NEXT) | instid1(VALU_DEP_1)
	v_add_f32_e32 v96, 1.0, v93
	v_sub_f32_e32 v92, v92, v96
	s_delay_alu instid0(VALU_DEP_3) | instskip(NEXT) | instid1(VALU_DEP_1)
	v_add_f32_e32 v96, v95, v94
	v_sub_f32_e32 v95, v95, v96
	s_delay_alu instid0(VALU_DEP_3) | instskip(SKIP_1) | instid1(VALU_DEP_2)
	v_add_f32_e32 v91, v91, v92
	v_rcp_f32_e32 v92, v96
	v_add_f32_e32 v94, v94, v95
	s_delay_alu instid0(VALU_DEP_2) | instskip(NEXT) | instid1(VALU_DEP_1)
	v_add_f32_e32 v97, v93, v91
	v_sub_f32_e32 v93, v93, v97
	s_waitcnt_depctr 0xfff
	v_dual_mul_f32 v98, v97, v92 :: v_dual_add_f32 v91, v91, v93
	s_delay_alu instid0(VALU_DEP_1) | instskip(NEXT) | instid1(VALU_DEP_1)
	v_mul_f32_e32 v99, v96, v98
	v_fma_f32 v95, v98, v96, -v99
	s_delay_alu instid0(VALU_DEP_1) | instskip(NEXT) | instid1(VALU_DEP_1)
	v_fmac_f32_e32 v95, v98, v94
	v_add_f32_e32 v100, v99, v95
	s_delay_alu instid0(VALU_DEP_1) | instskip(NEXT) | instid1(VALU_DEP_1)
	v_sub_f32_e32 v101, v97, v100
	v_sub_f32_e32 v97, v97, v101
	;; [unrolled: 1-line block ×3, first 2 shown]
	s_delay_alu instid0(VALU_DEP_2) | instskip(NEXT) | instid1(VALU_DEP_2)
	v_sub_f32_e32 v97, v97, v100
	v_sub_f32_e32 v93, v93, v95
	s_delay_alu instid0(VALU_DEP_2) | instskip(NEXT) | instid1(VALU_DEP_1)
	v_add_f32_e32 v91, v91, v97
	v_add_f32_e32 v91, v93, v91
	s_delay_alu instid0(VALU_DEP_1) | instskip(NEXT) | instid1(VALU_DEP_1)
	v_add_f32_e32 v93, v101, v91
	v_mul_f32_e32 v95, v92, v93
	s_delay_alu instid0(VALU_DEP_1) | instskip(NEXT) | instid1(VALU_DEP_1)
	v_dual_sub_f32 v100, v101, v93 :: v_dual_mul_f32 v97, v96, v95
	v_add_f32_e32 v91, v91, v100
	s_delay_alu instid0(VALU_DEP_2) | instskip(NEXT) | instid1(VALU_DEP_1)
	v_fma_f32 v96, v95, v96, -v97
	v_fmac_f32_e32 v96, v95, v94
	s_delay_alu instid0(VALU_DEP_1) | instskip(NEXT) | instid1(VALU_DEP_1)
	v_add_f32_e32 v94, v97, v96
	v_sub_f32_e32 v99, v93, v94
	v_sub_f32_e32 v97, v94, v97
	s_delay_alu instid0(VALU_DEP_2) | instskip(NEXT) | instid1(VALU_DEP_1)
	v_sub_f32_e32 v93, v93, v99
	v_sub_f32_e32 v93, v93, v94
	s_delay_alu instid0(VALU_DEP_1) | instskip(SKIP_1) | instid1(VALU_DEP_1)
	v_dual_sub_f32 v94, v97, v96 :: v_dual_add_f32 v91, v91, v93
	v_add_f32_e32 v93, v98, v95
	v_dual_add_f32 v91, v94, v91 :: v_dual_sub_f32 v94, v93, v98
	s_delay_alu instid0(VALU_DEP_1) | instskip(NEXT) | instid1(VALU_DEP_1)
	v_add_f32_e32 v91, v99, v91
	v_dual_sub_f32 v94, v95, v94 :: v_dual_mul_f32 v91, v92, v91
	s_delay_alu instid0(VALU_DEP_1) | instskip(NEXT) | instid1(VALU_DEP_1)
	v_add_f32_e32 v91, v94, v91
	v_add_f32_e32 v92, v93, v91
	s_delay_alu instid0(VALU_DEP_1) | instskip(NEXT) | instid1(VALU_DEP_1)
	v_mul_f32_e32 v94, v92, v92
	v_fmaak_f32 v95, s83, v94, 0x3ecc95a3
	v_mul_f32_e32 v96, v92, v94
	s_delay_alu instid0(VALU_DEP_2) | instskip(SKIP_2) | instid1(VALU_DEP_3)
	v_fmaak_f32 v94, v94, v95, 0x3f2aaada
	v_ldexp_f32 v95, v92, 1
	v_sub_f32_e32 v92, v92, v93
	v_mul_f32_e32 v94, v96, v94
	s_delay_alu instid0(VALU_DEP_2) | instskip(NEXT) | instid1(VALU_DEP_2)
	v_dual_mul_f32 v96, 0x3f317218, v90 :: v_dual_sub_f32 v91, v91, v92
	v_add_f32_e32 v93, v95, v94
	s_delay_alu instid0(VALU_DEP_2) | instskip(NEXT) | instid1(VALU_DEP_2)
	v_ldexp_f32 v91, v91, 1
	v_sub_f32_e32 v92, v93, v95
	s_delay_alu instid0(VALU_DEP_4) | instskip(NEXT) | instid1(VALU_DEP_1)
	v_fma_f32 v95, 0x3f317218, v90, -v96
	v_dual_sub_f32 v92, v94, v92 :: v_dual_fmac_f32 v95, 0xb102e308, v90
	s_delay_alu instid0(VALU_DEP_1) | instskip(NEXT) | instid1(VALU_DEP_1)
	v_dual_add_f32 v90, v91, v92 :: v_dual_add_f32 v91, v96, v95
	v_add_f32_e32 v92, v93, v90
	s_delay_alu instid0(VALU_DEP_2) | instskip(NEXT) | instid1(VALU_DEP_2)
	v_sub_f32_e32 v96, v91, v96
	v_dual_add_f32 v94, v91, v92 :: v_dual_sub_f32 v93, v92, v93
	s_delay_alu instid0(VALU_DEP_2) | instskip(NEXT) | instid1(VALU_DEP_2)
	v_sub_f32_e32 v95, v95, v96
	v_sub_f32_e32 v97, v94, v91
	s_delay_alu instid0(VALU_DEP_3) | instskip(NEXT) | instid1(VALU_DEP_2)
	v_sub_f32_e32 v90, v90, v93
	v_sub_f32_e32 v98, v94, v97
	s_delay_alu instid0(VALU_DEP_2) | instskip(NEXT) | instid1(VALU_DEP_2)
	v_dual_sub_f32 v92, v92, v97 :: v_dual_add_f32 v93, v95, v90
	v_sub_f32_e32 v91, v91, v98
	s_delay_alu instid0(VALU_DEP_1) | instskip(NEXT) | instid1(VALU_DEP_3)
	v_add_f32_e32 v91, v92, v91
	v_sub_f32_e32 v92, v93, v95
	s_delay_alu instid0(VALU_DEP_2) | instskip(NEXT) | instid1(VALU_DEP_2)
	v_add_f32_e32 v91, v93, v91
	v_sub_f32_e32 v93, v93, v92
	v_sub_f32_e32 v90, v90, v92
	s_delay_alu instid0(VALU_DEP_2) | instskip(NEXT) | instid1(VALU_DEP_1)
	v_dual_add_f32 v96, v94, v91 :: v_dual_sub_f32 v93, v95, v93
	v_sub_f32_e32 v92, v96, v94
	s_delay_alu instid0(VALU_DEP_1) | instskip(NEXT) | instid1(VALU_DEP_1)
	v_dual_add_f32 v90, v90, v93 :: v_dual_sub_f32 v91, v91, v92
	v_add_f32_e32 v90, v90, v91
	s_delay_alu instid0(VALU_DEP_1) | instskip(NEXT) | instid1(VALU_DEP_1)
	v_add_f32_e32 v90, v96, v90
	v_cndmask_b32_e32 v90, v90, v17, vcc_lo
.LBB23_76:                              ;   in Loop: Header=BB23_12 Depth=1
	s_or_b32 exec_lo, exec_lo, s29
	v_and_b32_e32 v12, 0xffff0000, v12
	s_delay_alu instid0(VALU_DEP_1) | instskip(NEXT) | instid1(VALU_DEP_1)
	v_add_f32_e32 v91, s68, v12
	v_cmp_ge_f32_e32 vcc_lo, 0x41a00000, v91
	s_and_b32 s28, s79, vcc_lo
	s_delay_alu instid0(SALU_CYCLE_1)
	s_and_saveexec_b32 s29, s28
	s_cbranch_execz .LBB23_78
; %bb.77:                               ;   in Loop: Header=BB23_12 Depth=1
	v_mul_f32_e32 v12, 0x3fb8aa3b, v91
	v_cmp_ngt_f32_e32 vcc_lo, 0xc2ce8ed0, v91
	s_delay_alu instid0(VALU_DEP_2) | instskip(SKIP_1) | instid1(VALU_DEP_2)
	v_rndne_f32_e32 v17, v12
	v_fma_f32 v92, 0x3fb8aa3b, v91, -v12
	v_sub_f32_e32 v12, v12, v17
	s_delay_alu instid0(VALU_DEP_2) | instskip(SKIP_1) | instid1(VALU_DEP_2)
	v_fmac_f32_e32 v92, 0x32a5705f, v91
	v_cvt_i32_f32_e32 v17, v17
	v_add_f32_e32 v12, v12, v92
	s_delay_alu instid0(VALU_DEP_1) | instskip(SKIP_2) | instid1(VALU_DEP_1)
	v_exp_f32_e32 v12, v12
	s_waitcnt_depctr 0xfff
	v_ldexp_f32 v12, v12, v17
	v_cndmask_b32_e32 v12, 0, v12, vcc_lo
	v_cmp_nlt_f32_e32 vcc_lo, 0x42b17218, v91
	s_delay_alu instid0(VALU_DEP_2) | instskip(NEXT) | instid1(VALU_DEP_1)
	v_cndmask_b32_e32 v12, 0x7f800000, v12, vcc_lo
	v_add_f32_e32 v17, 1.0, v12
	s_delay_alu instid0(VALU_DEP_1) | instskip(NEXT) | instid1(VALU_DEP_1)
	v_cvt_f64_f32_e32 v[91:92], v17
	v_frexp_exp_i32_f64_e32 v91, v[91:92]
	v_frexp_mant_f32_e32 v92, v17
	s_delay_alu instid0(VALU_DEP_1) | instskip(SKIP_1) | instid1(VALU_DEP_1)
	v_cmp_gt_f32_e32 vcc_lo, 0x3f2aaaab, v92
	v_add_f32_e32 v92, -1.0, v17
	v_sub_f32_e32 v94, v92, v17
	v_sub_f32_e32 v92, v12, v92
	s_delay_alu instid0(VALU_DEP_2) | instskip(NEXT) | instid1(VALU_DEP_1)
	v_add_f32_e32 v94, 1.0, v94
	v_add_f32_e32 v92, v92, v94
	v_subrev_co_ci_u32_e32 v91, vcc_lo, 0, v91, vcc_lo
	s_delay_alu instid0(VALU_DEP_1) | instskip(SKIP_1) | instid1(VALU_DEP_2)
	v_sub_nc_u32_e32 v93, 0, v91
	v_cvt_f32_i32_e32 v91, v91
	v_ldexp_f32 v17, v17, v93
	v_ldexp_f32 v92, v92, v93
	s_delay_alu instid0(VALU_DEP_2) | instskip(NEXT) | instid1(VALU_DEP_1)
	v_add_f32_e32 v95, 1.0, v17
	v_dual_add_f32 v93, -1.0, v17 :: v_dual_add_f32 v94, -1.0, v95
	s_delay_alu instid0(VALU_DEP_1) | instskip(NEXT) | instid1(VALU_DEP_2)
	v_add_f32_e32 v96, 1.0, v93
	v_sub_f32_e32 v94, v17, v94
	s_delay_alu instid0(VALU_DEP_2) | instskip(NEXT) | instid1(VALU_DEP_1)
	v_sub_f32_e32 v17, v17, v96
	v_add_f32_e32 v17, v92, v17
	s_delay_alu instid0(VALU_DEP_1) | instskip(SKIP_2) | instid1(VALU_DEP_3)
	v_add_f32_e32 v97, v93, v17
	v_cmp_eq_f32_e32 vcc_lo, 0x7f800000, v12
	v_cmp_gt_f32_e64 s28, 0x33800000, v12
	v_dual_sub_f32 v93, v93, v97 :: v_dual_add_f32 v94, v92, v94
	s_delay_alu instid0(VALU_DEP_2) | instskip(NEXT) | instid1(VALU_DEP_1)
	s_or_b32 vcc_lo, s28, vcc_lo
	v_dual_add_f32 v17, v17, v93 :: v_dual_add_f32 v96, v95, v94
	s_delay_alu instid0(VALU_DEP_1) | instskip(SKIP_1) | instid1(VALU_DEP_1)
	v_rcp_f32_e32 v92, v96
	v_sub_f32_e32 v95, v95, v96
	v_add_f32_e32 v94, v94, v95
	s_waitcnt_depctr 0xfff
	v_mul_f32_e32 v98, v97, v92
	s_delay_alu instid0(VALU_DEP_1) | instskip(NEXT) | instid1(VALU_DEP_1)
	v_mul_f32_e32 v99, v96, v98
	v_fma_f32 v95, v98, v96, -v99
	s_delay_alu instid0(VALU_DEP_1) | instskip(NEXT) | instid1(VALU_DEP_1)
	v_fmac_f32_e32 v95, v98, v94
	v_add_f32_e32 v100, v99, v95
	s_delay_alu instid0(VALU_DEP_1) | instskip(SKIP_1) | instid1(VALU_DEP_2)
	v_sub_f32_e32 v101, v97, v100
	v_sub_f32_e32 v93, v100, v99
	;; [unrolled: 1-line block ×3, first 2 shown]
	s_delay_alu instid0(VALU_DEP_2) | instskip(NEXT) | instid1(VALU_DEP_2)
	v_sub_f32_e32 v93, v93, v95
	v_sub_f32_e32 v97, v97, v100
	s_delay_alu instid0(VALU_DEP_1) | instskip(NEXT) | instid1(VALU_DEP_1)
	v_add_f32_e32 v17, v17, v97
	v_add_f32_e32 v17, v93, v17
	s_delay_alu instid0(VALU_DEP_1) | instskip(NEXT) | instid1(VALU_DEP_1)
	v_add_f32_e32 v93, v101, v17
	v_mul_f32_e32 v95, v92, v93
	s_delay_alu instid0(VALU_DEP_1) | instskip(NEXT) | instid1(VALU_DEP_1)
	v_mul_f32_e32 v97, v96, v95
	v_fma_f32 v96, v95, v96, -v97
	s_delay_alu instid0(VALU_DEP_1) | instskip(SKIP_1) | instid1(VALU_DEP_2)
	v_fmac_f32_e32 v96, v95, v94
	v_sub_f32_e32 v100, v101, v93
	v_add_f32_e32 v94, v97, v96
	s_delay_alu instid0(VALU_DEP_2) | instskip(NEXT) | instid1(VALU_DEP_2)
	v_add_f32_e32 v17, v17, v100
	v_sub_f32_e32 v99, v93, v94
	s_delay_alu instid0(VALU_DEP_1) | instskip(NEXT) | instid1(VALU_DEP_1)
	v_sub_f32_e32 v93, v93, v99
	v_sub_f32_e32 v93, v93, v94
	s_delay_alu instid0(VALU_DEP_1) | instskip(SKIP_2) | instid1(VALU_DEP_1)
	v_add_f32_e32 v17, v17, v93
	v_add_f32_e32 v93, v98, v95
	v_sub_f32_e32 v97, v94, v97
	v_sub_f32_e32 v94, v97, v96
	s_delay_alu instid0(VALU_DEP_1) | instskip(NEXT) | instid1(VALU_DEP_1)
	v_dual_add_f32 v17, v94, v17 :: v_dual_sub_f32 v94, v93, v98
	v_add_f32_e32 v17, v99, v17
	s_delay_alu instid0(VALU_DEP_1) | instskip(NEXT) | instid1(VALU_DEP_1)
	v_dual_sub_f32 v94, v95, v94 :: v_dual_mul_f32 v17, v92, v17
	v_add_f32_e32 v17, v94, v17
	s_delay_alu instid0(VALU_DEP_1) | instskip(NEXT) | instid1(VALU_DEP_1)
	v_add_f32_e32 v92, v93, v17
	v_mul_f32_e32 v94, v92, v92
	s_delay_alu instid0(VALU_DEP_1) | instskip(SKIP_1) | instid1(VALU_DEP_2)
	v_fmaak_f32 v95, s83, v94, 0x3ecc95a3
	v_mul_f32_e32 v96, v92, v94
	v_fmaak_f32 v94, v94, v95, 0x3f2aaada
	v_ldexp_f32 v95, v92, 1
	s_delay_alu instid0(VALU_DEP_2) | instskip(SKIP_1) | instid1(VALU_DEP_2)
	v_mul_f32_e32 v94, v96, v94
	v_sub_f32_e32 v92, v92, v93
	v_dual_mul_f32 v96, 0x3f317218, v91 :: v_dual_add_f32 v93, v95, v94
	s_delay_alu instid0(VALU_DEP_2) | instskip(NEXT) | instid1(VALU_DEP_2)
	v_sub_f32_e32 v17, v17, v92
	v_sub_f32_e32 v92, v93, v95
	s_delay_alu instid0(VALU_DEP_3) | instskip(NEXT) | instid1(VALU_DEP_3)
	v_fma_f32 v95, 0x3f317218, v91, -v96
	v_ldexp_f32 v17, v17, 1
	s_delay_alu instid0(VALU_DEP_2) | instskip(NEXT) | instid1(VALU_DEP_1)
	v_dual_sub_f32 v92, v94, v92 :: v_dual_fmac_f32 v95, 0xb102e308, v91
	v_add_f32_e32 v17, v17, v92
	s_delay_alu instid0(VALU_DEP_1) | instskip(NEXT) | instid1(VALU_DEP_1)
	v_dual_add_f32 v91, v96, v95 :: v_dual_add_f32 v92, v93, v17
	v_sub_f32_e32 v96, v91, v96
	s_delay_alu instid0(VALU_DEP_2) | instskip(NEXT) | instid1(VALU_DEP_2)
	v_dual_add_f32 v94, v91, v92 :: v_dual_sub_f32 v93, v92, v93
	v_sub_f32_e32 v95, v95, v96
	s_delay_alu instid0(VALU_DEP_2) | instskip(NEXT) | instid1(VALU_DEP_1)
	v_sub_f32_e32 v97, v94, v91
	v_sub_f32_e32 v98, v94, v97
	;; [unrolled: 1-line block ×4, first 2 shown]
	s_delay_alu instid0(VALU_DEP_1) | instskip(NEXT) | instid1(VALU_DEP_4)
	v_add_f32_e32 v93, v95, v17
	v_sub_f32_e32 v91, v91, v98
	s_delay_alu instid0(VALU_DEP_1) | instskip(NEXT) | instid1(VALU_DEP_3)
	v_add_f32_e32 v91, v92, v91
	v_sub_f32_e32 v92, v93, v95
	s_delay_alu instid0(VALU_DEP_2) | instskip(NEXT) | instid1(VALU_DEP_2)
	v_add_f32_e32 v91, v93, v91
	v_sub_f32_e32 v93, v93, v92
	s_delay_alu instid0(VALU_DEP_2) | instskip(NEXT) | instid1(VALU_DEP_1)
	v_dual_sub_f32 v17, v17, v92 :: v_dual_add_f32 v96, v94, v91
	v_dual_sub_f32 v92, v96, v94 :: v_dual_sub_f32 v93, v95, v93
	s_delay_alu instid0(VALU_DEP_1) | instskip(NEXT) | instid1(VALU_DEP_2)
	v_sub_f32_e32 v91, v91, v92
	v_add_f32_e32 v17, v17, v93
	s_delay_alu instid0(VALU_DEP_1) | instskip(NEXT) | instid1(VALU_DEP_1)
	v_add_f32_e32 v17, v17, v91
	v_add_f32_e32 v17, v96, v17
	s_delay_alu instid0(VALU_DEP_1)
	v_cndmask_b32_e32 v91, v17, v12, vcc_lo
.LBB23_78:                              ;   in Loop: Header=BB23_12 Depth=1
	s_or_b32 exec_lo, exec_lo, s29
	v_lshlrev_b32_e32 v12, 16, v13
	s_delay_alu instid0(VALU_DEP_1) | instskip(NEXT) | instid1(VALU_DEP_1)
	v_add_f32_e32 v92, s68, v12
	v_cmp_ge_f32_e32 vcc_lo, 0x41a00000, v92
	s_and_b32 s28, s79, vcc_lo
	s_delay_alu instid0(SALU_CYCLE_1)
	s_and_saveexec_b32 s29, s28
	s_cbranch_execz .LBB23_80
; %bb.79:                               ;   in Loop: Header=BB23_12 Depth=1
	v_mul_f32_e32 v12, 0x3fb8aa3b, v92
	v_cmp_ngt_f32_e32 vcc_lo, 0xc2ce8ed0, v92
	s_delay_alu instid0(VALU_DEP_2) | instskip(SKIP_1) | instid1(VALU_DEP_1)
	v_rndne_f32_e32 v17, v12
	v_fma_f32 v93, 0x3fb8aa3b, v92, -v12
	v_dual_sub_f32 v12, v12, v17 :: v_dual_fmac_f32 v93, 0x32a5705f, v92
	v_cvt_i32_f32_e32 v17, v17
	s_delay_alu instid0(VALU_DEP_2) | instskip(NEXT) | instid1(VALU_DEP_1)
	v_add_f32_e32 v12, v12, v93
	v_exp_f32_e32 v12, v12
	s_waitcnt_depctr 0xfff
	v_ldexp_f32 v12, v12, v17
	s_delay_alu instid0(VALU_DEP_1) | instskip(SKIP_1) | instid1(VALU_DEP_2)
	v_cndmask_b32_e32 v12, 0, v12, vcc_lo
	v_cmp_nlt_f32_e32 vcc_lo, 0x42b17218, v92
	v_cndmask_b32_e32 v12, 0x7f800000, v12, vcc_lo
	s_delay_alu instid0(VALU_DEP_1) | instskip(NEXT) | instid1(VALU_DEP_1)
	v_add_f32_e32 v17, 1.0, v12
	v_cvt_f64_f32_e32 v[92:93], v17
	s_delay_alu instid0(VALU_DEP_1) | instskip(SKIP_1) | instid1(VALU_DEP_1)
	v_frexp_exp_i32_f64_e32 v92, v[92:93]
	v_frexp_mant_f32_e32 v93, v17
	v_cmp_gt_f32_e32 vcc_lo, 0x3f2aaaab, v93
	v_add_f32_e32 v93, -1.0, v17
	s_delay_alu instid0(VALU_DEP_1) | instskip(SKIP_1) | instid1(VALU_DEP_2)
	v_sub_f32_e32 v95, v93, v17
	v_sub_f32_e32 v93, v12, v93
	v_add_f32_e32 v95, 1.0, v95
	s_delay_alu instid0(VALU_DEP_1) | instskip(SKIP_3) | instid1(VALU_DEP_2)
	v_add_f32_e32 v93, v93, v95
	v_cmp_gt_f32_e64 s28, 0x33800000, v12
	v_subrev_co_ci_u32_e32 v92, vcc_lo, 0, v92, vcc_lo
	v_cmp_eq_f32_e32 vcc_lo, 0x7f800000, v12
	v_sub_nc_u32_e32 v94, 0, v92
	v_cvt_f32_i32_e32 v92, v92
	s_or_b32 vcc_lo, s28, vcc_lo
	s_delay_alu instid0(VALU_DEP_2) | instskip(SKIP_1) | instid1(VALU_DEP_2)
	v_ldexp_f32 v17, v17, v94
	v_ldexp_f32 v93, v93, v94
	v_add_f32_e32 v96, 1.0, v17
	s_delay_alu instid0(VALU_DEP_1) | instskip(NEXT) | instid1(VALU_DEP_1)
	v_dual_add_f32 v94, -1.0, v17 :: v_dual_add_f32 v95, -1.0, v96
	v_add_f32_e32 v97, 1.0, v94
	s_delay_alu instid0(VALU_DEP_2) | instskip(NEXT) | instid1(VALU_DEP_2)
	v_sub_f32_e32 v95, v17, v95
	v_sub_f32_e32 v17, v17, v97
	s_delay_alu instid0(VALU_DEP_1) | instskip(NEXT) | instid1(VALU_DEP_1)
	v_add_f32_e32 v17, v93, v17
	v_dual_add_f32 v98, v94, v17 :: v_dual_add_f32 v95, v93, v95
	s_delay_alu instid0(VALU_DEP_1) | instskip(NEXT) | instid1(VALU_DEP_1)
	v_dual_sub_f32 v94, v94, v98 :: v_dual_add_f32 v97, v96, v95
	v_rcp_f32_e32 v93, v97
	v_sub_f32_e32 v96, v96, v97
	s_delay_alu instid0(VALU_DEP_1) | instskip(SKIP_2) | instid1(VALU_DEP_1)
	v_add_f32_e32 v95, v95, v96
	s_waitcnt_depctr 0xfff
	v_mul_f32_e32 v99, v98, v93
	v_mul_f32_e32 v100, v97, v99
	s_delay_alu instid0(VALU_DEP_1) | instskip(NEXT) | instid1(VALU_DEP_1)
	v_fma_f32 v96, v99, v97, -v100
	v_fmac_f32_e32 v96, v99, v95
	s_delay_alu instid0(VALU_DEP_1) | instskip(NEXT) | instid1(VALU_DEP_1)
	v_add_f32_e32 v101, v100, v96
	v_sub_f32_e32 v102, v98, v101
	s_delay_alu instid0(VALU_DEP_1) | instskip(SKIP_2) | instid1(VALU_DEP_3)
	v_sub_f32_e32 v98, v98, v102
	v_add_f32_e32 v17, v17, v94
	v_sub_f32_e32 v94, v101, v100
	v_sub_f32_e32 v98, v98, v101
	s_delay_alu instid0(VALU_DEP_1) | instskip(NEXT) | instid1(VALU_DEP_1)
	v_dual_sub_f32 v94, v94, v96 :: v_dual_add_f32 v17, v17, v98
	v_add_f32_e32 v17, v94, v17
	s_delay_alu instid0(VALU_DEP_1) | instskip(NEXT) | instid1(VALU_DEP_1)
	v_add_f32_e32 v94, v102, v17
	v_mul_f32_e32 v96, v93, v94
	s_delay_alu instid0(VALU_DEP_1) | instskip(NEXT) | instid1(VALU_DEP_1)
	v_dual_sub_f32 v101, v102, v94 :: v_dual_mul_f32 v98, v97, v96
	v_add_f32_e32 v17, v17, v101
	s_delay_alu instid0(VALU_DEP_2) | instskip(NEXT) | instid1(VALU_DEP_1)
	v_fma_f32 v97, v96, v97, -v98
	v_fmac_f32_e32 v97, v96, v95
	s_delay_alu instid0(VALU_DEP_1) | instskip(NEXT) | instid1(VALU_DEP_1)
	v_add_f32_e32 v95, v98, v97
	v_sub_f32_e32 v100, v94, v95
	s_delay_alu instid0(VALU_DEP_1) | instskip(NEXT) | instid1(VALU_DEP_1)
	v_sub_f32_e32 v94, v94, v100
	v_sub_f32_e32 v94, v94, v95
	s_delay_alu instid0(VALU_DEP_1) | instskip(SKIP_1) | instid1(VALU_DEP_1)
	v_dual_add_f32 v17, v17, v94 :: v_dual_add_f32 v94, v99, v96
	v_sub_f32_e32 v98, v95, v98
	v_sub_f32_e32 v95, v98, v97
	s_delay_alu instid0(VALU_DEP_1) | instskip(NEXT) | instid1(VALU_DEP_4)
	v_add_f32_e32 v17, v95, v17
	v_sub_f32_e32 v95, v94, v99
	s_delay_alu instid0(VALU_DEP_2) | instskip(NEXT) | instid1(VALU_DEP_2)
	v_add_f32_e32 v17, v100, v17
	v_sub_f32_e32 v95, v96, v95
	s_delay_alu instid0(VALU_DEP_2) | instskip(NEXT) | instid1(VALU_DEP_1)
	v_mul_f32_e32 v17, v93, v17
	v_add_f32_e32 v17, v95, v17
	s_delay_alu instid0(VALU_DEP_1) | instskip(NEXT) | instid1(VALU_DEP_1)
	v_add_f32_e32 v93, v94, v17
	v_mul_f32_e32 v95, v93, v93
	s_delay_alu instid0(VALU_DEP_1) | instskip(SKIP_1) | instid1(VALU_DEP_2)
	v_fmaak_f32 v96, s83, v95, 0x3ecc95a3
	v_mul_f32_e32 v97, v93, v95
	v_fmaak_f32 v95, v95, v96, 0x3f2aaada
	v_ldexp_f32 v96, v93, 1
	v_sub_f32_e32 v93, v93, v94
	s_delay_alu instid0(VALU_DEP_3) | instskip(SKIP_1) | instid1(VALU_DEP_2)
	v_mul_f32_e32 v95, v97, v95
	v_mul_f32_e32 v97, 0x3f317218, v92
	v_dual_sub_f32 v17, v17, v93 :: v_dual_add_f32 v94, v96, v95
	s_delay_alu instid0(VALU_DEP_1) | instskip(NEXT) | instid1(VALU_DEP_2)
	v_ldexp_f32 v17, v17, 1
	v_sub_f32_e32 v93, v94, v96
	s_delay_alu instid0(VALU_DEP_4) | instskip(NEXT) | instid1(VALU_DEP_1)
	v_fma_f32 v96, 0x3f317218, v92, -v97
	v_dual_sub_f32 v93, v95, v93 :: v_dual_fmac_f32 v96, 0xb102e308, v92
	s_delay_alu instid0(VALU_DEP_1) | instskip(NEXT) | instid1(VALU_DEP_1)
	v_add_f32_e32 v17, v17, v93
	v_dual_add_f32 v92, v97, v96 :: v_dual_add_f32 v93, v94, v17
	s_delay_alu instid0(VALU_DEP_1) | instskip(NEXT) | instid1(VALU_DEP_2)
	v_sub_f32_e32 v97, v92, v97
	v_dual_add_f32 v95, v92, v93 :: v_dual_sub_f32 v94, v93, v94
	s_delay_alu instid0(VALU_DEP_2) | instskip(NEXT) | instid1(VALU_DEP_2)
	v_sub_f32_e32 v96, v96, v97
	v_dual_sub_f32 v98, v95, v92 :: v_dual_sub_f32 v17, v17, v94
	s_delay_alu instid0(VALU_DEP_1) | instskip(NEXT) | instid1(VALU_DEP_2)
	v_sub_f32_e32 v99, v95, v98
	v_dual_sub_f32 v93, v93, v98 :: v_dual_add_f32 v94, v96, v17
	s_delay_alu instid0(VALU_DEP_2) | instskip(NEXT) | instid1(VALU_DEP_1)
	v_sub_f32_e32 v92, v92, v99
	v_add_f32_e32 v92, v93, v92
	s_delay_alu instid0(VALU_DEP_3) | instskip(NEXT) | instid1(VALU_DEP_2)
	v_sub_f32_e32 v93, v94, v96
	v_add_f32_e32 v92, v94, v92
	s_delay_alu instid0(VALU_DEP_2) | instskip(SKIP_1) | instid1(VALU_DEP_2)
	v_sub_f32_e32 v94, v94, v93
	v_sub_f32_e32 v17, v17, v93
	v_dual_add_f32 v97, v95, v92 :: v_dual_sub_f32 v94, v96, v94
	s_delay_alu instid0(VALU_DEP_1) | instskip(NEXT) | instid1(VALU_DEP_1)
	v_sub_f32_e32 v93, v97, v95
	v_dual_add_f32 v17, v17, v94 :: v_dual_sub_f32 v92, v92, v93
	s_delay_alu instid0(VALU_DEP_1) | instskip(NEXT) | instid1(VALU_DEP_1)
	v_add_f32_e32 v17, v17, v92
	v_add_f32_e32 v17, v97, v17
	s_delay_alu instid0(VALU_DEP_1)
	v_cndmask_b32_e32 v92, v17, v12, vcc_lo
.LBB23_80:                              ;   in Loop: Header=BB23_12 Depth=1
	s_or_b32 exec_lo, exec_lo, s29
	v_and_b32_e32 v12, 0xffff0000, v13
	s_delay_alu instid0(VALU_DEP_1) | instskip(NEXT) | instid1(VALU_DEP_1)
	v_add_f32_e32 v93, s68, v12
	v_cmp_ge_f32_e32 vcc_lo, 0x41a00000, v93
	s_and_b32 s28, s79, vcc_lo
	s_delay_alu instid0(SALU_CYCLE_1)
	s_and_saveexec_b32 s29, s28
	s_cbranch_execz .LBB23_82
; %bb.81:                               ;   in Loop: Header=BB23_12 Depth=1
	v_mul_f32_e32 v12, 0x3fb8aa3b, v93
	v_cmp_ngt_f32_e32 vcc_lo, 0xc2ce8ed0, v93
	s_delay_alu instid0(VALU_DEP_2) | instskip(SKIP_1) | instid1(VALU_DEP_2)
	v_rndne_f32_e32 v13, v12
	v_fma_f32 v17, 0x3fb8aa3b, v93, -v12
	v_sub_f32_e32 v12, v12, v13
	s_delay_alu instid0(VALU_DEP_2) | instskip(SKIP_1) | instid1(VALU_DEP_2)
	v_fmac_f32_e32 v17, 0x32a5705f, v93
	v_cvt_i32_f32_e32 v13, v13
	v_add_f32_e32 v12, v12, v17
	s_delay_alu instid0(VALU_DEP_1) | instskip(SKIP_2) | instid1(VALU_DEP_1)
	v_exp_f32_e32 v12, v12
	s_waitcnt_depctr 0xfff
	v_ldexp_f32 v12, v12, v13
	v_cndmask_b32_e32 v12, 0, v12, vcc_lo
	v_cmp_nlt_f32_e32 vcc_lo, 0x42b17218, v93
	s_delay_alu instid0(VALU_DEP_2) | instskip(NEXT) | instid1(VALU_DEP_1)
	v_cndmask_b32_e32 v17, 0x7f800000, v12, vcc_lo
	v_add_f32_e32 v93, 1.0, v17
	s_delay_alu instid0(VALU_DEP_1) | instskip(NEXT) | instid1(VALU_DEP_1)
	v_cvt_f64_f32_e32 v[12:13], v93
	v_frexp_exp_i32_f64_e32 v12, v[12:13]
	v_frexp_mant_f32_e32 v13, v93
	s_delay_alu instid0(VALU_DEP_1) | instskip(SKIP_1) | instid1(VALU_DEP_1)
	v_cmp_gt_f32_e32 vcc_lo, 0x3f2aaaab, v13
	v_add_f32_e32 v13, -1.0, v93
	v_sub_f32_e32 v95, v13, v93
	s_delay_alu instid0(VALU_DEP_1) | instskip(SKIP_1) | instid1(VALU_DEP_1)
	v_add_f32_e32 v95, 1.0, v95
	v_subrev_co_ci_u32_e32 v12, vcc_lo, 0, v12, vcc_lo
	v_sub_nc_u32_e32 v94, 0, v12
	v_cvt_f32_i32_e32 v12, v12
	s_delay_alu instid0(VALU_DEP_2) | instskip(NEXT) | instid1(VALU_DEP_1)
	v_ldexp_f32 v93, v93, v94
	v_add_f32_e32 v96, 1.0, v93
	v_sub_f32_e32 v13, v17, v13
	v_cmp_eq_f32_e32 vcc_lo, 0x7f800000, v17
	v_cmp_gt_f32_e64 s28, 0x33800000, v17
	s_delay_alu instid0(VALU_DEP_3) | instskip(SKIP_1) | instid1(VALU_DEP_3)
	v_add_f32_e32 v13, v13, v95
	v_add_f32_e32 v95, -1.0, v96
	s_or_b32 vcc_lo, s28, vcc_lo
	s_delay_alu instid0(VALU_DEP_2) | instskip(NEXT) | instid1(VALU_DEP_2)
	v_ldexp_f32 v13, v13, v94
	v_dual_add_f32 v94, -1.0, v93 :: v_dual_sub_f32 v95, v93, v95
	s_delay_alu instid0(VALU_DEP_1) | instskip(NEXT) | instid1(VALU_DEP_2)
	v_add_f32_e32 v97, 1.0, v94
	v_add_f32_e32 v95, v13, v95
	s_delay_alu instid0(VALU_DEP_2) | instskip(NEXT) | instid1(VALU_DEP_1)
	v_sub_f32_e32 v93, v93, v97
	v_add_f32_e32 v13, v13, v93
	s_delay_alu instid0(VALU_DEP_1) | instskip(NEXT) | instid1(VALU_DEP_1)
	v_dual_add_f32 v98, v94, v13 :: v_dual_add_f32 v97, v96, v95
	v_sub_f32_e32 v94, v94, v98
	s_delay_alu instid0(VALU_DEP_2) | instskip(NEXT) | instid1(VALU_DEP_1)
	v_rcp_f32_e32 v93, v97
	v_dual_sub_f32 v96, v96, v97 :: v_dual_add_f32 v13, v13, v94
	s_delay_alu instid0(VALU_DEP_1) | instskip(SKIP_2) | instid1(VALU_DEP_1)
	v_add_f32_e32 v95, v95, v96
	s_waitcnt_depctr 0xfff
	v_mul_f32_e32 v99, v98, v93
	v_mul_f32_e32 v100, v97, v99
	s_delay_alu instid0(VALU_DEP_1) | instskip(NEXT) | instid1(VALU_DEP_1)
	v_fma_f32 v96, v99, v97, -v100
	v_fmac_f32_e32 v96, v99, v95
	s_delay_alu instid0(VALU_DEP_1) | instskip(NEXT) | instid1(VALU_DEP_1)
	v_add_f32_e32 v101, v100, v96
	v_sub_f32_e32 v102, v98, v101
	v_sub_f32_e32 v94, v101, v100
	s_delay_alu instid0(VALU_DEP_2) | instskip(NEXT) | instid1(VALU_DEP_2)
	v_sub_f32_e32 v98, v98, v102
	v_sub_f32_e32 v94, v94, v96
	s_delay_alu instid0(VALU_DEP_2) | instskip(NEXT) | instid1(VALU_DEP_1)
	v_sub_f32_e32 v98, v98, v101
	v_add_f32_e32 v13, v13, v98
	s_delay_alu instid0(VALU_DEP_1) | instskip(NEXT) | instid1(VALU_DEP_1)
	v_add_f32_e32 v13, v94, v13
	v_add_f32_e32 v94, v102, v13
	s_delay_alu instid0(VALU_DEP_1) | instskip(NEXT) | instid1(VALU_DEP_1)
	v_mul_f32_e32 v96, v93, v94
	v_dual_sub_f32 v101, v102, v94 :: v_dual_mul_f32 v98, v97, v96
	s_delay_alu instid0(VALU_DEP_1) | instskip(NEXT) | instid1(VALU_DEP_1)
	v_fma_f32 v97, v96, v97, -v98
	v_fmac_f32_e32 v97, v96, v95
	s_delay_alu instid0(VALU_DEP_1) | instskip(NEXT) | instid1(VALU_DEP_1)
	v_add_f32_e32 v95, v98, v97
	v_dual_add_f32 v13, v13, v101 :: v_dual_sub_f32 v100, v94, v95
	s_delay_alu instid0(VALU_DEP_1) | instskip(NEXT) | instid1(VALU_DEP_1)
	v_sub_f32_e32 v94, v94, v100
	v_sub_f32_e32 v94, v94, v95
	s_delay_alu instid0(VALU_DEP_1) | instskip(SKIP_1) | instid1(VALU_DEP_1)
	v_dual_add_f32 v13, v13, v94 :: v_dual_add_f32 v94, v99, v96
	v_sub_f32_e32 v98, v95, v98
	v_sub_f32_e32 v95, v98, v97
	s_delay_alu instid0(VALU_DEP_1) | instskip(NEXT) | instid1(VALU_DEP_4)
	v_add_f32_e32 v13, v95, v13
	v_sub_f32_e32 v95, v94, v99
	s_delay_alu instid0(VALU_DEP_2) | instskip(NEXT) | instid1(VALU_DEP_2)
	v_add_f32_e32 v13, v100, v13
	v_sub_f32_e32 v95, v96, v95
	s_delay_alu instid0(VALU_DEP_2) | instskip(NEXT) | instid1(VALU_DEP_1)
	v_mul_f32_e32 v13, v93, v13
	v_add_f32_e32 v13, v95, v13
	s_delay_alu instid0(VALU_DEP_1) | instskip(NEXT) | instid1(VALU_DEP_1)
	v_add_f32_e32 v93, v94, v13
	v_mul_f32_e32 v95, v93, v93
	s_delay_alu instid0(VALU_DEP_1) | instskip(SKIP_1) | instid1(VALU_DEP_2)
	v_fmaak_f32 v96, s83, v95, 0x3ecc95a3
	v_mul_f32_e32 v97, v93, v95
	v_fmaak_f32 v95, v95, v96, 0x3f2aaada
	v_ldexp_f32 v96, v93, 1
	v_sub_f32_e32 v93, v93, v94
	s_delay_alu instid0(VALU_DEP_3) | instskip(SKIP_1) | instid1(VALU_DEP_2)
	v_mul_f32_e32 v95, v97, v95
	v_mul_f32_e32 v97, 0x3f317218, v12
	v_dual_sub_f32 v13, v13, v93 :: v_dual_add_f32 v94, v96, v95
	s_delay_alu instid0(VALU_DEP_1) | instskip(NEXT) | instid1(VALU_DEP_2)
	v_ldexp_f32 v13, v13, 1
	v_sub_f32_e32 v93, v94, v96
	s_delay_alu instid0(VALU_DEP_4) | instskip(NEXT) | instid1(VALU_DEP_1)
	v_fma_f32 v96, 0x3f317218, v12, -v97
	v_dual_sub_f32 v93, v95, v93 :: v_dual_fmac_f32 v96, 0xb102e308, v12
	s_delay_alu instid0(VALU_DEP_1) | instskip(NEXT) | instid1(VALU_DEP_2)
	v_add_f32_e32 v12, v13, v93
	v_add_f32_e32 v13, v97, v96
	s_delay_alu instid0(VALU_DEP_2) | instskip(NEXT) | instid1(VALU_DEP_2)
	v_add_f32_e32 v93, v94, v12
	v_sub_f32_e32 v97, v13, v97
	s_delay_alu instid0(VALU_DEP_2) | instskip(SKIP_1) | instid1(VALU_DEP_3)
	v_add_f32_e32 v95, v13, v93
	v_sub_f32_e32 v94, v93, v94
	v_sub_f32_e32 v96, v96, v97
	s_delay_alu instid0(VALU_DEP_3) | instskip(NEXT) | instid1(VALU_DEP_3)
	v_sub_f32_e32 v98, v95, v13
	v_sub_f32_e32 v12, v12, v94
	s_delay_alu instid0(VALU_DEP_2) | instskip(NEXT) | instid1(VALU_DEP_2)
	v_sub_f32_e32 v99, v95, v98
	v_dual_sub_f32 v93, v93, v98 :: v_dual_add_f32 v94, v96, v12
	s_delay_alu instid0(VALU_DEP_2) | instskip(NEXT) | instid1(VALU_DEP_1)
	v_sub_f32_e32 v13, v13, v99
	v_add_f32_e32 v13, v93, v13
	s_delay_alu instid0(VALU_DEP_3) | instskip(NEXT) | instid1(VALU_DEP_2)
	v_sub_f32_e32 v93, v94, v96
	v_add_f32_e32 v13, v94, v13
	s_delay_alu instid0(VALU_DEP_2) | instskip(SKIP_1) | instid1(VALU_DEP_1)
	v_sub_f32_e32 v12, v12, v93
	v_sub_f32_e32 v94, v94, v93
	v_dual_add_f32 v97, v95, v13 :: v_dual_sub_f32 v94, v96, v94
	s_delay_alu instid0(VALU_DEP_1) | instskip(NEXT) | instid1(VALU_DEP_1)
	v_dual_sub_f32 v93, v97, v95 :: v_dual_add_f32 v12, v12, v94
	v_sub_f32_e32 v13, v13, v93
	s_delay_alu instid0(VALU_DEP_1) | instskip(NEXT) | instid1(VALU_DEP_1)
	v_add_f32_e32 v12, v12, v13
	v_add_f32_e32 v12, v97, v12
	s_delay_alu instid0(VALU_DEP_1)
	v_cndmask_b32_e32 v93, v12, v17, vcc_lo
.LBB23_82:                              ;   in Loop: Header=BB23_12 Depth=1
	s_or_b32 exec_lo, exec_lo, s29
	v_lshlrev_b32_e32 v12, 16, v14
	s_delay_alu instid0(VALU_DEP_1) | instskip(NEXT) | instid1(VALU_DEP_1)
	v_add_f32_e32 v94, s68, v12
	v_cmp_ge_f32_e32 vcc_lo, 0x41a00000, v94
	s_and_b32 s28, s79, vcc_lo
	s_delay_alu instid0(SALU_CYCLE_1)
	s_and_saveexec_b32 s29, s28
	s_cbranch_execz .LBB23_84
; %bb.83:                               ;   in Loop: Header=BB23_12 Depth=1
	v_mul_f32_e32 v12, 0x3fb8aa3b, v94
	v_cmp_ngt_f32_e32 vcc_lo, 0xc2ce8ed0, v94
	s_delay_alu instid0(VALU_DEP_2) | instskip(SKIP_1) | instid1(VALU_DEP_1)
	v_rndne_f32_e32 v13, v12
	v_fma_f32 v17, 0x3fb8aa3b, v94, -v12
	v_dual_sub_f32 v12, v12, v13 :: v_dual_fmac_f32 v17, 0x32a5705f, v94
	v_cvt_i32_f32_e32 v13, v13
	s_delay_alu instid0(VALU_DEP_2) | instskip(NEXT) | instid1(VALU_DEP_1)
	v_add_f32_e32 v12, v12, v17
	v_exp_f32_e32 v12, v12
	s_waitcnt_depctr 0xfff
	v_ldexp_f32 v12, v12, v13
	s_delay_alu instid0(VALU_DEP_1) | instskip(SKIP_1) | instid1(VALU_DEP_2)
	v_cndmask_b32_e32 v12, 0, v12, vcc_lo
	v_cmp_nlt_f32_e32 vcc_lo, 0x42b17218, v94
	v_cndmask_b32_e32 v17, 0x7f800000, v12, vcc_lo
	s_delay_alu instid0(VALU_DEP_1) | instskip(NEXT) | instid1(VALU_DEP_1)
	v_add_f32_e32 v94, 1.0, v17
	v_cvt_f64_f32_e32 v[12:13], v94
	s_delay_alu instid0(VALU_DEP_1) | instskip(SKIP_1) | instid1(VALU_DEP_1)
	v_frexp_exp_i32_f64_e32 v12, v[12:13]
	v_frexp_mant_f32_e32 v13, v94
	v_cmp_gt_f32_e32 vcc_lo, 0x3f2aaaab, v13
	v_add_f32_e32 v13, -1.0, v94
	s_delay_alu instid0(VALU_DEP_1) | instskip(SKIP_2) | instid1(VALU_DEP_3)
	v_sub_f32_e32 v96, v13, v94
	v_sub_f32_e32 v13, v17, v13
	v_cmp_gt_f32_e64 s28, 0x33800000, v17
	v_add_f32_e32 v96, 1.0, v96
	s_delay_alu instid0(VALU_DEP_1) | instskip(SKIP_2) | instid1(VALU_DEP_2)
	v_add_f32_e32 v13, v13, v96
	v_subrev_co_ci_u32_e32 v12, vcc_lo, 0, v12, vcc_lo
	v_cmp_eq_f32_e32 vcc_lo, 0x7f800000, v17
	v_sub_nc_u32_e32 v95, 0, v12
	v_cvt_f32_i32_e32 v12, v12
	s_or_b32 vcc_lo, s28, vcc_lo
	s_delay_alu instid0(VALU_DEP_2) | instskip(SKIP_1) | instid1(VALU_DEP_2)
	v_ldexp_f32 v94, v94, v95
	v_ldexp_f32 v13, v13, v95
	v_add_f32_e32 v95, -1.0, v94
	s_delay_alu instid0(VALU_DEP_1) | instskip(NEXT) | instid1(VALU_DEP_1)
	v_dual_add_f32 v97, 1.0, v94 :: v_dual_add_f32 v98, 1.0, v95
	v_add_f32_e32 v96, -1.0, v97
	s_delay_alu instid0(VALU_DEP_1) | instskip(NEXT) | instid1(VALU_DEP_3)
	v_sub_f32_e32 v96, v94, v96
	v_sub_f32_e32 v94, v94, v98
	s_delay_alu instid0(VALU_DEP_2) | instskip(NEXT) | instid1(VALU_DEP_2)
	v_add_f32_e32 v96, v13, v96
	v_add_f32_e32 v13, v13, v94
	s_delay_alu instid0(VALU_DEP_1) | instskip(NEXT) | instid1(VALU_DEP_1)
	v_dual_add_f32 v99, v95, v13 :: v_dual_add_f32 v98, v97, v96
	v_sub_f32_e32 v95, v95, v99
	s_delay_alu instid0(VALU_DEP_2) | instskip(SKIP_1) | instid1(VALU_DEP_1)
	v_rcp_f32_e32 v94, v98
	v_sub_f32_e32 v97, v97, v98
	v_dual_add_f32 v13, v13, v95 :: v_dual_add_f32 v96, v96, v97
	s_waitcnt_depctr 0xfff
	v_mul_f32_e32 v100, v99, v94
	s_delay_alu instid0(VALU_DEP_1) | instskip(NEXT) | instid1(VALU_DEP_1)
	v_mul_f32_e32 v101, v98, v100
	v_fma_f32 v97, v100, v98, -v101
	s_delay_alu instid0(VALU_DEP_1) | instskip(NEXT) | instid1(VALU_DEP_1)
	v_fmac_f32_e32 v97, v100, v96
	v_add_f32_e32 v102, v101, v97
	s_delay_alu instid0(VALU_DEP_1) | instskip(SKIP_1) | instid1(VALU_DEP_2)
	v_sub_f32_e32 v103, v99, v102
	v_sub_f32_e32 v95, v102, v101
	;; [unrolled: 1-line block ×3, first 2 shown]
	s_delay_alu instid0(VALU_DEP_2) | instskip(NEXT) | instid1(VALU_DEP_2)
	v_sub_f32_e32 v95, v95, v97
	v_sub_f32_e32 v99, v99, v102
	s_delay_alu instid0(VALU_DEP_1) | instskip(NEXT) | instid1(VALU_DEP_1)
	v_add_f32_e32 v13, v13, v99
	v_add_f32_e32 v13, v95, v13
	s_delay_alu instid0(VALU_DEP_1) | instskip(NEXT) | instid1(VALU_DEP_1)
	v_add_f32_e32 v95, v103, v13
	v_mul_f32_e32 v97, v94, v95
	s_delay_alu instid0(VALU_DEP_1) | instskip(NEXT) | instid1(VALU_DEP_1)
	v_dual_sub_f32 v102, v103, v95 :: v_dual_mul_f32 v99, v98, v97
	v_add_f32_e32 v13, v13, v102
	s_delay_alu instid0(VALU_DEP_2) | instskip(NEXT) | instid1(VALU_DEP_1)
	v_fma_f32 v98, v97, v98, -v99
	v_fmac_f32_e32 v98, v97, v96
	s_delay_alu instid0(VALU_DEP_1) | instskip(NEXT) | instid1(VALU_DEP_1)
	v_add_f32_e32 v96, v99, v98
	v_sub_f32_e32 v101, v95, v96
	s_delay_alu instid0(VALU_DEP_1) | instskip(NEXT) | instid1(VALU_DEP_1)
	v_sub_f32_e32 v95, v95, v101
	v_sub_f32_e32 v95, v95, v96
	s_delay_alu instid0(VALU_DEP_1) | instskip(SKIP_2) | instid1(VALU_DEP_1)
	v_add_f32_e32 v13, v13, v95
	v_add_f32_e32 v95, v100, v97
	v_sub_f32_e32 v99, v96, v99
	v_sub_f32_e32 v96, v99, v98
	s_delay_alu instid0(VALU_DEP_1) | instskip(NEXT) | instid1(VALU_DEP_1)
	v_dual_add_f32 v13, v96, v13 :: v_dual_sub_f32 v96, v95, v100
	v_add_f32_e32 v13, v101, v13
	s_delay_alu instid0(VALU_DEP_1) | instskip(NEXT) | instid1(VALU_DEP_1)
	v_dual_sub_f32 v96, v97, v96 :: v_dual_mul_f32 v13, v94, v13
	v_add_f32_e32 v13, v96, v13
	s_delay_alu instid0(VALU_DEP_1) | instskip(NEXT) | instid1(VALU_DEP_1)
	v_add_f32_e32 v94, v95, v13
	v_mul_f32_e32 v96, v94, v94
	s_delay_alu instid0(VALU_DEP_1) | instskip(SKIP_1) | instid1(VALU_DEP_2)
	v_fmaak_f32 v97, s83, v96, 0x3ecc95a3
	v_mul_f32_e32 v98, v94, v96
	v_fmaak_f32 v96, v96, v97, 0x3f2aaada
	v_ldexp_f32 v97, v94, 1
	v_sub_f32_e32 v94, v94, v95
	s_delay_alu instid0(VALU_DEP_3) | instskip(NEXT) | instid1(VALU_DEP_2)
	v_mul_f32_e32 v96, v98, v96
	v_dual_mul_f32 v98, 0x3f317218, v12 :: v_dual_sub_f32 v13, v13, v94
	s_delay_alu instid0(VALU_DEP_2) | instskip(NEXT) | instid1(VALU_DEP_2)
	v_add_f32_e32 v95, v97, v96
	v_ldexp_f32 v13, v13, 1
	s_delay_alu instid0(VALU_DEP_2) | instskip(NEXT) | instid1(VALU_DEP_4)
	v_sub_f32_e32 v94, v95, v97
	v_fma_f32 v97, 0x3f317218, v12, -v98
	s_delay_alu instid0(VALU_DEP_1) | instskip(NEXT) | instid1(VALU_DEP_1)
	v_dual_sub_f32 v94, v96, v94 :: v_dual_fmac_f32 v97, 0xb102e308, v12
	v_add_f32_e32 v12, v13, v94
	s_delay_alu instid0(VALU_DEP_1) | instskip(NEXT) | instid1(VALU_DEP_1)
	v_add_f32_e32 v94, v95, v12
	v_sub_f32_e32 v95, v94, v95
	s_delay_alu instid0(VALU_DEP_1) | instskip(NEXT) | instid1(VALU_DEP_1)
	v_dual_sub_f32 v12, v12, v95 :: v_dual_add_f32 v13, v98, v97
	v_add_f32_e32 v96, v13, v94
	s_delay_alu instid0(VALU_DEP_1) | instskip(NEXT) | instid1(VALU_DEP_1)
	v_dual_sub_f32 v98, v13, v98 :: v_dual_sub_f32 v99, v96, v13
	v_dual_sub_f32 v97, v97, v98 :: v_dual_sub_f32 v100, v96, v99
	s_delay_alu instid0(VALU_DEP_1) | instskip(NEXT) | instid1(VALU_DEP_2)
	v_dual_sub_f32 v94, v94, v99 :: v_dual_add_f32 v95, v97, v12
	v_sub_f32_e32 v13, v13, v100
	s_delay_alu instid0(VALU_DEP_1) | instskip(NEXT) | instid1(VALU_DEP_3)
	v_add_f32_e32 v13, v94, v13
	v_sub_f32_e32 v94, v95, v97
	s_delay_alu instid0(VALU_DEP_2) | instskip(NEXT) | instid1(VALU_DEP_2)
	v_add_f32_e32 v13, v95, v13
	v_sub_f32_e32 v95, v95, v94
	v_sub_f32_e32 v12, v12, v94
	s_delay_alu instid0(VALU_DEP_2) | instskip(NEXT) | instid1(VALU_DEP_1)
	v_dual_add_f32 v98, v96, v13 :: v_dual_sub_f32 v95, v97, v95
	v_sub_f32_e32 v94, v98, v96
	s_delay_alu instid0(VALU_DEP_1) | instskip(NEXT) | instid1(VALU_DEP_1)
	v_dual_add_f32 v12, v12, v95 :: v_dual_sub_f32 v13, v13, v94
	v_add_f32_e32 v12, v12, v13
	s_delay_alu instid0(VALU_DEP_1) | instskip(NEXT) | instid1(VALU_DEP_1)
	v_add_f32_e32 v12, v98, v12
	v_cndmask_b32_e32 v94, v12, v17, vcc_lo
.LBB23_84:                              ;   in Loop: Header=BB23_12 Depth=1
	s_or_b32 exec_lo, exec_lo, s29
	v_and_b32_e32 v12, 0xffff0000, v14
	s_delay_alu instid0(VALU_DEP_1) | instskip(NEXT) | instid1(VALU_DEP_1)
	v_add_f32_e32 v95, s68, v12
	v_cmp_ge_f32_e32 vcc_lo, 0x41a00000, v95
	s_and_b32 s28, s79, vcc_lo
	s_delay_alu instid0(SALU_CYCLE_1)
	s_and_saveexec_b32 s29, s28
	s_cbranch_execz .LBB23_86
; %bb.85:                               ;   in Loop: Header=BB23_12 Depth=1
	v_mul_f32_e32 v12, 0x3fb8aa3b, v95
	v_cmp_ngt_f32_e32 vcc_lo, 0xc2ce8ed0, v95
	s_delay_alu instid0(VALU_DEP_2) | instskip(SKIP_1) | instid1(VALU_DEP_2)
	v_rndne_f32_e32 v13, v12
	v_fma_f32 v14, 0x3fb8aa3b, v95, -v12
	v_sub_f32_e32 v12, v12, v13
	s_delay_alu instid0(VALU_DEP_2) | instskip(SKIP_1) | instid1(VALU_DEP_2)
	v_fmac_f32_e32 v14, 0x32a5705f, v95
	v_cvt_i32_f32_e32 v13, v13
	v_add_f32_e32 v12, v12, v14
	s_delay_alu instid0(VALU_DEP_1) | instskip(SKIP_2) | instid1(VALU_DEP_1)
	v_exp_f32_e32 v12, v12
	s_waitcnt_depctr 0xfff
	v_ldexp_f32 v12, v12, v13
	v_cndmask_b32_e32 v12, 0, v12, vcc_lo
	v_cmp_nlt_f32_e32 vcc_lo, 0x42b17218, v95
	s_delay_alu instid0(VALU_DEP_2) | instskip(NEXT) | instid1(VALU_DEP_1)
	v_cndmask_b32_e32 v14, 0x7f800000, v12, vcc_lo
	v_add_f32_e32 v17, 1.0, v14
	s_delay_alu instid0(VALU_DEP_1) | instskip(NEXT) | instid1(VALU_DEP_1)
	v_cvt_f64_f32_e32 v[12:13], v17
	v_frexp_exp_i32_f64_e32 v12, v[12:13]
	v_frexp_mant_f32_e32 v13, v17
	s_delay_alu instid0(VALU_DEP_1) | instskip(SKIP_1) | instid1(VALU_DEP_1)
	v_cmp_gt_f32_e32 vcc_lo, 0x3f2aaaab, v13
	v_add_f32_e32 v13, -1.0, v17
	v_sub_f32_e32 v96, v13, v17
	v_sub_f32_e32 v13, v14, v13
	v_subrev_co_ci_u32_e32 v12, vcc_lo, 0, v12, vcc_lo
	s_delay_alu instid0(VALU_DEP_1) | instskip(SKIP_1) | instid1(VALU_DEP_2)
	v_sub_nc_u32_e32 v95, 0, v12
	v_cvt_f32_i32_e32 v12, v12
	v_ldexp_f32 v17, v17, v95
	s_delay_alu instid0(VALU_DEP_1) | instskip(NEXT) | instid1(VALU_DEP_1)
	v_dual_add_f32 v96, 1.0, v96 :: v_dual_add_f32 v97, 1.0, v17
	v_dual_add_f32 v13, v13, v96 :: v_dual_add_f32 v96, -1.0, v97
	s_delay_alu instid0(VALU_DEP_1) | instskip(SKIP_4) | instid1(VALU_DEP_4)
	v_ldexp_f32 v13, v13, v95
	v_add_f32_e32 v95, -1.0, v17
	v_cmp_eq_f32_e32 vcc_lo, 0x7f800000, v14
	v_cmp_gt_f32_e64 s28, 0x33800000, v14
	v_sub_f32_e32 v96, v17, v96
	v_add_f32_e32 v98, 1.0, v95
	s_delay_alu instid0(VALU_DEP_3) | instskip(NEXT) | instid1(VALU_DEP_2)
	s_or_b32 vcc_lo, s28, vcc_lo
	v_add_f32_e32 v96, v13, v96
	s_delay_alu instid0(VALU_DEP_2) | instskip(NEXT) | instid1(VALU_DEP_1)
	v_sub_f32_e32 v17, v17, v98
	v_add_f32_e32 v13, v13, v17
	s_delay_alu instid0(VALU_DEP_1) | instskip(NEXT) | instid1(VALU_DEP_1)
	v_dual_add_f32 v99, v95, v13 :: v_dual_add_f32 v98, v97, v96
	v_sub_f32_e32 v95, v95, v99
	s_delay_alu instid0(VALU_DEP_2) | instskip(SKIP_1) | instid1(VALU_DEP_1)
	v_rcp_f32_e32 v17, v98
	v_sub_f32_e32 v97, v97, v98
	v_dual_add_f32 v13, v13, v95 :: v_dual_add_f32 v96, v96, v97
	s_waitcnt_depctr 0xfff
	v_mul_f32_e32 v100, v99, v17
	s_delay_alu instid0(VALU_DEP_1) | instskip(NEXT) | instid1(VALU_DEP_1)
	v_mul_f32_e32 v101, v98, v100
	v_fma_f32 v97, v100, v98, -v101
	s_delay_alu instid0(VALU_DEP_1) | instskip(NEXT) | instid1(VALU_DEP_1)
	v_fmac_f32_e32 v97, v100, v96
	v_add_f32_e32 v102, v101, v97
	s_delay_alu instid0(VALU_DEP_1) | instskip(NEXT) | instid1(VALU_DEP_1)
	v_sub_f32_e32 v103, v99, v102
	v_sub_f32_e32 v99, v99, v103
	;; [unrolled: 1-line block ×3, first 2 shown]
	s_delay_alu instid0(VALU_DEP_2) | instskip(NEXT) | instid1(VALU_DEP_2)
	v_sub_f32_e32 v99, v99, v102
	v_sub_f32_e32 v95, v95, v97
	s_delay_alu instid0(VALU_DEP_2) | instskip(NEXT) | instid1(VALU_DEP_1)
	v_add_f32_e32 v13, v13, v99
	v_add_f32_e32 v13, v95, v13
	s_delay_alu instid0(VALU_DEP_1) | instskip(NEXT) | instid1(VALU_DEP_1)
	v_add_f32_e32 v95, v103, v13
	v_mul_f32_e32 v97, v17, v95
	s_delay_alu instid0(VALU_DEP_1) | instskip(NEXT) | instid1(VALU_DEP_1)
	v_dual_sub_f32 v102, v103, v95 :: v_dual_mul_f32 v99, v98, v97
	v_add_f32_e32 v13, v13, v102
	s_delay_alu instid0(VALU_DEP_2) | instskip(NEXT) | instid1(VALU_DEP_1)
	v_fma_f32 v98, v97, v98, -v99
	v_fmac_f32_e32 v98, v97, v96
	s_delay_alu instid0(VALU_DEP_1) | instskip(NEXT) | instid1(VALU_DEP_1)
	v_add_f32_e32 v96, v99, v98
	v_sub_f32_e32 v101, v95, v96
	v_sub_f32_e32 v99, v96, v99
	s_delay_alu instid0(VALU_DEP_2) | instskip(NEXT) | instid1(VALU_DEP_1)
	v_sub_f32_e32 v95, v95, v101
	v_sub_f32_e32 v95, v95, v96
	s_delay_alu instid0(VALU_DEP_1) | instskip(SKIP_1) | instid1(VALU_DEP_1)
	v_dual_sub_f32 v96, v99, v98 :: v_dual_add_f32 v13, v13, v95
	v_add_f32_e32 v95, v100, v97
	v_dual_add_f32 v13, v96, v13 :: v_dual_sub_f32 v96, v95, v100
	s_delay_alu instid0(VALU_DEP_1) | instskip(NEXT) | instid1(VALU_DEP_2)
	v_add_f32_e32 v13, v101, v13
	v_sub_f32_e32 v96, v97, v96
	s_delay_alu instid0(VALU_DEP_2) | instskip(NEXT) | instid1(VALU_DEP_1)
	v_mul_f32_e32 v13, v17, v13
	v_add_f32_e32 v13, v96, v13
	s_delay_alu instid0(VALU_DEP_1) | instskip(NEXT) | instid1(VALU_DEP_1)
	v_add_f32_e32 v17, v95, v13
	v_mul_f32_e32 v96, v17, v17
	s_delay_alu instid0(VALU_DEP_1) | instskip(SKIP_1) | instid1(VALU_DEP_2)
	v_fmaak_f32 v97, s83, v96, 0x3ecc95a3
	v_mul_f32_e32 v98, v17, v96
	v_fmaak_f32 v96, v96, v97, 0x3f2aaada
	v_ldexp_f32 v97, v17, 1
	s_delay_alu instid0(VALU_DEP_2) | instskip(NEXT) | instid1(VALU_DEP_1)
	v_dual_sub_f32 v17, v17, v95 :: v_dual_mul_f32 v96, v98, v96
	v_dual_mul_f32 v98, 0x3f317218, v12 :: v_dual_sub_f32 v13, v13, v17
	s_delay_alu instid0(VALU_DEP_2) | instskip(NEXT) | instid1(VALU_DEP_2)
	v_add_f32_e32 v95, v97, v96
	v_ldexp_f32 v13, v13, 1
	s_delay_alu instid0(VALU_DEP_2) | instskip(NEXT) | instid1(VALU_DEP_4)
	v_sub_f32_e32 v17, v95, v97
	v_fma_f32 v97, 0x3f317218, v12, -v98
	s_delay_alu instid0(VALU_DEP_2) | instskip(NEXT) | instid1(VALU_DEP_1)
	v_sub_f32_e32 v17, v96, v17
	v_dual_fmac_f32 v97, 0xb102e308, v12 :: v_dual_add_f32 v12, v13, v17
	s_delay_alu instid0(VALU_DEP_1) | instskip(NEXT) | instid1(VALU_DEP_1)
	v_add_f32_e32 v13, v98, v97
	v_dual_add_f32 v17, v95, v12 :: v_dual_sub_f32 v98, v13, v98
	s_delay_alu instid0(VALU_DEP_1) | instskip(SKIP_1) | instid1(VALU_DEP_3)
	v_add_f32_e32 v96, v13, v17
	v_sub_f32_e32 v95, v17, v95
	v_sub_f32_e32 v97, v97, v98
	s_delay_alu instid0(VALU_DEP_3) | instskip(NEXT) | instid1(VALU_DEP_3)
	v_sub_f32_e32 v99, v96, v13
	v_sub_f32_e32 v12, v12, v95
	s_delay_alu instid0(VALU_DEP_2) | instskip(SKIP_1) | instid1(VALU_DEP_3)
	v_sub_f32_e32 v100, v96, v99
	v_sub_f32_e32 v17, v17, v99
	v_add_f32_e32 v95, v97, v12
	s_delay_alu instid0(VALU_DEP_3) | instskip(NEXT) | instid1(VALU_DEP_1)
	v_sub_f32_e32 v13, v13, v100
	v_add_f32_e32 v13, v17, v13
	s_delay_alu instid0(VALU_DEP_3) | instskip(NEXT) | instid1(VALU_DEP_2)
	v_sub_f32_e32 v17, v95, v97
	v_add_f32_e32 v13, v95, v13
	s_delay_alu instid0(VALU_DEP_2) | instskip(SKIP_1) | instid1(VALU_DEP_2)
	v_sub_f32_e32 v95, v95, v17
	v_sub_f32_e32 v12, v12, v17
	v_dual_add_f32 v98, v96, v13 :: v_dual_sub_f32 v95, v97, v95
	s_delay_alu instid0(VALU_DEP_1) | instskip(NEXT) | instid1(VALU_DEP_1)
	v_dual_sub_f32 v17, v98, v96 :: v_dual_add_f32 v12, v12, v95
	v_sub_f32_e32 v13, v13, v17
	s_delay_alu instid0(VALU_DEP_1) | instskip(NEXT) | instid1(VALU_DEP_1)
	v_add_f32_e32 v12, v12, v13
	v_add_f32_e32 v12, v98, v12
	s_delay_alu instid0(VALU_DEP_1)
	v_cndmask_b32_e32 v95, v12, v14, vcc_lo
.LBB23_86:                              ;   in Loop: Header=BB23_12 Depth=1
	s_or_b32 exec_lo, exec_lo, s29
	v_lshlrev_b32_e32 v12, 16, v15
	s_delay_alu instid0(VALU_DEP_1) | instskip(NEXT) | instid1(VALU_DEP_1)
	v_add_f32_e32 v96, s68, v12
	v_cmp_ge_f32_e32 vcc_lo, 0x41a00000, v96
	s_and_b32 s28, s79, vcc_lo
	s_delay_alu instid0(SALU_CYCLE_1)
	s_and_saveexec_b32 s29, s28
	s_cbranch_execz .LBB23_88
; %bb.87:                               ;   in Loop: Header=BB23_12 Depth=1
	v_mul_f32_e32 v12, 0x3fb8aa3b, v96
	v_cmp_ngt_f32_e32 vcc_lo, 0xc2ce8ed0, v96
	s_delay_alu instid0(VALU_DEP_2) | instskip(SKIP_1) | instid1(VALU_DEP_2)
	v_rndne_f32_e32 v13, v12
	v_fma_f32 v14, 0x3fb8aa3b, v96, -v12
	v_sub_f32_e32 v12, v12, v13
	s_delay_alu instid0(VALU_DEP_2) | instskip(SKIP_1) | instid1(VALU_DEP_2)
	v_fmac_f32_e32 v14, 0x32a5705f, v96
	v_cvt_i32_f32_e32 v13, v13
	v_add_f32_e32 v12, v12, v14
	s_delay_alu instid0(VALU_DEP_1) | instskip(SKIP_2) | instid1(VALU_DEP_1)
	v_exp_f32_e32 v12, v12
	s_waitcnt_depctr 0xfff
	v_ldexp_f32 v12, v12, v13
	v_cndmask_b32_e32 v12, 0, v12, vcc_lo
	v_cmp_nlt_f32_e32 vcc_lo, 0x42b17218, v96
	s_delay_alu instid0(VALU_DEP_2) | instskip(NEXT) | instid1(VALU_DEP_1)
	v_cndmask_b32_e32 v14, 0x7f800000, v12, vcc_lo
	v_add_f32_e32 v17, 1.0, v14
	s_delay_alu instid0(VALU_DEP_1) | instskip(NEXT) | instid1(VALU_DEP_1)
	v_cvt_f64_f32_e32 v[12:13], v17
	v_frexp_exp_i32_f64_e32 v12, v[12:13]
	v_frexp_mant_f32_e32 v13, v17
	s_delay_alu instid0(VALU_DEP_1) | instskip(SKIP_1) | instid1(VALU_DEP_1)
	v_cmp_gt_f32_e32 vcc_lo, 0x3f2aaaab, v13
	v_add_f32_e32 v13, -1.0, v17
	v_sub_f32_e32 v97, v13, v17
	s_delay_alu instid0(VALU_DEP_1) | instskip(SKIP_2) | instid1(VALU_DEP_2)
	v_add_f32_e32 v97, 1.0, v97
	v_sub_f32_e32 v13, v14, v13
	v_cmp_gt_f32_e64 s28, 0x33800000, v14
	v_add_f32_e32 v13, v13, v97
	v_subrev_co_ci_u32_e32 v12, vcc_lo, 0, v12, vcc_lo
	v_cmp_eq_f32_e32 vcc_lo, 0x7f800000, v14
	s_delay_alu instid0(VALU_DEP_2) | instskip(SKIP_2) | instid1(VALU_DEP_2)
	v_sub_nc_u32_e32 v96, 0, v12
	v_cvt_f32_i32_e32 v12, v12
	s_or_b32 vcc_lo, s28, vcc_lo
	v_ldexp_f32 v17, v17, v96
	v_ldexp_f32 v13, v13, v96
	s_delay_alu instid0(VALU_DEP_2) | instskip(NEXT) | instid1(VALU_DEP_1)
	v_add_f32_e32 v96, -1.0, v17
	v_dual_add_f32 v98, 1.0, v17 :: v_dual_add_f32 v99, 1.0, v96
	s_delay_alu instid0(VALU_DEP_1) | instskip(NEXT) | instid1(VALU_DEP_1)
	v_add_f32_e32 v97, -1.0, v98
	v_sub_f32_e32 v97, v17, v97
	s_delay_alu instid0(VALU_DEP_3) | instskip(NEXT) | instid1(VALU_DEP_2)
	v_sub_f32_e32 v17, v17, v99
	v_add_f32_e32 v97, v13, v97
	s_delay_alu instid0(VALU_DEP_2) | instskip(NEXT) | instid1(VALU_DEP_1)
	v_add_f32_e32 v13, v13, v17
	v_add_f32_e32 v100, v96, v13
	s_delay_alu instid0(VALU_DEP_1) | instskip(NEXT) | instid1(VALU_DEP_1)
	v_dual_sub_f32 v96, v96, v100 :: v_dual_add_f32 v99, v98, v97
	v_add_f32_e32 v13, v13, v96
	s_delay_alu instid0(VALU_DEP_2) | instskip(SKIP_1) | instid1(VALU_DEP_1)
	v_rcp_f32_e32 v17, v99
	v_sub_f32_e32 v98, v98, v99
	v_add_f32_e32 v97, v97, v98
	s_waitcnt_depctr 0xfff
	v_mul_f32_e32 v101, v100, v17
	s_delay_alu instid0(VALU_DEP_1) | instskip(NEXT) | instid1(VALU_DEP_1)
	v_mul_f32_e32 v102, v99, v101
	v_fma_f32 v98, v101, v99, -v102
	s_delay_alu instid0(VALU_DEP_1) | instskip(NEXT) | instid1(VALU_DEP_1)
	v_fmac_f32_e32 v98, v101, v97
	v_add_f32_e32 v103, v102, v98
	s_delay_alu instid0(VALU_DEP_1) | instskip(SKIP_1) | instid1(VALU_DEP_2)
	v_sub_f32_e32 v104, v100, v103
	v_sub_f32_e32 v96, v103, v102
	;; [unrolled: 1-line block ×3, first 2 shown]
	s_delay_alu instid0(VALU_DEP_1) | instskip(NEXT) | instid1(VALU_DEP_1)
	v_sub_f32_e32 v100, v100, v103
	v_dual_sub_f32 v96, v96, v98 :: v_dual_add_f32 v13, v13, v100
	s_delay_alu instid0(VALU_DEP_1) | instskip(NEXT) | instid1(VALU_DEP_1)
	v_add_f32_e32 v13, v96, v13
	v_add_f32_e32 v96, v104, v13
	s_delay_alu instid0(VALU_DEP_1) | instskip(NEXT) | instid1(VALU_DEP_1)
	v_mul_f32_e32 v98, v17, v96
	v_dual_sub_f32 v103, v104, v96 :: v_dual_mul_f32 v100, v99, v98
	s_delay_alu instid0(VALU_DEP_1) | instskip(NEXT) | instid1(VALU_DEP_2)
	v_add_f32_e32 v13, v13, v103
	v_fma_f32 v99, v98, v99, -v100
	s_delay_alu instid0(VALU_DEP_1) | instskip(NEXT) | instid1(VALU_DEP_1)
	v_fmac_f32_e32 v99, v98, v97
	v_add_f32_e32 v97, v100, v99
	s_delay_alu instid0(VALU_DEP_1) | instskip(NEXT) | instid1(VALU_DEP_1)
	v_sub_f32_e32 v102, v96, v97
	v_sub_f32_e32 v96, v96, v102
	s_delay_alu instid0(VALU_DEP_1) | instskip(NEXT) | instid1(VALU_DEP_1)
	v_sub_f32_e32 v96, v96, v97
	v_add_f32_e32 v13, v13, v96
	v_add_f32_e32 v96, v101, v98
	v_sub_f32_e32 v100, v97, v100
	s_delay_alu instid0(VALU_DEP_1) | instskip(NEXT) | instid1(VALU_DEP_1)
	v_sub_f32_e32 v97, v100, v99
	v_add_f32_e32 v13, v97, v13
	s_delay_alu instid0(VALU_DEP_4) | instskip(NEXT) | instid1(VALU_DEP_2)
	v_sub_f32_e32 v97, v96, v101
	v_add_f32_e32 v13, v102, v13
	s_delay_alu instid0(VALU_DEP_2) | instskip(NEXT) | instid1(VALU_DEP_2)
	v_sub_f32_e32 v97, v98, v97
	v_mul_f32_e32 v13, v17, v13
	s_delay_alu instid0(VALU_DEP_1) | instskip(NEXT) | instid1(VALU_DEP_1)
	v_add_f32_e32 v13, v97, v13
	v_add_f32_e32 v17, v96, v13
	s_delay_alu instid0(VALU_DEP_1) | instskip(NEXT) | instid1(VALU_DEP_1)
	v_mul_f32_e32 v97, v17, v17
	v_fmaak_f32 v98, s83, v97, 0x3ecc95a3
	v_mul_f32_e32 v99, v17, v97
	s_delay_alu instid0(VALU_DEP_2) | instskip(SKIP_1) | instid1(VALU_DEP_2)
	v_fmaak_f32 v97, v97, v98, 0x3f2aaada
	v_ldexp_f32 v98, v17, 1
	v_mul_f32_e32 v97, v99, v97
	s_delay_alu instid0(VALU_DEP_1) | instskip(NEXT) | instid1(VALU_DEP_1)
	v_dual_sub_f32 v17, v17, v96 :: v_dual_add_f32 v96, v98, v97
	v_sub_f32_e32 v13, v13, v17
	s_delay_alu instid0(VALU_DEP_2) | instskip(NEXT) | instid1(VALU_DEP_2)
	v_sub_f32_e32 v17, v96, v98
	v_ldexp_f32 v13, v13, 1
	s_delay_alu instid0(VALU_DEP_2) | instskip(SKIP_1) | instid1(VALU_DEP_1)
	v_sub_f32_e32 v17, v97, v17
	v_mul_f32_e32 v99, 0x3f317218, v12
	v_fma_f32 v98, 0x3f317218, v12, -v99
	s_delay_alu instid0(VALU_DEP_1) | instskip(NEXT) | instid1(VALU_DEP_1)
	v_fmac_f32_e32 v98, 0xb102e308, v12
	v_dual_add_f32 v12, v13, v17 :: v_dual_add_f32 v13, v99, v98
	s_delay_alu instid0(VALU_DEP_1) | instskip(NEXT) | instid1(VALU_DEP_1)
	v_add_f32_e32 v17, v96, v12
	v_add_f32_e32 v97, v13, v17
	v_sub_f32_e32 v96, v17, v96
	s_delay_alu instid0(VALU_DEP_2) | instskip(NEXT) | instid1(VALU_DEP_2)
	v_sub_f32_e32 v100, v97, v13
	v_dual_sub_f32 v12, v12, v96 :: v_dual_sub_f32 v99, v13, v99
	s_delay_alu instid0(VALU_DEP_2) | instskip(NEXT) | instid1(VALU_DEP_2)
	v_sub_f32_e32 v101, v97, v100
	v_dual_sub_f32 v17, v17, v100 :: v_dual_sub_f32 v98, v98, v99
	s_delay_alu instid0(VALU_DEP_1) | instskip(NEXT) | instid1(VALU_DEP_1)
	v_dual_sub_f32 v13, v13, v101 :: v_dual_add_f32 v96, v98, v12
	v_add_f32_e32 v13, v17, v13
	s_delay_alu instid0(VALU_DEP_2) | instskip(NEXT) | instid1(VALU_DEP_2)
	v_sub_f32_e32 v17, v96, v98
	v_add_f32_e32 v13, v96, v13
	s_delay_alu instid0(VALU_DEP_2) | instskip(SKIP_1) | instid1(VALU_DEP_2)
	v_sub_f32_e32 v96, v96, v17
	v_sub_f32_e32 v12, v12, v17
	v_dual_add_f32 v99, v97, v13 :: v_dual_sub_f32 v96, v98, v96
	s_delay_alu instid0(VALU_DEP_1) | instskip(NEXT) | instid1(VALU_DEP_1)
	v_dual_sub_f32 v17, v99, v97 :: v_dual_add_f32 v12, v12, v96
	v_sub_f32_e32 v13, v13, v17
	s_delay_alu instid0(VALU_DEP_1) | instskip(NEXT) | instid1(VALU_DEP_1)
	v_add_f32_e32 v12, v12, v13
	v_add_f32_e32 v12, v99, v12
	s_delay_alu instid0(VALU_DEP_1)
	v_cndmask_b32_e32 v96, v12, v14, vcc_lo
.LBB23_88:                              ;   in Loop: Header=BB23_12 Depth=1
	s_or_b32 exec_lo, exec_lo, s29
	v_and_b32_e32 v12, 0xffff0000, v15
	s_delay_alu instid0(VALU_DEP_1) | instskip(NEXT) | instid1(VALU_DEP_1)
	v_add_f32_e32 v97, s68, v12
	v_cmp_ge_f32_e32 vcc_lo, 0x41a00000, v97
	s_and_b32 s28, s79, vcc_lo
	s_delay_alu instid0(SALU_CYCLE_1)
	s_and_saveexec_b32 s29, s28
	s_cbranch_execz .LBB23_90
; %bb.89:                               ;   in Loop: Header=BB23_12 Depth=1
	v_mul_f32_e32 v12, 0x3fb8aa3b, v97
	v_cmp_ngt_f32_e32 vcc_lo, 0xc2ce8ed0, v97
	s_delay_alu instid0(VALU_DEP_2) | instskip(SKIP_1) | instid1(VALU_DEP_2)
	v_rndne_f32_e32 v13, v12
	v_fma_f32 v14, 0x3fb8aa3b, v97, -v12
	v_sub_f32_e32 v12, v12, v13
	s_delay_alu instid0(VALU_DEP_2) | instskip(SKIP_1) | instid1(VALU_DEP_2)
	v_fmac_f32_e32 v14, 0x32a5705f, v97
	v_cvt_i32_f32_e32 v13, v13
	v_add_f32_e32 v12, v12, v14
	s_delay_alu instid0(VALU_DEP_1) | instskip(SKIP_2) | instid1(VALU_DEP_1)
	v_exp_f32_e32 v12, v12
	s_waitcnt_depctr 0xfff
	v_ldexp_f32 v12, v12, v13
	v_cndmask_b32_e32 v12, 0, v12, vcc_lo
	v_cmp_nlt_f32_e32 vcc_lo, 0x42b17218, v97
	s_delay_alu instid0(VALU_DEP_2) | instskip(NEXT) | instid1(VALU_DEP_1)
	v_cndmask_b32_e32 v14, 0x7f800000, v12, vcc_lo
	v_add_f32_e32 v15, 1.0, v14
	s_delay_alu instid0(VALU_DEP_1) | instskip(NEXT) | instid1(VALU_DEP_1)
	v_cvt_f64_f32_e32 v[12:13], v15
	v_frexp_exp_i32_f64_e32 v12, v[12:13]
	v_frexp_mant_f32_e32 v13, v15
	s_delay_alu instid0(VALU_DEP_1) | instskip(SKIP_1) | instid1(VALU_DEP_1)
	v_cmp_gt_f32_e32 vcc_lo, 0x3f2aaaab, v13
	v_add_f32_e32 v13, -1.0, v15
	v_sub_f32_e32 v97, v13, v15
	v_sub_f32_e32 v13, v14, v13
	s_delay_alu instid0(VALU_DEP_2) | instskip(NEXT) | instid1(VALU_DEP_1)
	v_add_f32_e32 v97, 1.0, v97
	v_add_f32_e32 v13, v13, v97
	v_cmp_gt_f32_e64 s28, 0x33800000, v14
	v_subrev_co_ci_u32_e32 v12, vcc_lo, 0, v12, vcc_lo
	v_cmp_eq_f32_e32 vcc_lo, 0x7f800000, v14
	s_delay_alu instid0(VALU_DEP_2) | instskip(SKIP_2) | instid1(VALU_DEP_2)
	v_sub_nc_u32_e32 v17, 0, v12
	v_cvt_f32_i32_e32 v12, v12
	s_or_b32 vcc_lo, s28, vcc_lo
	v_ldexp_f32 v15, v15, v17
	v_ldexp_f32 v13, v13, v17
	s_delay_alu instid0(VALU_DEP_2) | instskip(SKIP_1) | instid1(VALU_DEP_2)
	v_add_f32_e32 v98, 1.0, v15
	v_add_f32_e32 v17, -1.0, v15
	v_add_f32_e32 v97, -1.0, v98
	s_delay_alu instid0(VALU_DEP_2) | instskip(NEXT) | instid1(VALU_DEP_2)
	v_add_f32_e32 v99, 1.0, v17
	v_sub_f32_e32 v97, v15, v97
	s_delay_alu instid0(VALU_DEP_2) | instskip(NEXT) | instid1(VALU_DEP_2)
	v_sub_f32_e32 v15, v15, v99
	v_add_f32_e32 v97, v13, v97
	s_delay_alu instid0(VALU_DEP_2) | instskip(NEXT) | instid1(VALU_DEP_1)
	v_add_f32_e32 v13, v13, v15
	v_add_f32_e32 v100, v17, v13
	s_delay_alu instid0(VALU_DEP_3) | instskip(NEXT) | instid1(VALU_DEP_1)
	v_add_f32_e32 v99, v98, v97
	v_rcp_f32_e32 v15, v99
	v_sub_f32_e32 v98, v98, v99
	s_delay_alu instid0(VALU_DEP_1) | instskip(SKIP_2) | instid1(VALU_DEP_1)
	v_add_f32_e32 v97, v97, v98
	s_waitcnt_depctr 0xfff
	v_mul_f32_e32 v101, v100, v15
	v_dual_mul_f32 v102, v99, v101 :: v_dual_sub_f32 v17, v17, v100
	s_delay_alu instid0(VALU_DEP_1) | instskip(NEXT) | instid1(VALU_DEP_2)
	v_fma_f32 v98, v101, v99, -v102
	v_add_f32_e32 v13, v13, v17
	s_delay_alu instid0(VALU_DEP_2) | instskip(NEXT) | instid1(VALU_DEP_1)
	v_fmac_f32_e32 v98, v101, v97
	v_add_f32_e32 v103, v102, v98
	s_delay_alu instid0(VALU_DEP_1) | instskip(NEXT) | instid1(VALU_DEP_1)
	v_dual_sub_f32 v104, v100, v103 :: v_dual_sub_f32 v17, v103, v102
	v_dual_sub_f32 v100, v100, v104 :: v_dual_sub_f32 v17, v17, v98
	s_delay_alu instid0(VALU_DEP_1) | instskip(NEXT) | instid1(VALU_DEP_1)
	v_sub_f32_e32 v100, v100, v103
	v_add_f32_e32 v13, v13, v100
	s_delay_alu instid0(VALU_DEP_1) | instskip(NEXT) | instid1(VALU_DEP_1)
	v_add_f32_e32 v13, v17, v13
	v_add_f32_e32 v17, v104, v13
	s_delay_alu instid0(VALU_DEP_1) | instskip(NEXT) | instid1(VALU_DEP_1)
	v_mul_f32_e32 v98, v15, v17
	v_dual_sub_f32 v103, v104, v17 :: v_dual_mul_f32 v100, v99, v98
	s_delay_alu instid0(VALU_DEP_1) | instskip(NEXT) | instid1(VALU_DEP_2)
	v_add_f32_e32 v13, v13, v103
	v_fma_f32 v99, v98, v99, -v100
	s_delay_alu instid0(VALU_DEP_1) | instskip(NEXT) | instid1(VALU_DEP_1)
	v_fmac_f32_e32 v99, v98, v97
	v_add_f32_e32 v97, v100, v99
	s_delay_alu instid0(VALU_DEP_1) | instskip(SKIP_1) | instid1(VALU_DEP_2)
	v_sub_f32_e32 v102, v17, v97
	v_sub_f32_e32 v100, v97, v100
	;; [unrolled: 1-line block ×3, first 2 shown]
	s_delay_alu instid0(VALU_DEP_1) | instskip(NEXT) | instid1(VALU_DEP_3)
	v_sub_f32_e32 v17, v17, v97
	v_sub_f32_e32 v97, v100, v99
	s_delay_alu instid0(VALU_DEP_2) | instskip(SKIP_1) | instid1(VALU_DEP_2)
	v_add_f32_e32 v13, v13, v17
	v_add_f32_e32 v17, v101, v98
	;; [unrolled: 1-line block ×3, first 2 shown]
	s_delay_alu instid0(VALU_DEP_2) | instskip(NEXT) | instid1(VALU_DEP_2)
	v_sub_f32_e32 v97, v17, v101
	v_add_f32_e32 v13, v102, v13
	s_delay_alu instid0(VALU_DEP_2) | instskip(NEXT) | instid1(VALU_DEP_2)
	v_sub_f32_e32 v97, v98, v97
	v_mul_f32_e32 v13, v15, v13
	s_delay_alu instid0(VALU_DEP_1) | instskip(NEXT) | instid1(VALU_DEP_1)
	v_add_f32_e32 v13, v97, v13
	v_add_f32_e32 v15, v17, v13
	s_delay_alu instid0(VALU_DEP_1) | instskip(NEXT) | instid1(VALU_DEP_1)
	v_mul_f32_e32 v97, v15, v15
	v_fmaak_f32 v98, s83, v97, 0x3ecc95a3
	v_mul_f32_e32 v99, v15, v97
	s_delay_alu instid0(VALU_DEP_2) | instskip(SKIP_2) | instid1(VALU_DEP_3)
	v_fmaak_f32 v97, v97, v98, 0x3f2aaada
	v_ldexp_f32 v98, v15, 1
	v_sub_f32_e32 v15, v15, v17
	v_mul_f32_e32 v97, v99, v97
	v_mul_f32_e32 v99, 0x3f317218, v12
	s_delay_alu instid0(VALU_DEP_3) | instskip(NEXT) | instid1(VALU_DEP_3)
	v_sub_f32_e32 v13, v13, v15
	v_add_f32_e32 v17, v98, v97
	s_delay_alu instid0(VALU_DEP_2) | instskip(NEXT) | instid1(VALU_DEP_2)
	v_ldexp_f32 v13, v13, 1
	v_sub_f32_e32 v15, v17, v98
	v_fma_f32 v98, 0x3f317218, v12, -v99
	s_delay_alu instid0(VALU_DEP_1) | instskip(NEXT) | instid1(VALU_DEP_1)
	v_dual_sub_f32 v15, v97, v15 :: v_dual_fmac_f32 v98, 0xb102e308, v12
	v_dual_add_f32 v12, v13, v15 :: v_dual_add_f32 v13, v99, v98
	s_delay_alu instid0(VALU_DEP_1) | instskip(NEXT) | instid1(VALU_DEP_1)
	v_add_f32_e32 v15, v17, v12
	v_add_f32_e32 v97, v13, v15
	v_sub_f32_e32 v17, v15, v17
	s_delay_alu instid0(VALU_DEP_2) | instskip(NEXT) | instid1(VALU_DEP_2)
	v_sub_f32_e32 v100, v97, v13
	v_dual_sub_f32 v99, v13, v99 :: v_dual_sub_f32 v12, v12, v17
	s_delay_alu instid0(VALU_DEP_1) | instskip(SKIP_1) | instid1(VALU_DEP_2)
	v_dual_sub_f32 v101, v97, v100 :: v_dual_sub_f32 v98, v98, v99
	v_sub_f32_e32 v15, v15, v100
	v_sub_f32_e32 v13, v13, v101
	s_delay_alu instid0(VALU_DEP_3) | instskip(NEXT) | instid1(VALU_DEP_2)
	v_add_f32_e32 v17, v98, v12
	v_add_f32_e32 v13, v15, v13
	s_delay_alu instid0(VALU_DEP_2) | instskip(NEXT) | instid1(VALU_DEP_2)
	v_sub_f32_e32 v15, v17, v98
	v_add_f32_e32 v13, v17, v13
	s_delay_alu instid0(VALU_DEP_2) | instskip(NEXT) | instid1(VALU_DEP_2)
	v_sub_f32_e32 v17, v17, v15
	v_dual_sub_f32 v12, v12, v15 :: v_dual_add_f32 v99, v97, v13
	s_delay_alu instid0(VALU_DEP_2) | instskip(NEXT) | instid1(VALU_DEP_2)
	v_sub_f32_e32 v17, v98, v17
	v_sub_f32_e32 v15, v99, v97
	s_delay_alu instid0(VALU_DEP_1) | instskip(NEXT) | instid1(VALU_DEP_1)
	v_dual_add_f32 v12, v12, v17 :: v_dual_sub_f32 v13, v13, v15
	v_add_f32_e32 v12, v12, v13
	s_delay_alu instid0(VALU_DEP_1) | instskip(NEXT) | instid1(VALU_DEP_1)
	v_add_f32_e32 v12, v99, v12
	v_cndmask_b32_e32 v97, v12, v14, vcc_lo
.LBB23_90:                              ;   in Loop: Header=BB23_12 Depth=1
	s_or_b32 exec_lo, exec_lo, s29
	s_waitcnt lgkmcnt(0)
	v_lshlrev_b32_e32 v12, 16, v8
	s_delay_alu instid0(VALU_DEP_1) | instskip(NEXT) | instid1(VALU_DEP_1)
	v_add_f32_e32 v98, s68, v12
	v_cmp_ge_f32_e32 vcc_lo, 0x41a00000, v98
	s_and_b32 s28, s79, vcc_lo
	s_delay_alu instid0(SALU_CYCLE_1)
	s_and_saveexec_b32 s29, s28
	s_cbranch_execz .LBB23_92
; %bb.91:                               ;   in Loop: Header=BB23_12 Depth=1
	v_mul_f32_e32 v12, 0x3fb8aa3b, v98
	v_cmp_ngt_f32_e32 vcc_lo, 0xc2ce8ed0, v98
	s_delay_alu instid0(VALU_DEP_2) | instskip(SKIP_1) | instid1(VALU_DEP_2)
	v_rndne_f32_e32 v13, v12
	v_fma_f32 v14, 0x3fb8aa3b, v98, -v12
	v_sub_f32_e32 v12, v12, v13
	s_delay_alu instid0(VALU_DEP_2) | instskip(SKIP_1) | instid1(VALU_DEP_2)
	v_fmac_f32_e32 v14, 0x32a5705f, v98
	v_cvt_i32_f32_e32 v13, v13
	v_add_f32_e32 v12, v12, v14
	s_delay_alu instid0(VALU_DEP_1) | instskip(SKIP_2) | instid1(VALU_DEP_1)
	v_exp_f32_e32 v12, v12
	s_waitcnt_depctr 0xfff
	v_ldexp_f32 v12, v12, v13
	v_cndmask_b32_e32 v12, 0, v12, vcc_lo
	v_cmp_nlt_f32_e32 vcc_lo, 0x42b17218, v98
	s_delay_alu instid0(VALU_DEP_2) | instskip(NEXT) | instid1(VALU_DEP_1)
	v_cndmask_b32_e32 v14, 0x7f800000, v12, vcc_lo
	v_add_f32_e32 v15, 1.0, v14
	s_delay_alu instid0(VALU_DEP_1) | instskip(NEXT) | instid1(VALU_DEP_1)
	v_cvt_f64_f32_e32 v[12:13], v15
	v_frexp_exp_i32_f64_e32 v12, v[12:13]
	v_frexp_mant_f32_e32 v13, v15
	s_delay_alu instid0(VALU_DEP_1) | instskip(SKIP_1) | instid1(VALU_DEP_1)
	v_cmp_gt_f32_e32 vcc_lo, 0x3f2aaaab, v13
	v_add_f32_e32 v13, -1.0, v15
	v_dual_sub_f32 v98, v13, v15 :: v_dual_sub_f32 v13, v14, v13
	s_delay_alu instid0(VALU_DEP_1) | instskip(NEXT) | instid1(VALU_DEP_1)
	v_add_f32_e32 v98, 1.0, v98
	v_add_f32_e32 v13, v13, v98
	v_subrev_co_ci_u32_e32 v12, vcc_lo, 0, v12, vcc_lo
	s_delay_alu instid0(VALU_DEP_1) | instskip(SKIP_1) | instid1(VALU_DEP_2)
	v_sub_nc_u32_e32 v17, 0, v12
	v_cvt_f32_i32_e32 v12, v12
	v_ldexp_f32 v15, v15, v17
	v_ldexp_f32 v13, v13, v17
	s_delay_alu instid0(VALU_DEP_2) | instskip(SKIP_3) | instid1(VALU_DEP_4)
	v_add_f32_e32 v99, 1.0, v15
	v_add_f32_e32 v17, -1.0, v15
	v_cmp_eq_f32_e32 vcc_lo, 0x7f800000, v14
	v_cmp_gt_f32_e64 s28, 0x33800000, v14
	v_add_f32_e32 v98, -1.0, v99
	s_delay_alu instid0(VALU_DEP_4) | instskip(NEXT) | instid1(VALU_DEP_3)
	v_add_f32_e32 v100, 1.0, v17
	s_or_b32 vcc_lo, s28, vcc_lo
	s_delay_alu instid0(VALU_DEP_2) | instskip(NEXT) | instid1(VALU_DEP_1)
	v_sub_f32_e32 v98, v15, v98
	v_dual_sub_f32 v15, v15, v100 :: v_dual_add_f32 v98, v13, v98
	s_delay_alu instid0(VALU_DEP_1) | instskip(NEXT) | instid1(VALU_DEP_1)
	v_add_f32_e32 v13, v13, v15
	v_dual_add_f32 v101, v17, v13 :: v_dual_add_f32 v100, v99, v98
	s_delay_alu instid0(VALU_DEP_1) | instskip(NEXT) | instid1(VALU_DEP_2)
	v_sub_f32_e32 v17, v17, v101
	v_rcp_f32_e32 v15, v100
	v_sub_f32_e32 v99, v99, v100
	s_delay_alu instid0(VALU_DEP_1) | instskip(SKIP_2) | instid1(VALU_DEP_1)
	v_dual_add_f32 v98, v98, v99 :: v_dual_add_f32 v13, v13, v17
	s_waitcnt_depctr 0xfff
	v_mul_f32_e32 v102, v101, v15
	v_mul_f32_e32 v103, v100, v102
	s_delay_alu instid0(VALU_DEP_1) | instskip(NEXT) | instid1(VALU_DEP_1)
	v_fma_f32 v99, v102, v100, -v103
	v_fmac_f32_e32 v99, v102, v98
	s_delay_alu instid0(VALU_DEP_1) | instskip(NEXT) | instid1(VALU_DEP_1)
	v_add_f32_e32 v104, v103, v99
	v_sub_f32_e32 v105, v101, v104
	s_delay_alu instid0(VALU_DEP_1) | instskip(SKIP_1) | instid1(VALU_DEP_2)
	v_sub_f32_e32 v101, v101, v105
	v_sub_f32_e32 v17, v104, v103
	;; [unrolled: 1-line block ×3, first 2 shown]
	s_delay_alu instid0(VALU_DEP_2) | instskip(NEXT) | instid1(VALU_DEP_2)
	v_sub_f32_e32 v17, v17, v99
	v_add_f32_e32 v13, v13, v101
	s_delay_alu instid0(VALU_DEP_1) | instskip(NEXT) | instid1(VALU_DEP_1)
	v_add_f32_e32 v13, v17, v13
	v_add_f32_e32 v17, v105, v13
	s_delay_alu instid0(VALU_DEP_1) | instskip(NEXT) | instid1(VALU_DEP_1)
	v_mul_f32_e32 v99, v15, v17
	v_dual_sub_f32 v104, v105, v17 :: v_dual_mul_f32 v101, v100, v99
	s_delay_alu instid0(VALU_DEP_1) | instskip(NEXT) | instid1(VALU_DEP_2)
	v_add_f32_e32 v13, v13, v104
	v_fma_f32 v100, v99, v100, -v101
	s_delay_alu instid0(VALU_DEP_1) | instskip(NEXT) | instid1(VALU_DEP_1)
	v_fmac_f32_e32 v100, v99, v98
	v_add_f32_e32 v98, v101, v100
	s_delay_alu instid0(VALU_DEP_1) | instskip(NEXT) | instid1(VALU_DEP_1)
	v_sub_f32_e32 v103, v17, v98
	v_sub_f32_e32 v17, v17, v103
	s_delay_alu instid0(VALU_DEP_1) | instskip(NEXT) | instid1(VALU_DEP_1)
	v_sub_f32_e32 v17, v17, v98
	v_add_f32_e32 v13, v13, v17
	v_add_f32_e32 v17, v102, v99
	v_sub_f32_e32 v101, v98, v101
	s_delay_alu instid0(VALU_DEP_1) | instskip(NEXT) | instid1(VALU_DEP_1)
	v_sub_f32_e32 v98, v101, v100
	v_dual_add_f32 v13, v98, v13 :: v_dual_sub_f32 v98, v17, v102
	s_delay_alu instid0(VALU_DEP_1) | instskip(NEXT) | instid1(VALU_DEP_2)
	v_add_f32_e32 v13, v103, v13
	v_sub_f32_e32 v98, v99, v98
	s_delay_alu instid0(VALU_DEP_2) | instskip(NEXT) | instid1(VALU_DEP_1)
	v_mul_f32_e32 v13, v15, v13
	v_add_f32_e32 v13, v98, v13
	s_delay_alu instid0(VALU_DEP_1) | instskip(NEXT) | instid1(VALU_DEP_1)
	v_add_f32_e32 v15, v17, v13
	v_mul_f32_e32 v98, v15, v15
	s_delay_alu instid0(VALU_DEP_1) | instskip(SKIP_1) | instid1(VALU_DEP_2)
	v_fmaak_f32 v99, s83, v98, 0x3ecc95a3
	v_mul_f32_e32 v100, v15, v98
	v_fmaak_f32 v98, v98, v99, 0x3f2aaada
	v_ldexp_f32 v99, v15, 1
	s_delay_alu instid0(VALU_DEP_2) | instskip(NEXT) | instid1(VALU_DEP_1)
	v_dual_sub_f32 v15, v15, v17 :: v_dual_mul_f32 v98, v100, v98
	v_dual_mul_f32 v100, 0x3f317218, v12 :: v_dual_sub_f32 v13, v13, v15
	s_delay_alu instid0(VALU_DEP_2) | instskip(NEXT) | instid1(VALU_DEP_2)
	v_add_f32_e32 v17, v99, v98
	v_ldexp_f32 v13, v13, 1
	s_delay_alu instid0(VALU_DEP_2) | instskip(NEXT) | instid1(VALU_DEP_4)
	v_sub_f32_e32 v15, v17, v99
	v_fma_f32 v99, 0x3f317218, v12, -v100
	s_delay_alu instid0(VALU_DEP_2) | instskip(NEXT) | instid1(VALU_DEP_1)
	v_sub_f32_e32 v15, v98, v15
	v_dual_fmac_f32 v99, 0xb102e308, v12 :: v_dual_add_f32 v12, v13, v15
	s_delay_alu instid0(VALU_DEP_1) | instskip(NEXT) | instid1(VALU_DEP_2)
	v_add_f32_e32 v13, v100, v99
	v_add_f32_e32 v15, v17, v12
	s_delay_alu instid0(VALU_DEP_2) | instskip(NEXT) | instid1(VALU_DEP_2)
	v_sub_f32_e32 v100, v13, v100
	v_dual_add_f32 v98, v13, v15 :: v_dual_sub_f32 v17, v15, v17
	s_delay_alu instid0(VALU_DEP_2) | instskip(NEXT) | instid1(VALU_DEP_2)
	v_sub_f32_e32 v99, v99, v100
	v_sub_f32_e32 v101, v98, v13
	s_delay_alu instid0(VALU_DEP_3) | instskip(NEXT) | instid1(VALU_DEP_2)
	v_sub_f32_e32 v12, v12, v17
	v_sub_f32_e32 v102, v98, v101
	;; [unrolled: 1-line block ×3, first 2 shown]
	s_delay_alu instid0(VALU_DEP_3) | instskip(NEXT) | instid1(VALU_DEP_3)
	v_add_f32_e32 v17, v99, v12
	v_sub_f32_e32 v13, v13, v102
	s_delay_alu instid0(VALU_DEP_1) | instskip(NEXT) | instid1(VALU_DEP_3)
	v_add_f32_e32 v13, v15, v13
	v_sub_f32_e32 v15, v17, v99
	s_delay_alu instid0(VALU_DEP_2) | instskip(NEXT) | instid1(VALU_DEP_2)
	v_add_f32_e32 v13, v17, v13
	v_sub_f32_e32 v17, v17, v15
	v_sub_f32_e32 v12, v12, v15
	s_delay_alu instid0(VALU_DEP_3) | instskip(NEXT) | instid1(VALU_DEP_3)
	v_add_f32_e32 v100, v98, v13
	v_sub_f32_e32 v17, v99, v17
	s_delay_alu instid0(VALU_DEP_2) | instskip(NEXT) | instid1(VALU_DEP_1)
	v_sub_f32_e32 v15, v100, v98
	v_dual_add_f32 v12, v12, v17 :: v_dual_sub_f32 v13, v13, v15
	s_delay_alu instid0(VALU_DEP_1) | instskip(NEXT) | instid1(VALU_DEP_1)
	v_add_f32_e32 v12, v12, v13
	v_add_f32_e32 v12, v100, v12
	s_delay_alu instid0(VALU_DEP_1)
	v_cndmask_b32_e32 v98, v12, v14, vcc_lo
.LBB23_92:                              ;   in Loop: Header=BB23_12 Depth=1
	s_or_b32 exec_lo, exec_lo, s29
	v_and_b32_e32 v8, 0xffff0000, v8
	s_delay_alu instid0(VALU_DEP_1) | instskip(NEXT) | instid1(VALU_DEP_1)
	v_add_f32_e32 v99, s68, v8
	v_cmp_ge_f32_e32 vcc_lo, 0x41a00000, v99
	s_and_b32 s28, s79, vcc_lo
	s_delay_alu instid0(SALU_CYCLE_1)
	s_and_saveexec_b32 s29, s28
	s_cbranch_execz .LBB23_94
; %bb.93:                               ;   in Loop: Header=BB23_12 Depth=1
	v_mul_f32_e32 v8, 0x3fb8aa3b, v99
	v_cmp_ngt_f32_e32 vcc_lo, 0xc2ce8ed0, v99
	s_delay_alu instid0(VALU_DEP_2) | instskip(SKIP_1) | instid1(VALU_DEP_1)
	v_rndne_f32_e32 v12, v8
	v_fma_f32 v13, 0x3fb8aa3b, v99, -v8
	v_dual_sub_f32 v8, v8, v12 :: v_dual_fmac_f32 v13, 0x32a5705f, v99
	v_cvt_i32_f32_e32 v12, v12
	s_delay_alu instid0(VALU_DEP_2) | instskip(NEXT) | instid1(VALU_DEP_1)
	v_add_f32_e32 v8, v8, v13
	v_exp_f32_e32 v8, v8
	s_waitcnt_depctr 0xfff
	v_ldexp_f32 v8, v8, v12
	s_delay_alu instid0(VALU_DEP_1) | instskip(SKIP_1) | instid1(VALU_DEP_2)
	v_cndmask_b32_e32 v8, 0, v8, vcc_lo
	v_cmp_nlt_f32_e32 vcc_lo, 0x42b17218, v99
	v_cndmask_b32_e32 v8, 0x7f800000, v8, vcc_lo
	s_delay_alu instid0(VALU_DEP_1) | instskip(NEXT) | instid1(VALU_DEP_1)
	v_add_f32_e32 v14, 1.0, v8
	v_cvt_f64_f32_e32 v[12:13], v14
	s_delay_alu instid0(VALU_DEP_1) | instskip(SKIP_1) | instid1(VALU_DEP_1)
	v_frexp_exp_i32_f64_e32 v12, v[12:13]
	v_frexp_mant_f32_e32 v13, v14
	v_cmp_gt_f32_e32 vcc_lo, 0x3f2aaaab, v13
	v_add_f32_e32 v13, -1.0, v14
	s_delay_alu instid0(VALU_DEP_1) | instskip(NEXT) | instid1(VALU_DEP_1)
	v_sub_f32_e32 v17, v13, v14
	v_add_f32_e32 v17, 1.0, v17
	v_subrev_co_ci_u32_e32 v12, vcc_lo, 0, v12, vcc_lo
	s_delay_alu instid0(VALU_DEP_1) | instskip(SKIP_1) | instid1(VALU_DEP_2)
	v_sub_nc_u32_e32 v15, 0, v12
	v_cvt_f32_i32_e32 v12, v12
	v_ldexp_f32 v14, v14, v15
	s_delay_alu instid0(VALU_DEP_1) | instskip(SKIP_3) | instid1(VALU_DEP_3)
	v_add_f32_e32 v99, 1.0, v14
	v_sub_f32_e32 v13, v8, v13
	v_cmp_eq_f32_e32 vcc_lo, 0x7f800000, v8
	v_cmp_gt_f32_e64 s28, 0x33800000, v8
	v_add_f32_e32 v13, v13, v17
	s_delay_alu instid0(VALU_DEP_2) | instskip(NEXT) | instid1(VALU_DEP_1)
	s_or_b32 vcc_lo, s28, vcc_lo
	v_ldexp_f32 v13, v13, v15
	v_add_f32_e32 v15, -1.0, v14
	s_delay_alu instid0(VALU_DEP_1) | instskip(SKIP_1) | instid1(VALU_DEP_1)
	v_add_f32_e32 v100, 1.0, v15
	v_add_f32_e32 v17, -1.0, v99
	v_sub_f32_e32 v17, v14, v17
	s_delay_alu instid0(VALU_DEP_1) | instskip(NEXT) | instid1(VALU_DEP_1)
	v_dual_sub_f32 v14, v14, v100 :: v_dual_add_f32 v17, v13, v17
	v_add_f32_e32 v100, v99, v17
	s_delay_alu instid0(VALU_DEP_1) | instskip(NEXT) | instid1(VALU_DEP_1)
	v_sub_f32_e32 v99, v99, v100
	v_add_f32_e32 v17, v17, v99
	s_delay_alu instid0(VALU_DEP_4) | instskip(SKIP_1) | instid1(VALU_DEP_1)
	v_add_f32_e32 v13, v13, v14
	v_rcp_f32_e32 v14, v100
	v_add_f32_e32 v101, v15, v13
	s_waitcnt_depctr 0xfff
	v_dual_sub_f32 v15, v15, v101 :: v_dual_mul_f32 v102, v101, v14
	s_delay_alu instid0(VALU_DEP_1) | instskip(NEXT) | instid1(VALU_DEP_2)
	v_add_f32_e32 v13, v13, v15
	v_mul_f32_e32 v103, v100, v102
	s_delay_alu instid0(VALU_DEP_1) | instskip(NEXT) | instid1(VALU_DEP_1)
	v_fma_f32 v99, v102, v100, -v103
	v_fmac_f32_e32 v99, v102, v17
	s_delay_alu instid0(VALU_DEP_1) | instskip(NEXT) | instid1(VALU_DEP_1)
	v_add_f32_e32 v104, v103, v99
	v_sub_f32_e32 v105, v101, v104
	v_sub_f32_e32 v15, v104, v103
	s_delay_alu instid0(VALU_DEP_2) | instskip(NEXT) | instid1(VALU_DEP_2)
	v_sub_f32_e32 v101, v101, v105
	v_sub_f32_e32 v15, v15, v99
	s_delay_alu instid0(VALU_DEP_2) | instskip(NEXT) | instid1(VALU_DEP_1)
	v_sub_f32_e32 v101, v101, v104
	v_add_f32_e32 v13, v13, v101
	s_delay_alu instid0(VALU_DEP_1) | instskip(NEXT) | instid1(VALU_DEP_1)
	v_add_f32_e32 v13, v15, v13
	v_add_f32_e32 v15, v105, v13
	s_delay_alu instid0(VALU_DEP_1) | instskip(SKIP_1) | instid1(VALU_DEP_2)
	v_mul_f32_e32 v99, v14, v15
	v_sub_f32_e32 v104, v105, v15
	v_mul_f32_e32 v101, v100, v99
	s_delay_alu instid0(VALU_DEP_2) | instskip(NEXT) | instid1(VALU_DEP_2)
	v_add_f32_e32 v13, v13, v104
	v_fma_f32 v100, v99, v100, -v101
	s_delay_alu instid0(VALU_DEP_1) | instskip(NEXT) | instid1(VALU_DEP_1)
	v_fmac_f32_e32 v100, v99, v17
	v_add_f32_e32 v17, v101, v100
	s_delay_alu instid0(VALU_DEP_1) | instskip(SKIP_1) | instid1(VALU_DEP_2)
	v_sub_f32_e32 v103, v15, v17
	v_sub_f32_e32 v101, v17, v101
	;; [unrolled: 1-line block ×3, first 2 shown]
	s_delay_alu instid0(VALU_DEP_1) | instskip(NEXT) | instid1(VALU_DEP_3)
	v_sub_f32_e32 v15, v15, v17
	v_sub_f32_e32 v17, v101, v100
	s_delay_alu instid0(VALU_DEP_2) | instskip(SKIP_1) | instid1(VALU_DEP_2)
	v_add_f32_e32 v13, v13, v15
	v_add_f32_e32 v15, v102, v99
	v_add_f32_e32 v13, v17, v13
	s_delay_alu instid0(VALU_DEP_2) | instskip(NEXT) | instid1(VALU_DEP_2)
	v_sub_f32_e32 v17, v15, v102
	v_add_f32_e32 v13, v103, v13
	s_delay_alu instid0(VALU_DEP_2) | instskip(NEXT) | instid1(VALU_DEP_2)
	v_sub_f32_e32 v17, v99, v17
	v_mul_f32_e32 v13, v14, v13
	s_delay_alu instid0(VALU_DEP_1) | instskip(NEXT) | instid1(VALU_DEP_1)
	v_add_f32_e32 v13, v17, v13
	v_add_f32_e32 v14, v15, v13
	s_delay_alu instid0(VALU_DEP_1) | instskip(NEXT) | instid1(VALU_DEP_1)
	v_mul_f32_e32 v17, v14, v14
	v_fmaak_f32 v99, s83, v17, 0x3ecc95a3
	s_delay_alu instid0(VALU_DEP_1) | instskip(SKIP_1) | instid1(VALU_DEP_2)
	v_dual_mul_f32 v100, v14, v17 :: v_dual_fmaak_f32 v17, v17, v99, 0x3f2aaada
	v_ldexp_f32 v99, v14, 1
	v_dual_sub_f32 v14, v14, v15 :: v_dual_mul_f32 v17, v100, v17
	s_delay_alu instid0(VALU_DEP_1) | instskip(NEXT) | instid1(VALU_DEP_2)
	v_dual_mul_f32 v100, 0x3f317218, v12 :: v_dual_sub_f32 v13, v13, v14
	v_add_f32_e32 v15, v99, v17
	s_delay_alu instid0(VALU_DEP_2) | instskip(NEXT) | instid1(VALU_DEP_2)
	v_ldexp_f32 v13, v13, 1
	v_sub_f32_e32 v14, v15, v99
	s_delay_alu instid0(VALU_DEP_4) | instskip(NEXT) | instid1(VALU_DEP_1)
	v_fma_f32 v99, 0x3f317218, v12, -v100
	v_dual_sub_f32 v14, v17, v14 :: v_dual_fmac_f32 v99, 0xb102e308, v12
	s_delay_alu instid0(VALU_DEP_1) | instskip(NEXT) | instid1(VALU_DEP_1)
	v_dual_add_f32 v12, v13, v14 :: v_dual_add_f32 v13, v100, v99
	v_add_f32_e32 v14, v15, v12
	s_delay_alu instid0(VALU_DEP_2) | instskip(NEXT) | instid1(VALU_DEP_2)
	v_sub_f32_e32 v100, v13, v100
	v_add_f32_e32 v17, v13, v14
	v_sub_f32_e32 v15, v14, v15
	s_delay_alu instid0(VALU_DEP_3) | instskip(NEXT) | instid1(VALU_DEP_2)
	v_sub_f32_e32 v99, v99, v100
	v_dual_sub_f32 v101, v17, v13 :: v_dual_sub_f32 v12, v12, v15
	s_delay_alu instid0(VALU_DEP_1) | instskip(NEXT) | instid1(VALU_DEP_2)
	v_sub_f32_e32 v102, v17, v101
	v_dual_sub_f32 v14, v14, v101 :: v_dual_add_f32 v15, v99, v12
	s_delay_alu instid0(VALU_DEP_2) | instskip(NEXT) | instid1(VALU_DEP_1)
	v_sub_f32_e32 v13, v13, v102
	v_dual_add_f32 v13, v14, v13 :: v_dual_sub_f32 v14, v15, v99
	s_delay_alu instid0(VALU_DEP_1) | instskip(NEXT) | instid1(VALU_DEP_2)
	v_add_f32_e32 v13, v15, v13
	v_sub_f32_e32 v15, v15, v14
	v_sub_f32_e32 v12, v12, v14
	s_delay_alu instid0(VALU_DEP_2) | instskip(NEXT) | instid1(VALU_DEP_1)
	v_dual_add_f32 v100, v17, v13 :: v_dual_sub_f32 v15, v99, v15
	v_sub_f32_e32 v14, v100, v17
	s_delay_alu instid0(VALU_DEP_1) | instskip(NEXT) | instid1(VALU_DEP_1)
	v_dual_add_f32 v12, v12, v15 :: v_dual_sub_f32 v13, v13, v14
	v_add_f32_e32 v12, v12, v13
	s_delay_alu instid0(VALU_DEP_1) | instskip(NEXT) | instid1(VALU_DEP_1)
	v_add_f32_e32 v12, v100, v12
	v_cndmask_b32_e32 v99, v12, v8, vcc_lo
.LBB23_94:                              ;   in Loop: Header=BB23_12 Depth=1
	s_or_b32 exec_lo, exec_lo, s29
	v_lshlrev_b32_e32 v8, 16, v9
	s_delay_alu instid0(VALU_DEP_1) | instskip(NEXT) | instid1(VALU_DEP_1)
	v_add_f32_e32 v100, s68, v8
	v_cmp_ge_f32_e32 vcc_lo, 0x41a00000, v100
	s_and_b32 s28, s79, vcc_lo
	s_delay_alu instid0(SALU_CYCLE_1)
	s_and_saveexec_b32 s29, s28
	s_cbranch_execz .LBB23_96
; %bb.95:                               ;   in Loop: Header=BB23_12 Depth=1
	v_mul_f32_e32 v8, 0x3fb8aa3b, v100
	v_cmp_ngt_f32_e32 vcc_lo, 0xc2ce8ed0, v100
	s_delay_alu instid0(VALU_DEP_2) | instskip(SKIP_1) | instid1(VALU_DEP_2)
	v_rndne_f32_e32 v12, v8
	v_fma_f32 v13, 0x3fb8aa3b, v100, -v8
	v_sub_f32_e32 v8, v8, v12
	s_delay_alu instid0(VALU_DEP_2) | instskip(SKIP_1) | instid1(VALU_DEP_2)
	v_fmac_f32_e32 v13, 0x32a5705f, v100
	v_cvt_i32_f32_e32 v12, v12
	v_add_f32_e32 v8, v8, v13
	s_delay_alu instid0(VALU_DEP_1) | instskip(SKIP_2) | instid1(VALU_DEP_1)
	v_exp_f32_e32 v8, v8
	s_waitcnt_depctr 0xfff
	v_ldexp_f32 v8, v8, v12
	v_cndmask_b32_e32 v8, 0, v8, vcc_lo
	v_cmp_nlt_f32_e32 vcc_lo, 0x42b17218, v100
	s_delay_alu instid0(VALU_DEP_2) | instskip(NEXT) | instid1(VALU_DEP_1)
	v_cndmask_b32_e32 v8, 0x7f800000, v8, vcc_lo
	v_add_f32_e32 v14, 1.0, v8
	s_delay_alu instid0(VALU_DEP_1) | instskip(NEXT) | instid1(VALU_DEP_1)
	v_cvt_f64_f32_e32 v[12:13], v14
	v_frexp_exp_i32_f64_e32 v12, v[12:13]
	v_frexp_mant_f32_e32 v13, v14
	s_delay_alu instid0(VALU_DEP_1) | instskip(SKIP_1) | instid1(VALU_DEP_1)
	v_cmp_gt_f32_e32 vcc_lo, 0x3f2aaaab, v13
	v_add_f32_e32 v13, -1.0, v14
	v_sub_f32_e32 v17, v13, v14
	v_sub_f32_e32 v13, v8, v13
	s_delay_alu instid0(VALU_DEP_2) | instskip(NEXT) | instid1(VALU_DEP_1)
	v_add_f32_e32 v17, 1.0, v17
	v_add_f32_e32 v13, v13, v17
	v_cmp_gt_f32_e64 s28, 0x33800000, v8
	v_subrev_co_ci_u32_e32 v12, vcc_lo, 0, v12, vcc_lo
	v_cmp_eq_f32_e32 vcc_lo, 0x7f800000, v8
	s_delay_alu instid0(VALU_DEP_2) | instskip(SKIP_2) | instid1(VALU_DEP_2)
	v_sub_nc_u32_e32 v15, 0, v12
	v_cvt_f32_i32_e32 v12, v12
	s_or_b32 vcc_lo, s28, vcc_lo
	v_ldexp_f32 v14, v14, v15
	v_ldexp_f32 v13, v13, v15
	s_delay_alu instid0(VALU_DEP_2) | instskip(SKIP_1) | instid1(VALU_DEP_2)
	v_add_f32_e32 v100, 1.0, v14
	v_add_f32_e32 v15, -1.0, v14
	v_add_f32_e32 v17, -1.0, v100
	s_delay_alu instid0(VALU_DEP_2) | instskip(NEXT) | instid1(VALU_DEP_2)
	v_add_f32_e32 v101, 1.0, v15
	v_sub_f32_e32 v17, v14, v17
	s_delay_alu instid0(VALU_DEP_2) | instskip(NEXT) | instid1(VALU_DEP_2)
	v_sub_f32_e32 v14, v14, v101
	v_add_f32_e32 v17, v13, v17
	s_delay_alu instid0(VALU_DEP_1) | instskip(NEXT) | instid1(VALU_DEP_1)
	v_add_f32_e32 v101, v100, v17
	v_dual_add_f32 v13, v13, v14 :: v_dual_sub_f32 v100, v100, v101
	v_rcp_f32_e32 v14, v101
	s_delay_alu instid0(VALU_DEP_1) | instskip(NEXT) | instid1(VALU_DEP_1)
	v_dual_add_f32 v102, v15, v13 :: v_dual_add_f32 v17, v17, v100
	v_sub_f32_e32 v15, v15, v102
	s_waitcnt_depctr 0xfff
	v_mul_f32_e32 v103, v102, v14
	v_add_f32_e32 v13, v13, v15
	s_delay_alu instid0(VALU_DEP_2) | instskip(NEXT) | instid1(VALU_DEP_1)
	v_mul_f32_e32 v104, v101, v103
	v_fma_f32 v100, v103, v101, -v104
	s_delay_alu instid0(VALU_DEP_1) | instskip(NEXT) | instid1(VALU_DEP_1)
	v_fmac_f32_e32 v100, v103, v17
	v_add_f32_e32 v105, v104, v100
	s_delay_alu instid0(VALU_DEP_1) | instskip(NEXT) | instid1(VALU_DEP_1)
	v_dual_sub_f32 v106, v102, v105 :: v_dual_sub_f32 v15, v105, v104
	v_dual_sub_f32 v102, v102, v106 :: v_dual_sub_f32 v15, v15, v100
	s_delay_alu instid0(VALU_DEP_1) | instskip(NEXT) | instid1(VALU_DEP_1)
	v_sub_f32_e32 v102, v102, v105
	v_add_f32_e32 v13, v13, v102
	s_delay_alu instid0(VALU_DEP_1) | instskip(NEXT) | instid1(VALU_DEP_1)
	v_add_f32_e32 v13, v15, v13
	v_add_f32_e32 v15, v106, v13
	s_delay_alu instid0(VALU_DEP_1) | instskip(NEXT) | instid1(VALU_DEP_1)
	v_mul_f32_e32 v100, v14, v15
	v_dual_sub_f32 v105, v106, v15 :: v_dual_mul_f32 v102, v101, v100
	s_delay_alu instid0(VALU_DEP_1) | instskip(NEXT) | instid1(VALU_DEP_2)
	v_add_f32_e32 v13, v13, v105
	v_fma_f32 v101, v100, v101, -v102
	s_delay_alu instid0(VALU_DEP_1) | instskip(NEXT) | instid1(VALU_DEP_1)
	v_fmac_f32_e32 v101, v100, v17
	v_add_f32_e32 v17, v102, v101
	s_delay_alu instid0(VALU_DEP_1) | instskip(NEXT) | instid1(VALU_DEP_1)
	v_sub_f32_e32 v104, v15, v17
	v_dual_sub_f32 v102, v17, v102 :: v_dual_sub_f32 v15, v15, v104
	s_delay_alu instid0(VALU_DEP_1) | instskip(NEXT) | instid1(VALU_DEP_2)
	v_sub_f32_e32 v15, v15, v17
	v_sub_f32_e32 v17, v102, v101
	s_delay_alu instid0(VALU_DEP_2) | instskip(SKIP_1) | instid1(VALU_DEP_2)
	v_add_f32_e32 v13, v13, v15
	v_add_f32_e32 v15, v103, v100
	;; [unrolled: 1-line block ×3, first 2 shown]
	s_delay_alu instid0(VALU_DEP_2) | instskip(NEXT) | instid1(VALU_DEP_2)
	v_sub_f32_e32 v17, v15, v103
	v_add_f32_e32 v13, v104, v13
	s_delay_alu instid0(VALU_DEP_2) | instskip(NEXT) | instid1(VALU_DEP_2)
	v_sub_f32_e32 v17, v100, v17
	v_mul_f32_e32 v13, v14, v13
	s_delay_alu instid0(VALU_DEP_1) | instskip(NEXT) | instid1(VALU_DEP_1)
	v_add_f32_e32 v13, v17, v13
	v_add_f32_e32 v14, v15, v13
	s_delay_alu instid0(VALU_DEP_1) | instskip(NEXT) | instid1(VALU_DEP_1)
	v_mul_f32_e32 v17, v14, v14
	v_fmaak_f32 v100, s83, v17, 0x3ecc95a3
	v_mul_f32_e32 v101, v14, v17
	s_delay_alu instid0(VALU_DEP_2) | instskip(SKIP_1) | instid1(VALU_DEP_2)
	v_fmaak_f32 v17, v17, v100, 0x3f2aaada
	v_ldexp_f32 v100, v14, 1
	v_dual_sub_f32 v14, v14, v15 :: v_dual_mul_f32 v17, v101, v17
	v_mul_f32_e32 v101, 0x3f317218, v12
	s_delay_alu instid0(VALU_DEP_2) | instskip(NEXT) | instid1(VALU_DEP_3)
	v_sub_f32_e32 v13, v13, v14
	v_add_f32_e32 v15, v100, v17
	s_delay_alu instid0(VALU_DEP_2) | instskip(NEXT) | instid1(VALU_DEP_2)
	v_ldexp_f32 v13, v13, 1
	v_sub_f32_e32 v14, v15, v100
	v_fma_f32 v100, 0x3f317218, v12, -v101
	s_delay_alu instid0(VALU_DEP_2) | instskip(NEXT) | instid1(VALU_DEP_2)
	v_sub_f32_e32 v14, v17, v14
	v_fmac_f32_e32 v100, 0xb102e308, v12
	s_delay_alu instid0(VALU_DEP_2) | instskip(NEXT) | instid1(VALU_DEP_2)
	v_add_f32_e32 v12, v13, v14
	v_add_f32_e32 v13, v101, v100
	s_delay_alu instid0(VALU_DEP_1) | instskip(NEXT) | instid1(VALU_DEP_1)
	v_dual_add_f32 v14, v15, v12 :: v_dual_sub_f32 v101, v13, v101
	v_add_f32_e32 v17, v13, v14
	s_delay_alu instid0(VALU_DEP_2) | instskip(NEXT) | instid1(VALU_DEP_2)
	v_dual_sub_f32 v15, v14, v15 :: v_dual_sub_f32 v100, v100, v101
	v_sub_f32_e32 v102, v17, v13
	s_delay_alu instid0(VALU_DEP_1) | instskip(NEXT) | instid1(VALU_DEP_1)
	v_dual_sub_f32 v12, v12, v15 :: v_dual_sub_f32 v103, v17, v102
	v_dual_sub_f32 v14, v14, v102 :: v_dual_add_f32 v15, v100, v12
	s_delay_alu instid0(VALU_DEP_2) | instskip(NEXT) | instid1(VALU_DEP_1)
	v_sub_f32_e32 v13, v13, v103
	v_dual_add_f32 v13, v14, v13 :: v_dual_sub_f32 v14, v15, v100
	s_delay_alu instid0(VALU_DEP_1) | instskip(NEXT) | instid1(VALU_DEP_2)
	v_add_f32_e32 v13, v15, v13
	v_sub_f32_e32 v15, v15, v14
	s_delay_alu instid0(VALU_DEP_2) | instskip(NEXT) | instid1(VALU_DEP_1)
	v_dual_sub_f32 v12, v12, v14 :: v_dual_add_f32 v101, v17, v13
	v_dual_sub_f32 v15, v100, v15 :: v_dual_sub_f32 v14, v101, v17
	s_delay_alu instid0(VALU_DEP_1) | instskip(NEXT) | instid1(VALU_DEP_1)
	v_dual_add_f32 v12, v12, v15 :: v_dual_sub_f32 v13, v13, v14
	v_add_f32_e32 v12, v12, v13
	s_delay_alu instid0(VALU_DEP_1) | instskip(NEXT) | instid1(VALU_DEP_1)
	v_add_f32_e32 v12, v101, v12
	v_cndmask_b32_e32 v100, v12, v8, vcc_lo
.LBB23_96:                              ;   in Loop: Header=BB23_12 Depth=1
	s_or_b32 exec_lo, exec_lo, s29
	v_and_b32_e32 v8, 0xffff0000, v9
	s_delay_alu instid0(VALU_DEP_1) | instskip(NEXT) | instid1(VALU_DEP_1)
	v_add_f32_e32 v101, s68, v8
	v_cmp_ge_f32_e32 vcc_lo, 0x41a00000, v101
	s_and_b32 s28, s79, vcc_lo
	s_delay_alu instid0(SALU_CYCLE_1)
	s_and_saveexec_b32 s29, s28
	s_cbranch_execz .LBB23_98
; %bb.97:                               ;   in Loop: Header=BB23_12 Depth=1
	v_mul_f32_e32 v8, 0x3fb8aa3b, v101
	v_cmp_ngt_f32_e32 vcc_lo, 0xc2ce8ed0, v101
	s_delay_alu instid0(VALU_DEP_2) | instskip(SKIP_1) | instid1(VALU_DEP_2)
	v_rndne_f32_e32 v9, v8
	v_fma_f32 v12, 0x3fb8aa3b, v101, -v8
	v_sub_f32_e32 v8, v8, v9
	s_delay_alu instid0(VALU_DEP_2) | instskip(SKIP_1) | instid1(VALU_DEP_2)
	v_fmac_f32_e32 v12, 0x32a5705f, v101
	v_cvt_i32_f32_e32 v9, v9
	v_add_f32_e32 v8, v8, v12
	s_delay_alu instid0(VALU_DEP_1) | instskip(SKIP_2) | instid1(VALU_DEP_1)
	v_exp_f32_e32 v8, v8
	s_waitcnt_depctr 0xfff
	v_ldexp_f32 v8, v8, v9
	v_cndmask_b32_e32 v8, 0, v8, vcc_lo
	v_cmp_nlt_f32_e32 vcc_lo, 0x42b17218, v101
	s_delay_alu instid0(VALU_DEP_2) | instskip(NEXT) | instid1(VALU_DEP_1)
	v_cndmask_b32_e32 v12, 0x7f800000, v8, vcc_lo
	v_add_f32_e32 v13, 1.0, v12
	s_delay_alu instid0(VALU_DEP_1) | instskip(NEXT) | instid1(VALU_DEP_1)
	v_cvt_f64_f32_e32 v[8:9], v13
	v_frexp_exp_i32_f64_e32 v8, v[8:9]
	v_frexp_mant_f32_e32 v9, v13
	s_delay_alu instid0(VALU_DEP_1) | instskip(SKIP_1) | instid1(VALU_DEP_1)
	v_cmp_gt_f32_e32 vcc_lo, 0x3f2aaaab, v9
	v_add_f32_e32 v9, -1.0, v13
	v_sub_f32_e32 v15, v9, v13
	s_delay_alu instid0(VALU_DEP_1) | instskip(SKIP_1) | instid1(VALU_DEP_1)
	v_add_f32_e32 v15, 1.0, v15
	v_subrev_co_ci_u32_e32 v8, vcc_lo, 0, v8, vcc_lo
	v_sub_nc_u32_e32 v14, 0, v8
	v_cvt_f32_i32_e32 v8, v8
	s_delay_alu instid0(VALU_DEP_2) | instskip(NEXT) | instid1(VALU_DEP_1)
	v_ldexp_f32 v13, v13, v14
	v_add_f32_e32 v17, 1.0, v13
	v_sub_f32_e32 v9, v12, v9
	v_cmp_eq_f32_e32 vcc_lo, 0x7f800000, v12
	v_cmp_gt_f32_e64 s28, 0x33800000, v12
	s_delay_alu instid0(VALU_DEP_3) | instskip(NEXT) | instid1(VALU_DEP_2)
	v_add_f32_e32 v9, v9, v15
	s_or_b32 vcc_lo, s28, vcc_lo
	s_delay_alu instid0(VALU_DEP_1) | instskip(SKIP_2) | instid1(VALU_DEP_1)
	v_ldexp_f32 v9, v9, v14
	v_add_f32_e32 v14, -1.0, v13
	v_add_f32_e32 v15, -1.0, v17
	v_sub_f32_e32 v15, v13, v15
	s_delay_alu instid0(VALU_DEP_3) | instskip(NEXT) | instid1(VALU_DEP_2)
	v_add_f32_e32 v101, 1.0, v14
	v_add_f32_e32 v15, v9, v15
	s_delay_alu instid0(VALU_DEP_2) | instskip(NEXT) | instid1(VALU_DEP_2)
	v_sub_f32_e32 v13, v13, v101
	v_add_f32_e32 v101, v17, v15
	s_delay_alu instid0(VALU_DEP_2) | instskip(NEXT) | instid1(VALU_DEP_2)
	v_add_f32_e32 v9, v9, v13
	v_rcp_f32_e32 v13, v101
	s_delay_alu instid0(VALU_DEP_1) | instskip(NEXT) | instid1(VALU_DEP_1)
	v_add_f32_e32 v102, v14, v9
	v_dual_sub_f32 v17, v17, v101 :: v_dual_sub_f32 v14, v14, v102
	s_delay_alu instid0(VALU_DEP_1) | instskip(SKIP_2) | instid1(VALU_DEP_1)
	v_add_f32_e32 v15, v15, v17
	s_waitcnt_depctr 0xfff
	v_mul_f32_e32 v103, v102, v13
	v_mul_f32_e32 v104, v101, v103
	s_delay_alu instid0(VALU_DEP_1) | instskip(NEXT) | instid1(VALU_DEP_1)
	v_fma_f32 v17, v103, v101, -v104
	v_fmac_f32_e32 v17, v103, v15
	v_add_f32_e32 v9, v9, v14
	s_delay_alu instid0(VALU_DEP_2) | instskip(NEXT) | instid1(VALU_DEP_1)
	v_add_f32_e32 v105, v104, v17
	v_sub_f32_e32 v106, v102, v105
	v_sub_f32_e32 v14, v105, v104
	s_delay_alu instid0(VALU_DEP_2) | instskip(NEXT) | instid1(VALU_DEP_2)
	v_sub_f32_e32 v102, v102, v106
	v_sub_f32_e32 v14, v14, v17
	s_delay_alu instid0(VALU_DEP_2) | instskip(NEXT) | instid1(VALU_DEP_1)
	v_sub_f32_e32 v102, v102, v105
	v_add_f32_e32 v9, v9, v102
	s_delay_alu instid0(VALU_DEP_1) | instskip(NEXT) | instid1(VALU_DEP_1)
	v_add_f32_e32 v9, v14, v9
	v_add_f32_e32 v14, v106, v9
	s_delay_alu instid0(VALU_DEP_1) | instskip(NEXT) | instid1(VALU_DEP_1)
	v_mul_f32_e32 v17, v13, v14
	v_dual_sub_f32 v105, v106, v14 :: v_dual_mul_f32 v102, v101, v17
	s_delay_alu instid0(VALU_DEP_1) | instskip(NEXT) | instid1(VALU_DEP_2)
	v_add_f32_e32 v9, v9, v105
	v_fma_f32 v101, v17, v101, -v102
	s_delay_alu instid0(VALU_DEP_1) | instskip(NEXT) | instid1(VALU_DEP_1)
	v_fmac_f32_e32 v101, v17, v15
	v_add_f32_e32 v15, v102, v101
	s_delay_alu instid0(VALU_DEP_1) | instskip(SKIP_1) | instid1(VALU_DEP_2)
	v_sub_f32_e32 v104, v14, v15
	v_sub_f32_e32 v102, v15, v102
	;; [unrolled: 1-line block ×3, first 2 shown]
	s_delay_alu instid0(VALU_DEP_1) | instskip(NEXT) | instid1(VALU_DEP_1)
	v_sub_f32_e32 v14, v14, v15
	v_dual_add_f32 v9, v9, v14 :: v_dual_add_f32 v14, v103, v17
	s_delay_alu instid0(VALU_DEP_4) | instskip(NEXT) | instid1(VALU_DEP_1)
	v_sub_f32_e32 v15, v102, v101
	v_add_f32_e32 v9, v15, v9
	s_delay_alu instid0(VALU_DEP_3) | instskip(NEXT) | instid1(VALU_DEP_2)
	v_sub_f32_e32 v15, v14, v103
	v_add_f32_e32 v9, v104, v9
	s_delay_alu instid0(VALU_DEP_2) | instskip(NEXT) | instid1(VALU_DEP_2)
	v_sub_f32_e32 v15, v17, v15
	v_mul_f32_e32 v9, v13, v9
	s_delay_alu instid0(VALU_DEP_1) | instskip(NEXT) | instid1(VALU_DEP_1)
	v_add_f32_e32 v9, v15, v9
	v_add_f32_e32 v13, v14, v9
	s_delay_alu instid0(VALU_DEP_1) | instskip(NEXT) | instid1(VALU_DEP_1)
	v_mul_f32_e32 v15, v13, v13
	v_fmaak_f32 v17, s83, v15, 0x3ecc95a3
	v_mul_f32_e32 v101, v13, v15
	s_delay_alu instid0(VALU_DEP_2) | instskip(SKIP_2) | instid1(VALU_DEP_3)
	v_fmaak_f32 v15, v15, v17, 0x3f2aaada
	v_ldexp_f32 v17, v13, 1
	v_sub_f32_e32 v13, v13, v14
	v_mul_f32_e32 v15, v101, v15
	v_mul_f32_e32 v101, 0x3f317218, v8
	s_delay_alu instid0(VALU_DEP_3) | instskip(NEXT) | instid1(VALU_DEP_3)
	v_sub_f32_e32 v9, v9, v13
	v_add_f32_e32 v14, v17, v15
	s_delay_alu instid0(VALU_DEP_2) | instskip(NEXT) | instid1(VALU_DEP_2)
	v_ldexp_f32 v9, v9, 1
	v_sub_f32_e32 v13, v14, v17
	v_fma_f32 v17, 0x3f317218, v8, -v101
	s_delay_alu instid0(VALU_DEP_2) | instskip(NEXT) | instid1(VALU_DEP_1)
	v_sub_f32_e32 v13, v15, v13
	v_dual_fmac_f32 v17, 0xb102e308, v8 :: v_dual_add_f32 v8, v9, v13
	s_delay_alu instid0(VALU_DEP_1) | instskip(NEXT) | instid1(VALU_DEP_2)
	v_add_f32_e32 v9, v101, v17
	v_add_f32_e32 v13, v14, v8
	s_delay_alu instid0(VALU_DEP_2) | instskip(NEXT) | instid1(VALU_DEP_2)
	v_sub_f32_e32 v101, v9, v101
	v_add_f32_e32 v15, v9, v13
	v_sub_f32_e32 v14, v13, v14
	s_delay_alu instid0(VALU_DEP_3) | instskip(NEXT) | instid1(VALU_DEP_3)
	v_sub_f32_e32 v17, v17, v101
	v_sub_f32_e32 v102, v15, v9
	s_delay_alu instid0(VALU_DEP_3) | instskip(NEXT) | instid1(VALU_DEP_2)
	v_sub_f32_e32 v8, v8, v14
	v_sub_f32_e32 v103, v15, v102
	;; [unrolled: 1-line block ×3, first 2 shown]
	s_delay_alu instid0(VALU_DEP_3) | instskip(NEXT) | instid1(VALU_DEP_3)
	v_add_f32_e32 v14, v17, v8
	v_sub_f32_e32 v9, v9, v103
	s_delay_alu instid0(VALU_DEP_1) | instskip(NEXT) | instid1(VALU_DEP_3)
	v_add_f32_e32 v9, v13, v9
	v_sub_f32_e32 v13, v14, v17
	s_delay_alu instid0(VALU_DEP_2) | instskip(NEXT) | instid1(VALU_DEP_2)
	v_add_f32_e32 v9, v14, v9
	v_sub_f32_e32 v14, v14, v13
	v_sub_f32_e32 v8, v8, v13
	s_delay_alu instid0(VALU_DEP_2) | instskip(NEXT) | instid1(VALU_DEP_1)
	v_dual_add_f32 v101, v15, v9 :: v_dual_sub_f32 v14, v17, v14
	v_dual_sub_f32 v13, v101, v15 :: v_dual_add_f32 v8, v8, v14
	s_delay_alu instid0(VALU_DEP_1) | instskip(NEXT) | instid1(VALU_DEP_1)
	v_sub_f32_e32 v9, v9, v13
	v_add_f32_e32 v8, v8, v9
	s_delay_alu instid0(VALU_DEP_1) | instskip(NEXT) | instid1(VALU_DEP_1)
	v_add_f32_e32 v8, v101, v8
	v_cndmask_b32_e32 v101, v8, v12, vcc_lo
.LBB23_98:                              ;   in Loop: Header=BB23_12 Depth=1
	s_or_b32 exec_lo, exec_lo, s29
	v_lshlrev_b32_e32 v8, 16, v10
	s_delay_alu instid0(VALU_DEP_1) | instskip(NEXT) | instid1(VALU_DEP_1)
	v_add_f32_e32 v102, s68, v8
	v_cmp_ge_f32_e32 vcc_lo, 0x41a00000, v102
	s_and_b32 s28, s79, vcc_lo
	s_delay_alu instid0(SALU_CYCLE_1)
	s_and_saveexec_b32 s29, s28
	s_cbranch_execz .LBB23_100
; %bb.99:                               ;   in Loop: Header=BB23_12 Depth=1
	v_mul_f32_e32 v8, 0x3fb8aa3b, v102
	v_cmp_ngt_f32_e32 vcc_lo, 0xc2ce8ed0, v102
	s_delay_alu instid0(VALU_DEP_2) | instskip(SKIP_1) | instid1(VALU_DEP_2)
	v_rndne_f32_e32 v9, v8
	v_fma_f32 v12, 0x3fb8aa3b, v102, -v8
	v_sub_f32_e32 v8, v8, v9
	s_delay_alu instid0(VALU_DEP_2) | instskip(SKIP_1) | instid1(VALU_DEP_2)
	v_fmac_f32_e32 v12, 0x32a5705f, v102
	v_cvt_i32_f32_e32 v9, v9
	v_add_f32_e32 v8, v8, v12
	s_delay_alu instid0(VALU_DEP_1) | instskip(SKIP_2) | instid1(VALU_DEP_1)
	v_exp_f32_e32 v8, v8
	s_waitcnt_depctr 0xfff
	v_ldexp_f32 v8, v8, v9
	v_cndmask_b32_e32 v8, 0, v8, vcc_lo
	v_cmp_nlt_f32_e32 vcc_lo, 0x42b17218, v102
	s_delay_alu instid0(VALU_DEP_2) | instskip(NEXT) | instid1(VALU_DEP_1)
	v_cndmask_b32_e32 v12, 0x7f800000, v8, vcc_lo
	v_add_f32_e32 v13, 1.0, v12
	s_delay_alu instid0(VALU_DEP_1) | instskip(NEXT) | instid1(VALU_DEP_1)
	v_cvt_f64_f32_e32 v[8:9], v13
	v_frexp_exp_i32_f64_e32 v8, v[8:9]
	v_frexp_mant_f32_e32 v9, v13
	s_delay_alu instid0(VALU_DEP_1) | instskip(SKIP_1) | instid1(VALU_DEP_1)
	v_cmp_gt_f32_e32 vcc_lo, 0x3f2aaaab, v9
	v_add_f32_e32 v9, -1.0, v13
	v_sub_f32_e32 v15, v9, v13
	s_delay_alu instid0(VALU_DEP_1) | instskip(SKIP_1) | instid1(VALU_DEP_1)
	v_add_f32_e32 v15, 1.0, v15
	v_subrev_co_ci_u32_e32 v8, vcc_lo, 0, v8, vcc_lo
	v_sub_nc_u32_e32 v14, 0, v8
	v_cvt_f32_i32_e32 v8, v8
	s_delay_alu instid0(VALU_DEP_2) | instskip(NEXT) | instid1(VALU_DEP_1)
	v_ldexp_f32 v13, v13, v14
	v_add_f32_e32 v17, 1.0, v13
	v_sub_f32_e32 v9, v12, v9
	v_cmp_eq_f32_e32 vcc_lo, 0x7f800000, v12
	v_cmp_gt_f32_e64 s28, 0x33800000, v12
	s_delay_alu instid0(VALU_DEP_3) | instskip(NEXT) | instid1(VALU_DEP_2)
	v_add_f32_e32 v9, v9, v15
	s_or_b32 vcc_lo, s28, vcc_lo
	s_delay_alu instid0(VALU_DEP_1) | instskip(SKIP_1) | instid1(VALU_DEP_1)
	v_ldexp_f32 v9, v9, v14
	v_add_f32_e32 v14, -1.0, v13
	v_dual_add_f32 v15, -1.0, v17 :: v_dual_add_f32 v102, 1.0, v14
	s_delay_alu instid0(VALU_DEP_1) | instskip(NEXT) | instid1(VALU_DEP_2)
	v_sub_f32_e32 v15, v13, v15
	v_sub_f32_e32 v13, v13, v102
	s_delay_alu instid0(VALU_DEP_2) | instskip(NEXT) | instid1(VALU_DEP_2)
	v_add_f32_e32 v15, v9, v15
	v_add_f32_e32 v9, v9, v13
	s_delay_alu instid0(VALU_DEP_1) | instskip(NEXT) | instid1(VALU_DEP_1)
	v_dual_add_f32 v102, v17, v15 :: v_dual_add_f32 v103, v14, v9
	v_rcp_f32_e32 v13, v102
	s_delay_alu instid0(VALU_DEP_1) | instskip(NEXT) | instid1(VALU_DEP_1)
	v_dual_sub_f32 v17, v17, v102 :: v_dual_sub_f32 v14, v14, v103
	v_add_f32_e32 v15, v15, v17
	s_waitcnt_depctr 0xfff
	v_dual_add_f32 v9, v9, v14 :: v_dual_mul_f32 v104, v103, v13
	s_delay_alu instid0(VALU_DEP_1) | instskip(NEXT) | instid1(VALU_DEP_1)
	v_mul_f32_e32 v105, v102, v104
	v_fma_f32 v17, v104, v102, -v105
	s_delay_alu instid0(VALU_DEP_1) | instskip(NEXT) | instid1(VALU_DEP_1)
	v_fmac_f32_e32 v17, v104, v15
	v_add_f32_e32 v106, v105, v17
	s_delay_alu instid0(VALU_DEP_1) | instskip(NEXT) | instid1(VALU_DEP_1)
	v_sub_f32_e32 v107, v103, v106
	v_dual_sub_f32 v103, v103, v107 :: v_dual_sub_f32 v14, v106, v105
	s_delay_alu instid0(VALU_DEP_1) | instskip(NEXT) | instid1(VALU_DEP_1)
	v_dual_sub_f32 v103, v103, v106 :: v_dual_sub_f32 v14, v14, v17
	v_add_f32_e32 v9, v9, v103
	s_delay_alu instid0(VALU_DEP_1) | instskip(NEXT) | instid1(VALU_DEP_1)
	v_add_f32_e32 v9, v14, v9
	v_add_f32_e32 v14, v107, v9
	s_delay_alu instid0(VALU_DEP_1) | instskip(NEXT) | instid1(VALU_DEP_1)
	v_mul_f32_e32 v17, v13, v14
	v_dual_sub_f32 v106, v107, v14 :: v_dual_mul_f32 v103, v102, v17
	s_delay_alu instid0(VALU_DEP_1) | instskip(NEXT) | instid1(VALU_DEP_2)
	v_add_f32_e32 v9, v9, v106
	v_fma_f32 v102, v17, v102, -v103
	s_delay_alu instid0(VALU_DEP_1) | instskip(NEXT) | instid1(VALU_DEP_1)
	v_fmac_f32_e32 v102, v17, v15
	v_add_f32_e32 v15, v103, v102
	s_delay_alu instid0(VALU_DEP_1) | instskip(NEXT) | instid1(VALU_DEP_1)
	v_sub_f32_e32 v105, v14, v15
	v_dual_sub_f32 v103, v15, v103 :: v_dual_sub_f32 v14, v14, v105
	s_delay_alu instid0(VALU_DEP_1) | instskip(NEXT) | instid1(VALU_DEP_1)
	v_dual_sub_f32 v14, v14, v15 :: v_dual_sub_f32 v15, v103, v102
	v_dual_add_f32 v9, v9, v14 :: v_dual_add_f32 v14, v104, v17
	s_delay_alu instid0(VALU_DEP_1) | instskip(NEXT) | instid1(VALU_DEP_2)
	v_add_f32_e32 v9, v15, v9
	v_sub_f32_e32 v15, v14, v104
	s_delay_alu instid0(VALU_DEP_2) | instskip(NEXT) | instid1(VALU_DEP_2)
	v_add_f32_e32 v9, v105, v9
	v_sub_f32_e32 v15, v17, v15
	s_delay_alu instid0(VALU_DEP_2) | instskip(NEXT) | instid1(VALU_DEP_1)
	v_mul_f32_e32 v9, v13, v9
	v_add_f32_e32 v9, v15, v9
	s_delay_alu instid0(VALU_DEP_1) | instskip(NEXT) | instid1(VALU_DEP_1)
	v_add_f32_e32 v13, v14, v9
	v_mul_f32_e32 v15, v13, v13
	s_delay_alu instid0(VALU_DEP_1) | instskip(NEXT) | instid1(VALU_DEP_1)
	v_fmaak_f32 v17, s83, v15, 0x3ecc95a3
	v_dual_mul_f32 v102, v13, v15 :: v_dual_fmaak_f32 v15, v15, v17, 0x3f2aaada
	v_ldexp_f32 v17, v13, 1
	v_sub_f32_e32 v13, v13, v14
	s_delay_alu instid0(VALU_DEP_3) | instskip(NEXT) | instid1(VALU_DEP_2)
	v_dual_mul_f32 v15, v102, v15 :: v_dual_mul_f32 v102, 0x3f317218, v8
	v_sub_f32_e32 v9, v9, v13
	s_delay_alu instid0(VALU_DEP_2) | instskip(NEXT) | instid1(VALU_DEP_2)
	v_add_f32_e32 v14, v17, v15
	v_ldexp_f32 v9, v9, 1
	s_delay_alu instid0(VALU_DEP_2) | instskip(SKIP_1) | instid1(VALU_DEP_2)
	v_sub_f32_e32 v13, v14, v17
	v_fma_f32 v17, 0x3f317218, v8, -v102
	v_sub_f32_e32 v13, v15, v13
	s_delay_alu instid0(VALU_DEP_1) | instskip(NEXT) | instid1(VALU_DEP_1)
	v_dual_fmac_f32 v17, 0xb102e308, v8 :: v_dual_add_f32 v8, v9, v13
	v_add_f32_e32 v9, v102, v17
	s_delay_alu instid0(VALU_DEP_1) | instskip(NEXT) | instid1(VALU_DEP_1)
	v_dual_add_f32 v13, v14, v8 :: v_dual_sub_f32 v102, v9, v102
	v_add_f32_e32 v15, v9, v13
	v_sub_f32_e32 v14, v13, v14
	s_delay_alu instid0(VALU_DEP_3) | instskip(NEXT) | instid1(VALU_DEP_2)
	v_sub_f32_e32 v17, v17, v102
	v_dual_sub_f32 v103, v15, v9 :: v_dual_sub_f32 v8, v8, v14
	s_delay_alu instid0(VALU_DEP_1) | instskip(SKIP_1) | instid1(VALU_DEP_3)
	v_sub_f32_e32 v104, v15, v103
	v_sub_f32_e32 v13, v13, v103
	v_add_f32_e32 v14, v17, v8
	s_delay_alu instid0(VALU_DEP_3) | instskip(NEXT) | instid1(VALU_DEP_1)
	v_sub_f32_e32 v9, v9, v104
	v_add_f32_e32 v9, v13, v9
	s_delay_alu instid0(VALU_DEP_3) | instskip(NEXT) | instid1(VALU_DEP_2)
	v_sub_f32_e32 v13, v14, v17
	v_add_f32_e32 v9, v14, v9
	s_delay_alu instid0(VALU_DEP_2) | instskip(SKIP_1) | instid1(VALU_DEP_3)
	v_sub_f32_e32 v14, v14, v13
	v_sub_f32_e32 v8, v8, v13
	v_add_f32_e32 v102, v15, v9
	s_delay_alu instid0(VALU_DEP_1) | instskip(NEXT) | instid1(VALU_DEP_1)
	v_dual_sub_f32 v14, v17, v14 :: v_dual_sub_f32 v13, v102, v15
	v_dual_add_f32 v8, v8, v14 :: v_dual_sub_f32 v9, v9, v13
	s_delay_alu instid0(VALU_DEP_1) | instskip(NEXT) | instid1(VALU_DEP_1)
	v_add_f32_e32 v8, v8, v9
	v_add_f32_e32 v8, v102, v8
	s_delay_alu instid0(VALU_DEP_1)
	v_cndmask_b32_e32 v102, v8, v12, vcc_lo
.LBB23_100:                             ;   in Loop: Header=BB23_12 Depth=1
	s_or_b32 exec_lo, exec_lo, s29
	v_and_b32_e32 v8, 0xffff0000, v10
	s_delay_alu instid0(VALU_DEP_1) | instskip(NEXT) | instid1(VALU_DEP_1)
	v_add_f32_e32 v103, s68, v8
	v_cmp_ge_f32_e32 vcc_lo, 0x41a00000, v103
	s_and_b32 s28, s79, vcc_lo
	s_delay_alu instid0(SALU_CYCLE_1)
	s_and_saveexec_b32 s29, s28
	s_cbranch_execz .LBB23_102
; %bb.101:                              ;   in Loop: Header=BB23_12 Depth=1
	v_mul_f32_e32 v8, 0x3fb8aa3b, v103
	v_cmp_ngt_f32_e32 vcc_lo, 0xc2ce8ed0, v103
	s_delay_alu instid0(VALU_DEP_2) | instskip(SKIP_1) | instid1(VALU_DEP_2)
	v_rndne_f32_e32 v9, v8
	v_fma_f32 v10, 0x3fb8aa3b, v103, -v8
	v_sub_f32_e32 v8, v8, v9
	s_delay_alu instid0(VALU_DEP_2) | instskip(SKIP_1) | instid1(VALU_DEP_2)
	v_fmac_f32_e32 v10, 0x32a5705f, v103
	v_cvt_i32_f32_e32 v9, v9
	v_add_f32_e32 v8, v8, v10
	s_delay_alu instid0(VALU_DEP_1) | instskip(SKIP_2) | instid1(VALU_DEP_1)
	v_exp_f32_e32 v8, v8
	s_waitcnt_depctr 0xfff
	v_ldexp_f32 v8, v8, v9
	v_cndmask_b32_e32 v8, 0, v8, vcc_lo
	v_cmp_nlt_f32_e32 vcc_lo, 0x42b17218, v103
	s_delay_alu instid0(VALU_DEP_2) | instskip(NEXT) | instid1(VALU_DEP_1)
	v_cndmask_b32_e32 v10, 0x7f800000, v8, vcc_lo
	v_add_f32_e32 v12, 1.0, v10
	s_delay_alu instid0(VALU_DEP_1) | instskip(NEXT) | instid1(VALU_DEP_1)
	v_cvt_f64_f32_e32 v[8:9], v12
	v_frexp_exp_i32_f64_e32 v8, v[8:9]
	v_frexp_mant_f32_e32 v9, v12
	s_delay_alu instid0(VALU_DEP_1) | instskip(SKIP_1) | instid1(VALU_DEP_1)
	v_cmp_gt_f32_e32 vcc_lo, 0x3f2aaaab, v9
	v_add_f32_e32 v9, -1.0, v12
	v_dual_sub_f32 v14, v9, v12 :: v_dual_sub_f32 v9, v10, v9
	v_subrev_co_ci_u32_e32 v8, vcc_lo, 0, v8, vcc_lo
	s_delay_alu instid0(VALU_DEP_1) | instskip(SKIP_1) | instid1(VALU_DEP_2)
	v_sub_nc_u32_e32 v13, 0, v8
	v_cvt_f32_i32_e32 v8, v8
	v_ldexp_f32 v12, v12, v13
	s_delay_alu instid0(VALU_DEP_1) | instskip(NEXT) | instid1(VALU_DEP_1)
	v_dual_add_f32 v14, 1.0, v14 :: v_dual_add_f32 v15, 1.0, v12
	v_add_f32_e32 v9, v9, v14
	s_delay_alu instid0(VALU_DEP_1) | instskip(NEXT) | instid1(VALU_DEP_3)
	v_ldexp_f32 v9, v9, v13
	v_dual_add_f32 v13, -1.0, v12 :: v_dual_add_f32 v14, -1.0, v15
	s_delay_alu instid0(VALU_DEP_1) | instskip(NEXT) | instid1(VALU_DEP_1)
	v_dual_add_f32 v17, 1.0, v13 :: v_dual_sub_f32 v14, v12, v14
	v_sub_f32_e32 v12, v12, v17
	s_delay_alu instid0(VALU_DEP_2) | instskip(NEXT) | instid1(VALU_DEP_2)
	v_add_f32_e32 v14, v9, v14
	v_add_f32_e32 v9, v9, v12
	s_delay_alu instid0(VALU_DEP_2) | instskip(SKIP_2) | instid1(VALU_DEP_4)
	v_add_f32_e32 v17, v15, v14
	v_cmp_eq_f32_e32 vcc_lo, 0x7f800000, v10
	v_cmp_gt_f32_e64 s28, 0x33800000, v10
	v_add_f32_e32 v103, v13, v9
	s_delay_alu instid0(VALU_DEP_4) | instskip(SKIP_1) | instid1(VALU_DEP_3)
	v_rcp_f32_e32 v12, v17
	v_sub_f32_e32 v15, v15, v17
	s_or_b32 vcc_lo, s28, vcc_lo
	s_delay_alu instid0(VALU_DEP_2) | instskip(NEXT) | instid1(VALU_DEP_1)
	v_sub_f32_e32 v13, v13, v103
	v_dual_add_f32 v14, v14, v15 :: v_dual_add_f32 v9, v9, v13
	s_waitcnt_depctr 0xfff
	v_mul_f32_e32 v104, v103, v12
	s_delay_alu instid0(VALU_DEP_1) | instskip(NEXT) | instid1(VALU_DEP_1)
	v_mul_f32_e32 v105, v17, v104
	v_fma_f32 v15, v104, v17, -v105
	s_delay_alu instid0(VALU_DEP_1) | instskip(NEXT) | instid1(VALU_DEP_1)
	v_fmac_f32_e32 v15, v104, v14
	v_add_f32_e32 v106, v105, v15
	s_delay_alu instid0(VALU_DEP_1) | instskip(SKIP_1) | instid1(VALU_DEP_2)
	v_sub_f32_e32 v107, v103, v106
	v_sub_f32_e32 v13, v106, v105
	;; [unrolled: 1-line block ×3, first 2 shown]
	s_delay_alu instid0(VALU_DEP_2) | instskip(NEXT) | instid1(VALU_DEP_2)
	v_sub_f32_e32 v13, v13, v15
	v_sub_f32_e32 v103, v103, v106
	s_delay_alu instid0(VALU_DEP_1) | instskip(NEXT) | instid1(VALU_DEP_1)
	v_add_f32_e32 v9, v9, v103
	v_add_f32_e32 v9, v13, v9
	s_delay_alu instid0(VALU_DEP_1) | instskip(NEXT) | instid1(VALU_DEP_1)
	v_add_f32_e32 v13, v107, v9
	v_mul_f32_e32 v15, v12, v13
	s_delay_alu instid0(VALU_DEP_1) | instskip(NEXT) | instid1(VALU_DEP_1)
	v_dual_sub_f32 v106, v107, v13 :: v_dual_mul_f32 v103, v17, v15
	v_add_f32_e32 v9, v9, v106
	s_delay_alu instid0(VALU_DEP_2) | instskip(NEXT) | instid1(VALU_DEP_1)
	v_fma_f32 v17, v15, v17, -v103
	v_fmac_f32_e32 v17, v15, v14
	s_delay_alu instid0(VALU_DEP_1) | instskip(NEXT) | instid1(VALU_DEP_1)
	v_add_f32_e32 v14, v103, v17
	v_sub_f32_e32 v105, v13, v14
	v_sub_f32_e32 v103, v14, v103
	s_delay_alu instid0(VALU_DEP_2) | instskip(NEXT) | instid1(VALU_DEP_1)
	v_sub_f32_e32 v13, v13, v105
	v_dual_sub_f32 v13, v13, v14 :: v_dual_sub_f32 v14, v103, v17
	s_delay_alu instid0(VALU_DEP_1) | instskip(SKIP_1) | instid1(VALU_DEP_1)
	v_add_f32_e32 v9, v9, v13
	v_add_f32_e32 v13, v104, v15
	v_dual_add_f32 v9, v14, v9 :: v_dual_sub_f32 v14, v13, v104
	s_delay_alu instid0(VALU_DEP_1) | instskip(NEXT) | instid1(VALU_DEP_1)
	v_dual_add_f32 v9, v105, v9 :: v_dual_sub_f32 v14, v15, v14
	v_mul_f32_e32 v9, v12, v9
	s_delay_alu instid0(VALU_DEP_1) | instskip(NEXT) | instid1(VALU_DEP_1)
	v_add_f32_e32 v9, v14, v9
	v_add_f32_e32 v12, v13, v9
	s_delay_alu instid0(VALU_DEP_1) | instskip(NEXT) | instid1(VALU_DEP_1)
	v_mul_f32_e32 v14, v12, v12
	v_fmaak_f32 v15, s83, v14, 0x3ecc95a3
	s_delay_alu instid0(VALU_DEP_1) | instskip(SKIP_2) | instid1(VALU_DEP_3)
	v_dual_mul_f32 v17, v12, v14 :: v_dual_fmaak_f32 v14, v14, v15, 0x3f2aaada
	v_ldexp_f32 v15, v12, 1
	v_sub_f32_e32 v12, v12, v13
	v_dual_mul_f32 v14, v17, v14 :: v_dual_mul_f32 v17, 0x3f317218, v8
	s_delay_alu instid0(VALU_DEP_2) | instskip(NEXT) | instid1(VALU_DEP_2)
	v_sub_f32_e32 v9, v9, v12
	v_add_f32_e32 v13, v15, v14
	s_delay_alu instid0(VALU_DEP_2) | instskip(NEXT) | instid1(VALU_DEP_2)
	v_ldexp_f32 v9, v9, 1
	v_sub_f32_e32 v12, v13, v15
	v_fma_f32 v15, 0x3f317218, v8, -v17
	s_delay_alu instid0(VALU_DEP_2) | instskip(NEXT) | instid1(VALU_DEP_2)
	v_sub_f32_e32 v12, v14, v12
	v_fmac_f32_e32 v15, 0xb102e308, v8
	s_delay_alu instid0(VALU_DEP_2) | instskip(NEXT) | instid1(VALU_DEP_2)
	v_add_f32_e32 v8, v9, v12
	v_add_f32_e32 v9, v17, v15
	s_delay_alu instid0(VALU_DEP_2) | instskip(NEXT) | instid1(VALU_DEP_2)
	v_add_f32_e32 v12, v13, v8
	v_sub_f32_e32 v17, v9, v17
	s_delay_alu instid0(VALU_DEP_2) | instskip(NEXT) | instid1(VALU_DEP_2)
	v_dual_add_f32 v14, v9, v12 :: v_dual_sub_f32 v13, v12, v13
	v_sub_f32_e32 v15, v15, v17
	s_delay_alu instid0(VALU_DEP_2) | instskip(NEXT) | instid1(VALU_DEP_3)
	v_sub_f32_e32 v103, v14, v9
	v_sub_f32_e32 v8, v8, v13
	s_delay_alu instid0(VALU_DEP_2) | instskip(NEXT) | instid1(VALU_DEP_2)
	v_sub_f32_e32 v104, v14, v103
	v_dual_sub_f32 v12, v12, v103 :: v_dual_add_f32 v13, v15, v8
	s_delay_alu instid0(VALU_DEP_2) | instskip(NEXT) | instid1(VALU_DEP_1)
	v_sub_f32_e32 v9, v9, v104
	v_dual_add_f32 v9, v12, v9 :: v_dual_sub_f32 v12, v13, v15
	s_delay_alu instid0(VALU_DEP_1) | instskip(NEXT) | instid1(VALU_DEP_2)
	v_add_f32_e32 v9, v13, v9
	v_sub_f32_e32 v13, v13, v12
	s_delay_alu instid0(VALU_DEP_2) | instskip(NEXT) | instid1(VALU_DEP_1)
	v_dual_sub_f32 v8, v8, v12 :: v_dual_add_f32 v17, v14, v9
	v_dual_sub_f32 v13, v15, v13 :: v_dual_sub_f32 v12, v17, v14
	s_delay_alu instid0(VALU_DEP_1) | instskip(NEXT) | instid1(VALU_DEP_1)
	v_dual_add_f32 v8, v8, v13 :: v_dual_sub_f32 v9, v9, v12
	v_add_f32_e32 v8, v8, v9
	s_delay_alu instid0(VALU_DEP_1) | instskip(NEXT) | instid1(VALU_DEP_1)
	v_add_f32_e32 v8, v17, v8
	v_cndmask_b32_e32 v103, v8, v10, vcc_lo
.LBB23_102:                             ;   in Loop: Header=BB23_12 Depth=1
	s_or_b32 exec_lo, exec_lo, s29
	v_lshlrev_b32_e32 v8, 16, v11
	s_delay_alu instid0(VALU_DEP_1) | instskip(NEXT) | instid1(VALU_DEP_1)
	v_add_f32_e32 v104, s68, v8
	v_cmp_ge_f32_e32 vcc_lo, 0x41a00000, v104
	s_and_b32 s28, s79, vcc_lo
	s_delay_alu instid0(SALU_CYCLE_1)
	s_and_saveexec_b32 s29, s28
	s_cbranch_execz .LBB23_104
; %bb.103:                              ;   in Loop: Header=BB23_12 Depth=1
	v_mul_f32_e32 v8, 0x3fb8aa3b, v104
	v_cmp_ngt_f32_e32 vcc_lo, 0xc2ce8ed0, v104
	s_delay_alu instid0(VALU_DEP_2) | instskip(SKIP_1) | instid1(VALU_DEP_2)
	v_rndne_f32_e32 v9, v8
	v_fma_f32 v10, 0x3fb8aa3b, v104, -v8
	v_sub_f32_e32 v8, v8, v9
	s_delay_alu instid0(VALU_DEP_2) | instskip(SKIP_1) | instid1(VALU_DEP_2)
	v_fmac_f32_e32 v10, 0x32a5705f, v104
	v_cvt_i32_f32_e32 v9, v9
	v_add_f32_e32 v8, v8, v10
	s_delay_alu instid0(VALU_DEP_1) | instskip(SKIP_2) | instid1(VALU_DEP_1)
	v_exp_f32_e32 v8, v8
	s_waitcnt_depctr 0xfff
	v_ldexp_f32 v8, v8, v9
	v_cndmask_b32_e32 v8, 0, v8, vcc_lo
	v_cmp_nlt_f32_e32 vcc_lo, 0x42b17218, v104
	s_delay_alu instid0(VALU_DEP_2) | instskip(NEXT) | instid1(VALU_DEP_1)
	v_cndmask_b32_e32 v10, 0x7f800000, v8, vcc_lo
	v_add_f32_e32 v12, 1.0, v10
	s_delay_alu instid0(VALU_DEP_1) | instskip(NEXT) | instid1(VALU_DEP_1)
	v_cvt_f64_f32_e32 v[8:9], v12
	v_frexp_exp_i32_f64_e32 v8, v[8:9]
	v_frexp_mant_f32_e32 v9, v12
	s_delay_alu instid0(VALU_DEP_1) | instskip(SKIP_1) | instid1(VALU_DEP_1)
	v_cmp_gt_f32_e32 vcc_lo, 0x3f2aaaab, v9
	v_add_f32_e32 v9, -1.0, v12
	v_dual_sub_f32 v14, v9, v12 :: v_dual_sub_f32 v9, v10, v9
	v_subrev_co_ci_u32_e32 v8, vcc_lo, 0, v8, vcc_lo
	s_delay_alu instid0(VALU_DEP_1) | instskip(SKIP_1) | instid1(VALU_DEP_2)
	v_sub_nc_u32_e32 v13, 0, v8
	v_cvt_f32_i32_e32 v8, v8
	v_ldexp_f32 v12, v12, v13
	s_delay_alu instid0(VALU_DEP_1) | instskip(NEXT) | instid1(VALU_DEP_1)
	v_dual_add_f32 v14, 1.0, v14 :: v_dual_add_f32 v15, 1.0, v12
	v_add_f32_e32 v9, v9, v14
	s_delay_alu instid0(VALU_DEP_1) | instskip(NEXT) | instid1(VALU_DEP_3)
	v_ldexp_f32 v9, v9, v13
	v_dual_add_f32 v13, -1.0, v12 :: v_dual_add_f32 v14, -1.0, v15
	s_delay_alu instid0(VALU_DEP_1) | instskip(NEXT) | instid1(VALU_DEP_1)
	v_dual_add_f32 v17, 1.0, v13 :: v_dual_sub_f32 v14, v12, v14
	v_sub_f32_e32 v12, v12, v17
	s_delay_alu instid0(VALU_DEP_2) | instskip(NEXT) | instid1(VALU_DEP_2)
	v_add_f32_e32 v14, v9, v14
	v_add_f32_e32 v9, v9, v12
	s_delay_alu instid0(VALU_DEP_2) | instskip(SKIP_2) | instid1(VALU_DEP_4)
	v_add_f32_e32 v17, v15, v14
	v_cmp_eq_f32_e32 vcc_lo, 0x7f800000, v10
	v_cmp_gt_f32_e64 s28, 0x33800000, v10
	v_add_f32_e32 v104, v13, v9
	s_delay_alu instid0(VALU_DEP_4) | instskip(SKIP_1) | instid1(VALU_DEP_3)
	v_rcp_f32_e32 v12, v17
	v_sub_f32_e32 v15, v15, v17
	s_or_b32 vcc_lo, s28, vcc_lo
	s_delay_alu instid0(VALU_DEP_2) | instskip(NEXT) | instid1(VALU_DEP_1)
	v_sub_f32_e32 v13, v13, v104
	v_add_f32_e32 v9, v9, v13
	s_waitcnt_depctr 0xfff
	v_dual_mul_f32 v105, v104, v12 :: v_dual_add_f32 v14, v14, v15
	s_delay_alu instid0(VALU_DEP_1) | instskip(NEXT) | instid1(VALU_DEP_1)
	v_mul_f32_e32 v106, v17, v105
	v_fma_f32 v15, v105, v17, -v106
	s_delay_alu instid0(VALU_DEP_1) | instskip(NEXT) | instid1(VALU_DEP_1)
	v_fmac_f32_e32 v15, v105, v14
	v_add_f32_e32 v107, v106, v15
	s_delay_alu instid0(VALU_DEP_1) | instskip(NEXT) | instid1(VALU_DEP_1)
	v_dual_sub_f32 v13, v107, v106 :: v_dual_sub_f32 v108, v104, v107
	v_dual_sub_f32 v13, v13, v15 :: v_dual_sub_f32 v104, v104, v108
	s_delay_alu instid0(VALU_DEP_1) | instskip(NEXT) | instid1(VALU_DEP_1)
	v_sub_f32_e32 v104, v104, v107
	v_add_f32_e32 v9, v9, v104
	s_delay_alu instid0(VALU_DEP_1) | instskip(NEXT) | instid1(VALU_DEP_1)
	v_add_f32_e32 v9, v13, v9
	v_add_f32_e32 v13, v108, v9
	s_delay_alu instid0(VALU_DEP_1) | instskip(NEXT) | instid1(VALU_DEP_1)
	v_mul_f32_e32 v15, v12, v13
	v_mul_f32_e32 v104, v17, v15
	s_delay_alu instid0(VALU_DEP_1) | instskip(NEXT) | instid1(VALU_DEP_1)
	v_fma_f32 v17, v15, v17, -v104
	v_fmac_f32_e32 v17, v15, v14
	s_delay_alu instid0(VALU_DEP_1) | instskip(NEXT) | instid1(VALU_DEP_1)
	v_add_f32_e32 v14, v104, v17
	v_dual_sub_f32 v107, v108, v13 :: v_dual_sub_f32 v106, v13, v14
	s_delay_alu instid0(VALU_DEP_1) | instskip(NEXT) | instid1(VALU_DEP_2)
	v_dual_sub_f32 v13, v13, v106 :: v_dual_sub_f32 v104, v14, v104
	v_add_f32_e32 v9, v9, v107
	s_delay_alu instid0(VALU_DEP_2) | instskip(NEXT) | instid1(VALU_DEP_1)
	v_dual_sub_f32 v13, v13, v14 :: v_dual_sub_f32 v14, v104, v17
	v_add_f32_e32 v9, v9, v13
	v_add_f32_e32 v13, v105, v15
	s_delay_alu instid0(VALU_DEP_2) | instskip(NEXT) | instid1(VALU_DEP_2)
	v_add_f32_e32 v9, v14, v9
	v_sub_f32_e32 v14, v13, v105
	s_delay_alu instid0(VALU_DEP_1) | instskip(NEXT) | instid1(VALU_DEP_1)
	v_dual_add_f32 v9, v106, v9 :: v_dual_sub_f32 v14, v15, v14
	v_mul_f32_e32 v9, v12, v9
	s_delay_alu instid0(VALU_DEP_1) | instskip(NEXT) | instid1(VALU_DEP_1)
	v_add_f32_e32 v9, v14, v9
	v_add_f32_e32 v12, v13, v9
	s_delay_alu instid0(VALU_DEP_1) | instskip(NEXT) | instid1(VALU_DEP_1)
	v_mul_f32_e32 v14, v12, v12
	v_fmaak_f32 v15, s83, v14, 0x3ecc95a3
	s_delay_alu instid0(VALU_DEP_1) | instskip(SKIP_1) | instid1(VALU_DEP_2)
	v_dual_mul_f32 v17, v12, v14 :: v_dual_fmaak_f32 v14, v14, v15, 0x3f2aaada
	v_ldexp_f32 v15, v12, 1
	v_mul_f32_e32 v14, v17, v14
	v_dual_sub_f32 v12, v12, v13 :: v_dual_mul_f32 v17, 0x3f317218, v8
	s_delay_alu instid0(VALU_DEP_2) | instskip(NEXT) | instid1(VALU_DEP_2)
	v_add_f32_e32 v13, v15, v14
	v_sub_f32_e32 v9, v9, v12
	s_delay_alu instid0(VALU_DEP_2) | instskip(NEXT) | instid1(VALU_DEP_4)
	v_sub_f32_e32 v12, v13, v15
	v_fma_f32 v15, 0x3f317218, v8, -v17
	s_delay_alu instid0(VALU_DEP_3) | instskip(NEXT) | instid1(VALU_DEP_3)
	v_ldexp_f32 v9, v9, 1
	v_sub_f32_e32 v12, v14, v12
	s_delay_alu instid0(VALU_DEP_3) | instskip(NEXT) | instid1(VALU_DEP_2)
	v_fmac_f32_e32 v15, 0xb102e308, v8
	v_add_f32_e32 v8, v9, v12
	s_delay_alu instid0(VALU_DEP_1) | instskip(NEXT) | instid1(VALU_DEP_3)
	v_add_f32_e32 v12, v13, v8
	v_add_f32_e32 v9, v17, v15
	s_delay_alu instid0(VALU_DEP_1) | instskip(NEXT) | instid1(VALU_DEP_1)
	v_dual_sub_f32 v13, v12, v13 :: v_dual_add_f32 v14, v9, v12
	v_sub_f32_e32 v8, v8, v13
	s_delay_alu instid0(VALU_DEP_2) | instskip(NEXT) | instid1(VALU_DEP_1)
	v_sub_f32_e32 v104, v14, v9
	v_dual_sub_f32 v12, v12, v104 :: v_dual_sub_f32 v17, v9, v17
	s_delay_alu instid0(VALU_DEP_1) | instskip(NEXT) | instid1(VALU_DEP_1)
	v_sub_f32_e32 v15, v15, v17
	v_add_f32_e32 v13, v15, v8
	v_sub_f32_e32 v105, v14, v104
	s_delay_alu instid0(VALU_DEP_1) | instskip(NEXT) | instid1(VALU_DEP_1)
	v_sub_f32_e32 v9, v9, v105
	v_dual_add_f32 v9, v12, v9 :: v_dual_sub_f32 v12, v13, v15
	s_delay_alu instid0(VALU_DEP_1) | instskip(NEXT) | instid1(VALU_DEP_2)
	v_add_f32_e32 v9, v13, v9
	v_sub_f32_e32 v13, v13, v12
	s_delay_alu instid0(VALU_DEP_2) | instskip(NEXT) | instid1(VALU_DEP_1)
	v_dual_sub_f32 v8, v8, v12 :: v_dual_add_f32 v17, v14, v9
	v_dual_sub_f32 v12, v17, v14 :: v_dual_sub_f32 v13, v15, v13
	s_delay_alu instid0(VALU_DEP_1) | instskip(NEXT) | instid1(VALU_DEP_1)
	v_dual_sub_f32 v9, v9, v12 :: v_dual_add_f32 v8, v8, v13
	v_add_f32_e32 v8, v8, v9
	s_delay_alu instid0(VALU_DEP_1) | instskip(NEXT) | instid1(VALU_DEP_1)
	v_add_f32_e32 v8, v17, v8
	v_cndmask_b32_e32 v104, v8, v10, vcc_lo
.LBB23_104:                             ;   in Loop: Header=BB23_12 Depth=1
	s_or_b32 exec_lo, exec_lo, s29
	v_and_b32_e32 v8, 0xffff0000, v11
	s_delay_alu instid0(VALU_DEP_1) | instskip(NEXT) | instid1(VALU_DEP_1)
	v_add_f32_e32 v121, s68, v8
	v_cmp_ge_f32_e32 vcc_lo, 0x41a00000, v121
	s_and_b32 s28, s79, vcc_lo
	s_delay_alu instid0(SALU_CYCLE_1)
	s_and_saveexec_b32 s29, s28
	s_cbranch_execz .LBB23_106
; %bb.105:                              ;   in Loop: Header=BB23_12 Depth=1
	v_mul_f32_e32 v8, 0x3fb8aa3b, v121
	v_cmp_ngt_f32_e32 vcc_lo, 0xc2ce8ed0, v121
	s_delay_alu instid0(VALU_DEP_2) | instskip(SKIP_1) | instid1(VALU_DEP_2)
	v_rndne_f32_e32 v9, v8
	v_fma_f32 v10, 0x3fb8aa3b, v121, -v8
	v_sub_f32_e32 v8, v8, v9
	s_delay_alu instid0(VALU_DEP_2) | instskip(SKIP_1) | instid1(VALU_DEP_2)
	v_fmac_f32_e32 v10, 0x32a5705f, v121
	v_cvt_i32_f32_e32 v9, v9
	v_add_f32_e32 v8, v8, v10
	s_delay_alu instid0(VALU_DEP_1) | instskip(SKIP_2) | instid1(VALU_DEP_1)
	v_exp_f32_e32 v8, v8
	s_waitcnt_depctr 0xfff
	v_ldexp_f32 v8, v8, v9
	v_cndmask_b32_e32 v8, 0, v8, vcc_lo
	v_cmp_nlt_f32_e32 vcc_lo, 0x42b17218, v121
	s_delay_alu instid0(VALU_DEP_2) | instskip(NEXT) | instid1(VALU_DEP_1)
	v_cndmask_b32_e32 v10, 0x7f800000, v8, vcc_lo
	v_add_f32_e32 v11, 1.0, v10
	s_delay_alu instid0(VALU_DEP_1) | instskip(NEXT) | instid1(VALU_DEP_1)
	v_cvt_f64_f32_e32 v[8:9], v11
	v_frexp_exp_i32_f64_e32 v8, v[8:9]
	v_frexp_mant_f32_e32 v9, v11
	s_delay_alu instid0(VALU_DEP_1) | instskip(SKIP_1) | instid1(VALU_DEP_1)
	v_cmp_gt_f32_e32 vcc_lo, 0x3f2aaaab, v9
	v_add_f32_e32 v9, -1.0, v11
	v_sub_f32_e32 v13, v9, v11
	v_sub_f32_e32 v9, v10, v9
	s_delay_alu instid0(VALU_DEP_2) | instskip(NEXT) | instid1(VALU_DEP_1)
	v_add_f32_e32 v13, 1.0, v13
	v_add_f32_e32 v9, v9, v13
	v_cmp_gt_f32_e64 s28, 0x33800000, v10
	v_subrev_co_ci_u32_e32 v8, vcc_lo, 0, v8, vcc_lo
	v_cmp_eq_f32_e32 vcc_lo, 0x7f800000, v10
	s_delay_alu instid0(VALU_DEP_2) | instskip(SKIP_2) | instid1(VALU_DEP_2)
	v_sub_nc_u32_e32 v12, 0, v8
	v_cvt_f32_i32_e32 v8, v8
	s_or_b32 vcc_lo, s28, vcc_lo
	v_ldexp_f32 v11, v11, v12
	v_ldexp_f32 v9, v9, v12
	s_delay_alu instid0(VALU_DEP_2) | instskip(NEXT) | instid1(VALU_DEP_1)
	v_add_f32_e32 v14, 1.0, v11
	v_dual_add_f32 v12, -1.0, v11 :: v_dual_add_f32 v13, -1.0, v14
	s_delay_alu instid0(VALU_DEP_1) | instskip(NEXT) | instid1(VALU_DEP_2)
	v_add_f32_e32 v15, 1.0, v12
	v_sub_f32_e32 v13, v11, v13
	s_delay_alu instid0(VALU_DEP_2) | instskip(NEXT) | instid1(VALU_DEP_2)
	v_sub_f32_e32 v11, v11, v15
	v_add_f32_e32 v13, v9, v13
	s_delay_alu instid0(VALU_DEP_2) | instskip(NEXT) | instid1(VALU_DEP_1)
	v_add_f32_e32 v9, v9, v11
	v_add_f32_e32 v17, v12, v9
	s_delay_alu instid0(VALU_DEP_3) | instskip(NEXT) | instid1(VALU_DEP_2)
	v_add_f32_e32 v15, v14, v13
	v_sub_f32_e32 v12, v12, v17
	s_delay_alu instid0(VALU_DEP_2) | instskip(SKIP_1) | instid1(VALU_DEP_1)
	v_rcp_f32_e32 v11, v15
	v_sub_f32_e32 v14, v14, v15
	v_add_f32_e32 v13, v13, v14
	s_waitcnt_depctr 0xfff
	v_mul_f32_e32 v105, v17, v11
	s_delay_alu instid0(VALU_DEP_1) | instskip(NEXT) | instid1(VALU_DEP_1)
	v_dual_mul_f32 v106, v15, v105 :: v_dual_add_f32 v9, v9, v12
	v_fma_f32 v14, v105, v15, -v106
	s_delay_alu instid0(VALU_DEP_1) | instskip(NEXT) | instid1(VALU_DEP_1)
	v_fmac_f32_e32 v14, v105, v13
	v_add_f32_e32 v107, v106, v14
	s_delay_alu instid0(VALU_DEP_1) | instskip(SKIP_1) | instid1(VALU_DEP_1)
	v_sub_f32_e32 v12, v107, v106
	v_sub_f32_e32 v108, v17, v107
	v_dual_sub_f32 v12, v12, v14 :: v_dual_sub_f32 v17, v17, v108
	s_delay_alu instid0(VALU_DEP_1) | instskip(NEXT) | instid1(VALU_DEP_1)
	v_sub_f32_e32 v17, v17, v107
	v_add_f32_e32 v9, v9, v17
	s_delay_alu instid0(VALU_DEP_1) | instskip(NEXT) | instid1(VALU_DEP_1)
	v_add_f32_e32 v9, v12, v9
	v_add_f32_e32 v12, v108, v9
	s_delay_alu instid0(VALU_DEP_1) | instskip(SKIP_1) | instid1(VALU_DEP_2)
	v_mul_f32_e32 v14, v11, v12
	v_sub_f32_e32 v107, v108, v12
	v_mul_f32_e32 v17, v15, v14
	s_delay_alu instid0(VALU_DEP_2) | instskip(NEXT) | instid1(VALU_DEP_2)
	v_add_f32_e32 v9, v9, v107
	v_fma_f32 v15, v14, v15, -v17
	s_delay_alu instid0(VALU_DEP_1) | instskip(NEXT) | instid1(VALU_DEP_1)
	v_fmac_f32_e32 v15, v14, v13
	v_add_f32_e32 v13, v17, v15
	s_delay_alu instid0(VALU_DEP_1) | instskip(NEXT) | instid1(VALU_DEP_1)
	v_sub_f32_e32 v106, v12, v13
	v_dual_sub_f32 v17, v13, v17 :: v_dual_sub_f32 v12, v12, v106
	s_delay_alu instid0(VALU_DEP_1) | instskip(NEXT) | instid1(VALU_DEP_1)
	v_dual_sub_f32 v12, v12, v13 :: v_dual_sub_f32 v13, v17, v15
	v_add_f32_e32 v9, v9, v12
	v_add_f32_e32 v12, v105, v14
	s_delay_alu instid0(VALU_DEP_2) | instskip(NEXT) | instid1(VALU_DEP_2)
	v_add_f32_e32 v9, v13, v9
	v_sub_f32_e32 v13, v12, v105
	s_delay_alu instid0(VALU_DEP_2) | instskip(NEXT) | instid1(VALU_DEP_2)
	v_add_f32_e32 v9, v106, v9
	v_sub_f32_e32 v13, v14, v13
	s_delay_alu instid0(VALU_DEP_2) | instskip(NEXT) | instid1(VALU_DEP_1)
	v_mul_f32_e32 v9, v11, v9
	v_add_f32_e32 v9, v13, v9
	s_delay_alu instid0(VALU_DEP_1) | instskip(NEXT) | instid1(VALU_DEP_1)
	v_add_f32_e32 v11, v12, v9
	v_mul_f32_e32 v13, v11, v11
	s_delay_alu instid0(VALU_DEP_1) | instskip(SKIP_1) | instid1(VALU_DEP_2)
	v_fmaak_f32 v14, s83, v13, 0x3ecc95a3
	v_mul_f32_e32 v15, v11, v13
	v_fmaak_f32 v13, v13, v14, 0x3f2aaada
	v_ldexp_f32 v14, v11, 1
	v_sub_f32_e32 v11, v11, v12
	s_delay_alu instid0(VALU_DEP_3) | instskip(SKIP_1) | instid1(VALU_DEP_2)
	v_mul_f32_e32 v13, v15, v13
	v_mul_f32_e32 v15, 0x3f317218, v8
	v_dual_sub_f32 v9, v9, v11 :: v_dual_add_f32 v12, v14, v13
	s_delay_alu instid0(VALU_DEP_1) | instskip(NEXT) | instid1(VALU_DEP_2)
	v_ldexp_f32 v9, v9, 1
	v_sub_f32_e32 v11, v12, v14
	s_delay_alu instid0(VALU_DEP_4) | instskip(NEXT) | instid1(VALU_DEP_1)
	v_fma_f32 v14, 0x3f317218, v8, -v15
	v_dual_sub_f32 v11, v13, v11 :: v_dual_fmac_f32 v14, 0xb102e308, v8
	s_delay_alu instid0(VALU_DEP_1) | instskip(NEXT) | instid1(VALU_DEP_1)
	v_dual_add_f32 v8, v9, v11 :: v_dual_add_f32 v9, v15, v14
	v_add_f32_e32 v11, v12, v8
	s_delay_alu instid0(VALU_DEP_2) | instskip(NEXT) | instid1(VALU_DEP_2)
	v_sub_f32_e32 v15, v9, v15
	v_dual_add_f32 v13, v9, v11 :: v_dual_sub_f32 v12, v11, v12
	s_delay_alu instid0(VALU_DEP_1) | instskip(NEXT) | instid1(VALU_DEP_1)
	v_dual_sub_f32 v14, v14, v15 :: v_dual_sub_f32 v17, v13, v9
	v_dual_sub_f32 v8, v8, v12 :: v_dual_sub_f32 v105, v13, v17
	s_delay_alu instid0(VALU_DEP_1) | instskip(NEXT) | instid1(VALU_DEP_2)
	v_dual_sub_f32 v11, v11, v17 :: v_dual_add_f32 v12, v14, v8
	v_sub_f32_e32 v9, v9, v105
	s_delay_alu instid0(VALU_DEP_1) | instskip(NEXT) | instid1(VALU_DEP_3)
	v_add_f32_e32 v9, v11, v9
	v_sub_f32_e32 v11, v12, v14
	s_delay_alu instid0(VALU_DEP_2) | instskip(NEXT) | instid1(VALU_DEP_2)
	v_add_f32_e32 v9, v12, v9
	v_sub_f32_e32 v12, v12, v11
	s_delay_alu instid0(VALU_DEP_2) | instskip(NEXT) | instid1(VALU_DEP_1)
	v_dual_sub_f32 v8, v8, v11 :: v_dual_add_f32 v15, v13, v9
	v_dual_sub_f32 v12, v14, v12 :: v_dual_sub_f32 v11, v15, v13
	s_delay_alu instid0(VALU_DEP_1) | instskip(NEXT) | instid1(VALU_DEP_1)
	v_dual_add_f32 v8, v8, v12 :: v_dual_sub_f32 v9, v9, v11
	v_add_f32_e32 v8, v8, v9
	s_delay_alu instid0(VALU_DEP_1) | instskip(NEXT) | instid1(VALU_DEP_1)
	v_add_f32_e32 v8, v15, v8
	v_cndmask_b32_e32 v121, v8, v10, vcc_lo
.LBB23_106:                             ;   in Loop: Header=BB23_12 Depth=1
	s_or_b32 exec_lo, exec_lo, s29
	v_and_b32_e32 v11, 0xffff0000, v3
	v_and_b32_e32 v9, 0xffff0000, v6
	v_lshlrev_b32_e32 v6, 16, v6
	v_and_b32_e32 v15, 0xffff0000, v0
	v_lshlrev_b32_e32 v8, 16, v7
	v_mul_f32_e32 v115, s69, v11
	v_mul_f32_e32 v105, s69, v9
	v_dual_mul_f32 v107, s69, v6 :: v_dual_and_b32 v10, 0xffff0000, v5
	v_and_b32_e32 v14, 0xffff0000, v7
	v_and_b32_e32 v7, 0xffff0000, v4
	v_lshlrev_b32_e32 v5, 16, v5
	s_delay_alu instid0(VALU_DEP_4) | instskip(NEXT) | instid1(VALU_DEP_4)
	v_dual_mul_f32 v109, s69, v10 :: v_dual_lshlrev_b32 v0, 16, v0
	v_mul_f32_e32 v111, s69, v14
	v_and_b32_e32 v13, 0xffff0000, v1
	v_lshlrev_b32_e32 v3, 16, v3
	v_mul_f32_e32 v108, s69, v7
	v_mul_f32_e32 v120, s69, v0
	s_delay_alu instid0(VALU_DEP_4) | instskip(SKIP_3) | instid1(VALU_DEP_4)
	v_dual_mul_f32 v113, s69, v13 :: v_dual_and_b32 v12, 0xffff0000, v2
	v_lshlrev_b32_e32 v1, 16, v1
	v_mul_f32_e32 v110, s69, v5
	v_mul_f32_e32 v106, s69, v8
	;; [unrolled: 1-line block ×5, first 2 shown]
	v_dual_mul_f32 v119, s69, v15 :: v_dual_lshlrev_b32 v2, 16, v2
	v_lshlrev_b32_e32 v4, 16, v4
	s_and_b32 vcc_lo, exec_lo, s80
	s_delay_alu instid0(VALU_DEP_2) | instskip(SKIP_1) | instid1(VALU_DEP_2)
	v_mul_f32_e32 v117, s69, v2
	s_barrier
	v_mul_f32_e32 v112, s69, v4
	buffer_gl0_inv
	s_cbranch_vccz .LBB23_202
; %bb.107:                              ;   in Loop: Header=BB23_12 Depth=1
	v_dual_mul_f32 v122, v121, v14 :: v_dual_mul_f32 v127, v104, v8
	v_add_co_u32 v14, s28, s53, v16
	s_delay_alu instid0(VALU_DEP_1) | instskip(SKIP_1) | instid1(VALU_DEP_1)
	v_add_co_ci_u32_e64 v17, null, s74, 0, s28
	v_add_co_u32 v16, s28, s57, v16
	v_add_co_ci_u32_e64 v126, null, s75, 0, s28
	s_delay_alu instid0(VALU_DEP_4) | instskip(NEXT) | instid1(VALU_DEP_4)
	v_add_co_u32 v123, vcc_lo, v14, v89
	v_add_co_ci_u32_e32 v124, vcc_lo, 0, v17, vcc_lo
	s_delay_alu instid0(VALU_DEP_4) | instskip(NEXT) | instid1(VALU_DEP_4)
	v_add_co_u32 v125, vcc_lo, v16, v89
	v_add_co_ci_u32_e32 v126, vcc_lo, 0, v126, vcc_lo
	v_cmp_gt_u32_e32 vcc_lo, s40, v18
	s_cmp_lg_u32 s85, 0
	v_cmp_gt_u32_e64 s30, s40, v75
	s_cselect_b32 s51, -1, 0
	s_cmp_eq_u32 s85, s82
	v_cmp_gt_u32_e64 s31, s40, v76
	s_cselect_b32 s86, -1, 0
	s_or_b32 s28, s81, vcc_lo
	v_cmp_gt_u32_e32 vcc_lo, s40, v74
	v_cmp_gt_u32_e64 s33, s40, v77
	v_cmp_gt_u32_e64 s34, s40, v78
	v_cmp_gt_u32_e64 s36, s40, v80
	v_cmp_gt_u32_e64 s37, s40, v81
	s_or_b32 s29, s81, vcc_lo
	v_cmp_gt_u32_e32 vcc_lo, s40, v79
	v_cmp_gt_u32_e64 s38, s40, v82
	v_cmp_gt_u32_e64 s39, s40, v83
	;; [unrolled: 1-line block ×4, first 2 shown]
	s_or_b32 s35, s81, vcc_lo
	v_cmp_gt_u32_e32 vcc_lo, s40, v84
	v_cmp_gt_u32_e64 s43, s40, v87
	v_cmp_gt_u32_e64 s44, s40, v88
	v_dual_mul_f32 v128, v103, v9 :: v_dual_mul_f32 v129, v102, v6
	v_dual_mul_f32 v130, v101, v10 :: v_dual_mul_f32 v131, v100, v5
	;; [unrolled: 1-line block ×7, first 2 shown]
	s_mov_b32 s66, 0
	s_or_b32 s30, s81, s30
	s_or_b32 s31, s81, s31
	;; [unrolled: 1-line block ×8, first 2 shown]
	s_or_b32 s40, s81, vcc_lo
	s_or_b32 s41, s81, s41
	s_or_b32 s42, s81, s42
	;; [unrolled: 1-line block ×4, first 2 shown]
	s_mov_b32 s54, s66
	s_mov_b32 s58, s66
	;; [unrolled: 1-line block ×5, first 2 shown]
	s_branch .LBB23_109
.LBB23_108:                             ;   in Loop: Header=BB23_109 Depth=2
	s_or_b32 exec_lo, exec_lo, s45
	v_cndmask_b32_e64 v9, v171, v11, s11
	v_cndmask_b32_e64 v10, v170, v10, s11
	s_add_i32 s87, s87, -1
	s_add_i32 s88, s88, 8
	s_add_i32 s60, s60, s62
	v_fma_f32 v9, v9, v145, v144
	v_mul_f32_e32 v10, v10, v145
	s_add_i32 s58, s58, s56
	s_add_i32 s54, s54, s52
	;; [unrolled: 1-line block ×3, first 2 shown]
	v_cndmask_b32_e64 v9, v9, v144, s10
	v_cndmask_b32_e64 v10, v10, v145, s10
	s_cmp_eq_u32 s87, 0
	s_waitcnt lgkmcnt(0)
	s_delay_alu instid0(VALU_DEP_1) | instskip(NEXT) | instid1(VALU_DEP_1)
	v_dual_fmac_f32 v9, v8, v10 :: v_dual_and_b32 v10, 0xffff0000, v5
	v_dual_fmac_f32 v12, v9, v147 :: v_dual_lshlrev_b32 v5, 16, v5
	s_delay_alu instid0(VALU_DEP_1) | instskip(NEXT) | instid1(VALU_DEP_1)
	v_fmac_f32_e32 v13, v12, v148
	v_dual_fmac_f32 v118, v13, v5 :: v_dual_and_b32 v17, 0xffff0000, v0
	v_fmac_f32_e32 v14, v13, v150
	s_delay_alu instid0(VALU_DEP_1) | instskip(NEXT) | instid1(VALU_DEP_1)
	v_fmac_f32_e32 v15, v14, v153
	v_fmac_f32_e32 v142, v15, v154
	s_delay_alu instid0(VALU_DEP_1) | instskip(NEXT) | instid1(VALU_DEP_1)
	v_fmac_f32_e32 v143, v142, v155
	v_fmac_f32_e32 v146, v143, v156
	s_delay_alu instid0(VALU_DEP_1) | instskip(SKIP_1) | instid1(VALU_DEP_2)
	v_dual_fmac_f32 v149, v146, v158 :: v_dual_and_b32 v8, 0xffff0000, v4
	v_lshlrev_b32_e32 v4, 16, v4
	v_dual_fmac_f32 v119, v12, v8 :: v_dual_and_b32 v16, 0xffff0000, v7
	s_delay_alu instid0(VALU_DEP_3) | instskip(SKIP_1) | instid1(VALU_DEP_4)
	v_fmac_f32_e32 v151, v149, v159
	v_and_b32_e32 v11, 0xffff0000, v6
	v_dual_fmac_f32 v120, v9, v4 :: v_dual_lshlrev_b32 v7, 16, v7
	s_delay_alu instid0(VALU_DEP_4) | instskip(NEXT) | instid1(VALU_DEP_4)
	v_fmac_f32_e32 v115, v146, v16
	v_fmac_f32_e32 v152, v151, v160
	s_delay_alu instid0(VALU_DEP_4) | instskip(NEXT) | instid1(VALU_DEP_2)
	v_fmac_f32_e32 v114, v142, v11
	v_dual_fmac_f32 v108, v151, v17 :: v_dual_fmac_f32 v157, v152, v168
	v_lshlrev_b32_e32 v6, 16, v6
	v_dual_fmac_f32 v113, v14, v10 :: v_dual_lshlrev_b32 v0, 16, v0
	v_and_b32_e32 v147, 0xffff0000, v3
	s_delay_alu instid0(VALU_DEP_4) | instskip(SKIP_3) | instid1(VALU_DEP_4)
	v_fmac_f32_e32 v161, v157, v163
	v_and_b32_e32 v145, 0xffff0000, v2
	v_lshlrev_b32_e32 v2, 16, v2
	v_dual_fmac_f32 v117, v15, v6 :: v_dual_and_b32 v144, 0xffff0000, v1
	v_fmac_f32_e32 v162, v161, v165
	v_lshlrev_b32_e32 v1, 16, v1
	v_lshlrev_b32_e32 v3, 16, v3
	v_dual_fmac_f32 v107, v161, v2 :: v_dual_fmac_f32 v116, v143, v7
	s_delay_alu instid0(VALU_DEP_4) | instskip(SKIP_1) | instid1(VALU_DEP_2)
	v_dual_fmac_f32 v109, v157, v144 :: v_dual_fmac_f32 v164, v162, v167
	v_dual_fmac_f32 v112, v149, v0 :: v_dual_fmac_f32 v105, v162, v145
	v_fmac_f32_e32 v106, v164, v3
	v_fmac_f32_e32 v166, v164, v169
	s_delay_alu instid0(VALU_DEP_1)
	v_dual_fmac_f32 v110, v152, v1 :: v_dual_fmac_f32 v111, v166, v147
	s_cbranch_scc1 .LBB23_202
.LBB23_109:                             ;   Parent Loop BB23_12 Depth=1
                                        ; =>  This Inner Loop Header: Depth=2
	s_lshl_b64 s[90:91], s[66:67], 2
	s_mov_b32 s55, s67
	s_add_u32 s90, s73, s90
	s_addc_u32 s91, s63, s91
	v_dual_mov_b32 v2, 0 :: v_dual_mov_b32 v3, 0
	global_load_b32 v142, v21, s[90:91]
	s_lshl_b64 s[90:91], s[54:55], 1
	s_delay_alu instid0(SALU_CYCLE_1)
	v_add_co_u32 v0, vcc_lo, v123, s90
	v_add_co_ci_u32_e32 v1, vcc_lo, s91, v124, vcc_lo
	s_and_saveexec_b32 s45, s12
	s_cbranch_execz .LBB23_111
; %bb.110:                              ;   in Loop: Header=BB23_109 Depth=2
	global_load_u16 v3, v[0:1], off
.LBB23_111:                             ;   in Loop: Header=BB23_109 Depth=2
	s_or_b32 exec_lo, exec_lo, s45
	s_and_saveexec_b32 s45, s13
	s_cbranch_execz .LBB23_113
; %bb.112:                              ;   in Loop: Header=BB23_109 Depth=2
	global_load_u16 v2, v[0:1], off offset:64
.LBB23_113:                             ;   in Loop: Header=BB23_109 Depth=2
	s_or_b32 exec_lo, exec_lo, s45
	v_dual_mov_b32 v4, 0 :: v_dual_mov_b32 v5, 0
	s_and_saveexec_b32 s45, s14
	s_cbranch_execz .LBB23_115
; %bb.114:                              ;   in Loop: Header=BB23_109 Depth=2
	global_load_u16 v5, v[0:1], off offset:128
.LBB23_115:                             ;   in Loop: Header=BB23_109 Depth=2
	s_or_b32 exec_lo, exec_lo, s45
	s_and_saveexec_b32 s45, s15
	s_cbranch_execz .LBB23_117
; %bb.116:                              ;   in Loop: Header=BB23_109 Depth=2
	global_load_u16 v4, v[0:1], off offset:192
.LBB23_117:                             ;   in Loop: Header=BB23_109 Depth=2
	s_or_b32 exec_lo, exec_lo, s45
	v_dual_mov_b32 v6, 0 :: v_dual_mov_b32 v7, 0
	s_and_saveexec_b32 s45, s16
	s_cbranch_execz .LBB23_119
; %bb.118:                              ;   in Loop: Header=BB23_109 Depth=2
	global_load_u16 v7, v[0:1], off offset:256
.LBB23_119:                             ;   in Loop: Header=BB23_109 Depth=2
	;; [unrolled: 13-line block ×7, first 2 shown]
	s_or_b32 exec_lo, exec_lo, s45
	s_and_saveexec_b32 s45, s27
	s_cbranch_execz .LBB23_141
; %bb.140:                              ;   in Loop: Header=BB23_109 Depth=2
	global_load_u16 v16, v[0:1], off offset:960
.LBB23_141:                             ;   in Loop: Header=BB23_109 Depth=2
	s_or_b32 exec_lo, exec_lo, s45
	s_waitcnt vmcnt(0)
	ds_store_b16 v37, v3
	ds_store_b16 v37, v2 offset:64
	ds_store_b16 v38, v5 offset:128
	;; [unrolled: 1-line block ×15, first 2 shown]
	; wave barrier
	ds_load_b128 v[12:15], v52
	ds_load_b128 v[8:11], v52 offset:16
	s_mov_b32 s59, s67
	v_dual_mov_b32 v2, 0 :: v_dual_mov_b32 v3, 0
	s_lshl_b64 s[90:91], s[58:59], 1
	s_delay_alu instid0(SALU_CYCLE_1)
	v_add_co_u32 v0, vcc_lo, v125, s90
	v_add_co_ci_u32_e32 v1, vcc_lo, s91, v126, vcc_lo
	s_and_saveexec_b32 s45, s12
	s_cbranch_execz .LBB23_143
; %bb.142:                              ;   in Loop: Header=BB23_109 Depth=2
	global_load_u16 v3, v[0:1], off
.LBB23_143:                             ;   in Loop: Header=BB23_109 Depth=2
	s_or_b32 exec_lo, exec_lo, s45
	s_and_saveexec_b32 s45, s13
	s_cbranch_execz .LBB23_145
; %bb.144:                              ;   in Loop: Header=BB23_109 Depth=2
	global_load_u16 v2, v[0:1], off offset:64
.LBB23_145:                             ;   in Loop: Header=BB23_109 Depth=2
	s_or_b32 exec_lo, exec_lo, s45
	v_dual_mov_b32 v4, 0 :: v_dual_mov_b32 v5, 0
	s_and_saveexec_b32 s45, s14
	s_cbranch_execz .LBB23_147
; %bb.146:                              ;   in Loop: Header=BB23_109 Depth=2
	global_load_u16 v5, v[0:1], off offset:128
.LBB23_147:                             ;   in Loop: Header=BB23_109 Depth=2
	s_or_b32 exec_lo, exec_lo, s45
	s_and_saveexec_b32 s45, s15
	s_cbranch_execz .LBB23_149
; %bb.148:                              ;   in Loop: Header=BB23_109 Depth=2
	global_load_u16 v4, v[0:1], off offset:192
.LBB23_149:                             ;   in Loop: Header=BB23_109 Depth=2
	s_or_b32 exec_lo, exec_lo, s45
	v_dual_mov_b32 v6, 0 :: v_dual_mov_b32 v7, 0
	s_and_saveexec_b32 s45, s16
	s_cbranch_execz .LBB23_151
; %bb.150:                              ;   in Loop: Header=BB23_109 Depth=2
	global_load_u16 v7, v[0:1], off offset:256
.LBB23_151:                             ;   in Loop: Header=BB23_109 Depth=2
	;; [unrolled: 13-line block ×7, first 2 shown]
	s_or_b32 exec_lo, exec_lo, s45
	s_and_saveexec_b32 s45, s27
	s_cbranch_execz .LBB23_173
; %bb.172:                              ;   in Loop: Header=BB23_109 Depth=2
	global_load_u16 v149, v[0:1], off offset:960
.LBB23_173:                             ;   in Loop: Header=BB23_109 Depth=2
	s_or_b32 exec_lo, exec_lo, s45
	s_waitcnt vmcnt(0)
	ds_store_b16 v37, v3 offset:2112
	ds_store_b16 v53, v2 offset:64
	ds_store_b16 v54, v5 offset:128
	ds_store_b16 v55, v4 offset:192
	ds_store_b16 v56, v7 offset:256
	ds_store_b16 v57, v6 offset:320
	ds_store_b16 v58, v17 offset:384
	ds_store_b16 v59, v16 offset:448
	ds_store_b16 v60, v144 offset:512
	ds_store_b16 v61, v143 offset:576
	ds_store_b16 v62, v146 offset:640
	ds_store_b16 v63, v145 offset:704
	ds_store_b16 v64, v148 offset:768
	ds_store_b16 v65, v147 offset:832
	ds_store_b16 v66, v150 offset:896
	ds_store_b16 v67, v149 offset:960
	; wave barrier
	ds_load_b128 v[4:7], v52 offset:2112
	ds_load_b128 v[0:3], v68 offset:16
	s_and_not1_b32 vcc_lo, exec_lo, s51
	s_cbranch_vccnz .LBB23_175
; %bb.174:                              ;   in Loop: Header=BB23_109 Depth=2
	v_mov_b32_e32 v16, s88
	ds_load_b64 v[16:17], v16
	s_cbranch_execz .LBB23_176
	s_branch .LBB23_179
.LBB23_175:                             ;   in Loop: Header=BB23_109 Depth=2
                                        ; implicit-def: $vgpr16
.LBB23_176:                             ;   in Loop: Header=BB23_109 Depth=2
	s_waitcnt lgkmcnt(0)
	v_mov_b32_e32 v17, 0
	s_and_not1_b32 vcc_lo, exec_lo, s47
	s_cbranch_vccnz .LBB23_178
; %bb.177:                              ;   in Loop: Header=BB23_109 Depth=2
	s_mov_b32 s61, s67
	s_delay_alu instid0(SALU_CYCLE_1) | instskip(NEXT) | instid1(SALU_CYCLE_1)
	s_lshl_b64 s[90:91], s[60:61], 1
	s_add_u32 s90, s76, s90
	s_addc_u32 s91, s77, s91
	global_load_u16 v16, v21, s[90:91]
	s_waitcnt vmcnt(0)
	v_lshlrev_b32_e32 v17, 16, v16
.LBB23_178:                             ;   in Loop: Header=BB23_109 Depth=2
	v_mov_b32_e32 v16, 1.0
.LBB23_179:                             ;   in Loop: Header=BB23_109 Depth=2
	s_waitcnt lgkmcnt(19)
	v_dual_mul_f32 v164, 0x3fb8aa3b, v142 :: v_dual_lshlrev_b32 v143, 16, v12
	v_and_b32_e32 v12, 0xffff0000, v12
	v_lshlrev_b32_e32 v142, 16, v13
	v_and_b32_e32 v146, 0xffff0000, v13
	v_lshlrev_b32_e32 v149, 16, v14
	v_mul_f32_e32 v13, v164, v90
	v_dual_mul_f32 v14, v164, v91 :: v_dual_and_b32 v151, 0xffff0000, v14
	v_dual_mul_f32 v145, v164, v93 :: v_dual_lshlrev_b32 v152, 16, v15
	s_delay_alu instid0(VALU_DEP_3) | instskip(SKIP_1) | instid1(VALU_DEP_4)
	v_cmp_gt_f32_e32 vcc_lo, 0xc2fc0000, v13
	v_dual_mul_f32 v12, v140, v12 :: v_dual_and_b32 v155, 0xffff0000, v15
	v_cmp_gt_f32_e64 s45, 0xc2fc0000, v14
	v_mul_f32_e32 v15, v164, v92
	v_cndmask_b32_e64 v13, 0, 0x42800000, vcc_lo
	v_cndmask_b32_e64 v144, 1.0, 0x1f800000, vcc_lo
	s_waitcnt lgkmcnt(18)
	v_lshlrev_b32_e32 v161, 16, v10
	v_cndmask_b32_e64 v14, 0, 0x42800000, s45
	v_mul_f32_e32 v143, v141, v143
	v_fmac_f32_e32 v13, v164, v90
	v_dual_mul_f32 v142, v139, v142 :: v_dual_lshlrev_b32 v157, 16, v8
	v_and_b32_e32 v8, 0xffff0000, v8
	v_fmac_f32_e32 v14, v164, v91
	s_delay_alu instid0(VALU_DEP_4) | instskip(SKIP_2) | instid1(VALU_DEP_3)
	v_exp_f32_e32 v13, v13
	v_cmp_gt_f32_e32 vcc_lo, 0xc2fc0000, v15
	v_dual_mul_f32 v151, v136, v151 :: v_dual_and_b32 v10, 0xffff0000, v10
	v_exp_f32_e32 v14, v14
	v_dual_mul_f32 v157, v133, v157 :: v_dual_mul_f32 v8, v132, v8
	v_cndmask_b32_e64 v15, 0, 0x42800000, vcc_lo
	v_lshlrev_b32_e32 v166, 16, v11
	v_and_b32_e32 v11, 0xffff0000, v11
	s_delay_alu instid0(TRANS32_DEP_2)
	v_mul_f32_e32 v13, v13, v144
	v_cndmask_b32_e64 v144, 0, v143, s28
	v_cndmask_b32_e64 v143, 1.0, 0x1f800000, s45
	v_cmp_gt_f32_e64 s45, 0xc2fc0000, v145
	v_fmac_f32_e32 v15, v164, v92
	v_cndmask_b32_e64 v145, 1.0, v13, s28
	v_cndmask_b32_e64 v12, 0, v12, s29
	v_mul_f32_e32 v13, v14, v143
	v_cndmask_b32_e64 v147, 0, 0x42800000, s45
	v_exp_f32_e32 v14, v15
	v_cndmask_b32_e64 v143, 1.0, 0x1f800000, vcc_lo
	v_lshlrev_b32_e32 v159, 16, v9
	v_mul_f32_e32 v15, v164, v94
	v_fmac_f32_e32 v147, v164, v93
	v_and_b32_e32 v9, 0xffff0000, v9
	v_mul_f32_e32 v167, v164, v103
	v_mul_f32_e32 v169, v164, v121
	v_cmp_gt_f32_e32 vcc_lo, 0xc2fc0000, v15
	v_exp_f32_e32 v150, v147
	v_mul_f32_e32 v14, v14, v143
	v_cndmask_b32_e64 v143, 1.0, 0x1f800000, s45
	v_mul_f32_e32 v153, v164, v97
	v_cndmask_b32_e64 v15, 0, 0x42800000, vcc_lo
	v_mul_f32_e32 v156, v164, v98
	v_cndmask_b32_e64 v148, 1.0, v14, s30
	v_mul_f32_e32 v14, v138, v146
	v_mul_f32_e32 v146, v164, v96
	v_fmac_f32_e32 v15, v164, v94
	v_mul_f32_e32 v143, v150, v143
	v_cmp_gt_f32_e64 s46, 0xc2fc0000, v153
	v_cndmask_b32_e64 v14, 0, v14, s31
	v_mul_f32_e32 v158, v164, v100
	v_exp_f32_e32 v15, v15
	v_cndmask_b32_e64 v150, 1.0, v143, s31
	v_cndmask_b32_e64 v143, 1.0, 0x1f800000, vcc_lo
	v_cmp_gt_f32_e32 vcc_lo, 0xc2fc0000, v146
	v_mul_f32_e32 v166, v127, v166
	v_dual_mul_f32 v10, v128, v10 :: v_dual_mul_f32 v11, v122, v11
	v_cndmask_b32_e64 v146, 0, 0x42800000, vcc_lo
	s_delay_alu instid0(TRANS32_DEP_1) | instskip(SKIP_2) | instid1(VALU_DEP_4)
	v_mul_f32_e32 v143, v15, v143
	v_mul_f32_e32 v15, v137, v149
	v_cndmask_b32_e64 v149, 0, 0x42800000, s46
	v_fmac_f32_e32 v146, v164, v96
	v_cndmask_b32_e64 v147, 1.0, v13, s29
	v_cndmask_b32_e64 v13, 0, v142, s30
	v_mul_f32_e32 v142, v164, v95
	v_cndmask_b32_e64 v153, 1.0, v143, s33
	v_exp_f32_e32 v146, v146
	v_fma_f32 v165, v147, v144, v12
	v_cndmask_b32_e64 v15, 0, v15, s33
	v_cmp_gt_f32_e64 s45, 0xc2fc0000, v142
	s_delay_alu instid0(VALU_DEP_1) | instskip(SKIP_1) | instid1(VALU_DEP_2)
	v_cndmask_b32_e64 v142, 0, 0x42800000, s45
	v_cndmask_b32_e64 v154, 1.0, 0x1f800000, s45
	v_fmac_f32_e32 v142, v164, v95
	s_delay_alu instid0(VALU_DEP_1)
	v_exp_f32_e32 v142, v142
	s_waitcnt_depctr 0xfff
	v_mul_f32_e32 v143, v142, v154
	v_cndmask_b32_e64 v142, 0, v151, s34
	v_cndmask_b32_e64 v151, 1.0, 0x1f800000, vcc_lo
	v_cmp_gt_f32_e32 vcc_lo, 0xc2fc0000, v156
	v_mul_f32_e32 v156, v134, v155
	v_cndmask_b32_e64 v154, 1.0, v143, s34
	s_delay_alu instid0(VALU_DEP_4)
	v_dual_mul_f32 v143, v135, v152 :: v_dual_mul_f32 v146, v146, v151
	v_cndmask_b32_e64 v151, 1.0, 0x1f800000, s46
	v_cmp_gt_f32_e64 s46, 0xc2fc0000, v158
	v_mul_f32_e32 v158, v164, v101
	v_cndmask_b32_e64 v152, 0, 0x42800000, vcc_lo
	v_cndmask_b32_e64 v160, 1.0, 0x1f800000, vcc_lo
	v_cndmask_b32_e64 v155, 1.0, v146, s35
	v_cndmask_b32_e64 v146, 0, v156, s36
	v_cmp_gt_f32_e32 vcc_lo, 0xc2fc0000, v158
	v_fmac_f32_e32 v152, v164, v98
	v_cndmask_b32_e64 v143, 0, v143, s35
	v_cndmask_b32_e64 v162, 0, 0x42800000, vcc_lo
	v_cndmask_b32_e64 v163, 1.0, 0x1f800000, vcc_lo
	s_delay_alu instid0(VALU_DEP_2) | instskip(NEXT) | instid1(VALU_DEP_1)
	v_fmac_f32_e32 v162, v164, v101
	v_exp_f32_e32 v162, v162
	v_fmac_f32_e32 v149, v164, v97
	s_delay_alu instid0(VALU_DEP_1) | instskip(SKIP_3) | instid1(VALU_DEP_2)
	v_exp_f32_e32 v149, v149
	s_waitcnt_depctr 0xfff
	v_mul_f32_e32 v149, v149, v151
	v_mul_f32_e32 v151, v164, v99
	v_cndmask_b32_e64 v156, 1.0, v149, s36
	s_delay_alu instid0(VALU_DEP_2) | instskip(SKIP_2) | instid1(VALU_DEP_2)
	v_cmp_gt_f32_e64 s45, 0xc2fc0000, v151
	v_exp_f32_e32 v149, v152
	v_cndmask_b32_e64 v152, 0, 0x42800000, s46
	v_cndmask_b32_e64 v151, 0, 0x42800000, s45
	s_delay_alu instid0(VALU_DEP_2)
	v_fmac_f32_e32 v152, v164, v100
	s_waitcnt_depctr 0xfff
	v_dual_fmac_f32 v151, v164, v99 :: v_dual_mul_f32 v158, v149, v160
	v_cndmask_b32_e64 v149, 0, v157, s37
	v_exp_f32_e32 v152, v152
	v_cndmask_b32_e64 v157, 1.0, 0x1f800000, s45
	s_delay_alu instid0(VALU_DEP_3) | instskip(SKIP_3) | instid1(VALU_DEP_2)
	v_exp_f32_e32 v151, v151
	v_cndmask_b32_e64 v160, 1.0, 0x1f800000, s46
	v_cmp_gt_f32_e64 s45, 0xc2fc0000, v167
	v_cndmask_b32_e64 v158, 1.0, v158, s37
	v_cndmask_b32_e64 v167, 1.0, 0x1f800000, s45
	s_waitcnt_depctr 0xfff
	v_dual_mul_f32 v160, v152, v160 :: v_dual_mul_f32 v157, v151, v157
	v_cndmask_b32_e64 v151, 0, v8, s38
	v_mul_f32_e32 v8, v131, v159
	s_delay_alu instid0(VALU_DEP_3) | instskip(NEXT) | instid1(VALU_DEP_4)
	v_cndmask_b32_e64 v160, 1.0, v160, s39
	v_cndmask_b32_e64 v159, 1.0, v157, s38
	v_mul_f32_e32 v157, v164, v102
	s_delay_alu instid0(VALU_DEP_4) | instskip(SKIP_1) | instid1(VALU_DEP_3)
	v_cndmask_b32_e64 v152, 0, v8, s39
	v_dual_mul_f32 v8, v162, v163 :: v_dual_mul_f32 v163, v147, v145
	v_cmp_gt_f32_e32 vcc_lo, 0xc2fc0000, v157
	s_delay_alu instid0(VALU_DEP_2) | instskip(SKIP_3) | instid1(VALU_DEP_3)
	v_cndmask_b32_e64 v168, 1.0, v8, s40
	v_cndmask_b32_e64 v162, 0, 0x42800000, vcc_lo
	v_mul_f32_e32 v9, v130, v9
	v_cndmask_b32_e64 v8, 1.0, 0x1f800000, vcc_lo
	v_fmac_f32_e32 v162, v164, v102
	s_delay_alu instid0(VALU_DEP_3)
	v_cndmask_b32_e64 v157, 0, v9, s40
	v_mul_f32_e32 v9, v163, v148
	v_fma_f32 v163, v165, v148, v13
	v_cndmask_b32_e64 v165, 0, 0x42800000, s45
	v_exp_f32_e32 v162, v162
	v_cmp_gt_f32_e64 s45, 0xc2fc0000, v169
	v_mul_f32_e32 v9, v9, v150
	v_fma_f32 v163, v163, v150, v14
	v_fmac_f32_e32 v165, v164, v103
	s_delay_alu instid0(VALU_DEP_3) | instskip(NEXT) | instid1(VALU_DEP_3)
	v_mul_f32_e32 v9, v9, v153
	v_fma_f32 v163, v163, v153, v15
	s_delay_alu instid0(VALU_DEP_3)
	v_exp_f32_e32 v165, v165
	s_delay_alu instid0(TRANS32_DEP_2) | instid1(VALU_DEP_2)
	v_dual_mul_f32 v8, v162, v8 :: v_dual_mul_f32 v9, v9, v154
	s_delay_alu instid0(VALU_DEP_2) | instskip(NEXT) | instid1(VALU_DEP_2)
	v_fma_f32 v162, v163, v154, v142
	v_cndmask_b32_e64 v163, 1.0, v8, s41
	s_delay_alu instid0(VALU_DEP_3) | instskip(NEXT) | instid1(VALU_DEP_3)
	v_mul_f32_e32 v8, v9, v155
	v_fma_f32 v9, v162, v155, v143
	v_mul_f32_e32 v162, v164, v104
	s_delay_alu instid0(VALU_DEP_3) | instskip(NEXT) | instid1(VALU_DEP_3)
	v_mul_f32_e32 v8, v8, v156
	v_fma_f32 v9, v9, v156, v146
	s_delay_alu instid0(VALU_DEP_3)
	v_cmp_gt_f32_e32 vcc_lo, 0xc2fc0000, v162
	v_mul_f32_e32 v161, v129, v161
	v_cndmask_b32_e64 v162, 0, v10, s42
	v_mul_f32_e32 v8, v8, v158
	v_fma_f32 v9, v9, v158, v149
	v_cndmask_b32_e64 v10, 0, 0x42800000, s45
	v_mul_f32_e32 v165, v165, v167
	v_cndmask_b32_e64 v167, 0, 0x42800000, vcc_lo
	v_mul_f32_e32 v8, v8, v159
	v_fma_f32 v9, v9, v159, v151
	v_fmac_f32_e32 v10, v164, v121
	v_cndmask_b32_e64 v161, 0, v161, s41
	v_fmac_f32_e32 v167, v164, v104
	v_mul_f32_e32 v8, v8, v160
	v_fma_f32 v9, v9, v160, v152
	v_cndmask_b32_e64 v164, 1.0, 0x1f800000, vcc_lo
	v_exp_f32_e32 v10, v10
	v_exp_f32_e32 v167, v167
	v_mul_f32_e32 v8, v8, v168
	v_fma_f32 v9, v9, v168, v157
	v_cndmask_b32_e64 v165, 1.0, v165, s42
	s_delay_alu instid0(VALU_DEP_3) | instskip(NEXT) | instid1(VALU_DEP_3)
	v_mul_f32_e32 v8, v8, v163
	v_fma_f32 v9, v9, v163, v161
	s_waitcnt_depctr 0xfff
	v_mul_f32_e32 v167, v167, v164
	v_cndmask_b32_e64 v164, 0, v166, s43
	v_cndmask_b32_e64 v166, 1.0, 0x1f800000, s45
	v_mul_f32_e32 v8, v8, v165
	v_fma_f32 v9, v9, v165, v162
	v_cndmask_b32_e64 v167, 1.0, v167, s43
	s_delay_alu instid0(VALU_DEP_4) | instskip(SKIP_1) | instid1(VALU_DEP_3)
	v_mul_f32_e32 v10, v10, v166
	v_cndmask_b32_e64 v166, 0, v11, s44
	v_mul_f32_e32 v8, v8, v167
	v_fma_f32 v9, v9, v167, v164
	s_delay_alu instid0(VALU_DEP_4) | instskip(NEXT) | instid1(VALU_DEP_1)
	v_cndmask_b32_e64 v169, 1.0, v10, s44
	v_mul_f32_e32 v8, v8, v169
	s_delay_alu instid0(VALU_DEP_3) | instskip(NEXT) | instid1(VALU_DEP_2)
	v_fma_f32 v9, v9, v169, v166
	v_mov_b32_dpp v11, v8 row_shr:1 row_mask:0xf bank_mask:0xf
	s_delay_alu instid0(VALU_DEP_2)
	v_mov_b32_dpp v10, v9 row_shr:1 row_mask:0xf bank_mask:0xf
	s_and_saveexec_b32 s45, s0
; %bb.180:                              ;   in Loop: Header=BB23_109 Depth=2
	s_delay_alu instid0(VALU_DEP_2) | instskip(NEXT) | instid1(VALU_DEP_1)
	v_mul_f32_e32 v11, v8, v11
	v_dual_fmac_f32 v9, v8, v10 :: v_dual_mov_b32 v8, v11
; %bb.181:                              ;   in Loop: Header=BB23_109 Depth=2
	s_or_b32 exec_lo, exec_lo, s45
	s_delay_alu instid0(VALU_DEP_1) | instskip(NEXT) | instid1(VALU_DEP_2)
	v_mov_b32_dpp v10, v8 row_shr:2 row_mask:0xf bank_mask:0xf
	v_mov_b32_dpp v11, v9 row_shr:2 row_mask:0xf bank_mask:0xf
	s_and_saveexec_b32 s45, s1
; %bb.182:                              ;   in Loop: Header=BB23_109 Depth=2
	s_delay_alu instid0(VALU_DEP_1) | instskip(NEXT) | instid1(VALU_DEP_3)
	v_fmac_f32_e32 v9, v8, v11
	v_mul_f32_e32 v8, v8, v10
; %bb.183:                              ;   in Loop: Header=BB23_109 Depth=2
	s_or_b32 exec_lo, exec_lo, s45
	s_delay_alu instid0(VALU_DEP_1) | instskip(NEXT) | instid1(VALU_DEP_3)
	v_mov_b32_dpp v10, v8 row_shr:4 row_mask:0xf bank_mask:0xf
	v_mov_b32_dpp v11, v9 row_shr:4 row_mask:0xf bank_mask:0xf
	s_and_saveexec_b32 s45, s2
; %bb.184:                              ;   in Loop: Header=BB23_109 Depth=2
	s_delay_alu instid0(VALU_DEP_1) | instskip(NEXT) | instid1(VALU_DEP_3)
	v_fmac_f32_e32 v9, v8, v11
	v_mul_f32_e32 v8, v8, v10
; %bb.185:                              ;   in Loop: Header=BB23_109 Depth=2
	s_or_b32 exec_lo, exec_lo, s45
	s_delay_alu instid0(VALU_DEP_1) | instskip(NEXT) | instid1(VALU_DEP_3)
	v_mov_b32_dpp v10, v8 row_shr:8 row_mask:0xf bank_mask:0xf
	v_mov_b32_dpp v11, v9 row_shr:8 row_mask:0xf bank_mask:0xf
	s_and_saveexec_b32 s45, s3
; %bb.186:                              ;   in Loop: Header=BB23_109 Depth=2
	s_delay_alu instid0(VALU_DEP_1) | instskip(NEXT) | instid1(VALU_DEP_3)
	v_fmac_f32_e32 v9, v8, v11
	v_mul_f32_e32 v8, v8, v10
; %bb.187:                              ;   in Loop: Header=BB23_109 Depth=2
	s_or_b32 exec_lo, exec_lo, s45
	ds_swizzle_b32 v11, v8 offset:swizzle(BROADCAST,32,15)
	ds_swizzle_b32 v10, v9 offset:swizzle(BROADCAST,32,15)
	s_and_saveexec_b32 s45, s4
	s_cbranch_execz .LBB23_189
; %bb.188:                              ;   in Loop: Header=BB23_109 Depth=2
	s_waitcnt lgkmcnt(1)
	v_mul_f32_e32 v11, v8, v11
	s_waitcnt lgkmcnt(0)
	s_delay_alu instid0(VALU_DEP_1)
	v_dual_fmac_f32 v9, v8, v10 :: v_dual_mov_b32 v8, v11
.LBB23_189:                             ;   in Loop: Header=BB23_109 Depth=2
	s_or_b32 exec_lo, exec_lo, s45
	s_and_saveexec_b32 s45, s5
	s_cbranch_execz .LBB23_191
; %bb.190:                              ;   in Loop: Header=BB23_109 Depth=2
	ds_store_b64 v69, v[8:9] offset:4224
.LBB23_191:                             ;   in Loop: Header=BB23_109 Depth=2
	s_or_b32 exec_lo, exec_lo, s45
	s_waitcnt lgkmcnt(0)
	s_waitcnt_vscnt null, 0x0
	s_barrier
	buffer_gl0_inv
	s_and_saveexec_b32 s45, s6
	s_cbranch_execz .LBB23_193
; %bb.192:                              ;   in Loop: Header=BB23_109 Depth=2
	ds_load_b64 v[10:11], v70 offset:4224
	s_waitcnt lgkmcnt(0)
	v_mov_b32_dpp v170, v10 row_shr:1 row_mask:0xf bank_mask:0xf
	v_mov_b32_dpp v171, v11 row_shr:1 row_mask:0xf bank_mask:0xf
	s_delay_alu instid0(VALU_DEP_2) | instskip(NEXT) | instid1(VALU_DEP_2)
	v_mul_f32_e32 v170, v10, v170
	v_fma_f32 v171, v10, v171, v11
	s_delay_alu instid0(VALU_DEP_2) | instskip(NEXT) | instid1(VALU_DEP_2)
	v_cndmask_b32_e64 v10, v170, v10, s7
	v_cndmask_b32_e64 v11, v171, v11, s7
	ds_store_b64 v70, v[10:11] offset:4224
.LBB23_193:                             ;   in Loop: Header=BB23_109 Depth=2
	s_or_b32 exec_lo, exec_lo, s45
	s_waitcnt lgkmcnt(0)
	s_barrier
	buffer_gl0_inv
                                        ; implicit-def: $vgpr11
	s_and_saveexec_b32 s45, s9
	s_cbranch_execz .LBB23_195
; %bb.194:                              ;   in Loop: Header=BB23_109 Depth=2
	ds_load_b64 v[10:11], v69 offset:4216
	s_waitcnt lgkmcnt(0)
	v_mul_f32_e32 v170, v8, v10
	s_delay_alu instid0(VALU_DEP_1)
	v_dual_fmac_f32 v9, v8, v11 :: v_dual_mov_b32 v8, v170
.LBB23_195:                             ;   in Loop: Header=BB23_109 Depth=2
	s_or_b32 exec_lo, exec_lo, s45
	ds_bpermute_b32 v170, v71, v8
	ds_bpermute_b32 v171, v71, v9
	s_and_saveexec_b32 s45, s8
	s_cbranch_execz .LBB23_199
; %bb.196:                              ;   in Loop: Header=BB23_109 Depth=2
	ds_load_b64 v[8:9], v21 offset:4232
	s_and_saveexec_b32 s46, s10
	s_cbranch_execz .LBB23_198
; %bb.197:                              ;   in Loop: Header=BB23_109 Depth=2
	ds_store_b64 v21, v[16:17] offset:4232
.LBB23_198:                             ;   in Loop: Header=BB23_109 Depth=2
	s_or_b32 exec_lo, exec_lo, s46
	s_waitcnt lgkmcnt(0)
	v_fmac_f32_e32 v9, v8, v17
	s_delay_alu instid0(VALU_DEP_1)
	v_dual_mul_f32 v16, v16, v8 :: v_dual_mov_b32 v17, v9
.LBB23_199:                             ;   in Loop: Header=BB23_109 Depth=2
	s_or_b32 exec_lo, exec_lo, s45
	s_waitcnt lgkmcnt(0)
	s_barrier
	buffer_gl0_inv
	ds_load_b32 v8, v21 offset:4236
	s_and_saveexec_b32 s45, s10
	s_cbranch_execz .LBB23_108
; %bb.200:                              ;   in Loop: Header=BB23_109 Depth=2
	v_mov_b32_e32 v9, s88
	s_and_not1_b32 vcc_lo, exec_lo, s86
	ds_store_b64 v9, v[16:17]
	s_cbranch_vccnz .LBB23_108
; %bb.201:                              ;   in Loop: Header=BB23_109 Depth=2
	v_bfe_u32 v9, v17, 16, 1
	v_cmp_o_f32_e32 vcc_lo, v17, v17
	s_mov_b32 s61, s67
	s_delay_alu instid0(SALU_CYCLE_1) | instskip(NEXT) | instid1(VALU_DEP_2)
	s_lshl_b64 s[90:91], s[60:61], 1
	v_add3_u32 v9, v17, v9, 0x7fff
	s_add_u32 s90, s76, s90
	s_addc_u32 s91, s77, s91
	s_delay_alu instid0(VALU_DEP_1) | instskip(NEXT) | instid1(VALU_DEP_1)
	v_lshrrev_b32_e32 v9, 16, v9
	v_cndmask_b32_e32 v9, 0x7fc0, v9, vcc_lo
	global_store_b16 v21, v9, s[90:91]
	s_branch .LBB23_108
.LBB23_202:                             ;   in Loop: Header=BB23_12 Depth=1
	v_bfe_u32 v0, v120, 16, 1
	v_bfe_u32 v1, v119, 16, 1
	v_cmp_o_f32_e32 vcc_lo, v120, v120
	v_bfe_u32 v2, v118, 16, 1
	v_bfe_u32 v4, v114, 16, 1
	v_add3_u32 v0, v120, v0, 0x7fff
	v_add3_u32 v1, v119, v1, 0x7fff
	v_bfe_u32 v7, v116, 16, 1
	v_add3_u32 v2, v118, v2, 0x7fff
	v_bfe_u32 v6, v115, 16, 1
	v_lshrrev_b32_e32 v0, 16, v0
	v_lshrrev_b32_e32 v1, 16, v1
	v_add3_u32 v4, v114, v4, 0x7fff
	v_lshrrev_b32_e32 v2, 16, v2
	v_add3_u32 v7, v116, v7, 0x7fff
	v_cndmask_b32_e32 v0, 0x7fc0, v0, vcc_lo
	v_cmp_o_f32_e32 vcc_lo, v119, v119
	v_add3_u32 v6, v115, v6, 0x7fff
	v_bfe_u32 v3, v113, 16, 1
	v_bfe_u32 v10, v109, 16, 1
	;; [unrolled: 1-line block ×3, first 2 shown]
	v_cndmask_b32_e32 v5, 0x7fc0, v1, vcc_lo
	v_bfe_u32 v1, v117, 16, 1
	v_cmp_o_f32_e32 vcc_lo, v118, v118
	v_lshrrev_b32_e32 v6, 16, v6
	v_add3_u32 v3, v113, v3, 0x7fff
	v_bfe_u32 v12, v111, 16, 1
	v_add3_u32 v1, v117, v1, 0x7fff
	v_cndmask_b32_e32 v8, 0x7fc0, v2, vcc_lo
	v_cmp_o_f32_e32 vcc_lo, v117, v117
	v_lshrrev_b32_e32 v2, 16, v4
	v_lshrrev_b32_e32 v4, 16, v7
	;; [unrolled: 1-line block ×4, first 2 shown]
	v_bfe_u32 v7, v112, 16, 1
	v_add3_u32 v11, v106, v11, 0x7fff
	v_perm_b32 v0, v5, v0, 0x5040100
	v_cndmask_b32_e32 v1, 0x7fc0, v1, vcc_lo
	v_cmp_o_f32_e32 vcc_lo, v116, v116
	s_waitcnt_vscnt null, 0x0
	s_barrier
	buffer_gl0_inv
	s_mov_b32 s51, s67
	v_cndmask_b32_e32 v4, 0x7fc0, v4, vcc_lo
	v_cmp_o_f32_e32 vcc_lo, v115, v115
	s_lshl_b64 s[28:29], s[50:51], 1
	v_cndmask_b32_e32 v6, 0x7fc0, v6, vcc_lo
	v_cmp_o_f32_e32 vcc_lo, v114, v114
	v_cndmask_b32_e32 v2, 0x7fc0, v2, vcc_lo
	v_cmp_o_f32_e32 vcc_lo, v113, v113
	s_delay_alu instid0(VALU_DEP_2)
	v_perm_b32 v2, v2, v1, 0x5040100
	v_cndmask_b32_e32 v9, 0x7fc0, v3, vcc_lo
	v_perm_b32 v3, v6, v4, 0x5040100
	v_add3_u32 v6, v112, v7, 0x7fff
	v_bfe_u32 v7, v110, 16, 1
	v_cmp_o_f32_e32 vcc_lo, v112, v112
	v_perm_b32 v1, v9, v8, 0x5040100
	v_add3_u32 v8, v109, v10, 0x7fff
	v_lshrrev_b32_e32 v6, 16, v6
	v_add3_u32 v7, v110, v7, 0x7fff
	v_bfe_u32 v10, v105, 16, 1
	v_bfe_u32 v4, v108, 16, 1
	s_delay_alu instid0(VALU_DEP_4) | instskip(NEXT) | instid1(VALU_DEP_4)
	v_cndmask_b32_e32 v9, 0x7fc0, v6, vcc_lo
	v_lshrrev_b32_e32 v6, 16, v7
	v_lshrrev_b32_e32 v7, 16, v8
	v_bfe_u32 v8, v107, 16, 1
	v_cmp_o_f32_e32 vcc_lo, v110, v110
	v_add3_u32 v4, v108, v4, 0x7fff
	s_delay_alu instid0(VALU_DEP_3)
	v_add3_u32 v8, v107, v8, 0x7fff
	v_cndmask_b32_e32 v13, 0x7fc0, v6, vcc_lo
	v_cmp_o_f32_e32 vcc_lo, v109, v109
	v_add3_u32 v6, v105, v10, 0x7fff
	v_add3_u32 v10, v111, v12, 0x7fff
	v_lshrrev_b32_e32 v4, 16, v4
	v_cndmask_b32_e32 v12, 0x7fc0, v7, vcc_lo
	v_lshrrev_b32_e32 v7, 16, v8
	v_cmp_o_f32_e32 vcc_lo, v107, v107
	v_lshrrev_b32_e32 v8, 16, v11
	v_lshrrev_b32_e32 v10, 16, v10
	;; [unrolled: 1-line block ×3, first 2 shown]
	v_perm_b32 v5, v12, v13, 0x5040100
	v_cndmask_b32_e32 v11, 0x7fc0, v7, vcc_lo
	v_cmp_o_f32_e32 vcc_lo, v106, v106
	v_cndmask_b32_e32 v7, 0x7fc0, v8, vcc_lo
	v_cmp_o_f32_e32 vcc_lo, v111, v111
	;; [unrolled: 2-line block ×3, first 2 shown]
	s_delay_alu instid0(VALU_DEP_2) | instskip(SKIP_2) | instid1(VALU_DEP_2)
	v_perm_b32 v7, v8, v7, 0x5040100
	v_cndmask_b32_e32 v6, 0x7fc0, v6, vcc_lo
	v_cmp_o_f32_e32 vcc_lo, v108, v108
	v_perm_b32 v6, v6, v11, 0x5040100
	v_cndmask_b32_e32 v4, 0x7fc0, v4, vcc_lo
	s_delay_alu instid0(VALU_DEP_1)
	v_perm_b32 v4, v4, v9, 0x5040100
	ds_store_b128 v52, v[0:3]
	ds_store_b128 v52, v[4:7] offset:16
	; wave barrier
	ds_load_u16 v16, v37 offset:64
	ds_load_u16 v15, v38 offset:128
	;; [unrolled: 1-line block ×15, first 2 shown]
	v_add_co_u32 v0, vcc_lo, v72, s28
	v_add_co_ci_u32_e32 v1, vcc_lo, s29, v73, vcc_lo
	s_and_saveexec_b32 s28, s12
	s_cbranch_execnz .LBB23_220
; %bb.203:                              ;   in Loop: Header=BB23_12 Depth=1
	s_or_b32 exec_lo, exec_lo, s28
	s_and_saveexec_b32 s12, s13
	s_cbranch_execnz .LBB23_221
.LBB23_204:                             ;   in Loop: Header=BB23_12 Depth=1
	s_or_b32 exec_lo, exec_lo, s12
	s_and_saveexec_b32 s12, s14
	s_cbranch_execnz .LBB23_222
.LBB23_205:                             ;   in Loop: Header=BB23_12 Depth=1
	s_or_b32 exec_lo, exec_lo, s12
	s_and_saveexec_b32 s12, s15
	s_cbranch_execnz .LBB23_223
.LBB23_206:                             ;   in Loop: Header=BB23_12 Depth=1
	s_or_b32 exec_lo, exec_lo, s12
	s_and_saveexec_b32 s12, s16
	s_cbranch_execnz .LBB23_224
.LBB23_207:                             ;   in Loop: Header=BB23_12 Depth=1
	s_or_b32 exec_lo, exec_lo, s12
	s_and_saveexec_b32 s12, s17
	s_cbranch_execnz .LBB23_225
.LBB23_208:                             ;   in Loop: Header=BB23_12 Depth=1
	s_or_b32 exec_lo, exec_lo, s12
	s_and_saveexec_b32 s12, s18
	s_cbranch_execnz .LBB23_226
.LBB23_209:                             ;   in Loop: Header=BB23_12 Depth=1
	s_or_b32 exec_lo, exec_lo, s12
	s_and_saveexec_b32 s12, s19
	s_cbranch_execnz .LBB23_227
.LBB23_210:                             ;   in Loop: Header=BB23_12 Depth=1
	s_or_b32 exec_lo, exec_lo, s12
	s_and_saveexec_b32 s12, s20
	s_cbranch_execnz .LBB23_228
.LBB23_211:                             ;   in Loop: Header=BB23_12 Depth=1
	s_or_b32 exec_lo, exec_lo, s12
	s_and_saveexec_b32 s12, s21
	s_cbranch_execnz .LBB23_229
.LBB23_212:                             ;   in Loop: Header=BB23_12 Depth=1
	s_or_b32 exec_lo, exec_lo, s12
	s_and_saveexec_b32 s12, s22
	s_cbranch_execnz .LBB23_230
.LBB23_213:                             ;   in Loop: Header=BB23_12 Depth=1
	s_or_b32 exec_lo, exec_lo, s12
	s_and_saveexec_b32 s12, s23
	s_cbranch_execnz .LBB23_231
.LBB23_214:                             ;   in Loop: Header=BB23_12 Depth=1
	s_or_b32 exec_lo, exec_lo, s12
	s_and_saveexec_b32 s12, s24
	s_cbranch_execnz .LBB23_232
.LBB23_215:                             ;   in Loop: Header=BB23_12 Depth=1
	s_or_b32 exec_lo, exec_lo, s12
	s_and_saveexec_b32 s12, s25
	s_cbranch_execnz .LBB23_233
.LBB23_216:                             ;   in Loop: Header=BB23_12 Depth=1
	s_or_b32 exec_lo, exec_lo, s12
	s_and_saveexec_b32 s12, s26
	s_cbranch_execnz .LBB23_234
.LBB23_217:                             ;   in Loop: Header=BB23_12 Depth=1
	s_or_b32 exec_lo, exec_lo, s12
	s_and_saveexec_b32 s12, s27
	s_cbranch_execz .LBB23_11
	s_branch .LBB23_235
.LBB23_218:                             ;   in Loop: Header=BB23_12 Depth=1
	global_load_u16 v97, v[8:9], off offset:832
	s_or_b32 exec_lo, exec_lo, s28
	s_and_saveexec_b32 s28, s26
	s_cbranch_execz .LBB23_72
.LBB23_219:                             ;   in Loop: Header=BB23_12 Depth=1
	global_load_u16 v96, v[8:9], off offset:896
	s_or_b32 exec_lo, exec_lo, s28
	v_mov_b32_e32 v98, 0
	s_and_saveexec_b32 s28, s27
	s_cbranch_execnz .LBB23_73
	s_branch .LBB23_74
.LBB23_220:                             ;   in Loop: Header=BB23_12 Depth=1
	ds_load_u16 v17, v37
	s_waitcnt lgkmcnt(0)
	global_store_b16 v[0:1], v17, off
	s_or_b32 exec_lo, exec_lo, s28
	s_and_saveexec_b32 s12, s13
	s_cbranch_execz .LBB23_204
.LBB23_221:                             ;   in Loop: Header=BB23_12 Depth=1
	s_waitcnt lgkmcnt(14)
	global_store_b16 v[0:1], v16, off offset:64
	s_or_b32 exec_lo, exec_lo, s12
	s_and_saveexec_b32 s12, s14
	s_cbranch_execz .LBB23_205
.LBB23_222:                             ;   in Loop: Header=BB23_12 Depth=1
	s_waitcnt lgkmcnt(13)
	global_store_b16 v[0:1], v15, off offset:128
	s_or_b32 exec_lo, exec_lo, s12
	s_and_saveexec_b32 s12, s15
	s_cbranch_execz .LBB23_206
.LBB23_223:                             ;   in Loop: Header=BB23_12 Depth=1
	s_waitcnt lgkmcnt(12)
	global_store_b16 v[0:1], v14, off offset:192
	s_or_b32 exec_lo, exec_lo, s12
	s_and_saveexec_b32 s12, s16
	s_cbranch_execz .LBB23_207
.LBB23_224:                             ;   in Loop: Header=BB23_12 Depth=1
	s_waitcnt lgkmcnt(11)
	global_store_b16 v[0:1], v13, off offset:256
	s_or_b32 exec_lo, exec_lo, s12
	s_and_saveexec_b32 s12, s17
	s_cbranch_execz .LBB23_208
.LBB23_225:                             ;   in Loop: Header=BB23_12 Depth=1
	s_waitcnt lgkmcnt(10)
	global_store_b16 v[0:1], v12, off offset:320
	s_or_b32 exec_lo, exec_lo, s12
	s_and_saveexec_b32 s12, s18
	s_cbranch_execz .LBB23_209
.LBB23_226:                             ;   in Loop: Header=BB23_12 Depth=1
	s_waitcnt lgkmcnt(9)
	global_store_b16 v[0:1], v11, off offset:384
	s_or_b32 exec_lo, exec_lo, s12
	s_and_saveexec_b32 s12, s19
	s_cbranch_execz .LBB23_210
.LBB23_227:                             ;   in Loop: Header=BB23_12 Depth=1
	s_waitcnt lgkmcnt(8)
	global_store_b16 v[0:1], v10, off offset:448
	s_or_b32 exec_lo, exec_lo, s12
	s_and_saveexec_b32 s12, s20
	s_cbranch_execz .LBB23_211
.LBB23_228:                             ;   in Loop: Header=BB23_12 Depth=1
	s_waitcnt lgkmcnt(7)
	global_store_b16 v[0:1], v9, off offset:512
	s_or_b32 exec_lo, exec_lo, s12
	s_and_saveexec_b32 s12, s21
	s_cbranch_execz .LBB23_212
.LBB23_229:                             ;   in Loop: Header=BB23_12 Depth=1
	s_waitcnt lgkmcnt(6)
	global_store_b16 v[0:1], v8, off offset:576
	s_or_b32 exec_lo, exec_lo, s12
	s_and_saveexec_b32 s12, s22
	s_cbranch_execz .LBB23_213
.LBB23_230:                             ;   in Loop: Header=BB23_12 Depth=1
	s_waitcnt lgkmcnt(5)
	global_store_b16 v[0:1], v7, off offset:640
	s_or_b32 exec_lo, exec_lo, s12
	s_and_saveexec_b32 s12, s23
	s_cbranch_execz .LBB23_214
.LBB23_231:                             ;   in Loop: Header=BB23_12 Depth=1
	s_waitcnt lgkmcnt(4)
	global_store_b16 v[0:1], v6, off offset:704
	s_or_b32 exec_lo, exec_lo, s12
	s_and_saveexec_b32 s12, s24
	s_cbranch_execz .LBB23_215
.LBB23_232:                             ;   in Loop: Header=BB23_12 Depth=1
	s_waitcnt lgkmcnt(3)
	global_store_b16 v[0:1], v5, off offset:768
	s_or_b32 exec_lo, exec_lo, s12
	s_and_saveexec_b32 s12, s25
	s_cbranch_execz .LBB23_216
.LBB23_233:                             ;   in Loop: Header=BB23_12 Depth=1
	s_waitcnt lgkmcnt(2)
	global_store_b16 v[0:1], v4, off offset:832
	s_or_b32 exec_lo, exec_lo, s12
	s_and_saveexec_b32 s12, s26
	s_cbranch_execz .LBB23_217
.LBB23_234:                             ;   in Loop: Header=BB23_12 Depth=1
	s_waitcnt lgkmcnt(1)
	global_store_b16 v[0:1], v3, off offset:896
	s_or_b32 exec_lo, exec_lo, s12
	s_and_saveexec_b32 s12, s27
	s_cbranch_execz .LBB23_11
.LBB23_235:                             ;   in Loop: Header=BB23_12 Depth=1
	s_waitcnt lgkmcnt(0)
	global_store_b16 v[0:1], v2, off offset:960
	s_branch .LBB23_11
.LBB23_236:
	s_nop 0
	s_sendmsg sendmsg(MSG_DEALLOC_VGPRS)
	s_endpgm
	.section	.rodata,"a",@progbits
	.p2align	6, 0x0
	.amdhsa_kernel _Z25selective_scan_fwd_kernelI32Selective_Scan_fwd_kernel_traitsILi64ELi16ELi1ELb0ELb1ELb1ELb0ELb0EN3c108BFloat16EfS2_EEv13SSMParamsBase
		.amdhsa_group_segment_fixed_size 0
		.amdhsa_private_segment_fixed_size 0
		.amdhsa_kernarg_size 248
		.amdhsa_user_sgpr_count 14
		.amdhsa_user_sgpr_dispatch_ptr 0
		.amdhsa_user_sgpr_queue_ptr 0
		.amdhsa_user_sgpr_kernarg_segment_ptr 1
		.amdhsa_user_sgpr_dispatch_id 0
		.amdhsa_user_sgpr_private_segment_size 0
		.amdhsa_wavefront_size32 1
		.amdhsa_uses_dynamic_stack 0
		.amdhsa_enable_private_segment 0
		.amdhsa_system_sgpr_workgroup_id_x 1
		.amdhsa_system_sgpr_workgroup_id_y 1
		.amdhsa_system_sgpr_workgroup_id_z 0
		.amdhsa_system_sgpr_workgroup_info 0
		.amdhsa_system_vgpr_workitem_id 0
		.amdhsa_next_free_vgpr 172
		.amdhsa_next_free_sgpr 92
		.amdhsa_reserve_vcc 1
		.amdhsa_float_round_mode_32 0
		.amdhsa_float_round_mode_16_64 0
		.amdhsa_float_denorm_mode_32 3
		.amdhsa_float_denorm_mode_16_64 3
		.amdhsa_dx10_clamp 1
		.amdhsa_ieee_mode 1
		.amdhsa_fp16_overflow 0
		.amdhsa_workgroup_processor_mode 1
		.amdhsa_memory_ordered 1
		.amdhsa_forward_progress 0
		.amdhsa_shared_vgpr_count 0
		.amdhsa_exception_fp_ieee_invalid_op 0
		.amdhsa_exception_fp_denorm_src 0
		.amdhsa_exception_fp_ieee_div_zero 0
		.amdhsa_exception_fp_ieee_overflow 0
		.amdhsa_exception_fp_ieee_underflow 0
		.amdhsa_exception_fp_ieee_inexact 0
		.amdhsa_exception_int_div_zero 0
	.end_amdhsa_kernel
	.section	.text._Z25selective_scan_fwd_kernelI32Selective_Scan_fwd_kernel_traitsILi64ELi16ELi1ELb0ELb1ELb1ELb0ELb0EN3c108BFloat16EfS2_EEv13SSMParamsBase,"axG",@progbits,_Z25selective_scan_fwd_kernelI32Selective_Scan_fwd_kernel_traitsILi64ELi16ELi1ELb0ELb1ELb1ELb0ELb0EN3c108BFloat16EfS2_EEv13SSMParamsBase,comdat
.Lfunc_end23:
	.size	_Z25selective_scan_fwd_kernelI32Selective_Scan_fwd_kernel_traitsILi64ELi16ELi1ELb0ELb1ELb1ELb0ELb0EN3c108BFloat16EfS2_EEv13SSMParamsBase, .Lfunc_end23-_Z25selective_scan_fwd_kernelI32Selective_Scan_fwd_kernel_traitsILi64ELi16ELi1ELb0ELb1ELb1ELb0ELb0EN3c108BFloat16EfS2_EEv13SSMParamsBase
                                        ; -- End function
	.section	.AMDGPU.csdata,"",@progbits
; Kernel info:
; codeLenInByte = 21504
; NumSgprs: 94
; NumVgprs: 172
; ScratchSize: 0
; MemoryBound: 0
; FloatMode: 240
; IeeeMode: 1
; LDSByteSize: 0 bytes/workgroup (compile time only)
; SGPRBlocks: 11
; VGPRBlocks: 21
; NumSGPRsForWavesPerEU: 94
; NumVGPRsForWavesPerEU: 172
; Occupancy: 8
; WaveLimiterHint : 0
; COMPUTE_PGM_RSRC2:SCRATCH_EN: 0
; COMPUTE_PGM_RSRC2:USER_SGPR: 14
; COMPUTE_PGM_RSRC2:TRAP_HANDLER: 0
; COMPUTE_PGM_RSRC2:TGID_X_EN: 1
; COMPUTE_PGM_RSRC2:TGID_Y_EN: 1
; COMPUTE_PGM_RSRC2:TGID_Z_EN: 0
; COMPUTE_PGM_RSRC2:TIDIG_COMP_CNT: 0
	.section	.text._Z25selective_scan_fwd_kernelI32Selective_Scan_fwd_kernel_traitsILi128ELi16ELi1ELb1ELb1ELb1ELb1ELb1EN3c108BFloat16EfS2_EEv13SSMParamsBase,"axG",@progbits,_Z25selective_scan_fwd_kernelI32Selective_Scan_fwd_kernel_traitsILi128ELi16ELi1ELb1ELb1ELb1ELb1ELb1EN3c108BFloat16EfS2_EEv13SSMParamsBase,comdat
	.protected	_Z25selective_scan_fwd_kernelI32Selective_Scan_fwd_kernel_traitsILi128ELi16ELi1ELb1ELb1ELb1ELb1ELb1EN3c108BFloat16EfS2_EEv13SSMParamsBase ; -- Begin function _Z25selective_scan_fwd_kernelI32Selective_Scan_fwd_kernel_traitsILi128ELi16ELi1ELb1ELb1ELb1ELb1ELb1EN3c108BFloat16EfS2_EEv13SSMParamsBase
	.globl	_Z25selective_scan_fwd_kernelI32Selective_Scan_fwd_kernel_traitsILi128ELi16ELi1ELb1ELb1ELb1ELb1ELb1EN3c108BFloat16EfS2_EEv13SSMParamsBase
	.p2align	8
	.type	_Z25selective_scan_fwd_kernelI32Selective_Scan_fwd_kernel_traitsILi128ELi16ELi1ELb1ELb1ELb1ELb1ELb1EN3c108BFloat16EfS2_EEv13SSMParamsBase,@function
_Z25selective_scan_fwd_kernelI32Selective_Scan_fwd_kernel_traitsILi128ELi16ELi1ELb1ELb1ELb1ELb1ELb1EN3c108BFloat16EfS2_EEv13SSMParamsBase: ; @_Z25selective_scan_fwd_kernelI32Selective_Scan_fwd_kernel_traitsILi128ELi16ELi1ELb1ELb1ELb1ELb1ELb1EN3c108BFloat16EfS2_EEv13SSMParamsBase
; %bb.0:
	s_clause 0x2
	s_load_b32 s11, s[0:1], 0x18
	s_load_b256 s[36:43], s[0:1], 0xc8
	s_load_b128 s[4:7], s[0:1], 0xe8
	s_mov_b32 s34, s15
	s_ashr_i32 s15, s14, 31
	s_mov_b32 s66, 0
	s_lshl_b64 s[8:9], s[14:15], 2
	s_waitcnt lgkmcnt(0)
	s_abs_i32 s10, s11
	s_add_u32 s2, s42, s8
	v_cvt_f32_u32_e32 v1, s10
	s_addc_u32 s3, s43, s9
	s_cmp_eq_u64 s[6:7], 0
	s_delay_alu instid0(VALU_DEP_1) | instskip(SKIP_2) | instid1(VALU_DEP_1)
	v_rcp_iflag_f32_e32 v1, v1
	s_waitcnt_depctr 0xfff
	v_mul_f32_e32 v1, 0x4f7ffffe, v1
	v_cvt_u32_f32_e32 v1, v1
	s_delay_alu instid0(VALU_DEP_1)
	v_readfirstlane_b32 s12, v1
	s_cbranch_scc1 .LBB24_2
; %bb.1:
	v_mov_b32_e32 v1, 0
	s_add_u32 s6, s6, s14
	s_addc_u32 s7, s7, s15
	global_load_u8 v1, v1, s[6:7]
	s_waitcnt vmcnt(0)
	v_and_b32_e32 v1, 1, v1
	s_delay_alu instid0(VALU_DEP_1)
	v_cmp_eq_u32_e64 s66, 1, v1
.LBB24_2:
	s_load_b64 s[6:7], s[0:1], 0x20
	s_cmp_eq_u64 s[4:5], 0
	s_cbranch_scc1 .LBB24_4
; %bb.3:
	s_add_u32 s4, s4, s8
	s_addc_u32 s5, s5, s9
	s_load_b32 s14, s[4:5], 0x0
	s_waitcnt lgkmcnt(0)
	s_ashr_i32 s15, s14, 31
.LBB24_4:
	s_waitcnt lgkmcnt(0)
	s_cmp_eq_u64 s[6:7], s[14:15]
	s_cbranch_scc1 .LBB24_302
; %bb.5:
	s_load_b512 s[16:31], s[0:1], 0x88
	s_load_b64 s[42:43], s[2:3], 0x0
	s_mov_b32 s67, 0
	s_mov_b32 s68, 0
	s_waitcnt lgkmcnt(0)
	s_cmp_eq_u64 s[22:23], 0
	s_cbranch_scc1 .LBB24_7
; %bb.6:
	s_ashr_i32 s35, s34, 31
	s_delay_alu instid0(SALU_CYCLE_1) | instskip(NEXT) | instid1(SALU_CYCLE_1)
	s_lshl_b64 s[2:3], s[34:35], 2
	s_add_u32 s2, s22, s2
	s_addc_u32 s3, s23, s3
	s_load_b32 s68, s[2:3], 0x0
.LBB24_7:
	s_cmp_eq_u64 s[28:29], 0
	s_cbranch_scc1 .LBB24_9
; %bb.8:
	s_ashr_i32 s35, s34, 31
	s_delay_alu instid0(SALU_CYCLE_1) | instskip(NEXT) | instid1(SALU_CYCLE_1)
	s_lshl_b64 s[2:3], s[34:35], 2
	s_add_u32 s2, s28, s2
	s_addc_u32 s3, s29, s3
	s_load_b32 s67, s[2:3], 0x0
.LBB24_9:
	s_sub_i32 s69, s43, s42
	s_delay_alu instid0(SALU_CYCLE_1)
	s_cmp_lt_i32 s69, 1
	s_cbranch_scc1 .LBB24_302
; %bb.10:
	s_sub_i32 s2, 0, s10
	s_load_b256 s[48:55], s[0:1], 0x4c
	s_mul_i32 s2, s2, s12
	s_abs_i32 s3, s34
	s_mul_hi_u32 s2, s12, s2
	s_ashr_i32 s5, s11, 31
	s_add_i32 s12, s12, s2
	s_ashr_i32 s2, s34, 31
	s_mul_hi_u32 s4, s3, s12
	s_xor_b32 s5, s2, s5
	s_mul_i32 s6, s4, s10
	s_load_b256 s[56:63], s[0:1], 0x2c
	s_sub_i32 s2, s3, s6
	s_add_i32 s3, s4, 1
	s_sub_i32 s6, s2, s10
	s_cmp_ge_u32 s2, s10
	s_mov_b32 s65, 0
	s_cselect_b32 s3, s3, s4
	s_cselect_b32 s2, s6, s2
	s_add_i32 s4, s3, 1
	s_cmp_ge_u32 s2, s10
	s_waitcnt lgkmcnt(0)
	s_mul_i32 s64, s42, s50
	s_cselect_b32 s4, s4, s3
	s_lshl_b64 s[2:3], s[64:65], 1
	s_xor_b32 s4, s4, s5
	s_mul_i32 s64, s51, s34
	s_sub_i32 s6, s4, s5
	s_add_u32 s4, s24, s2
	s_addc_u32 s5, s25, s3
	s_lshl_b64 s[2:3], s[64:65], 1
	s_mul_i32 s64, s42, s52
	s_add_u32 s63, s4, s2
	s_addc_u32 s70, s5, s3
	s_lshl_b64 s[2:3], s[64:65], 1
	s_mul_i32 s64, s53, s34
	;; [unrolled: 4-line block ×3, first 2 shown]
	s_add_u32 s71, s4, s2
	s_addc_u32 s56, s5, s3
	s_load_b64 s[4:5], s[0:1], 0x7c
	v_dual_mov_b32 v21, 0 :: v_dual_lshlrev_b32 v18, 4, v0
	s_lshl_b64 s[2:3], s[64:65], 2
	s_mul_i32 s64, s42, s58
	s_add_u32 s72, s16, s2
	v_mbcnt_lo_u32_b32 v19, -1, 0
	v_and_b32_e32 v1, 0x600, v18
	s_addc_u32 s73, s17, s3
	s_lshl_b64 s[2:3], s[64:65], 1
	s_mul_i32 s64, s6, s61
	s_add_u32 s7, s18, s2
	s_addc_u32 s8, s19, s3
	s_clause 0x3
	s_load_b128 s[16:19], s[0:1], 0x6c
	s_load_b32 s75, s[0:1], 0x84
	s_load_b32 s78, s[0:1], 0xc
	s_load_b32 s0, s[0:1], 0x28
	v_or_b32_e32 v20, v19, v1
	s_lshl_b64 s[2:3], s[64:65], 1
	s_mul_i32 s64, s42, s62
	s_add_u32 s61, s7, s2
	s_addc_u32 s62, s8, s3
	s_lshl_b64 s[2:3], s[64:65], 1
	s_mul_i32 s64, s6, s49
	v_or_b32_e32 v24, 0x60, v20
	v_and_b32_e32 v14, 0x60, v0
	s_add_u32 s7, s20, s2
	s_addc_u32 s6, s21, s3
	s_lshl_b64 s[2:3], s[64:65], 1
	s_waitcnt lgkmcnt(0)
	s_mul_i32 s64, s14, s4
	s_add_u32 s49, s7, s2
	s_addc_u32 s74, s6, s3
	s_lshl_b64 s[2:3], s[64:65], 1
	v_or_b32_e32 v26, 0xa0, v20
	v_or_b32_e32 v28, 0xe0, v20
	;; [unrolled: 1-line block ×5, first 2 shown]
	v_lshrrev_b32_e32 v2, 5, v24
	v_or_b32_e32 v36, 0x1e0, v20
	v_or_b32_e32 v16, v19, v14
	s_mul_i32 s64, s5, s34
	s_add_u32 s4, s36, s2
	s_addc_u32 s5, s37, s3
	s_lshl_b64 s[2:3], s[64:65], 1
	v_or_b32_e32 v23, 64, v20
	s_add_u32 s76, s4, s2
	v_or_b32_e32 v25, 0x80, v20
	v_or_b32_e32 v27, 0xc0, v20
	;; [unrolled: 1-line block ×6, first 2 shown]
	v_and_b32_e32 v2, 50, v2
	v_lshrrev_b32_e32 v5, 5, v26
	v_lshrrev_b32_e32 v8, 5, v28
	v_lshrrev_b32_e32 v9, 5, v30
	v_lshrrev_b32_e32 v11, 5, v32
	v_lshrrev_b32_e32 v15, 5, v34
	v_lshrrev_b32_e32 v49, 5, v36
	v_lshrrev_b16 v50, 1, v16
	s_addc_u32 s77, s5, s3
	s_add_i32 s2, s69, 0x7ff
	v_lshrrev_b32_e32 v3, 5, v1
	s_lshr_b32 s79, s2, 11
	s_bitcmp1_b32 s0, 0
	v_lshrrev_b32_e32 v4, 5, v23
	v_lshrrev_b32_e32 v6, 5, v25
	v_add_lshl_u32 v2, v2, v20, 1
	v_and_b32_e32 v5, 52, v5
	v_lshrrev_b32_e32 v7, 5, v27
	v_and_b32_e32 v8, 54, v8
	v_lshrrev_b32_e32 v10, 5, v29
	;; [unrolled: 2-line block ×5, first 2 shown]
	v_and_b32_e32 v51, 62, v49
	v_lshlrev_b32_e32 v16, 4, v16
	v_and_b32_e32 v52, 62, v50
	s_cselect_b32 s80, -1, 0
	s_cmp_gt_i32 s78, 0
	v_add_lshl_u32 v3, v3, v20, 1
	s_cselect_b32 s81, -1, 0
	s_add_i32 s0, 0, 0x1080
	v_add_lshl_u32 v4, v4, v20, 1
	v_add_lshl_u32 v6, v6, v20, 1
	v_add_nc_u32_e32 v39, 0, v2
	v_add_lshl_u32 v5, v5, v20, 1
	v_add_lshl_u32 v7, v7, v20, 1
	;; [unrolled: 1-line block ×12, first 2 shown]
	v_add_nc_u32_e32 v55, s0, v2
	v_and_b32_e32 v2, 15, v19
	s_and_b32 s1, s69, 0x7ff
	v_add_nc_u32_e32 v51, 0, v67
	v_add_nc_u32_e32 v53, s0, v3
	;; [unrolled: 1-line block ×15, first 2 shown]
	s_cmp_eq_u32 s1, 0
	v_add_nc_u32_e32 v68, s0, v16
	v_cmp_ne_u32_e64 s0, 0, v2
	v_cmp_lt_u32_e64 s1, 1, v2
	v_cmp_lt_u32_e64 s2, 3, v2
	;; [unrolled: 1-line block ×3, first 2 shown]
	v_add_nc_u32_e32 v2, -1, v19
	v_add_nc_u32_e32 v37, 0, v3
	v_lshrrev_b32_e32 v3, 2, v0
	s_mul_i32 s64, s42, s16
	v_add_nc_u32_e32 v41, 0, v5
	v_or_b32_e32 v5, 31, v14
	v_cmp_gt_i32_e32 vcc_lo, 0, v2
	s_cselect_b32 s82, -1, 0
	s_lshl_b64 s[12:13], s[64:65], 1
	v_and_b32_e32 v3, 24, v3
	s_add_i32 s83, s79, -1
	v_cndmask_b32_e32 v2, v2, v19, vcc_lo
	s_mul_i32 s64, s17, s34
	s_add_u32 s16, s30, s12
	s_addc_u32 s13, s31, s13
	s_lshl_b64 s[14:15], s[64:65], 1
	v_cmp_eq_u32_e64 s5, v5, v0
	v_cmp_gt_u32_e64 s6, 4, v0
	v_lshl_add_u32 v70, v0, 3, 0
	v_cmp_gt_u32_e64 s9, 32, v0
	v_cmp_lt_u32_e64 s10, 31, v0
	v_cmp_eq_u32_e64 s11, 0, v0
	s_mul_i32 s64, s42, s54
	v_lshlrev_b32_e32 v0, 1, v19
	s_add_u32 s16, s16, s14
	v_add_nc_u32_e32 v38, 0, v4
	v_and_b32_e32 v4, 16, v19
	v_add_nc_u32_e32 v69, 0, v3
	v_and_b32_e32 v3, 3, v19
	s_addc_u32 s13, s13, s15
	s_lshl_b64 s[14:15], s[64:65], 1
	s_mul_i32 s64, s55, s34
	s_add_u32 s17, s38, s14
	v_lshlrev_b32_e32 v71, 2, v2
	s_addc_u32 s20, s39, s15
	s_lshl_b64 s[14:15], s[64:65], 1
	v_add_co_u32 v2, s16, s16, v0
	s_mul_i32 s64, s42, s18
	v_cmp_ne_u32_e64 s4, 0, v4
	v_cmp_ne_u32_e64 s7, 0, v3
	v_cmp_lt_u32_e64 s8, 1, v3
	v_add_co_ci_u32_e64 v3, null, s13, 0, s16
	s_add_u32 s13, s17, s14
	v_lshlrev_b32_e32 v4, 1, v1
	s_addc_u32 s16, s20, s15
	s_lshl_b64 s[14:15], s[64:65], 1
	s_mul_i32 s64, s19, s34
	s_add_u32 s17, s40, s14
	s_addc_u32 s18, s41, s15
	s_lshl_b64 s[14:15], s[64:65], 1
	v_add_co_u32 v72, vcc_lo, v2, v4
	v_add_co_u32 v2, s13, s13, v0
	s_add_u32 s14, s17, s14
	v_add_co_ci_u32_e32 v73, vcc_lo, 0, v3, vcc_lo
	v_add_co_ci_u32_e64 v3, null, s16, 0, s13
	s_addc_u32 s15, s18, s15
	v_add_co_u32 v0, s13, s14, v0
	s_delay_alu instid0(VALU_DEP_1) | instskip(SKIP_2) | instid1(VALU_DEP_4)
	v_add_co_ci_u32_e64 v5, null, s15, 0, s13
	v_add_co_u32 v74, vcc_lo, v2, v4
	v_add_co_ci_u32_e32 v75, vcc_lo, 0, v3, vcc_lo
	v_add_co_u32 v76, vcc_lo, v0, v4
	v_or_b32_e32 v22, 32, v20
	v_add_nc_u32_e32 v40, 0, v6
	v_add_nc_u32_e32 v42, 0, v7
	;; [unrolled: 1-line block ×11, first 2 shown]
	v_cmp_eq_u32_e64 s12, 0, v19
	v_add_co_ci_u32_e32 v77, vcc_lo, 0, v5, vcc_lo
	v_or_b32_e32 v78, 1, v18
	v_or_b32_e32 v79, 2, v18
	;; [unrolled: 1-line block ×15, first 2 shown]
	v_lshlrev_b32_e32 v93, 1, v1
	s_mov_b32 s84, 0x3e9b6dac
	s_add_i32 s85, 0, 0x2120
	s_mov_b32 s86, 0
	s_branch .LBB24_12
.LBB24_11:                              ;   in Loop: Header=BB24_12 Depth=1
	s_or_b32 exec_lo, exec_lo, s13
	s_add_u32 s71, s71, 0x1000
	s_addc_u32 s56, s56, 0
	s_add_u32 s63, s63, 0x1000
	s_addc_u32 s70, s70, 0
	s_add_u32 s61, s61, 0x1000
	s_addc_u32 s62, s62, 0
	s_add_u32 s49, s49, 0x1000
	s_addc_u32 s74, s74, 0
	s_add_i32 s86, s86, 1
	s_delay_alu instid0(SALU_CYCLE_1)
	s_cmp_lg_u32 s86, s79
	s_cbranch_scc0 .LBB24_302
.LBB24_12:                              ; =>This Loop Header: Depth=1
                                        ;     Child Loop BB24_109 Depth 2
	s_waitcnt lgkmcnt(14)
	v_lshlrev_b32_e32 v16, 1, v19
	s_lshl_b32 s50, s86, 11
	s_waitcnt lgkmcnt(0)
	v_mov_b32_e32 v2, 0
	s_sub_i32 s41, s69, s50
	v_add_co_u32 v0, s13, s63, v16
	s_delay_alu instid0(VALU_DEP_1) | instskip(SKIP_1) | instid1(VALU_DEP_3)
	v_add_co_ci_u32_e64 v1, null, s70, 0, s13
	v_cmp_gt_u32_e64 s13, s41, v20
	v_add_co_u32 v0, vcc_lo, v0, v93
	s_delay_alu instid0(VALU_DEP_3)
	v_add_co_ci_u32_e32 v1, vcc_lo, 0, v1, vcc_lo
	s_waitcnt_vscnt null, 0x0
	s_barrier
	buffer_gl0_inv
	s_and_saveexec_b32 s14, s13
	s_cbranch_execz .LBB24_14
; %bb.13:                               ;   in Loop: Header=BB24_12 Depth=1
	global_load_u16 v2, v[0:1], off
.LBB24_14:                              ;   in Loop: Header=BB24_12 Depth=1
	s_or_b32 exec_lo, exec_lo, s14
	v_cmp_gt_u32_e64 s14, s41, v22
	v_dual_mov_b32 v3, 0 :: v_dual_mov_b32 v4, 0
	s_delay_alu instid0(VALU_DEP_2)
	s_and_saveexec_b32 s15, s14
	s_cbranch_execz .LBB24_16
; %bb.15:                               ;   in Loop: Header=BB24_12 Depth=1
	global_load_u16 v4, v[0:1], off offset:64
.LBB24_16:                              ;   in Loop: Header=BB24_12 Depth=1
	s_or_b32 exec_lo, exec_lo, s15
	v_cmp_gt_u32_e64 s15, s41, v23
	s_delay_alu instid0(VALU_DEP_1)
	s_and_saveexec_b32 s16, s15
	s_cbranch_execz .LBB24_18
; %bb.17:                               ;   in Loop: Header=BB24_12 Depth=1
	global_load_u16 v3, v[0:1], off offset:128
.LBB24_18:                              ;   in Loop: Header=BB24_12 Depth=1
	s_or_b32 exec_lo, exec_lo, s16
	v_cmp_gt_u32_e64 s16, s41, v24
	v_dual_mov_b32 v5, 0 :: v_dual_mov_b32 v6, 0
	s_delay_alu instid0(VALU_DEP_2)
	s_and_saveexec_b32 s17, s16
	s_cbranch_execz .LBB24_20
; %bb.19:                               ;   in Loop: Header=BB24_12 Depth=1
	global_load_u16 v6, v[0:1], off offset:192
.LBB24_20:                              ;   in Loop: Header=BB24_12 Depth=1
	s_or_b32 exec_lo, exec_lo, s17
	v_cmp_gt_u32_e64 s17, s41, v25
	s_delay_alu instid0(VALU_DEP_1)
	s_and_saveexec_b32 s18, s17
	s_cbranch_execz .LBB24_22
; %bb.21:                               ;   in Loop: Header=BB24_12 Depth=1
	global_load_u16 v5, v[0:1], off offset:256
.LBB24_22:                              ;   in Loop: Header=BB24_12 Depth=1
	;; [unrolled: 17-line block ×3, first 2 shown]
	s_or_b32 exec_lo, exec_lo, s20
	v_cmp_gt_u32_e64 s20, s41, v28
	v_mov_b32_e32 v9, 0
	v_mov_b32_e32 v11, 0
	s_delay_alu instid0(VALU_DEP_3)
	s_and_saveexec_b32 s21, s20
	s_cbranch_execz .LBB24_28
; %bb.27:                               ;   in Loop: Header=BB24_12 Depth=1
	global_load_u16 v11, v[0:1], off offset:448
.LBB24_28:                              ;   in Loop: Header=BB24_12 Depth=1
	s_or_b32 exec_lo, exec_lo, s21
	v_cmp_gt_u32_e64 s21, s41, v29
	s_delay_alu instid0(VALU_DEP_1)
	s_and_saveexec_b32 s22, s21
	s_cbranch_execz .LBB24_30
; %bb.29:                               ;   in Loop: Header=BB24_12 Depth=1
	global_load_u16 v9, v[0:1], off offset:512
.LBB24_30:                              ;   in Loop: Header=BB24_12 Depth=1
	s_or_b32 exec_lo, exec_lo, s22
	v_cmp_gt_u32_e64 s22, s41, v30
	v_dual_mov_b32 v12, 0 :: v_dual_mov_b32 v13, 0
	s_delay_alu instid0(VALU_DEP_2)
	s_and_saveexec_b32 s23, s22
	s_cbranch_execz .LBB24_32
; %bb.31:                               ;   in Loop: Header=BB24_12 Depth=1
	global_load_u16 v13, v[0:1], off offset:576
.LBB24_32:                              ;   in Loop: Header=BB24_12 Depth=1
	s_or_b32 exec_lo, exec_lo, s23
	v_cmp_gt_u32_e64 s23, s41, v31
	s_delay_alu instid0(VALU_DEP_1)
	s_and_saveexec_b32 s24, s23
	s_cbranch_execz .LBB24_34
; %bb.33:                               ;   in Loop: Header=BB24_12 Depth=1
	global_load_u16 v12, v[0:1], off offset:640
.LBB24_34:                              ;   in Loop: Header=BB24_12 Depth=1
	s_or_b32 exec_lo, exec_lo, s24
	v_cmp_gt_u32_e64 s24, s41, v32
	v_dual_mov_b32 v14, 0 :: v_dual_mov_b32 v15, 0
	s_delay_alu instid0(VALU_DEP_2)
	;; [unrolled: 17-line block ×4, first 2 shown]
	s_and_saveexec_b32 s29, s28
	s_cbranch_execz .LBB24_44
; %bb.43:                               ;   in Loop: Header=BB24_12 Depth=1
	global_load_u16 v95, v[0:1], off offset:960
.LBB24_44:                              ;   in Loop: Header=BB24_12 Depth=1
	s_or_b32 exec_lo, exec_lo, s29
	s_waitcnt vmcnt(0)
	ds_store_b16 v37, v2
	ds_store_b16 v37, v4 offset:64
	ds_store_b16 v38, v3 offset:128
	;; [unrolled: 1-line block ×15, first 2 shown]
	; wave barrier
	ds_load_b128 v[0:3], v52
	ds_load_b128 v[4:7], v52 offset:16
	v_add_co_u32 v8, s29, s71, v16
	s_delay_alu instid0(VALU_DEP_1) | instskip(SKIP_1) | instid1(VALU_DEP_2)
	v_add_co_ci_u32_e64 v9, null, s56, 0, s29
	s_waitcnt lgkmcnt(0)
	v_add_co_u32 v8, vcc_lo, v8, v93
	s_delay_alu instid0(VALU_DEP_2)
	v_add_co_ci_u32_e32 v9, vcc_lo, 0, v9, vcc_lo
	s_barrier
	buffer_gl0_inv
	s_and_saveexec_b32 s29, s13
	s_cbranch_execz .LBB24_46
; %bb.45:                               ;   in Loop: Header=BB24_12 Depth=1
	global_load_u16 v10, v[8:9], off
.LBB24_46:                              ;   in Loop: Header=BB24_12 Depth=1
	s_or_b32 exec_lo, exec_lo, s29
	v_dual_mov_b32 v11, 0 :: v_dual_mov_b32 v12, 0
	s_and_saveexec_b32 s29, s14
	s_cbranch_execz .LBB24_48
; %bb.47:                               ;   in Loop: Header=BB24_12 Depth=1
	global_load_u16 v12, v[8:9], off offset:64
.LBB24_48:                              ;   in Loop: Header=BB24_12 Depth=1
	s_or_b32 exec_lo, exec_lo, s29
	s_and_saveexec_b32 s29, s15
	s_cbranch_execz .LBB24_50
; %bb.49:                               ;   in Loop: Header=BB24_12 Depth=1
	global_load_u16 v11, v[8:9], off offset:128
.LBB24_50:                              ;   in Loop: Header=BB24_12 Depth=1
	s_or_b32 exec_lo, exec_lo, s29
	v_dual_mov_b32 v13, 0 :: v_dual_mov_b32 v14, 0
	s_and_saveexec_b32 s29, s16
	s_cbranch_execz .LBB24_52
; %bb.51:                               ;   in Loop: Header=BB24_12 Depth=1
	global_load_u16 v14, v[8:9], off offset:192
.LBB24_52:                              ;   in Loop: Header=BB24_12 Depth=1
	s_or_b32 exec_lo, exec_lo, s29
	s_and_saveexec_b32 s29, s17
	s_cbranch_execz .LBB24_54
; %bb.53:                               ;   in Loop: Header=BB24_12 Depth=1
	global_load_u16 v13, v[8:9], off offset:256
.LBB24_54:                              ;   in Loop: Header=BB24_12 Depth=1
	s_or_b32 exec_lo, exec_lo, s29
	v_mov_b32_e32 v15, 0
	v_mov_b32_e32 v17, 0
	s_and_saveexec_b32 s29, s18
	s_cbranch_execz .LBB24_56
; %bb.55:                               ;   in Loop: Header=BB24_12 Depth=1
	global_load_u16 v17, v[8:9], off offset:320
.LBB24_56:                              ;   in Loop: Header=BB24_12 Depth=1
	s_or_b32 exec_lo, exec_lo, s29
	s_and_saveexec_b32 s29, s19
	s_cbranch_execz .LBB24_58
; %bb.57:                               ;   in Loop: Header=BB24_12 Depth=1
	global_load_u16 v15, v[8:9], off offset:384
.LBB24_58:                              ;   in Loop: Header=BB24_12 Depth=1
	s_or_b32 exec_lo, exec_lo, s29
	v_dual_mov_b32 v94, 0 :: v_dual_mov_b32 v95, 0
	s_and_saveexec_b32 s29, s20
	s_cbranch_execz .LBB24_60
; %bb.59:                               ;   in Loop: Header=BB24_12 Depth=1
	global_load_u16 v95, v[8:9], off offset:448
.LBB24_60:                              ;   in Loop: Header=BB24_12 Depth=1
	s_or_b32 exec_lo, exec_lo, s29
	s_and_saveexec_b32 s29, s21
	s_cbranch_execz .LBB24_62
; %bb.61:                               ;   in Loop: Header=BB24_12 Depth=1
	global_load_u16 v94, v[8:9], off offset:512
.LBB24_62:                              ;   in Loop: Header=BB24_12 Depth=1
	s_or_b32 exec_lo, exec_lo, s29
	v_dual_mov_b32 v96, 0 :: v_dual_mov_b32 v97, 0
	;; [unrolled: 13-line block ×4, first 2 shown]
	s_and_saveexec_b32 s29, s26
	s_cbranch_execnz .LBB24_269
; %bb.71:                               ;   in Loop: Header=BB24_12 Depth=1
	s_or_b32 exec_lo, exec_lo, s29
	s_and_saveexec_b32 s29, s27
	s_cbranch_execnz .LBB24_270
.LBB24_72:                              ;   in Loop: Header=BB24_12 Depth=1
	s_or_b32 exec_lo, exec_lo, s29
	v_mov_b32_e32 v102, 0
	s_and_saveexec_b32 s29, s28
	s_cbranch_execz .LBB24_74
.LBB24_73:                              ;   in Loop: Header=BB24_12 Depth=1
	global_load_u16 v102, v[8:9], off offset:960
.LBB24_74:                              ;   in Loop: Header=BB24_12 Depth=1
	s_or_b32 exec_lo, exec_lo, s29
	s_waitcnt vmcnt(0)
	ds_store_b16 v37, v10
	ds_store_b16 v37, v12 offset:64
	ds_store_b16 v38, v11 offset:128
	;; [unrolled: 1-line block ×15, first 2 shown]
	; wave barrier
	ds_load_b128 v[12:15], v52
	ds_load_b128 v[8:11], v52 offset:16
	s_waitcnt lgkmcnt(1)
	v_lshlrev_b32_e32 v17, 16, v12
	s_delay_alu instid0(VALU_DEP_1) | instskip(NEXT) | instid1(VALU_DEP_1)
	v_add_f32_e32 v94, s67, v17
	v_cmp_ge_f32_e32 vcc_lo, 0x41a00000, v94
	s_and_b32 s29, s80, vcc_lo
	s_delay_alu instid0(SALU_CYCLE_1)
	s_and_saveexec_b32 s30, s29
	s_cbranch_execz .LBB24_76
; %bb.75:                               ;   in Loop: Header=BB24_12 Depth=1
	v_mul_f32_e32 v17, 0x3fb8aa3b, v94
	v_cmp_ngt_f32_e32 vcc_lo, 0xc2ce8ed0, v94
	s_delay_alu instid0(VALU_DEP_2) | instskip(SKIP_1) | instid1(VALU_DEP_1)
	v_rndne_f32_e32 v95, v17
	v_fma_f32 v96, 0x3fb8aa3b, v94, -v17
	v_dual_sub_f32 v17, v17, v95 :: v_dual_fmac_f32 v96, 0x32a5705f, v94
	v_cvt_i32_f32_e32 v95, v95
	s_delay_alu instid0(VALU_DEP_2) | instskip(NEXT) | instid1(VALU_DEP_1)
	v_add_f32_e32 v17, v17, v96
	v_exp_f32_e32 v17, v17
	s_waitcnt_depctr 0xfff
	v_ldexp_f32 v17, v17, v95
	s_delay_alu instid0(VALU_DEP_1) | instskip(SKIP_1) | instid1(VALU_DEP_2)
	v_cndmask_b32_e32 v17, 0, v17, vcc_lo
	v_cmp_nlt_f32_e32 vcc_lo, 0x42b17218, v94
	v_cndmask_b32_e32 v17, 0x7f800000, v17, vcc_lo
	s_delay_alu instid0(VALU_DEP_1) | instskip(NEXT) | instid1(VALU_DEP_1)
	v_add_f32_e32 v96, 1.0, v17
	v_cvt_f64_f32_e32 v[94:95], v96
	s_delay_alu instid0(VALU_DEP_1) | instskip(SKIP_1) | instid1(VALU_DEP_1)
	v_frexp_exp_i32_f64_e32 v94, v[94:95]
	v_frexp_mant_f32_e32 v95, v96
	v_cmp_gt_f32_e32 vcc_lo, 0x3f2aaaab, v95
	v_add_f32_e32 v95, -1.0, v96
	s_delay_alu instid0(VALU_DEP_1) | instskip(NEXT) | instid1(VALU_DEP_1)
	v_dual_sub_f32 v98, v95, v96 :: v_dual_sub_f32 v95, v17, v95
	v_add_f32_e32 v98, 1.0, v98
	v_subrev_co_ci_u32_e32 v94, vcc_lo, 0, v94, vcc_lo
	s_delay_alu instid0(VALU_DEP_1) | instskip(SKIP_1) | instid1(VALU_DEP_2)
	v_sub_nc_u32_e32 v97, 0, v94
	v_cvt_f32_i32_e32 v94, v94
	v_ldexp_f32 v96, v96, v97
	v_add_f32_e32 v95, v95, v98
	s_delay_alu instid0(VALU_DEP_1) | instskip(NEXT) | instid1(VALU_DEP_3)
	v_ldexp_f32 v95, v95, v97
	v_add_f32_e32 v99, 1.0, v96
	s_delay_alu instid0(VALU_DEP_1) | instskip(NEXT) | instid1(VALU_DEP_1)
	v_add_f32_e32 v98, -1.0, v99
	v_sub_f32_e32 v98, v96, v98
	v_cmp_eq_f32_e32 vcc_lo, 0x7f800000, v17
	v_cmp_gt_f32_e64 s29, 0x33800000, v17
	s_delay_alu instid0(VALU_DEP_3) | instskip(NEXT) | instid1(VALU_DEP_2)
	v_dual_add_f32 v98, v95, v98 :: v_dual_add_f32 v97, -1.0, v96
	s_or_b32 vcc_lo, s29, vcc_lo
	s_delay_alu instid0(VALU_DEP_1) | instskip(NEXT) | instid1(VALU_DEP_1)
	v_add_f32_e32 v100, 1.0, v97
	v_sub_f32_e32 v96, v96, v100
	s_delay_alu instid0(VALU_DEP_3) | instskip(NEXT) | instid1(VALU_DEP_1)
	v_add_f32_e32 v100, v99, v98
	v_sub_f32_e32 v99, v99, v100
	s_delay_alu instid0(VALU_DEP_3) | instskip(SKIP_1) | instid1(VALU_DEP_2)
	v_add_f32_e32 v95, v95, v96
	v_rcp_f32_e32 v96, v100
	v_add_f32_e32 v98, v98, v99
	s_delay_alu instid0(VALU_DEP_2) | instskip(NEXT) | instid1(VALU_DEP_1)
	v_add_f32_e32 v101, v97, v95
	v_sub_f32_e32 v97, v97, v101
	s_waitcnt_depctr 0xfff
	v_dual_mul_f32 v102, v101, v96 :: v_dual_add_f32 v95, v95, v97
	s_delay_alu instid0(VALU_DEP_1) | instskip(NEXT) | instid1(VALU_DEP_1)
	v_mul_f32_e32 v103, v100, v102
	v_fma_f32 v99, v102, v100, -v103
	s_delay_alu instid0(VALU_DEP_1) | instskip(NEXT) | instid1(VALU_DEP_1)
	v_fmac_f32_e32 v99, v102, v98
	v_add_f32_e32 v104, v103, v99
	s_delay_alu instid0(VALU_DEP_1) | instskip(NEXT) | instid1(VALU_DEP_1)
	v_sub_f32_e32 v105, v101, v104
	v_sub_f32_e32 v101, v101, v105
	;; [unrolled: 1-line block ×3, first 2 shown]
	s_delay_alu instid0(VALU_DEP_2) | instskip(NEXT) | instid1(VALU_DEP_2)
	v_sub_f32_e32 v101, v101, v104
	v_sub_f32_e32 v97, v97, v99
	s_delay_alu instid0(VALU_DEP_2) | instskip(NEXT) | instid1(VALU_DEP_1)
	v_add_f32_e32 v95, v95, v101
	v_add_f32_e32 v95, v97, v95
	s_delay_alu instid0(VALU_DEP_1) | instskip(NEXT) | instid1(VALU_DEP_1)
	v_add_f32_e32 v97, v105, v95
	v_mul_f32_e32 v99, v96, v97
	s_delay_alu instid0(VALU_DEP_1) | instskip(NEXT) | instid1(VALU_DEP_1)
	v_dual_sub_f32 v104, v105, v97 :: v_dual_mul_f32 v101, v100, v99
	v_add_f32_e32 v95, v95, v104
	s_delay_alu instid0(VALU_DEP_2) | instskip(NEXT) | instid1(VALU_DEP_1)
	v_fma_f32 v100, v99, v100, -v101
	v_fmac_f32_e32 v100, v99, v98
	s_delay_alu instid0(VALU_DEP_1) | instskip(NEXT) | instid1(VALU_DEP_1)
	v_add_f32_e32 v98, v101, v100
	v_sub_f32_e32 v103, v97, v98
	v_sub_f32_e32 v101, v98, v101
	s_delay_alu instid0(VALU_DEP_2) | instskip(NEXT) | instid1(VALU_DEP_1)
	v_sub_f32_e32 v97, v97, v103
	v_sub_f32_e32 v97, v97, v98
	s_delay_alu instid0(VALU_DEP_1) | instskip(SKIP_1) | instid1(VALU_DEP_1)
	v_dual_sub_f32 v98, v101, v100 :: v_dual_add_f32 v95, v95, v97
	v_add_f32_e32 v97, v102, v99
	v_dual_add_f32 v95, v98, v95 :: v_dual_sub_f32 v98, v97, v102
	s_delay_alu instid0(VALU_DEP_1) | instskip(NEXT) | instid1(VALU_DEP_1)
	v_add_f32_e32 v95, v103, v95
	v_dual_sub_f32 v98, v99, v98 :: v_dual_mul_f32 v95, v96, v95
	s_delay_alu instid0(VALU_DEP_1) | instskip(NEXT) | instid1(VALU_DEP_1)
	v_add_f32_e32 v95, v98, v95
	v_add_f32_e32 v96, v97, v95
	s_delay_alu instid0(VALU_DEP_1) | instskip(NEXT) | instid1(VALU_DEP_1)
	v_mul_f32_e32 v98, v96, v96
	v_fmaak_f32 v99, s84, v98, 0x3ecc95a3
	v_mul_f32_e32 v100, v96, v98
	s_delay_alu instid0(VALU_DEP_2) | instskip(SKIP_2) | instid1(VALU_DEP_3)
	v_fmaak_f32 v98, v98, v99, 0x3f2aaada
	v_ldexp_f32 v99, v96, 1
	v_sub_f32_e32 v96, v96, v97
	v_mul_f32_e32 v98, v100, v98
	s_delay_alu instid0(VALU_DEP_2) | instskip(NEXT) | instid1(VALU_DEP_2)
	v_dual_mul_f32 v100, 0x3f317218, v94 :: v_dual_sub_f32 v95, v95, v96
	v_add_f32_e32 v97, v99, v98
	s_delay_alu instid0(VALU_DEP_2) | instskip(NEXT) | instid1(VALU_DEP_2)
	v_ldexp_f32 v95, v95, 1
	v_sub_f32_e32 v96, v97, v99
	s_delay_alu instid0(VALU_DEP_4) | instskip(NEXT) | instid1(VALU_DEP_1)
	v_fma_f32 v99, 0x3f317218, v94, -v100
	v_dual_sub_f32 v96, v98, v96 :: v_dual_fmac_f32 v99, 0xb102e308, v94
	s_delay_alu instid0(VALU_DEP_1) | instskip(NEXT) | instid1(VALU_DEP_1)
	v_dual_add_f32 v94, v95, v96 :: v_dual_add_f32 v95, v100, v99
	v_add_f32_e32 v96, v97, v94
	s_delay_alu instid0(VALU_DEP_2) | instskip(NEXT) | instid1(VALU_DEP_2)
	v_sub_f32_e32 v100, v95, v100
	v_dual_add_f32 v98, v95, v96 :: v_dual_sub_f32 v97, v96, v97
	s_delay_alu instid0(VALU_DEP_2) | instskip(NEXT) | instid1(VALU_DEP_2)
	v_sub_f32_e32 v99, v99, v100
	v_sub_f32_e32 v101, v98, v95
	s_delay_alu instid0(VALU_DEP_3) | instskip(NEXT) | instid1(VALU_DEP_2)
	v_sub_f32_e32 v94, v94, v97
	v_sub_f32_e32 v102, v98, v101
	s_delay_alu instid0(VALU_DEP_2) | instskip(NEXT) | instid1(VALU_DEP_2)
	v_dual_sub_f32 v96, v96, v101 :: v_dual_add_f32 v97, v99, v94
	v_sub_f32_e32 v95, v95, v102
	s_delay_alu instid0(VALU_DEP_1) | instskip(NEXT) | instid1(VALU_DEP_3)
	v_add_f32_e32 v95, v96, v95
	v_sub_f32_e32 v96, v97, v99
	s_delay_alu instid0(VALU_DEP_2) | instskip(NEXT) | instid1(VALU_DEP_2)
	v_add_f32_e32 v95, v97, v95
	v_sub_f32_e32 v97, v97, v96
	v_sub_f32_e32 v94, v94, v96
	s_delay_alu instid0(VALU_DEP_2) | instskip(NEXT) | instid1(VALU_DEP_1)
	v_dual_add_f32 v100, v98, v95 :: v_dual_sub_f32 v97, v99, v97
	v_sub_f32_e32 v96, v100, v98
	s_delay_alu instid0(VALU_DEP_1) | instskip(NEXT) | instid1(VALU_DEP_1)
	v_dual_add_f32 v94, v94, v97 :: v_dual_sub_f32 v95, v95, v96
	v_add_f32_e32 v94, v94, v95
	s_delay_alu instid0(VALU_DEP_1) | instskip(NEXT) | instid1(VALU_DEP_1)
	v_add_f32_e32 v94, v100, v94
	v_cndmask_b32_e32 v94, v94, v17, vcc_lo
.LBB24_76:                              ;   in Loop: Header=BB24_12 Depth=1
	s_or_b32 exec_lo, exec_lo, s30
	v_and_b32_e32 v12, 0xffff0000, v12
	s_delay_alu instid0(VALU_DEP_1) | instskip(NEXT) | instid1(VALU_DEP_1)
	v_add_f32_e32 v95, s67, v12
	v_cmp_ge_f32_e32 vcc_lo, 0x41a00000, v95
	s_and_b32 s29, s80, vcc_lo
	s_delay_alu instid0(SALU_CYCLE_1)
	s_and_saveexec_b32 s30, s29
	s_cbranch_execz .LBB24_78
; %bb.77:                               ;   in Loop: Header=BB24_12 Depth=1
	v_mul_f32_e32 v12, 0x3fb8aa3b, v95
	v_cmp_ngt_f32_e32 vcc_lo, 0xc2ce8ed0, v95
	s_delay_alu instid0(VALU_DEP_2) | instskip(SKIP_1) | instid1(VALU_DEP_2)
	v_rndne_f32_e32 v17, v12
	v_fma_f32 v96, 0x3fb8aa3b, v95, -v12
	v_sub_f32_e32 v12, v12, v17
	s_delay_alu instid0(VALU_DEP_2) | instskip(SKIP_1) | instid1(VALU_DEP_2)
	v_fmac_f32_e32 v96, 0x32a5705f, v95
	v_cvt_i32_f32_e32 v17, v17
	v_add_f32_e32 v12, v12, v96
	s_delay_alu instid0(VALU_DEP_1) | instskip(SKIP_2) | instid1(VALU_DEP_1)
	v_exp_f32_e32 v12, v12
	s_waitcnt_depctr 0xfff
	v_ldexp_f32 v12, v12, v17
	v_cndmask_b32_e32 v12, 0, v12, vcc_lo
	v_cmp_nlt_f32_e32 vcc_lo, 0x42b17218, v95
	s_delay_alu instid0(VALU_DEP_2) | instskip(NEXT) | instid1(VALU_DEP_1)
	v_cndmask_b32_e32 v12, 0x7f800000, v12, vcc_lo
	v_add_f32_e32 v17, 1.0, v12
	s_delay_alu instid0(VALU_DEP_1) | instskip(NEXT) | instid1(VALU_DEP_1)
	v_cvt_f64_f32_e32 v[95:96], v17
	v_frexp_exp_i32_f64_e32 v95, v[95:96]
	v_frexp_mant_f32_e32 v96, v17
	s_delay_alu instid0(VALU_DEP_1) | instskip(SKIP_1) | instid1(VALU_DEP_1)
	v_cmp_gt_f32_e32 vcc_lo, 0x3f2aaaab, v96
	v_add_f32_e32 v96, -1.0, v17
	v_sub_f32_e32 v98, v96, v17
	v_sub_f32_e32 v96, v12, v96
	s_delay_alu instid0(VALU_DEP_2) | instskip(NEXT) | instid1(VALU_DEP_1)
	v_add_f32_e32 v98, 1.0, v98
	v_add_f32_e32 v96, v96, v98
	v_subrev_co_ci_u32_e32 v95, vcc_lo, 0, v95, vcc_lo
	s_delay_alu instid0(VALU_DEP_1) | instskip(SKIP_1) | instid1(VALU_DEP_2)
	v_sub_nc_u32_e32 v97, 0, v95
	v_cvt_f32_i32_e32 v95, v95
	v_ldexp_f32 v17, v17, v97
	v_ldexp_f32 v96, v96, v97
	s_delay_alu instid0(VALU_DEP_2) | instskip(NEXT) | instid1(VALU_DEP_1)
	v_add_f32_e32 v99, 1.0, v17
	v_dual_add_f32 v97, -1.0, v17 :: v_dual_add_f32 v98, -1.0, v99
	s_delay_alu instid0(VALU_DEP_1) | instskip(NEXT) | instid1(VALU_DEP_2)
	v_add_f32_e32 v100, 1.0, v97
	v_sub_f32_e32 v98, v17, v98
	s_delay_alu instid0(VALU_DEP_2) | instskip(NEXT) | instid1(VALU_DEP_1)
	v_sub_f32_e32 v17, v17, v100
	v_add_f32_e32 v17, v96, v17
	s_delay_alu instid0(VALU_DEP_1) | instskip(SKIP_2) | instid1(VALU_DEP_3)
	v_add_f32_e32 v101, v97, v17
	v_cmp_eq_f32_e32 vcc_lo, 0x7f800000, v12
	v_cmp_gt_f32_e64 s29, 0x33800000, v12
	v_dual_sub_f32 v97, v97, v101 :: v_dual_add_f32 v98, v96, v98
	s_delay_alu instid0(VALU_DEP_2) | instskip(NEXT) | instid1(VALU_DEP_1)
	s_or_b32 vcc_lo, s29, vcc_lo
	v_dual_add_f32 v17, v17, v97 :: v_dual_add_f32 v100, v99, v98
	s_delay_alu instid0(VALU_DEP_1) | instskip(SKIP_1) | instid1(VALU_DEP_1)
	v_rcp_f32_e32 v96, v100
	v_sub_f32_e32 v99, v99, v100
	v_add_f32_e32 v98, v98, v99
	s_waitcnt_depctr 0xfff
	v_mul_f32_e32 v102, v101, v96
	s_delay_alu instid0(VALU_DEP_1) | instskip(NEXT) | instid1(VALU_DEP_1)
	v_mul_f32_e32 v103, v100, v102
	v_fma_f32 v99, v102, v100, -v103
	s_delay_alu instid0(VALU_DEP_1) | instskip(NEXT) | instid1(VALU_DEP_1)
	v_fmac_f32_e32 v99, v102, v98
	v_add_f32_e32 v104, v103, v99
	s_delay_alu instid0(VALU_DEP_1) | instskip(SKIP_1) | instid1(VALU_DEP_2)
	v_sub_f32_e32 v105, v101, v104
	v_sub_f32_e32 v97, v104, v103
	v_sub_f32_e32 v101, v101, v105
	s_delay_alu instid0(VALU_DEP_2) | instskip(NEXT) | instid1(VALU_DEP_2)
	v_sub_f32_e32 v97, v97, v99
	v_sub_f32_e32 v101, v101, v104
	s_delay_alu instid0(VALU_DEP_1) | instskip(NEXT) | instid1(VALU_DEP_1)
	v_add_f32_e32 v17, v17, v101
	v_add_f32_e32 v17, v97, v17
	s_delay_alu instid0(VALU_DEP_1) | instskip(NEXT) | instid1(VALU_DEP_1)
	v_add_f32_e32 v97, v105, v17
	v_mul_f32_e32 v99, v96, v97
	s_delay_alu instid0(VALU_DEP_1) | instskip(NEXT) | instid1(VALU_DEP_1)
	v_mul_f32_e32 v101, v100, v99
	v_fma_f32 v100, v99, v100, -v101
	s_delay_alu instid0(VALU_DEP_1) | instskip(SKIP_1) | instid1(VALU_DEP_2)
	v_fmac_f32_e32 v100, v99, v98
	v_sub_f32_e32 v104, v105, v97
	v_add_f32_e32 v98, v101, v100
	s_delay_alu instid0(VALU_DEP_2) | instskip(NEXT) | instid1(VALU_DEP_2)
	v_add_f32_e32 v17, v17, v104
	v_sub_f32_e32 v103, v97, v98
	s_delay_alu instid0(VALU_DEP_1) | instskip(NEXT) | instid1(VALU_DEP_1)
	v_sub_f32_e32 v97, v97, v103
	v_sub_f32_e32 v97, v97, v98
	s_delay_alu instid0(VALU_DEP_1) | instskip(SKIP_2) | instid1(VALU_DEP_1)
	v_add_f32_e32 v17, v17, v97
	v_add_f32_e32 v97, v102, v99
	v_sub_f32_e32 v101, v98, v101
	v_sub_f32_e32 v98, v101, v100
	s_delay_alu instid0(VALU_DEP_1) | instskip(NEXT) | instid1(VALU_DEP_1)
	v_dual_add_f32 v17, v98, v17 :: v_dual_sub_f32 v98, v97, v102
	v_add_f32_e32 v17, v103, v17
	s_delay_alu instid0(VALU_DEP_1) | instskip(NEXT) | instid1(VALU_DEP_1)
	v_dual_sub_f32 v98, v99, v98 :: v_dual_mul_f32 v17, v96, v17
	v_add_f32_e32 v17, v98, v17
	s_delay_alu instid0(VALU_DEP_1) | instskip(NEXT) | instid1(VALU_DEP_1)
	v_add_f32_e32 v96, v97, v17
	v_mul_f32_e32 v98, v96, v96
	s_delay_alu instid0(VALU_DEP_1) | instskip(SKIP_1) | instid1(VALU_DEP_2)
	v_fmaak_f32 v99, s84, v98, 0x3ecc95a3
	v_mul_f32_e32 v100, v96, v98
	v_fmaak_f32 v98, v98, v99, 0x3f2aaada
	v_ldexp_f32 v99, v96, 1
	s_delay_alu instid0(VALU_DEP_2) | instskip(SKIP_1) | instid1(VALU_DEP_2)
	v_mul_f32_e32 v98, v100, v98
	v_sub_f32_e32 v96, v96, v97
	v_dual_mul_f32 v100, 0x3f317218, v95 :: v_dual_add_f32 v97, v99, v98
	s_delay_alu instid0(VALU_DEP_2) | instskip(NEXT) | instid1(VALU_DEP_2)
	v_sub_f32_e32 v17, v17, v96
	v_sub_f32_e32 v96, v97, v99
	s_delay_alu instid0(VALU_DEP_3) | instskip(NEXT) | instid1(VALU_DEP_3)
	v_fma_f32 v99, 0x3f317218, v95, -v100
	v_ldexp_f32 v17, v17, 1
	s_delay_alu instid0(VALU_DEP_2) | instskip(NEXT) | instid1(VALU_DEP_1)
	v_dual_sub_f32 v96, v98, v96 :: v_dual_fmac_f32 v99, 0xb102e308, v95
	v_add_f32_e32 v17, v17, v96
	s_delay_alu instid0(VALU_DEP_1) | instskip(NEXT) | instid1(VALU_DEP_1)
	v_dual_add_f32 v95, v100, v99 :: v_dual_add_f32 v96, v97, v17
	v_sub_f32_e32 v100, v95, v100
	s_delay_alu instid0(VALU_DEP_2) | instskip(NEXT) | instid1(VALU_DEP_2)
	v_dual_add_f32 v98, v95, v96 :: v_dual_sub_f32 v97, v96, v97
	v_sub_f32_e32 v99, v99, v100
	s_delay_alu instid0(VALU_DEP_2) | instskip(NEXT) | instid1(VALU_DEP_1)
	v_sub_f32_e32 v101, v98, v95
	v_sub_f32_e32 v102, v98, v101
	;; [unrolled: 1-line block ×4, first 2 shown]
	s_delay_alu instid0(VALU_DEP_1) | instskip(NEXT) | instid1(VALU_DEP_4)
	v_add_f32_e32 v97, v99, v17
	v_sub_f32_e32 v95, v95, v102
	s_delay_alu instid0(VALU_DEP_1) | instskip(NEXT) | instid1(VALU_DEP_3)
	v_add_f32_e32 v95, v96, v95
	v_sub_f32_e32 v96, v97, v99
	s_delay_alu instid0(VALU_DEP_2) | instskip(NEXT) | instid1(VALU_DEP_2)
	v_add_f32_e32 v95, v97, v95
	v_sub_f32_e32 v97, v97, v96
	s_delay_alu instid0(VALU_DEP_2) | instskip(NEXT) | instid1(VALU_DEP_1)
	v_dual_sub_f32 v17, v17, v96 :: v_dual_add_f32 v100, v98, v95
	v_dual_sub_f32 v96, v100, v98 :: v_dual_sub_f32 v97, v99, v97
	s_delay_alu instid0(VALU_DEP_1) | instskip(NEXT) | instid1(VALU_DEP_2)
	v_sub_f32_e32 v95, v95, v96
	v_add_f32_e32 v17, v17, v97
	s_delay_alu instid0(VALU_DEP_1) | instskip(NEXT) | instid1(VALU_DEP_1)
	v_add_f32_e32 v17, v17, v95
	v_add_f32_e32 v17, v100, v17
	s_delay_alu instid0(VALU_DEP_1)
	v_cndmask_b32_e32 v95, v17, v12, vcc_lo
.LBB24_78:                              ;   in Loop: Header=BB24_12 Depth=1
	s_or_b32 exec_lo, exec_lo, s30
	v_lshlrev_b32_e32 v12, 16, v13
	s_delay_alu instid0(VALU_DEP_1) | instskip(NEXT) | instid1(VALU_DEP_1)
	v_add_f32_e32 v96, s67, v12
	v_cmp_ge_f32_e32 vcc_lo, 0x41a00000, v96
	s_and_b32 s29, s80, vcc_lo
	s_delay_alu instid0(SALU_CYCLE_1)
	s_and_saveexec_b32 s30, s29
	s_cbranch_execz .LBB24_80
; %bb.79:                               ;   in Loop: Header=BB24_12 Depth=1
	v_mul_f32_e32 v12, 0x3fb8aa3b, v96
	v_cmp_ngt_f32_e32 vcc_lo, 0xc2ce8ed0, v96
	s_delay_alu instid0(VALU_DEP_2) | instskip(SKIP_1) | instid1(VALU_DEP_1)
	v_rndne_f32_e32 v17, v12
	v_fma_f32 v97, 0x3fb8aa3b, v96, -v12
	v_dual_sub_f32 v12, v12, v17 :: v_dual_fmac_f32 v97, 0x32a5705f, v96
	v_cvt_i32_f32_e32 v17, v17
	s_delay_alu instid0(VALU_DEP_2) | instskip(NEXT) | instid1(VALU_DEP_1)
	v_add_f32_e32 v12, v12, v97
	v_exp_f32_e32 v12, v12
	s_waitcnt_depctr 0xfff
	v_ldexp_f32 v12, v12, v17
	s_delay_alu instid0(VALU_DEP_1) | instskip(SKIP_1) | instid1(VALU_DEP_2)
	v_cndmask_b32_e32 v12, 0, v12, vcc_lo
	v_cmp_nlt_f32_e32 vcc_lo, 0x42b17218, v96
	v_cndmask_b32_e32 v12, 0x7f800000, v12, vcc_lo
	s_delay_alu instid0(VALU_DEP_1) | instskip(NEXT) | instid1(VALU_DEP_1)
	v_add_f32_e32 v17, 1.0, v12
	v_cvt_f64_f32_e32 v[96:97], v17
	s_delay_alu instid0(VALU_DEP_1) | instskip(SKIP_1) | instid1(VALU_DEP_1)
	v_frexp_exp_i32_f64_e32 v96, v[96:97]
	v_frexp_mant_f32_e32 v97, v17
	v_cmp_gt_f32_e32 vcc_lo, 0x3f2aaaab, v97
	v_add_f32_e32 v97, -1.0, v17
	s_delay_alu instid0(VALU_DEP_1) | instskip(SKIP_1) | instid1(VALU_DEP_2)
	v_sub_f32_e32 v99, v97, v17
	v_sub_f32_e32 v97, v12, v97
	v_add_f32_e32 v99, 1.0, v99
	s_delay_alu instid0(VALU_DEP_1) | instskip(SKIP_3) | instid1(VALU_DEP_2)
	v_add_f32_e32 v97, v97, v99
	v_cmp_gt_f32_e64 s29, 0x33800000, v12
	v_subrev_co_ci_u32_e32 v96, vcc_lo, 0, v96, vcc_lo
	v_cmp_eq_f32_e32 vcc_lo, 0x7f800000, v12
	v_sub_nc_u32_e32 v98, 0, v96
	v_cvt_f32_i32_e32 v96, v96
	s_or_b32 vcc_lo, s29, vcc_lo
	s_delay_alu instid0(VALU_DEP_2) | instskip(SKIP_1) | instid1(VALU_DEP_2)
	v_ldexp_f32 v17, v17, v98
	v_ldexp_f32 v97, v97, v98
	v_add_f32_e32 v100, 1.0, v17
	s_delay_alu instid0(VALU_DEP_1) | instskip(NEXT) | instid1(VALU_DEP_1)
	v_dual_add_f32 v98, -1.0, v17 :: v_dual_add_f32 v99, -1.0, v100
	v_add_f32_e32 v101, 1.0, v98
	s_delay_alu instid0(VALU_DEP_2) | instskip(NEXT) | instid1(VALU_DEP_2)
	v_sub_f32_e32 v99, v17, v99
	v_sub_f32_e32 v17, v17, v101
	s_delay_alu instid0(VALU_DEP_1) | instskip(NEXT) | instid1(VALU_DEP_1)
	v_add_f32_e32 v17, v97, v17
	v_dual_add_f32 v102, v98, v17 :: v_dual_add_f32 v99, v97, v99
	s_delay_alu instid0(VALU_DEP_1) | instskip(NEXT) | instid1(VALU_DEP_1)
	v_dual_sub_f32 v98, v98, v102 :: v_dual_add_f32 v101, v100, v99
	v_rcp_f32_e32 v97, v101
	v_sub_f32_e32 v100, v100, v101
	s_delay_alu instid0(VALU_DEP_1) | instskip(SKIP_2) | instid1(VALU_DEP_1)
	v_add_f32_e32 v99, v99, v100
	s_waitcnt_depctr 0xfff
	v_mul_f32_e32 v103, v102, v97
	v_mul_f32_e32 v104, v101, v103
	s_delay_alu instid0(VALU_DEP_1) | instskip(NEXT) | instid1(VALU_DEP_1)
	v_fma_f32 v100, v103, v101, -v104
	v_fmac_f32_e32 v100, v103, v99
	s_delay_alu instid0(VALU_DEP_1) | instskip(NEXT) | instid1(VALU_DEP_1)
	v_add_f32_e32 v105, v104, v100
	v_sub_f32_e32 v106, v102, v105
	s_delay_alu instid0(VALU_DEP_1) | instskip(SKIP_2) | instid1(VALU_DEP_3)
	v_sub_f32_e32 v102, v102, v106
	v_add_f32_e32 v17, v17, v98
	v_sub_f32_e32 v98, v105, v104
	v_sub_f32_e32 v102, v102, v105
	s_delay_alu instid0(VALU_DEP_1) | instskip(NEXT) | instid1(VALU_DEP_1)
	v_dual_sub_f32 v98, v98, v100 :: v_dual_add_f32 v17, v17, v102
	v_add_f32_e32 v17, v98, v17
	s_delay_alu instid0(VALU_DEP_1) | instskip(NEXT) | instid1(VALU_DEP_1)
	v_add_f32_e32 v98, v106, v17
	v_mul_f32_e32 v100, v97, v98
	s_delay_alu instid0(VALU_DEP_1) | instskip(NEXT) | instid1(VALU_DEP_1)
	v_dual_sub_f32 v105, v106, v98 :: v_dual_mul_f32 v102, v101, v100
	v_add_f32_e32 v17, v17, v105
	s_delay_alu instid0(VALU_DEP_2) | instskip(NEXT) | instid1(VALU_DEP_1)
	v_fma_f32 v101, v100, v101, -v102
	v_fmac_f32_e32 v101, v100, v99
	s_delay_alu instid0(VALU_DEP_1) | instskip(NEXT) | instid1(VALU_DEP_1)
	v_add_f32_e32 v99, v102, v101
	v_sub_f32_e32 v104, v98, v99
	s_delay_alu instid0(VALU_DEP_1) | instskip(NEXT) | instid1(VALU_DEP_1)
	v_sub_f32_e32 v98, v98, v104
	v_sub_f32_e32 v98, v98, v99
	s_delay_alu instid0(VALU_DEP_1) | instskip(SKIP_1) | instid1(VALU_DEP_1)
	v_dual_add_f32 v17, v17, v98 :: v_dual_add_f32 v98, v103, v100
	v_sub_f32_e32 v102, v99, v102
	v_sub_f32_e32 v99, v102, v101
	s_delay_alu instid0(VALU_DEP_1) | instskip(NEXT) | instid1(VALU_DEP_4)
	v_add_f32_e32 v17, v99, v17
	v_sub_f32_e32 v99, v98, v103
	s_delay_alu instid0(VALU_DEP_2) | instskip(NEXT) | instid1(VALU_DEP_2)
	v_add_f32_e32 v17, v104, v17
	v_sub_f32_e32 v99, v100, v99
	s_delay_alu instid0(VALU_DEP_2) | instskip(NEXT) | instid1(VALU_DEP_1)
	v_mul_f32_e32 v17, v97, v17
	v_add_f32_e32 v17, v99, v17
	s_delay_alu instid0(VALU_DEP_1) | instskip(NEXT) | instid1(VALU_DEP_1)
	v_add_f32_e32 v97, v98, v17
	v_mul_f32_e32 v99, v97, v97
	s_delay_alu instid0(VALU_DEP_1) | instskip(SKIP_1) | instid1(VALU_DEP_2)
	v_fmaak_f32 v100, s84, v99, 0x3ecc95a3
	v_mul_f32_e32 v101, v97, v99
	v_fmaak_f32 v99, v99, v100, 0x3f2aaada
	v_ldexp_f32 v100, v97, 1
	v_sub_f32_e32 v97, v97, v98
	s_delay_alu instid0(VALU_DEP_3) | instskip(SKIP_1) | instid1(VALU_DEP_2)
	v_mul_f32_e32 v99, v101, v99
	v_mul_f32_e32 v101, 0x3f317218, v96
	v_dual_sub_f32 v17, v17, v97 :: v_dual_add_f32 v98, v100, v99
	s_delay_alu instid0(VALU_DEP_1) | instskip(NEXT) | instid1(VALU_DEP_2)
	v_ldexp_f32 v17, v17, 1
	v_sub_f32_e32 v97, v98, v100
	s_delay_alu instid0(VALU_DEP_4) | instskip(NEXT) | instid1(VALU_DEP_1)
	v_fma_f32 v100, 0x3f317218, v96, -v101
	v_dual_sub_f32 v97, v99, v97 :: v_dual_fmac_f32 v100, 0xb102e308, v96
	s_delay_alu instid0(VALU_DEP_1) | instskip(NEXT) | instid1(VALU_DEP_1)
	v_add_f32_e32 v17, v17, v97
	v_dual_add_f32 v96, v101, v100 :: v_dual_add_f32 v97, v98, v17
	s_delay_alu instid0(VALU_DEP_1) | instskip(NEXT) | instid1(VALU_DEP_2)
	v_sub_f32_e32 v101, v96, v101
	v_dual_add_f32 v99, v96, v97 :: v_dual_sub_f32 v98, v97, v98
	s_delay_alu instid0(VALU_DEP_2) | instskip(NEXT) | instid1(VALU_DEP_2)
	v_sub_f32_e32 v100, v100, v101
	v_dual_sub_f32 v102, v99, v96 :: v_dual_sub_f32 v17, v17, v98
	s_delay_alu instid0(VALU_DEP_1) | instskip(NEXT) | instid1(VALU_DEP_2)
	v_sub_f32_e32 v103, v99, v102
	v_dual_sub_f32 v97, v97, v102 :: v_dual_add_f32 v98, v100, v17
	s_delay_alu instid0(VALU_DEP_2) | instskip(NEXT) | instid1(VALU_DEP_1)
	v_sub_f32_e32 v96, v96, v103
	v_add_f32_e32 v96, v97, v96
	s_delay_alu instid0(VALU_DEP_3) | instskip(NEXT) | instid1(VALU_DEP_2)
	v_sub_f32_e32 v97, v98, v100
	v_add_f32_e32 v96, v98, v96
	s_delay_alu instid0(VALU_DEP_2) | instskip(SKIP_1) | instid1(VALU_DEP_2)
	v_sub_f32_e32 v98, v98, v97
	v_sub_f32_e32 v17, v17, v97
	v_dual_add_f32 v101, v99, v96 :: v_dual_sub_f32 v98, v100, v98
	s_delay_alu instid0(VALU_DEP_1) | instskip(NEXT) | instid1(VALU_DEP_1)
	v_sub_f32_e32 v97, v101, v99
	v_dual_add_f32 v17, v17, v98 :: v_dual_sub_f32 v96, v96, v97
	s_delay_alu instid0(VALU_DEP_1) | instskip(NEXT) | instid1(VALU_DEP_1)
	v_add_f32_e32 v17, v17, v96
	v_add_f32_e32 v17, v101, v17
	s_delay_alu instid0(VALU_DEP_1)
	v_cndmask_b32_e32 v96, v17, v12, vcc_lo
.LBB24_80:                              ;   in Loop: Header=BB24_12 Depth=1
	s_or_b32 exec_lo, exec_lo, s30
	v_and_b32_e32 v12, 0xffff0000, v13
	s_delay_alu instid0(VALU_DEP_1) | instskip(NEXT) | instid1(VALU_DEP_1)
	v_add_f32_e32 v97, s67, v12
	v_cmp_ge_f32_e32 vcc_lo, 0x41a00000, v97
	s_and_b32 s29, s80, vcc_lo
	s_delay_alu instid0(SALU_CYCLE_1)
	s_and_saveexec_b32 s30, s29
	s_cbranch_execz .LBB24_82
; %bb.81:                               ;   in Loop: Header=BB24_12 Depth=1
	v_mul_f32_e32 v12, 0x3fb8aa3b, v97
	v_cmp_ngt_f32_e32 vcc_lo, 0xc2ce8ed0, v97
	s_delay_alu instid0(VALU_DEP_2) | instskip(SKIP_1) | instid1(VALU_DEP_2)
	v_rndne_f32_e32 v13, v12
	v_fma_f32 v17, 0x3fb8aa3b, v97, -v12
	v_sub_f32_e32 v12, v12, v13
	s_delay_alu instid0(VALU_DEP_2) | instskip(SKIP_1) | instid1(VALU_DEP_2)
	v_fmac_f32_e32 v17, 0x32a5705f, v97
	v_cvt_i32_f32_e32 v13, v13
	v_add_f32_e32 v12, v12, v17
	s_delay_alu instid0(VALU_DEP_1) | instskip(SKIP_2) | instid1(VALU_DEP_1)
	v_exp_f32_e32 v12, v12
	s_waitcnt_depctr 0xfff
	v_ldexp_f32 v12, v12, v13
	v_cndmask_b32_e32 v12, 0, v12, vcc_lo
	v_cmp_nlt_f32_e32 vcc_lo, 0x42b17218, v97
	s_delay_alu instid0(VALU_DEP_2) | instskip(NEXT) | instid1(VALU_DEP_1)
	v_cndmask_b32_e32 v17, 0x7f800000, v12, vcc_lo
	v_add_f32_e32 v97, 1.0, v17
	s_delay_alu instid0(VALU_DEP_1) | instskip(NEXT) | instid1(VALU_DEP_1)
	v_cvt_f64_f32_e32 v[12:13], v97
	v_frexp_exp_i32_f64_e32 v12, v[12:13]
	v_frexp_mant_f32_e32 v13, v97
	s_delay_alu instid0(VALU_DEP_1) | instskip(SKIP_1) | instid1(VALU_DEP_1)
	v_cmp_gt_f32_e32 vcc_lo, 0x3f2aaaab, v13
	v_add_f32_e32 v13, -1.0, v97
	v_sub_f32_e32 v99, v13, v97
	s_delay_alu instid0(VALU_DEP_1) | instskip(SKIP_1) | instid1(VALU_DEP_1)
	v_add_f32_e32 v99, 1.0, v99
	v_subrev_co_ci_u32_e32 v12, vcc_lo, 0, v12, vcc_lo
	v_sub_nc_u32_e32 v98, 0, v12
	v_cvt_f32_i32_e32 v12, v12
	s_delay_alu instid0(VALU_DEP_2) | instskip(NEXT) | instid1(VALU_DEP_1)
	v_ldexp_f32 v97, v97, v98
	v_add_f32_e32 v100, 1.0, v97
	v_sub_f32_e32 v13, v17, v13
	v_cmp_eq_f32_e32 vcc_lo, 0x7f800000, v17
	v_cmp_gt_f32_e64 s29, 0x33800000, v17
	s_delay_alu instid0(VALU_DEP_3) | instskip(SKIP_1) | instid1(VALU_DEP_3)
	v_add_f32_e32 v13, v13, v99
	v_add_f32_e32 v99, -1.0, v100
	s_or_b32 vcc_lo, s29, vcc_lo
	s_delay_alu instid0(VALU_DEP_2) | instskip(NEXT) | instid1(VALU_DEP_2)
	v_ldexp_f32 v13, v13, v98
	v_dual_add_f32 v98, -1.0, v97 :: v_dual_sub_f32 v99, v97, v99
	s_delay_alu instid0(VALU_DEP_1) | instskip(NEXT) | instid1(VALU_DEP_2)
	v_add_f32_e32 v101, 1.0, v98
	v_add_f32_e32 v99, v13, v99
	s_delay_alu instid0(VALU_DEP_2) | instskip(NEXT) | instid1(VALU_DEP_1)
	v_sub_f32_e32 v97, v97, v101
	v_add_f32_e32 v13, v13, v97
	s_delay_alu instid0(VALU_DEP_1) | instskip(NEXT) | instid1(VALU_DEP_1)
	v_dual_add_f32 v102, v98, v13 :: v_dual_add_f32 v101, v100, v99
	v_sub_f32_e32 v98, v98, v102
	s_delay_alu instid0(VALU_DEP_2) | instskip(NEXT) | instid1(VALU_DEP_1)
	v_rcp_f32_e32 v97, v101
	v_dual_sub_f32 v100, v100, v101 :: v_dual_add_f32 v13, v13, v98
	s_delay_alu instid0(VALU_DEP_1) | instskip(SKIP_2) | instid1(VALU_DEP_1)
	v_add_f32_e32 v99, v99, v100
	s_waitcnt_depctr 0xfff
	v_mul_f32_e32 v103, v102, v97
	v_mul_f32_e32 v104, v101, v103
	s_delay_alu instid0(VALU_DEP_1) | instskip(NEXT) | instid1(VALU_DEP_1)
	v_fma_f32 v100, v103, v101, -v104
	v_fmac_f32_e32 v100, v103, v99
	s_delay_alu instid0(VALU_DEP_1) | instskip(NEXT) | instid1(VALU_DEP_1)
	v_add_f32_e32 v105, v104, v100
	v_sub_f32_e32 v106, v102, v105
	v_sub_f32_e32 v98, v105, v104
	s_delay_alu instid0(VALU_DEP_2) | instskip(NEXT) | instid1(VALU_DEP_2)
	v_sub_f32_e32 v102, v102, v106
	v_sub_f32_e32 v98, v98, v100
	s_delay_alu instid0(VALU_DEP_2) | instskip(NEXT) | instid1(VALU_DEP_1)
	v_sub_f32_e32 v102, v102, v105
	v_add_f32_e32 v13, v13, v102
	s_delay_alu instid0(VALU_DEP_1) | instskip(NEXT) | instid1(VALU_DEP_1)
	v_add_f32_e32 v13, v98, v13
	v_add_f32_e32 v98, v106, v13
	s_delay_alu instid0(VALU_DEP_1) | instskip(NEXT) | instid1(VALU_DEP_1)
	v_mul_f32_e32 v100, v97, v98
	v_dual_sub_f32 v105, v106, v98 :: v_dual_mul_f32 v102, v101, v100
	s_delay_alu instid0(VALU_DEP_1) | instskip(NEXT) | instid1(VALU_DEP_1)
	v_fma_f32 v101, v100, v101, -v102
	v_fmac_f32_e32 v101, v100, v99
	s_delay_alu instid0(VALU_DEP_1) | instskip(NEXT) | instid1(VALU_DEP_1)
	v_add_f32_e32 v99, v102, v101
	v_dual_add_f32 v13, v13, v105 :: v_dual_sub_f32 v104, v98, v99
	s_delay_alu instid0(VALU_DEP_1) | instskip(NEXT) | instid1(VALU_DEP_1)
	v_sub_f32_e32 v98, v98, v104
	v_sub_f32_e32 v98, v98, v99
	s_delay_alu instid0(VALU_DEP_1) | instskip(SKIP_1) | instid1(VALU_DEP_1)
	v_dual_add_f32 v13, v13, v98 :: v_dual_add_f32 v98, v103, v100
	v_sub_f32_e32 v102, v99, v102
	v_sub_f32_e32 v99, v102, v101
	s_delay_alu instid0(VALU_DEP_1) | instskip(NEXT) | instid1(VALU_DEP_4)
	v_add_f32_e32 v13, v99, v13
	v_sub_f32_e32 v99, v98, v103
	s_delay_alu instid0(VALU_DEP_2) | instskip(NEXT) | instid1(VALU_DEP_2)
	v_add_f32_e32 v13, v104, v13
	v_sub_f32_e32 v99, v100, v99
	s_delay_alu instid0(VALU_DEP_2) | instskip(NEXT) | instid1(VALU_DEP_1)
	v_mul_f32_e32 v13, v97, v13
	v_add_f32_e32 v13, v99, v13
	s_delay_alu instid0(VALU_DEP_1) | instskip(NEXT) | instid1(VALU_DEP_1)
	v_add_f32_e32 v97, v98, v13
	v_mul_f32_e32 v99, v97, v97
	s_delay_alu instid0(VALU_DEP_1) | instskip(SKIP_1) | instid1(VALU_DEP_2)
	v_fmaak_f32 v100, s84, v99, 0x3ecc95a3
	v_mul_f32_e32 v101, v97, v99
	v_fmaak_f32 v99, v99, v100, 0x3f2aaada
	v_ldexp_f32 v100, v97, 1
	v_sub_f32_e32 v97, v97, v98
	s_delay_alu instid0(VALU_DEP_3) | instskip(SKIP_1) | instid1(VALU_DEP_2)
	v_mul_f32_e32 v99, v101, v99
	v_mul_f32_e32 v101, 0x3f317218, v12
	v_dual_sub_f32 v13, v13, v97 :: v_dual_add_f32 v98, v100, v99
	s_delay_alu instid0(VALU_DEP_1) | instskip(NEXT) | instid1(VALU_DEP_2)
	v_ldexp_f32 v13, v13, 1
	v_sub_f32_e32 v97, v98, v100
	s_delay_alu instid0(VALU_DEP_4) | instskip(NEXT) | instid1(VALU_DEP_1)
	v_fma_f32 v100, 0x3f317218, v12, -v101
	v_dual_sub_f32 v97, v99, v97 :: v_dual_fmac_f32 v100, 0xb102e308, v12
	s_delay_alu instid0(VALU_DEP_1) | instskip(NEXT) | instid1(VALU_DEP_2)
	v_add_f32_e32 v12, v13, v97
	v_add_f32_e32 v13, v101, v100
	s_delay_alu instid0(VALU_DEP_2) | instskip(NEXT) | instid1(VALU_DEP_2)
	v_add_f32_e32 v97, v98, v12
	v_sub_f32_e32 v101, v13, v101
	s_delay_alu instid0(VALU_DEP_2) | instskip(SKIP_1) | instid1(VALU_DEP_3)
	v_add_f32_e32 v99, v13, v97
	v_sub_f32_e32 v98, v97, v98
	v_sub_f32_e32 v100, v100, v101
	s_delay_alu instid0(VALU_DEP_3) | instskip(NEXT) | instid1(VALU_DEP_3)
	v_sub_f32_e32 v102, v99, v13
	v_sub_f32_e32 v12, v12, v98
	s_delay_alu instid0(VALU_DEP_2) | instskip(NEXT) | instid1(VALU_DEP_2)
	v_sub_f32_e32 v103, v99, v102
	v_dual_sub_f32 v97, v97, v102 :: v_dual_add_f32 v98, v100, v12
	s_delay_alu instid0(VALU_DEP_2) | instskip(NEXT) | instid1(VALU_DEP_1)
	v_sub_f32_e32 v13, v13, v103
	v_add_f32_e32 v13, v97, v13
	s_delay_alu instid0(VALU_DEP_3) | instskip(NEXT) | instid1(VALU_DEP_2)
	v_sub_f32_e32 v97, v98, v100
	v_add_f32_e32 v13, v98, v13
	s_delay_alu instid0(VALU_DEP_2) | instskip(SKIP_1) | instid1(VALU_DEP_1)
	v_sub_f32_e32 v12, v12, v97
	v_sub_f32_e32 v98, v98, v97
	v_dual_add_f32 v101, v99, v13 :: v_dual_sub_f32 v98, v100, v98
	s_delay_alu instid0(VALU_DEP_1) | instskip(NEXT) | instid1(VALU_DEP_1)
	v_dual_sub_f32 v97, v101, v99 :: v_dual_add_f32 v12, v12, v98
	v_sub_f32_e32 v13, v13, v97
	s_delay_alu instid0(VALU_DEP_1) | instskip(NEXT) | instid1(VALU_DEP_1)
	v_add_f32_e32 v12, v12, v13
	v_add_f32_e32 v12, v101, v12
	s_delay_alu instid0(VALU_DEP_1)
	v_cndmask_b32_e32 v97, v12, v17, vcc_lo
.LBB24_82:                              ;   in Loop: Header=BB24_12 Depth=1
	s_or_b32 exec_lo, exec_lo, s30
	v_lshlrev_b32_e32 v12, 16, v14
	s_delay_alu instid0(VALU_DEP_1) | instskip(NEXT) | instid1(VALU_DEP_1)
	v_add_f32_e32 v98, s67, v12
	v_cmp_ge_f32_e32 vcc_lo, 0x41a00000, v98
	s_and_b32 s29, s80, vcc_lo
	s_delay_alu instid0(SALU_CYCLE_1)
	s_and_saveexec_b32 s30, s29
	s_cbranch_execz .LBB24_84
; %bb.83:                               ;   in Loop: Header=BB24_12 Depth=1
	v_mul_f32_e32 v12, 0x3fb8aa3b, v98
	v_cmp_ngt_f32_e32 vcc_lo, 0xc2ce8ed0, v98
	s_delay_alu instid0(VALU_DEP_2) | instskip(SKIP_1) | instid1(VALU_DEP_1)
	v_rndne_f32_e32 v13, v12
	v_fma_f32 v17, 0x3fb8aa3b, v98, -v12
	v_dual_sub_f32 v12, v12, v13 :: v_dual_fmac_f32 v17, 0x32a5705f, v98
	v_cvt_i32_f32_e32 v13, v13
	s_delay_alu instid0(VALU_DEP_2) | instskip(NEXT) | instid1(VALU_DEP_1)
	v_add_f32_e32 v12, v12, v17
	v_exp_f32_e32 v12, v12
	s_waitcnt_depctr 0xfff
	v_ldexp_f32 v12, v12, v13
	s_delay_alu instid0(VALU_DEP_1) | instskip(SKIP_1) | instid1(VALU_DEP_2)
	v_cndmask_b32_e32 v12, 0, v12, vcc_lo
	v_cmp_nlt_f32_e32 vcc_lo, 0x42b17218, v98
	v_cndmask_b32_e32 v17, 0x7f800000, v12, vcc_lo
	s_delay_alu instid0(VALU_DEP_1) | instskip(NEXT) | instid1(VALU_DEP_1)
	v_add_f32_e32 v98, 1.0, v17
	v_cvt_f64_f32_e32 v[12:13], v98
	s_delay_alu instid0(VALU_DEP_1) | instskip(SKIP_1) | instid1(VALU_DEP_1)
	v_frexp_exp_i32_f64_e32 v12, v[12:13]
	v_frexp_mant_f32_e32 v13, v98
	v_cmp_gt_f32_e32 vcc_lo, 0x3f2aaaab, v13
	v_add_f32_e32 v13, -1.0, v98
	s_delay_alu instid0(VALU_DEP_1) | instskip(SKIP_2) | instid1(VALU_DEP_3)
	v_sub_f32_e32 v100, v13, v98
	v_sub_f32_e32 v13, v17, v13
	v_cmp_gt_f32_e64 s29, 0x33800000, v17
	v_add_f32_e32 v100, 1.0, v100
	s_delay_alu instid0(VALU_DEP_1) | instskip(SKIP_2) | instid1(VALU_DEP_2)
	v_add_f32_e32 v13, v13, v100
	v_subrev_co_ci_u32_e32 v12, vcc_lo, 0, v12, vcc_lo
	v_cmp_eq_f32_e32 vcc_lo, 0x7f800000, v17
	v_sub_nc_u32_e32 v99, 0, v12
	v_cvt_f32_i32_e32 v12, v12
	s_or_b32 vcc_lo, s29, vcc_lo
	s_delay_alu instid0(VALU_DEP_2) | instskip(SKIP_1) | instid1(VALU_DEP_2)
	v_ldexp_f32 v98, v98, v99
	v_ldexp_f32 v13, v13, v99
	v_add_f32_e32 v99, -1.0, v98
	s_delay_alu instid0(VALU_DEP_1) | instskip(NEXT) | instid1(VALU_DEP_1)
	v_dual_add_f32 v101, 1.0, v98 :: v_dual_add_f32 v102, 1.0, v99
	v_add_f32_e32 v100, -1.0, v101
	s_delay_alu instid0(VALU_DEP_1) | instskip(NEXT) | instid1(VALU_DEP_3)
	v_sub_f32_e32 v100, v98, v100
	v_sub_f32_e32 v98, v98, v102
	s_delay_alu instid0(VALU_DEP_2) | instskip(NEXT) | instid1(VALU_DEP_2)
	v_add_f32_e32 v100, v13, v100
	v_add_f32_e32 v13, v13, v98
	s_delay_alu instid0(VALU_DEP_1) | instskip(NEXT) | instid1(VALU_DEP_1)
	v_dual_add_f32 v103, v99, v13 :: v_dual_add_f32 v102, v101, v100
	v_sub_f32_e32 v99, v99, v103
	s_delay_alu instid0(VALU_DEP_2) | instskip(SKIP_1) | instid1(VALU_DEP_1)
	v_rcp_f32_e32 v98, v102
	v_sub_f32_e32 v101, v101, v102
	v_dual_add_f32 v13, v13, v99 :: v_dual_add_f32 v100, v100, v101
	s_waitcnt_depctr 0xfff
	v_mul_f32_e32 v104, v103, v98
	s_delay_alu instid0(VALU_DEP_1) | instskip(NEXT) | instid1(VALU_DEP_1)
	v_mul_f32_e32 v105, v102, v104
	v_fma_f32 v101, v104, v102, -v105
	s_delay_alu instid0(VALU_DEP_1) | instskip(NEXT) | instid1(VALU_DEP_1)
	v_fmac_f32_e32 v101, v104, v100
	v_add_f32_e32 v106, v105, v101
	s_delay_alu instid0(VALU_DEP_1) | instskip(SKIP_1) | instid1(VALU_DEP_2)
	v_sub_f32_e32 v107, v103, v106
	v_sub_f32_e32 v99, v106, v105
	;; [unrolled: 1-line block ×3, first 2 shown]
	s_delay_alu instid0(VALU_DEP_2) | instskip(NEXT) | instid1(VALU_DEP_2)
	v_sub_f32_e32 v99, v99, v101
	v_sub_f32_e32 v103, v103, v106
	s_delay_alu instid0(VALU_DEP_1) | instskip(NEXT) | instid1(VALU_DEP_1)
	v_add_f32_e32 v13, v13, v103
	v_add_f32_e32 v13, v99, v13
	s_delay_alu instid0(VALU_DEP_1) | instskip(NEXT) | instid1(VALU_DEP_1)
	v_add_f32_e32 v99, v107, v13
	v_mul_f32_e32 v101, v98, v99
	s_delay_alu instid0(VALU_DEP_1) | instskip(NEXT) | instid1(VALU_DEP_1)
	v_dual_sub_f32 v106, v107, v99 :: v_dual_mul_f32 v103, v102, v101
	v_add_f32_e32 v13, v13, v106
	s_delay_alu instid0(VALU_DEP_2) | instskip(NEXT) | instid1(VALU_DEP_1)
	v_fma_f32 v102, v101, v102, -v103
	v_fmac_f32_e32 v102, v101, v100
	s_delay_alu instid0(VALU_DEP_1) | instskip(NEXT) | instid1(VALU_DEP_1)
	v_add_f32_e32 v100, v103, v102
	v_sub_f32_e32 v105, v99, v100
	s_delay_alu instid0(VALU_DEP_1) | instskip(NEXT) | instid1(VALU_DEP_1)
	v_sub_f32_e32 v99, v99, v105
	v_sub_f32_e32 v99, v99, v100
	s_delay_alu instid0(VALU_DEP_1) | instskip(SKIP_2) | instid1(VALU_DEP_1)
	v_add_f32_e32 v13, v13, v99
	v_add_f32_e32 v99, v104, v101
	v_sub_f32_e32 v103, v100, v103
	v_sub_f32_e32 v100, v103, v102
	s_delay_alu instid0(VALU_DEP_1) | instskip(NEXT) | instid1(VALU_DEP_1)
	v_dual_add_f32 v13, v100, v13 :: v_dual_sub_f32 v100, v99, v104
	v_add_f32_e32 v13, v105, v13
	s_delay_alu instid0(VALU_DEP_1) | instskip(NEXT) | instid1(VALU_DEP_1)
	v_dual_sub_f32 v100, v101, v100 :: v_dual_mul_f32 v13, v98, v13
	v_add_f32_e32 v13, v100, v13
	s_delay_alu instid0(VALU_DEP_1) | instskip(NEXT) | instid1(VALU_DEP_1)
	v_add_f32_e32 v98, v99, v13
	v_mul_f32_e32 v100, v98, v98
	s_delay_alu instid0(VALU_DEP_1) | instskip(SKIP_1) | instid1(VALU_DEP_2)
	v_fmaak_f32 v101, s84, v100, 0x3ecc95a3
	v_mul_f32_e32 v102, v98, v100
	v_fmaak_f32 v100, v100, v101, 0x3f2aaada
	v_ldexp_f32 v101, v98, 1
	v_sub_f32_e32 v98, v98, v99
	s_delay_alu instid0(VALU_DEP_3) | instskip(NEXT) | instid1(VALU_DEP_2)
	v_mul_f32_e32 v100, v102, v100
	v_dual_mul_f32 v102, 0x3f317218, v12 :: v_dual_sub_f32 v13, v13, v98
	s_delay_alu instid0(VALU_DEP_2) | instskip(NEXT) | instid1(VALU_DEP_2)
	v_add_f32_e32 v99, v101, v100
	v_ldexp_f32 v13, v13, 1
	s_delay_alu instid0(VALU_DEP_2) | instskip(NEXT) | instid1(VALU_DEP_4)
	v_sub_f32_e32 v98, v99, v101
	v_fma_f32 v101, 0x3f317218, v12, -v102
	s_delay_alu instid0(VALU_DEP_1) | instskip(NEXT) | instid1(VALU_DEP_1)
	v_dual_sub_f32 v98, v100, v98 :: v_dual_fmac_f32 v101, 0xb102e308, v12
	v_add_f32_e32 v12, v13, v98
	s_delay_alu instid0(VALU_DEP_1) | instskip(NEXT) | instid1(VALU_DEP_1)
	v_add_f32_e32 v98, v99, v12
	v_sub_f32_e32 v99, v98, v99
	s_delay_alu instid0(VALU_DEP_1) | instskip(NEXT) | instid1(VALU_DEP_1)
	v_dual_sub_f32 v12, v12, v99 :: v_dual_add_f32 v13, v102, v101
	v_add_f32_e32 v100, v13, v98
	s_delay_alu instid0(VALU_DEP_1) | instskip(NEXT) | instid1(VALU_DEP_1)
	v_dual_sub_f32 v102, v13, v102 :: v_dual_sub_f32 v103, v100, v13
	v_dual_sub_f32 v101, v101, v102 :: v_dual_sub_f32 v104, v100, v103
	s_delay_alu instid0(VALU_DEP_1) | instskip(NEXT) | instid1(VALU_DEP_2)
	v_dual_sub_f32 v98, v98, v103 :: v_dual_add_f32 v99, v101, v12
	v_sub_f32_e32 v13, v13, v104
	s_delay_alu instid0(VALU_DEP_1) | instskip(NEXT) | instid1(VALU_DEP_3)
	v_add_f32_e32 v13, v98, v13
	v_sub_f32_e32 v98, v99, v101
	s_delay_alu instid0(VALU_DEP_2) | instskip(NEXT) | instid1(VALU_DEP_2)
	v_add_f32_e32 v13, v99, v13
	v_sub_f32_e32 v99, v99, v98
	v_sub_f32_e32 v12, v12, v98
	s_delay_alu instid0(VALU_DEP_2) | instskip(NEXT) | instid1(VALU_DEP_1)
	v_dual_add_f32 v102, v100, v13 :: v_dual_sub_f32 v99, v101, v99
	v_sub_f32_e32 v98, v102, v100
	s_delay_alu instid0(VALU_DEP_1) | instskip(NEXT) | instid1(VALU_DEP_1)
	v_dual_add_f32 v12, v12, v99 :: v_dual_sub_f32 v13, v13, v98
	v_add_f32_e32 v12, v12, v13
	s_delay_alu instid0(VALU_DEP_1) | instskip(NEXT) | instid1(VALU_DEP_1)
	v_add_f32_e32 v12, v102, v12
	v_cndmask_b32_e32 v98, v12, v17, vcc_lo
.LBB24_84:                              ;   in Loop: Header=BB24_12 Depth=1
	s_or_b32 exec_lo, exec_lo, s30
	v_and_b32_e32 v12, 0xffff0000, v14
	s_delay_alu instid0(VALU_DEP_1) | instskip(NEXT) | instid1(VALU_DEP_1)
	v_add_f32_e32 v99, s67, v12
	v_cmp_ge_f32_e32 vcc_lo, 0x41a00000, v99
	s_and_b32 s29, s80, vcc_lo
	s_delay_alu instid0(SALU_CYCLE_1)
	s_and_saveexec_b32 s30, s29
	s_cbranch_execz .LBB24_86
; %bb.85:                               ;   in Loop: Header=BB24_12 Depth=1
	v_mul_f32_e32 v12, 0x3fb8aa3b, v99
	v_cmp_ngt_f32_e32 vcc_lo, 0xc2ce8ed0, v99
	s_delay_alu instid0(VALU_DEP_2) | instskip(SKIP_1) | instid1(VALU_DEP_2)
	v_rndne_f32_e32 v13, v12
	v_fma_f32 v14, 0x3fb8aa3b, v99, -v12
	v_sub_f32_e32 v12, v12, v13
	s_delay_alu instid0(VALU_DEP_2) | instskip(SKIP_1) | instid1(VALU_DEP_2)
	v_fmac_f32_e32 v14, 0x32a5705f, v99
	v_cvt_i32_f32_e32 v13, v13
	v_add_f32_e32 v12, v12, v14
	s_delay_alu instid0(VALU_DEP_1) | instskip(SKIP_2) | instid1(VALU_DEP_1)
	v_exp_f32_e32 v12, v12
	s_waitcnt_depctr 0xfff
	v_ldexp_f32 v12, v12, v13
	v_cndmask_b32_e32 v12, 0, v12, vcc_lo
	v_cmp_nlt_f32_e32 vcc_lo, 0x42b17218, v99
	s_delay_alu instid0(VALU_DEP_2) | instskip(NEXT) | instid1(VALU_DEP_1)
	v_cndmask_b32_e32 v14, 0x7f800000, v12, vcc_lo
	v_add_f32_e32 v17, 1.0, v14
	s_delay_alu instid0(VALU_DEP_1) | instskip(NEXT) | instid1(VALU_DEP_1)
	v_cvt_f64_f32_e32 v[12:13], v17
	v_frexp_exp_i32_f64_e32 v12, v[12:13]
	v_frexp_mant_f32_e32 v13, v17
	s_delay_alu instid0(VALU_DEP_1) | instskip(SKIP_1) | instid1(VALU_DEP_1)
	v_cmp_gt_f32_e32 vcc_lo, 0x3f2aaaab, v13
	v_add_f32_e32 v13, -1.0, v17
	v_sub_f32_e32 v100, v13, v17
	v_sub_f32_e32 v13, v14, v13
	v_subrev_co_ci_u32_e32 v12, vcc_lo, 0, v12, vcc_lo
	s_delay_alu instid0(VALU_DEP_1) | instskip(SKIP_1) | instid1(VALU_DEP_2)
	v_sub_nc_u32_e32 v99, 0, v12
	v_cvt_f32_i32_e32 v12, v12
	v_ldexp_f32 v17, v17, v99
	s_delay_alu instid0(VALU_DEP_1) | instskip(NEXT) | instid1(VALU_DEP_1)
	v_dual_add_f32 v100, 1.0, v100 :: v_dual_add_f32 v101, 1.0, v17
	v_dual_add_f32 v13, v13, v100 :: v_dual_add_f32 v100, -1.0, v101
	s_delay_alu instid0(VALU_DEP_1) | instskip(SKIP_4) | instid1(VALU_DEP_4)
	v_ldexp_f32 v13, v13, v99
	v_add_f32_e32 v99, -1.0, v17
	v_cmp_eq_f32_e32 vcc_lo, 0x7f800000, v14
	v_cmp_gt_f32_e64 s29, 0x33800000, v14
	v_sub_f32_e32 v100, v17, v100
	v_add_f32_e32 v102, 1.0, v99
	s_delay_alu instid0(VALU_DEP_3) | instskip(NEXT) | instid1(VALU_DEP_2)
	s_or_b32 vcc_lo, s29, vcc_lo
	v_add_f32_e32 v100, v13, v100
	s_delay_alu instid0(VALU_DEP_2) | instskip(NEXT) | instid1(VALU_DEP_1)
	v_sub_f32_e32 v17, v17, v102
	v_add_f32_e32 v13, v13, v17
	s_delay_alu instid0(VALU_DEP_1) | instskip(NEXT) | instid1(VALU_DEP_1)
	v_dual_add_f32 v103, v99, v13 :: v_dual_add_f32 v102, v101, v100
	v_sub_f32_e32 v99, v99, v103
	s_delay_alu instid0(VALU_DEP_2) | instskip(SKIP_1) | instid1(VALU_DEP_1)
	v_rcp_f32_e32 v17, v102
	v_sub_f32_e32 v101, v101, v102
	v_dual_add_f32 v13, v13, v99 :: v_dual_add_f32 v100, v100, v101
	s_waitcnt_depctr 0xfff
	v_mul_f32_e32 v104, v103, v17
	s_delay_alu instid0(VALU_DEP_1) | instskip(NEXT) | instid1(VALU_DEP_1)
	v_mul_f32_e32 v105, v102, v104
	v_fma_f32 v101, v104, v102, -v105
	s_delay_alu instid0(VALU_DEP_1) | instskip(NEXT) | instid1(VALU_DEP_1)
	v_fmac_f32_e32 v101, v104, v100
	v_add_f32_e32 v106, v105, v101
	s_delay_alu instid0(VALU_DEP_1) | instskip(NEXT) | instid1(VALU_DEP_1)
	v_sub_f32_e32 v107, v103, v106
	v_sub_f32_e32 v103, v103, v107
	;; [unrolled: 1-line block ×3, first 2 shown]
	s_delay_alu instid0(VALU_DEP_2) | instskip(NEXT) | instid1(VALU_DEP_2)
	v_sub_f32_e32 v103, v103, v106
	v_sub_f32_e32 v99, v99, v101
	s_delay_alu instid0(VALU_DEP_2) | instskip(NEXT) | instid1(VALU_DEP_1)
	v_add_f32_e32 v13, v13, v103
	v_add_f32_e32 v13, v99, v13
	s_delay_alu instid0(VALU_DEP_1) | instskip(NEXT) | instid1(VALU_DEP_1)
	v_add_f32_e32 v99, v107, v13
	v_mul_f32_e32 v101, v17, v99
	s_delay_alu instid0(VALU_DEP_1) | instskip(NEXT) | instid1(VALU_DEP_1)
	v_dual_sub_f32 v106, v107, v99 :: v_dual_mul_f32 v103, v102, v101
	v_add_f32_e32 v13, v13, v106
	s_delay_alu instid0(VALU_DEP_2) | instskip(NEXT) | instid1(VALU_DEP_1)
	v_fma_f32 v102, v101, v102, -v103
	v_fmac_f32_e32 v102, v101, v100
	s_delay_alu instid0(VALU_DEP_1) | instskip(NEXT) | instid1(VALU_DEP_1)
	v_add_f32_e32 v100, v103, v102
	v_sub_f32_e32 v105, v99, v100
	v_sub_f32_e32 v103, v100, v103
	s_delay_alu instid0(VALU_DEP_2) | instskip(NEXT) | instid1(VALU_DEP_1)
	v_sub_f32_e32 v99, v99, v105
	v_sub_f32_e32 v99, v99, v100
	s_delay_alu instid0(VALU_DEP_1) | instskip(SKIP_1) | instid1(VALU_DEP_1)
	v_dual_sub_f32 v100, v103, v102 :: v_dual_add_f32 v13, v13, v99
	v_add_f32_e32 v99, v104, v101
	v_dual_add_f32 v13, v100, v13 :: v_dual_sub_f32 v100, v99, v104
	s_delay_alu instid0(VALU_DEP_1) | instskip(NEXT) | instid1(VALU_DEP_2)
	v_add_f32_e32 v13, v105, v13
	v_sub_f32_e32 v100, v101, v100
	s_delay_alu instid0(VALU_DEP_2) | instskip(NEXT) | instid1(VALU_DEP_1)
	v_mul_f32_e32 v13, v17, v13
	v_add_f32_e32 v13, v100, v13
	s_delay_alu instid0(VALU_DEP_1) | instskip(NEXT) | instid1(VALU_DEP_1)
	v_add_f32_e32 v17, v99, v13
	v_mul_f32_e32 v100, v17, v17
	s_delay_alu instid0(VALU_DEP_1) | instskip(SKIP_1) | instid1(VALU_DEP_2)
	v_fmaak_f32 v101, s84, v100, 0x3ecc95a3
	v_mul_f32_e32 v102, v17, v100
	v_fmaak_f32 v100, v100, v101, 0x3f2aaada
	v_ldexp_f32 v101, v17, 1
	s_delay_alu instid0(VALU_DEP_2) | instskip(NEXT) | instid1(VALU_DEP_1)
	v_dual_sub_f32 v17, v17, v99 :: v_dual_mul_f32 v100, v102, v100
	v_dual_mul_f32 v102, 0x3f317218, v12 :: v_dual_sub_f32 v13, v13, v17
	s_delay_alu instid0(VALU_DEP_2) | instskip(NEXT) | instid1(VALU_DEP_2)
	v_add_f32_e32 v99, v101, v100
	v_ldexp_f32 v13, v13, 1
	s_delay_alu instid0(VALU_DEP_2) | instskip(NEXT) | instid1(VALU_DEP_4)
	v_sub_f32_e32 v17, v99, v101
	v_fma_f32 v101, 0x3f317218, v12, -v102
	s_delay_alu instid0(VALU_DEP_2) | instskip(NEXT) | instid1(VALU_DEP_1)
	v_sub_f32_e32 v17, v100, v17
	v_dual_fmac_f32 v101, 0xb102e308, v12 :: v_dual_add_f32 v12, v13, v17
	s_delay_alu instid0(VALU_DEP_1) | instskip(NEXT) | instid1(VALU_DEP_1)
	v_add_f32_e32 v13, v102, v101
	v_dual_add_f32 v17, v99, v12 :: v_dual_sub_f32 v102, v13, v102
	s_delay_alu instid0(VALU_DEP_1) | instskip(SKIP_1) | instid1(VALU_DEP_3)
	v_add_f32_e32 v100, v13, v17
	v_sub_f32_e32 v99, v17, v99
	v_sub_f32_e32 v101, v101, v102
	s_delay_alu instid0(VALU_DEP_3) | instskip(NEXT) | instid1(VALU_DEP_3)
	v_sub_f32_e32 v103, v100, v13
	v_sub_f32_e32 v12, v12, v99
	s_delay_alu instid0(VALU_DEP_2) | instskip(SKIP_1) | instid1(VALU_DEP_3)
	v_sub_f32_e32 v104, v100, v103
	v_sub_f32_e32 v17, v17, v103
	v_add_f32_e32 v99, v101, v12
	s_delay_alu instid0(VALU_DEP_3) | instskip(NEXT) | instid1(VALU_DEP_1)
	v_sub_f32_e32 v13, v13, v104
	v_add_f32_e32 v13, v17, v13
	s_delay_alu instid0(VALU_DEP_3) | instskip(NEXT) | instid1(VALU_DEP_2)
	v_sub_f32_e32 v17, v99, v101
	v_add_f32_e32 v13, v99, v13
	s_delay_alu instid0(VALU_DEP_2) | instskip(SKIP_1) | instid1(VALU_DEP_2)
	v_sub_f32_e32 v99, v99, v17
	v_sub_f32_e32 v12, v12, v17
	v_dual_add_f32 v102, v100, v13 :: v_dual_sub_f32 v99, v101, v99
	s_delay_alu instid0(VALU_DEP_1) | instskip(NEXT) | instid1(VALU_DEP_1)
	v_dual_sub_f32 v17, v102, v100 :: v_dual_add_f32 v12, v12, v99
	v_sub_f32_e32 v13, v13, v17
	s_delay_alu instid0(VALU_DEP_1) | instskip(NEXT) | instid1(VALU_DEP_1)
	v_add_f32_e32 v12, v12, v13
	v_add_f32_e32 v12, v102, v12
	s_delay_alu instid0(VALU_DEP_1)
	v_cndmask_b32_e32 v99, v12, v14, vcc_lo
.LBB24_86:                              ;   in Loop: Header=BB24_12 Depth=1
	s_or_b32 exec_lo, exec_lo, s30
	v_lshlrev_b32_e32 v12, 16, v15
	s_delay_alu instid0(VALU_DEP_1) | instskip(NEXT) | instid1(VALU_DEP_1)
	v_add_f32_e32 v100, s67, v12
	v_cmp_ge_f32_e32 vcc_lo, 0x41a00000, v100
	s_and_b32 s29, s80, vcc_lo
	s_delay_alu instid0(SALU_CYCLE_1)
	s_and_saveexec_b32 s30, s29
	s_cbranch_execz .LBB24_88
; %bb.87:                               ;   in Loop: Header=BB24_12 Depth=1
	v_mul_f32_e32 v12, 0x3fb8aa3b, v100
	v_cmp_ngt_f32_e32 vcc_lo, 0xc2ce8ed0, v100
	s_delay_alu instid0(VALU_DEP_2) | instskip(SKIP_1) | instid1(VALU_DEP_2)
	v_rndne_f32_e32 v13, v12
	v_fma_f32 v14, 0x3fb8aa3b, v100, -v12
	v_sub_f32_e32 v12, v12, v13
	s_delay_alu instid0(VALU_DEP_2) | instskip(SKIP_1) | instid1(VALU_DEP_2)
	v_fmac_f32_e32 v14, 0x32a5705f, v100
	v_cvt_i32_f32_e32 v13, v13
	v_add_f32_e32 v12, v12, v14
	s_delay_alu instid0(VALU_DEP_1) | instskip(SKIP_2) | instid1(VALU_DEP_1)
	v_exp_f32_e32 v12, v12
	s_waitcnt_depctr 0xfff
	v_ldexp_f32 v12, v12, v13
	v_cndmask_b32_e32 v12, 0, v12, vcc_lo
	v_cmp_nlt_f32_e32 vcc_lo, 0x42b17218, v100
	s_delay_alu instid0(VALU_DEP_2) | instskip(NEXT) | instid1(VALU_DEP_1)
	v_cndmask_b32_e32 v14, 0x7f800000, v12, vcc_lo
	v_add_f32_e32 v17, 1.0, v14
	s_delay_alu instid0(VALU_DEP_1) | instskip(NEXT) | instid1(VALU_DEP_1)
	v_cvt_f64_f32_e32 v[12:13], v17
	v_frexp_exp_i32_f64_e32 v12, v[12:13]
	v_frexp_mant_f32_e32 v13, v17
	s_delay_alu instid0(VALU_DEP_1) | instskip(SKIP_1) | instid1(VALU_DEP_1)
	v_cmp_gt_f32_e32 vcc_lo, 0x3f2aaaab, v13
	v_add_f32_e32 v13, -1.0, v17
	v_sub_f32_e32 v101, v13, v17
	s_delay_alu instid0(VALU_DEP_1) | instskip(SKIP_2) | instid1(VALU_DEP_2)
	v_add_f32_e32 v101, 1.0, v101
	v_sub_f32_e32 v13, v14, v13
	v_cmp_gt_f32_e64 s29, 0x33800000, v14
	v_add_f32_e32 v13, v13, v101
	v_subrev_co_ci_u32_e32 v12, vcc_lo, 0, v12, vcc_lo
	v_cmp_eq_f32_e32 vcc_lo, 0x7f800000, v14
	s_delay_alu instid0(VALU_DEP_2) | instskip(SKIP_2) | instid1(VALU_DEP_2)
	v_sub_nc_u32_e32 v100, 0, v12
	v_cvt_f32_i32_e32 v12, v12
	s_or_b32 vcc_lo, s29, vcc_lo
	v_ldexp_f32 v17, v17, v100
	v_ldexp_f32 v13, v13, v100
	s_delay_alu instid0(VALU_DEP_2) | instskip(NEXT) | instid1(VALU_DEP_1)
	v_add_f32_e32 v100, -1.0, v17
	v_dual_add_f32 v102, 1.0, v17 :: v_dual_add_f32 v103, 1.0, v100
	s_delay_alu instid0(VALU_DEP_1) | instskip(NEXT) | instid1(VALU_DEP_1)
	v_add_f32_e32 v101, -1.0, v102
	v_sub_f32_e32 v101, v17, v101
	s_delay_alu instid0(VALU_DEP_3) | instskip(NEXT) | instid1(VALU_DEP_2)
	v_sub_f32_e32 v17, v17, v103
	v_add_f32_e32 v101, v13, v101
	s_delay_alu instid0(VALU_DEP_2) | instskip(NEXT) | instid1(VALU_DEP_1)
	v_add_f32_e32 v13, v13, v17
	v_add_f32_e32 v104, v100, v13
	s_delay_alu instid0(VALU_DEP_1) | instskip(NEXT) | instid1(VALU_DEP_1)
	v_dual_sub_f32 v100, v100, v104 :: v_dual_add_f32 v103, v102, v101
	v_add_f32_e32 v13, v13, v100
	s_delay_alu instid0(VALU_DEP_2) | instskip(SKIP_1) | instid1(VALU_DEP_1)
	v_rcp_f32_e32 v17, v103
	v_sub_f32_e32 v102, v102, v103
	v_add_f32_e32 v101, v101, v102
	s_waitcnt_depctr 0xfff
	v_mul_f32_e32 v105, v104, v17
	s_delay_alu instid0(VALU_DEP_1) | instskip(NEXT) | instid1(VALU_DEP_1)
	v_mul_f32_e32 v106, v103, v105
	v_fma_f32 v102, v105, v103, -v106
	s_delay_alu instid0(VALU_DEP_1) | instskip(NEXT) | instid1(VALU_DEP_1)
	v_fmac_f32_e32 v102, v105, v101
	v_add_f32_e32 v107, v106, v102
	s_delay_alu instid0(VALU_DEP_1) | instskip(SKIP_1) | instid1(VALU_DEP_2)
	v_sub_f32_e32 v108, v104, v107
	v_sub_f32_e32 v100, v107, v106
	;; [unrolled: 1-line block ×3, first 2 shown]
	s_delay_alu instid0(VALU_DEP_1) | instskip(NEXT) | instid1(VALU_DEP_1)
	v_sub_f32_e32 v104, v104, v107
	v_dual_sub_f32 v100, v100, v102 :: v_dual_add_f32 v13, v13, v104
	s_delay_alu instid0(VALU_DEP_1) | instskip(NEXT) | instid1(VALU_DEP_1)
	v_add_f32_e32 v13, v100, v13
	v_add_f32_e32 v100, v108, v13
	s_delay_alu instid0(VALU_DEP_1) | instskip(NEXT) | instid1(VALU_DEP_1)
	v_mul_f32_e32 v102, v17, v100
	v_dual_sub_f32 v107, v108, v100 :: v_dual_mul_f32 v104, v103, v102
	s_delay_alu instid0(VALU_DEP_1) | instskip(NEXT) | instid1(VALU_DEP_2)
	v_add_f32_e32 v13, v13, v107
	v_fma_f32 v103, v102, v103, -v104
	s_delay_alu instid0(VALU_DEP_1) | instskip(NEXT) | instid1(VALU_DEP_1)
	v_fmac_f32_e32 v103, v102, v101
	v_add_f32_e32 v101, v104, v103
	s_delay_alu instid0(VALU_DEP_1) | instskip(NEXT) | instid1(VALU_DEP_1)
	v_sub_f32_e32 v106, v100, v101
	v_sub_f32_e32 v100, v100, v106
	s_delay_alu instid0(VALU_DEP_1) | instskip(NEXT) | instid1(VALU_DEP_1)
	v_sub_f32_e32 v100, v100, v101
	v_add_f32_e32 v13, v13, v100
	v_add_f32_e32 v100, v105, v102
	v_sub_f32_e32 v104, v101, v104
	s_delay_alu instid0(VALU_DEP_1) | instskip(NEXT) | instid1(VALU_DEP_1)
	v_sub_f32_e32 v101, v104, v103
	v_add_f32_e32 v13, v101, v13
	s_delay_alu instid0(VALU_DEP_4) | instskip(NEXT) | instid1(VALU_DEP_2)
	v_sub_f32_e32 v101, v100, v105
	v_add_f32_e32 v13, v106, v13
	s_delay_alu instid0(VALU_DEP_2) | instskip(NEXT) | instid1(VALU_DEP_2)
	v_sub_f32_e32 v101, v102, v101
	v_mul_f32_e32 v13, v17, v13
	s_delay_alu instid0(VALU_DEP_1) | instskip(NEXT) | instid1(VALU_DEP_1)
	v_add_f32_e32 v13, v101, v13
	v_add_f32_e32 v17, v100, v13
	s_delay_alu instid0(VALU_DEP_1) | instskip(NEXT) | instid1(VALU_DEP_1)
	v_mul_f32_e32 v101, v17, v17
	v_fmaak_f32 v102, s84, v101, 0x3ecc95a3
	v_mul_f32_e32 v103, v17, v101
	s_delay_alu instid0(VALU_DEP_2) | instskip(SKIP_1) | instid1(VALU_DEP_2)
	v_fmaak_f32 v101, v101, v102, 0x3f2aaada
	v_ldexp_f32 v102, v17, 1
	v_mul_f32_e32 v101, v103, v101
	s_delay_alu instid0(VALU_DEP_1) | instskip(NEXT) | instid1(VALU_DEP_1)
	v_dual_sub_f32 v17, v17, v100 :: v_dual_add_f32 v100, v102, v101
	v_sub_f32_e32 v13, v13, v17
	s_delay_alu instid0(VALU_DEP_2) | instskip(NEXT) | instid1(VALU_DEP_2)
	v_sub_f32_e32 v17, v100, v102
	v_ldexp_f32 v13, v13, 1
	s_delay_alu instid0(VALU_DEP_2) | instskip(SKIP_1) | instid1(VALU_DEP_1)
	v_sub_f32_e32 v17, v101, v17
	v_mul_f32_e32 v103, 0x3f317218, v12
	v_fma_f32 v102, 0x3f317218, v12, -v103
	s_delay_alu instid0(VALU_DEP_1) | instskip(NEXT) | instid1(VALU_DEP_1)
	v_fmac_f32_e32 v102, 0xb102e308, v12
	v_dual_add_f32 v12, v13, v17 :: v_dual_add_f32 v13, v103, v102
	s_delay_alu instid0(VALU_DEP_1) | instskip(NEXT) | instid1(VALU_DEP_1)
	v_add_f32_e32 v17, v100, v12
	v_add_f32_e32 v101, v13, v17
	v_sub_f32_e32 v100, v17, v100
	s_delay_alu instid0(VALU_DEP_2) | instskip(NEXT) | instid1(VALU_DEP_2)
	v_sub_f32_e32 v104, v101, v13
	v_dual_sub_f32 v12, v12, v100 :: v_dual_sub_f32 v103, v13, v103
	s_delay_alu instid0(VALU_DEP_2) | instskip(NEXT) | instid1(VALU_DEP_2)
	v_sub_f32_e32 v105, v101, v104
	v_dual_sub_f32 v17, v17, v104 :: v_dual_sub_f32 v102, v102, v103
	s_delay_alu instid0(VALU_DEP_1) | instskip(NEXT) | instid1(VALU_DEP_1)
	v_dual_sub_f32 v13, v13, v105 :: v_dual_add_f32 v100, v102, v12
	v_add_f32_e32 v13, v17, v13
	s_delay_alu instid0(VALU_DEP_2) | instskip(NEXT) | instid1(VALU_DEP_2)
	v_sub_f32_e32 v17, v100, v102
	v_add_f32_e32 v13, v100, v13
	s_delay_alu instid0(VALU_DEP_2) | instskip(SKIP_1) | instid1(VALU_DEP_2)
	v_sub_f32_e32 v100, v100, v17
	v_sub_f32_e32 v12, v12, v17
	v_dual_add_f32 v103, v101, v13 :: v_dual_sub_f32 v100, v102, v100
	s_delay_alu instid0(VALU_DEP_1) | instskip(NEXT) | instid1(VALU_DEP_1)
	v_dual_sub_f32 v17, v103, v101 :: v_dual_add_f32 v12, v12, v100
	v_sub_f32_e32 v13, v13, v17
	s_delay_alu instid0(VALU_DEP_1) | instskip(NEXT) | instid1(VALU_DEP_1)
	v_add_f32_e32 v12, v12, v13
	v_add_f32_e32 v12, v103, v12
	s_delay_alu instid0(VALU_DEP_1)
	v_cndmask_b32_e32 v100, v12, v14, vcc_lo
.LBB24_88:                              ;   in Loop: Header=BB24_12 Depth=1
	s_or_b32 exec_lo, exec_lo, s30
	v_and_b32_e32 v12, 0xffff0000, v15
	s_delay_alu instid0(VALU_DEP_1) | instskip(NEXT) | instid1(VALU_DEP_1)
	v_add_f32_e32 v105, s67, v12
	v_cmp_ge_f32_e32 vcc_lo, 0x41a00000, v105
	s_and_b32 s29, s80, vcc_lo
	s_delay_alu instid0(SALU_CYCLE_1)
	s_and_saveexec_b32 s30, s29
	s_cbranch_execz .LBB24_90
; %bb.89:                               ;   in Loop: Header=BB24_12 Depth=1
	v_mul_f32_e32 v12, 0x3fb8aa3b, v105
	v_cmp_ngt_f32_e32 vcc_lo, 0xc2ce8ed0, v105
	s_delay_alu instid0(VALU_DEP_2) | instskip(SKIP_1) | instid1(VALU_DEP_2)
	v_rndne_f32_e32 v13, v12
	v_fma_f32 v14, 0x3fb8aa3b, v105, -v12
	v_sub_f32_e32 v12, v12, v13
	s_delay_alu instid0(VALU_DEP_2) | instskip(SKIP_1) | instid1(VALU_DEP_2)
	v_fmac_f32_e32 v14, 0x32a5705f, v105
	v_cvt_i32_f32_e32 v13, v13
	v_add_f32_e32 v12, v12, v14
	s_delay_alu instid0(VALU_DEP_1) | instskip(SKIP_2) | instid1(VALU_DEP_1)
	v_exp_f32_e32 v12, v12
	s_waitcnt_depctr 0xfff
	v_ldexp_f32 v12, v12, v13
	v_cndmask_b32_e32 v12, 0, v12, vcc_lo
	v_cmp_nlt_f32_e32 vcc_lo, 0x42b17218, v105
	s_delay_alu instid0(VALU_DEP_2) | instskip(NEXT) | instid1(VALU_DEP_1)
	v_cndmask_b32_e32 v14, 0x7f800000, v12, vcc_lo
	v_add_f32_e32 v15, 1.0, v14
	s_delay_alu instid0(VALU_DEP_1) | instskip(NEXT) | instid1(VALU_DEP_1)
	v_cvt_f64_f32_e32 v[12:13], v15
	v_frexp_exp_i32_f64_e32 v12, v[12:13]
	v_frexp_mant_f32_e32 v13, v15
	s_delay_alu instid0(VALU_DEP_1) | instskip(SKIP_1) | instid1(VALU_DEP_1)
	v_cmp_gt_f32_e32 vcc_lo, 0x3f2aaaab, v13
	v_add_f32_e32 v13, -1.0, v15
	v_sub_f32_e32 v101, v13, v15
	v_sub_f32_e32 v13, v14, v13
	s_delay_alu instid0(VALU_DEP_2) | instskip(NEXT) | instid1(VALU_DEP_1)
	v_add_f32_e32 v101, 1.0, v101
	v_add_f32_e32 v13, v13, v101
	v_cmp_gt_f32_e64 s29, 0x33800000, v14
	v_subrev_co_ci_u32_e32 v12, vcc_lo, 0, v12, vcc_lo
	v_cmp_eq_f32_e32 vcc_lo, 0x7f800000, v14
	s_delay_alu instid0(VALU_DEP_2) | instskip(SKIP_2) | instid1(VALU_DEP_2)
	v_sub_nc_u32_e32 v17, 0, v12
	v_cvt_f32_i32_e32 v12, v12
	s_or_b32 vcc_lo, s29, vcc_lo
	v_ldexp_f32 v15, v15, v17
	v_ldexp_f32 v13, v13, v17
	s_delay_alu instid0(VALU_DEP_2) | instskip(SKIP_1) | instid1(VALU_DEP_2)
	v_add_f32_e32 v102, 1.0, v15
	v_add_f32_e32 v17, -1.0, v15
	v_add_f32_e32 v101, -1.0, v102
	s_delay_alu instid0(VALU_DEP_2) | instskip(NEXT) | instid1(VALU_DEP_2)
	v_add_f32_e32 v103, 1.0, v17
	v_sub_f32_e32 v101, v15, v101
	s_delay_alu instid0(VALU_DEP_2) | instskip(NEXT) | instid1(VALU_DEP_2)
	v_sub_f32_e32 v15, v15, v103
	v_add_f32_e32 v101, v13, v101
	s_delay_alu instid0(VALU_DEP_2) | instskip(NEXT) | instid1(VALU_DEP_1)
	v_add_f32_e32 v13, v13, v15
	v_add_f32_e32 v104, v17, v13
	s_delay_alu instid0(VALU_DEP_3) | instskip(NEXT) | instid1(VALU_DEP_1)
	v_add_f32_e32 v103, v102, v101
	v_rcp_f32_e32 v15, v103
	v_sub_f32_e32 v102, v102, v103
	s_delay_alu instid0(VALU_DEP_1) | instskip(SKIP_2) | instid1(VALU_DEP_1)
	v_add_f32_e32 v101, v101, v102
	s_waitcnt_depctr 0xfff
	v_mul_f32_e32 v105, v104, v15
	v_dual_mul_f32 v106, v103, v105 :: v_dual_sub_f32 v17, v17, v104
	s_delay_alu instid0(VALU_DEP_1) | instskip(NEXT) | instid1(VALU_DEP_2)
	v_fma_f32 v102, v105, v103, -v106
	v_add_f32_e32 v13, v13, v17
	s_delay_alu instid0(VALU_DEP_2) | instskip(NEXT) | instid1(VALU_DEP_1)
	v_fmac_f32_e32 v102, v105, v101
	v_add_f32_e32 v107, v106, v102
	s_delay_alu instid0(VALU_DEP_1) | instskip(NEXT) | instid1(VALU_DEP_1)
	v_dual_sub_f32 v108, v104, v107 :: v_dual_sub_f32 v17, v107, v106
	v_dual_sub_f32 v104, v104, v108 :: v_dual_sub_f32 v17, v17, v102
	s_delay_alu instid0(VALU_DEP_1) | instskip(NEXT) | instid1(VALU_DEP_1)
	v_sub_f32_e32 v104, v104, v107
	v_add_f32_e32 v13, v13, v104
	s_delay_alu instid0(VALU_DEP_1) | instskip(NEXT) | instid1(VALU_DEP_1)
	v_add_f32_e32 v13, v17, v13
	v_add_f32_e32 v17, v108, v13
	s_delay_alu instid0(VALU_DEP_1) | instskip(NEXT) | instid1(VALU_DEP_1)
	v_mul_f32_e32 v102, v15, v17
	v_dual_sub_f32 v107, v108, v17 :: v_dual_mul_f32 v104, v103, v102
	s_delay_alu instid0(VALU_DEP_1) | instskip(NEXT) | instid1(VALU_DEP_2)
	v_add_f32_e32 v13, v13, v107
	v_fma_f32 v103, v102, v103, -v104
	s_delay_alu instid0(VALU_DEP_1) | instskip(NEXT) | instid1(VALU_DEP_1)
	v_fmac_f32_e32 v103, v102, v101
	v_add_f32_e32 v101, v104, v103
	s_delay_alu instid0(VALU_DEP_1) | instskip(SKIP_1) | instid1(VALU_DEP_2)
	v_sub_f32_e32 v106, v17, v101
	v_sub_f32_e32 v104, v101, v104
	;; [unrolled: 1-line block ×3, first 2 shown]
	s_delay_alu instid0(VALU_DEP_1) | instskip(NEXT) | instid1(VALU_DEP_3)
	v_sub_f32_e32 v17, v17, v101
	v_sub_f32_e32 v101, v104, v103
	s_delay_alu instid0(VALU_DEP_2) | instskip(SKIP_1) | instid1(VALU_DEP_2)
	v_add_f32_e32 v13, v13, v17
	v_add_f32_e32 v17, v105, v102
	;; [unrolled: 1-line block ×3, first 2 shown]
	s_delay_alu instid0(VALU_DEP_2) | instskip(NEXT) | instid1(VALU_DEP_2)
	v_sub_f32_e32 v101, v17, v105
	v_add_f32_e32 v13, v106, v13
	s_delay_alu instid0(VALU_DEP_2) | instskip(NEXT) | instid1(VALU_DEP_2)
	v_sub_f32_e32 v101, v102, v101
	v_mul_f32_e32 v13, v15, v13
	s_delay_alu instid0(VALU_DEP_1) | instskip(NEXT) | instid1(VALU_DEP_1)
	v_add_f32_e32 v13, v101, v13
	v_add_f32_e32 v15, v17, v13
	s_delay_alu instid0(VALU_DEP_1) | instskip(NEXT) | instid1(VALU_DEP_1)
	v_mul_f32_e32 v101, v15, v15
	v_fmaak_f32 v102, s84, v101, 0x3ecc95a3
	v_mul_f32_e32 v103, v15, v101
	s_delay_alu instid0(VALU_DEP_2) | instskip(SKIP_2) | instid1(VALU_DEP_3)
	v_fmaak_f32 v101, v101, v102, 0x3f2aaada
	v_ldexp_f32 v102, v15, 1
	v_sub_f32_e32 v15, v15, v17
	v_mul_f32_e32 v101, v103, v101
	v_mul_f32_e32 v103, 0x3f317218, v12
	s_delay_alu instid0(VALU_DEP_3) | instskip(NEXT) | instid1(VALU_DEP_3)
	v_sub_f32_e32 v13, v13, v15
	v_add_f32_e32 v17, v102, v101
	s_delay_alu instid0(VALU_DEP_2) | instskip(NEXT) | instid1(VALU_DEP_2)
	v_ldexp_f32 v13, v13, 1
	v_sub_f32_e32 v15, v17, v102
	v_fma_f32 v102, 0x3f317218, v12, -v103
	s_delay_alu instid0(VALU_DEP_1) | instskip(NEXT) | instid1(VALU_DEP_1)
	v_dual_sub_f32 v15, v101, v15 :: v_dual_fmac_f32 v102, 0xb102e308, v12
	v_dual_add_f32 v12, v13, v15 :: v_dual_add_f32 v13, v103, v102
	s_delay_alu instid0(VALU_DEP_1) | instskip(NEXT) | instid1(VALU_DEP_1)
	v_add_f32_e32 v15, v17, v12
	v_add_f32_e32 v101, v13, v15
	v_sub_f32_e32 v17, v15, v17
	s_delay_alu instid0(VALU_DEP_2) | instskip(NEXT) | instid1(VALU_DEP_2)
	v_sub_f32_e32 v104, v101, v13
	v_dual_sub_f32 v103, v13, v103 :: v_dual_sub_f32 v12, v12, v17
	s_delay_alu instid0(VALU_DEP_1) | instskip(SKIP_1) | instid1(VALU_DEP_2)
	v_dual_sub_f32 v105, v101, v104 :: v_dual_sub_f32 v102, v102, v103
	v_sub_f32_e32 v15, v15, v104
	v_sub_f32_e32 v13, v13, v105
	s_delay_alu instid0(VALU_DEP_3) | instskip(NEXT) | instid1(VALU_DEP_2)
	v_add_f32_e32 v17, v102, v12
	v_add_f32_e32 v13, v15, v13
	s_delay_alu instid0(VALU_DEP_2) | instskip(NEXT) | instid1(VALU_DEP_2)
	v_sub_f32_e32 v15, v17, v102
	v_add_f32_e32 v13, v17, v13
	s_delay_alu instid0(VALU_DEP_2) | instskip(NEXT) | instid1(VALU_DEP_2)
	v_sub_f32_e32 v17, v17, v15
	v_dual_sub_f32 v12, v12, v15 :: v_dual_add_f32 v103, v101, v13
	s_delay_alu instid0(VALU_DEP_2) | instskip(NEXT) | instid1(VALU_DEP_2)
	v_sub_f32_e32 v17, v102, v17
	v_sub_f32_e32 v15, v103, v101
	s_delay_alu instid0(VALU_DEP_1) | instskip(NEXT) | instid1(VALU_DEP_1)
	v_dual_add_f32 v12, v12, v17 :: v_dual_sub_f32 v13, v13, v15
	v_add_f32_e32 v12, v12, v13
	s_delay_alu instid0(VALU_DEP_1) | instskip(NEXT) | instid1(VALU_DEP_1)
	v_add_f32_e32 v12, v103, v12
	v_cndmask_b32_e32 v105, v12, v14, vcc_lo
.LBB24_90:                              ;   in Loop: Header=BB24_12 Depth=1
	s_or_b32 exec_lo, exec_lo, s30
	s_waitcnt lgkmcnt(0)
	v_lshlrev_b32_e32 v12, 16, v8
	s_delay_alu instid0(VALU_DEP_1) | instskip(NEXT) | instid1(VALU_DEP_1)
	v_add_f32_e32 v108, s67, v12
	v_cmp_ge_f32_e32 vcc_lo, 0x41a00000, v108
	s_and_b32 s29, s80, vcc_lo
	s_delay_alu instid0(SALU_CYCLE_1)
	s_and_saveexec_b32 s30, s29
	s_cbranch_execz .LBB24_92
; %bb.91:                               ;   in Loop: Header=BB24_12 Depth=1
	v_mul_f32_e32 v12, 0x3fb8aa3b, v108
	v_cmp_ngt_f32_e32 vcc_lo, 0xc2ce8ed0, v108
	s_delay_alu instid0(VALU_DEP_2) | instskip(SKIP_1) | instid1(VALU_DEP_2)
	v_rndne_f32_e32 v13, v12
	v_fma_f32 v14, 0x3fb8aa3b, v108, -v12
	v_sub_f32_e32 v12, v12, v13
	s_delay_alu instid0(VALU_DEP_2) | instskip(SKIP_1) | instid1(VALU_DEP_2)
	v_fmac_f32_e32 v14, 0x32a5705f, v108
	v_cvt_i32_f32_e32 v13, v13
	v_add_f32_e32 v12, v12, v14
	s_delay_alu instid0(VALU_DEP_1) | instskip(SKIP_2) | instid1(VALU_DEP_1)
	v_exp_f32_e32 v12, v12
	s_waitcnt_depctr 0xfff
	v_ldexp_f32 v12, v12, v13
	v_cndmask_b32_e32 v12, 0, v12, vcc_lo
	v_cmp_nlt_f32_e32 vcc_lo, 0x42b17218, v108
	s_delay_alu instid0(VALU_DEP_2) | instskip(NEXT) | instid1(VALU_DEP_1)
	v_cndmask_b32_e32 v14, 0x7f800000, v12, vcc_lo
	v_add_f32_e32 v15, 1.0, v14
	s_delay_alu instid0(VALU_DEP_1) | instskip(NEXT) | instid1(VALU_DEP_1)
	v_cvt_f64_f32_e32 v[12:13], v15
	v_frexp_exp_i32_f64_e32 v12, v[12:13]
	v_frexp_mant_f32_e32 v13, v15
	s_delay_alu instid0(VALU_DEP_1) | instskip(SKIP_1) | instid1(VALU_DEP_1)
	v_cmp_gt_f32_e32 vcc_lo, 0x3f2aaaab, v13
	v_add_f32_e32 v13, -1.0, v15
	v_sub_f32_e32 v101, v13, v15
	v_sub_f32_e32 v13, v14, v13
	s_delay_alu instid0(VALU_DEP_2) | instskip(NEXT) | instid1(VALU_DEP_1)
	v_add_f32_e32 v101, 1.0, v101
	v_add_f32_e32 v13, v13, v101
	v_cmp_gt_f32_e64 s29, 0x33800000, v14
	v_subrev_co_ci_u32_e32 v12, vcc_lo, 0, v12, vcc_lo
	v_cmp_eq_f32_e32 vcc_lo, 0x7f800000, v14
	s_delay_alu instid0(VALU_DEP_2) | instskip(SKIP_2) | instid1(VALU_DEP_2)
	v_sub_nc_u32_e32 v17, 0, v12
	v_cvt_f32_i32_e32 v12, v12
	s_or_b32 vcc_lo, s29, vcc_lo
	v_ldexp_f32 v15, v15, v17
	v_ldexp_f32 v13, v13, v17
	s_delay_alu instid0(VALU_DEP_2) | instskip(SKIP_1) | instid1(VALU_DEP_2)
	v_add_f32_e32 v102, 1.0, v15
	v_add_f32_e32 v17, -1.0, v15
	v_add_f32_e32 v101, -1.0, v102
	s_delay_alu instid0(VALU_DEP_2) | instskip(NEXT) | instid1(VALU_DEP_2)
	v_add_f32_e32 v103, 1.0, v17
	v_sub_f32_e32 v101, v15, v101
	s_delay_alu instid0(VALU_DEP_2) | instskip(NEXT) | instid1(VALU_DEP_2)
	v_sub_f32_e32 v15, v15, v103
	v_add_f32_e32 v101, v13, v101
	s_delay_alu instid0(VALU_DEP_2) | instskip(NEXT) | instid1(VALU_DEP_2)
	v_add_f32_e32 v13, v13, v15
	v_add_f32_e32 v103, v102, v101
	s_delay_alu instid0(VALU_DEP_2) | instskip(NEXT) | instid1(VALU_DEP_2)
	v_add_f32_e32 v104, v17, v13
	v_rcp_f32_e32 v15, v103
	v_sub_f32_e32 v102, v102, v103
	s_waitcnt_depctr 0xfff
	v_dual_add_f32 v101, v101, v102 :: v_dual_mul_f32 v106, v104, v15
	s_delay_alu instid0(VALU_DEP_1) | instskip(NEXT) | instid1(VALU_DEP_1)
	v_mul_f32_e32 v107, v103, v106
	v_fma_f32 v102, v106, v103, -v107
	s_delay_alu instid0(VALU_DEP_1) | instskip(NEXT) | instid1(VALU_DEP_1)
	v_dual_fmac_f32 v102, v106, v101 :: v_dual_sub_f32 v17, v17, v104
	v_add_f32_e32 v108, v107, v102
	s_delay_alu instid0(VALU_DEP_1) | instskip(NEXT) | instid1(VALU_DEP_1)
	v_sub_f32_e32 v109, v104, v108
	v_sub_f32_e32 v104, v104, v109
	s_delay_alu instid0(VALU_DEP_1) | instskip(SKIP_1) | instid1(VALU_DEP_2)
	v_dual_sub_f32 v104, v104, v108 :: v_dual_add_f32 v13, v13, v17
	v_sub_f32_e32 v17, v108, v107
	v_add_f32_e32 v13, v13, v104
	s_delay_alu instid0(VALU_DEP_2) | instskip(NEXT) | instid1(VALU_DEP_1)
	v_sub_f32_e32 v17, v17, v102
	v_add_f32_e32 v13, v17, v13
	s_delay_alu instid0(VALU_DEP_1) | instskip(NEXT) | instid1(VALU_DEP_1)
	v_add_f32_e32 v17, v109, v13
	v_mul_f32_e32 v102, v15, v17
	s_delay_alu instid0(VALU_DEP_1) | instskip(SKIP_1) | instid1(VALU_DEP_2)
	v_mul_f32_e32 v104, v103, v102
	v_sub_f32_e32 v108, v109, v17
	v_fma_f32 v103, v102, v103, -v104
	s_delay_alu instid0(VALU_DEP_2) | instskip(NEXT) | instid1(VALU_DEP_2)
	v_add_f32_e32 v13, v13, v108
	v_fmac_f32_e32 v103, v102, v101
	s_delay_alu instid0(VALU_DEP_1) | instskip(NEXT) | instid1(VALU_DEP_1)
	v_add_f32_e32 v101, v104, v103
	v_sub_f32_e32 v107, v17, v101
	v_sub_f32_e32 v104, v101, v104
	s_delay_alu instid0(VALU_DEP_2) | instskip(NEXT) | instid1(VALU_DEP_1)
	v_sub_f32_e32 v17, v17, v107
	v_sub_f32_e32 v17, v17, v101
	s_delay_alu instid0(VALU_DEP_3) | instskip(NEXT) | instid1(VALU_DEP_2)
	v_sub_f32_e32 v101, v104, v103
	v_add_f32_e32 v13, v13, v17
	v_add_f32_e32 v17, v106, v102
	s_delay_alu instid0(VALU_DEP_2) | instskip(NEXT) | instid1(VALU_DEP_2)
	v_add_f32_e32 v13, v101, v13
	v_sub_f32_e32 v101, v17, v106
	s_delay_alu instid0(VALU_DEP_2) | instskip(NEXT) | instid1(VALU_DEP_2)
	v_add_f32_e32 v13, v107, v13
	v_sub_f32_e32 v101, v102, v101
	s_delay_alu instid0(VALU_DEP_2) | instskip(NEXT) | instid1(VALU_DEP_1)
	v_mul_f32_e32 v13, v15, v13
	v_add_f32_e32 v13, v101, v13
	s_delay_alu instid0(VALU_DEP_1) | instskip(NEXT) | instid1(VALU_DEP_1)
	v_add_f32_e32 v15, v17, v13
	v_mul_f32_e32 v101, v15, v15
	s_delay_alu instid0(VALU_DEP_1) | instskip(SKIP_1) | instid1(VALU_DEP_2)
	v_fmaak_f32 v102, s84, v101, 0x3ecc95a3
	v_mul_f32_e32 v103, v15, v101
	v_fmaak_f32 v101, v101, v102, 0x3f2aaada
	v_ldexp_f32 v102, v15, 1
	v_sub_f32_e32 v15, v15, v17
	s_delay_alu instid0(VALU_DEP_3) | instskip(SKIP_1) | instid1(VALU_DEP_3)
	v_mul_f32_e32 v101, v103, v101
	v_mul_f32_e32 v103, 0x3f317218, v12
	v_sub_f32_e32 v13, v13, v15
	s_delay_alu instid0(VALU_DEP_3) | instskip(NEXT) | instid1(VALU_DEP_2)
	v_add_f32_e32 v17, v102, v101
	v_ldexp_f32 v13, v13, 1
	s_delay_alu instid0(VALU_DEP_2) | instskip(SKIP_1) | instid1(VALU_DEP_1)
	v_sub_f32_e32 v15, v17, v102
	v_fma_f32 v102, 0x3f317218, v12, -v103
	v_dual_sub_f32 v15, v101, v15 :: v_dual_fmac_f32 v102, 0xb102e308, v12
	s_delay_alu instid0(VALU_DEP_1) | instskip(NEXT) | instid1(VALU_DEP_1)
	v_dual_add_f32 v12, v13, v15 :: v_dual_add_f32 v13, v103, v102
	v_add_f32_e32 v15, v17, v12
	s_delay_alu instid0(VALU_DEP_2) | instskip(NEXT) | instid1(VALU_DEP_2)
	v_sub_f32_e32 v103, v13, v103
	v_add_f32_e32 v101, v13, v15
	s_delay_alu instid0(VALU_DEP_2) | instskip(NEXT) | instid1(VALU_DEP_2)
	v_dual_sub_f32 v17, v15, v17 :: v_dual_sub_f32 v102, v102, v103
	v_sub_f32_e32 v104, v101, v13
	s_delay_alu instid0(VALU_DEP_2) | instskip(NEXT) | instid1(VALU_DEP_2)
	v_sub_f32_e32 v12, v12, v17
	v_sub_f32_e32 v106, v101, v104
	;; [unrolled: 1-line block ×3, first 2 shown]
	s_delay_alu instid0(VALU_DEP_3) | instskip(NEXT) | instid1(VALU_DEP_3)
	v_add_f32_e32 v17, v102, v12
	v_sub_f32_e32 v13, v13, v106
	s_delay_alu instid0(VALU_DEP_1) | instskip(NEXT) | instid1(VALU_DEP_3)
	v_add_f32_e32 v13, v15, v13
	v_sub_f32_e32 v15, v17, v102
	s_delay_alu instid0(VALU_DEP_2) | instskip(NEXT) | instid1(VALU_DEP_2)
	v_add_f32_e32 v13, v17, v13
	v_sub_f32_e32 v17, v17, v15
	s_delay_alu instid0(VALU_DEP_2) | instskip(NEXT) | instid1(VALU_DEP_2)
	v_dual_sub_f32 v12, v12, v15 :: v_dual_add_f32 v103, v101, v13
	v_sub_f32_e32 v17, v102, v17
	s_delay_alu instid0(VALU_DEP_2) | instskip(NEXT) | instid1(VALU_DEP_1)
	v_sub_f32_e32 v15, v103, v101
	v_dual_add_f32 v12, v12, v17 :: v_dual_sub_f32 v13, v13, v15
	s_delay_alu instid0(VALU_DEP_1) | instskip(NEXT) | instid1(VALU_DEP_1)
	v_add_f32_e32 v12, v12, v13
	v_add_f32_e32 v12, v103, v12
	s_delay_alu instid0(VALU_DEP_1)
	v_cndmask_b32_e32 v108, v12, v14, vcc_lo
.LBB24_92:                              ;   in Loop: Header=BB24_12 Depth=1
	s_or_b32 exec_lo, exec_lo, s30
	v_and_b32_e32 v8, 0xffff0000, v8
	s_delay_alu instid0(VALU_DEP_1) | instskip(NEXT) | instid1(VALU_DEP_1)
	v_add_f32_e32 v113, s67, v8
	v_cmp_ge_f32_e32 vcc_lo, 0x41a00000, v113
	s_and_b32 s29, s80, vcc_lo
	s_delay_alu instid0(SALU_CYCLE_1)
	s_and_saveexec_b32 s30, s29
	s_cbranch_execz .LBB24_94
; %bb.93:                               ;   in Loop: Header=BB24_12 Depth=1
	v_mul_f32_e32 v8, 0x3fb8aa3b, v113
	v_cmp_ngt_f32_e32 vcc_lo, 0xc2ce8ed0, v113
	s_delay_alu instid0(VALU_DEP_2) | instskip(SKIP_1) | instid1(VALU_DEP_1)
	v_rndne_f32_e32 v12, v8
	v_fma_f32 v13, 0x3fb8aa3b, v113, -v8
	v_dual_sub_f32 v8, v8, v12 :: v_dual_fmac_f32 v13, 0x32a5705f, v113
	v_cvt_i32_f32_e32 v12, v12
	s_delay_alu instid0(VALU_DEP_2) | instskip(NEXT) | instid1(VALU_DEP_1)
	v_add_f32_e32 v8, v8, v13
	v_exp_f32_e32 v8, v8
	s_waitcnt_depctr 0xfff
	v_ldexp_f32 v8, v8, v12
	s_delay_alu instid0(VALU_DEP_1) | instskip(SKIP_1) | instid1(VALU_DEP_2)
	v_cndmask_b32_e32 v8, 0, v8, vcc_lo
	v_cmp_nlt_f32_e32 vcc_lo, 0x42b17218, v113
	v_cndmask_b32_e32 v8, 0x7f800000, v8, vcc_lo
	s_delay_alu instid0(VALU_DEP_1) | instskip(NEXT) | instid1(VALU_DEP_1)
	v_add_f32_e32 v14, 1.0, v8
	v_cvt_f64_f32_e32 v[12:13], v14
	s_delay_alu instid0(VALU_DEP_1) | instskip(SKIP_1) | instid1(VALU_DEP_1)
	v_frexp_exp_i32_f64_e32 v12, v[12:13]
	v_frexp_mant_f32_e32 v13, v14
	v_cmp_gt_f32_e32 vcc_lo, 0x3f2aaaab, v13
	v_add_f32_e32 v13, -1.0, v14
	s_delay_alu instid0(VALU_DEP_1) | instskip(NEXT) | instid1(VALU_DEP_1)
	v_sub_f32_e32 v17, v13, v14
	v_add_f32_e32 v17, 1.0, v17
	v_subrev_co_ci_u32_e32 v12, vcc_lo, 0, v12, vcc_lo
	s_delay_alu instid0(VALU_DEP_1) | instskip(SKIP_1) | instid1(VALU_DEP_2)
	v_sub_nc_u32_e32 v15, 0, v12
	v_cvt_f32_i32_e32 v12, v12
	v_ldexp_f32 v14, v14, v15
	s_delay_alu instid0(VALU_DEP_1) | instskip(SKIP_3) | instid1(VALU_DEP_3)
	v_add_f32_e32 v101, 1.0, v14
	v_sub_f32_e32 v13, v8, v13
	v_cmp_eq_f32_e32 vcc_lo, 0x7f800000, v8
	v_cmp_gt_f32_e64 s29, 0x33800000, v8
	v_add_f32_e32 v13, v13, v17
	s_delay_alu instid0(VALU_DEP_2) | instskip(NEXT) | instid1(VALU_DEP_1)
	s_or_b32 vcc_lo, s29, vcc_lo
	v_ldexp_f32 v13, v13, v15
	v_add_f32_e32 v15, -1.0, v14
	s_delay_alu instid0(VALU_DEP_1) | instskip(NEXT) | instid1(VALU_DEP_1)
	v_dual_add_f32 v102, 1.0, v15 :: v_dual_add_f32 v17, -1.0, v101
	v_sub_f32_e32 v17, v14, v17
	s_delay_alu instid0(VALU_DEP_1) | instskip(NEXT) | instid1(VALU_DEP_1)
	v_dual_sub_f32 v14, v14, v102 :: v_dual_add_f32 v17, v13, v17
	v_add_f32_e32 v13, v13, v14
	s_delay_alu instid0(VALU_DEP_2) | instskip(NEXT) | instid1(VALU_DEP_2)
	v_add_f32_e32 v102, v101, v17
	v_add_f32_e32 v103, v15, v13
	s_delay_alu instid0(VALU_DEP_2) | instskip(SKIP_1) | instid1(VALU_DEP_2)
	v_rcp_f32_e32 v14, v102
	v_sub_f32_e32 v101, v101, v102
	v_sub_f32_e32 v15, v15, v103
	s_waitcnt_depctr 0xfff
	v_dual_add_f32 v13, v13, v15 :: v_dual_mul_f32 v104, v103, v14
	s_delay_alu instid0(VALU_DEP_1) | instskip(NEXT) | instid1(VALU_DEP_1)
	v_dual_mul_f32 v106, v102, v104 :: v_dual_add_f32 v17, v17, v101
	v_fma_f32 v101, v104, v102, -v106
	s_delay_alu instid0(VALU_DEP_1) | instskip(NEXT) | instid1(VALU_DEP_1)
	v_fmac_f32_e32 v101, v104, v17
	v_add_f32_e32 v107, v106, v101
	s_delay_alu instid0(VALU_DEP_1) | instskip(SKIP_1) | instid1(VALU_DEP_2)
	v_sub_f32_e32 v109, v103, v107
	v_sub_f32_e32 v15, v107, v106
	;; [unrolled: 1-line block ×3, first 2 shown]
	s_delay_alu instid0(VALU_DEP_2) | instskip(NEXT) | instid1(VALU_DEP_2)
	v_sub_f32_e32 v15, v15, v101
	v_sub_f32_e32 v103, v103, v107
	s_delay_alu instid0(VALU_DEP_1) | instskip(NEXT) | instid1(VALU_DEP_1)
	v_add_f32_e32 v13, v13, v103
	v_add_f32_e32 v13, v15, v13
	s_delay_alu instid0(VALU_DEP_1) | instskip(NEXT) | instid1(VALU_DEP_1)
	v_add_f32_e32 v15, v109, v13
	v_mul_f32_e32 v101, v14, v15
	s_delay_alu instid0(VALU_DEP_1) | instskip(NEXT) | instid1(VALU_DEP_1)
	v_mul_f32_e32 v103, v102, v101
	v_fma_f32 v102, v101, v102, -v103
	s_delay_alu instid0(VALU_DEP_1) | instskip(SKIP_1) | instid1(VALU_DEP_2)
	v_fmac_f32_e32 v102, v101, v17
	v_sub_f32_e32 v107, v109, v15
	v_add_f32_e32 v17, v103, v102
	s_delay_alu instid0(VALU_DEP_1) | instskip(SKIP_1) | instid1(VALU_DEP_2)
	v_dual_add_f32 v13, v13, v107 :: v_dual_sub_f32 v106, v15, v17
	v_sub_f32_e32 v103, v17, v103
	v_sub_f32_e32 v15, v15, v106
	s_delay_alu instid0(VALU_DEP_1) | instskip(NEXT) | instid1(VALU_DEP_3)
	v_sub_f32_e32 v15, v15, v17
	v_sub_f32_e32 v17, v103, v102
	s_delay_alu instid0(VALU_DEP_2) | instskip(SKIP_1) | instid1(VALU_DEP_2)
	v_add_f32_e32 v13, v13, v15
	v_add_f32_e32 v15, v104, v101
	v_add_f32_e32 v13, v17, v13
	s_delay_alu instid0(VALU_DEP_2) | instskip(NEXT) | instid1(VALU_DEP_2)
	v_sub_f32_e32 v17, v15, v104
	v_add_f32_e32 v13, v106, v13
	s_delay_alu instid0(VALU_DEP_2) | instskip(NEXT) | instid1(VALU_DEP_2)
	v_sub_f32_e32 v17, v101, v17
	v_mul_f32_e32 v13, v14, v13
	s_delay_alu instid0(VALU_DEP_1) | instskip(NEXT) | instid1(VALU_DEP_1)
	v_add_f32_e32 v13, v17, v13
	v_add_f32_e32 v14, v15, v13
	s_delay_alu instid0(VALU_DEP_1) | instskip(NEXT) | instid1(VALU_DEP_1)
	v_mul_f32_e32 v17, v14, v14
	v_fmaak_f32 v101, s84, v17, 0x3ecc95a3
	v_mul_f32_e32 v102, v14, v17
	s_delay_alu instid0(VALU_DEP_2) | instskip(SKIP_2) | instid1(VALU_DEP_3)
	v_fmaak_f32 v17, v17, v101, 0x3f2aaada
	v_ldexp_f32 v101, v14, 1
	v_sub_f32_e32 v14, v14, v15
	v_dual_mul_f32 v17, v102, v17 :: v_dual_mul_f32 v102, 0x3f317218, v12
	s_delay_alu instid0(VALU_DEP_2) | instskip(NEXT) | instid1(VALU_DEP_2)
	v_sub_f32_e32 v13, v13, v14
	v_add_f32_e32 v15, v101, v17
	s_delay_alu instid0(VALU_DEP_2) | instskip(NEXT) | instid1(VALU_DEP_2)
	v_ldexp_f32 v13, v13, 1
	v_sub_f32_e32 v14, v15, v101
	v_fma_f32 v101, 0x3f317218, v12, -v102
	s_delay_alu instid0(VALU_DEP_1) | instskip(NEXT) | instid1(VALU_DEP_1)
	v_dual_sub_f32 v14, v17, v14 :: v_dual_fmac_f32 v101, 0xb102e308, v12
	v_dual_add_f32 v12, v13, v14 :: v_dual_add_f32 v13, v102, v101
	s_delay_alu instid0(VALU_DEP_1) | instskip(NEXT) | instid1(VALU_DEP_2)
	v_add_f32_e32 v14, v15, v12
	v_sub_f32_e32 v102, v13, v102
	s_delay_alu instid0(VALU_DEP_2) | instskip(SKIP_1) | instid1(VALU_DEP_3)
	v_add_f32_e32 v17, v13, v14
	v_sub_f32_e32 v15, v14, v15
	v_sub_f32_e32 v101, v101, v102
	s_delay_alu instid0(VALU_DEP_2) | instskip(NEXT) | instid1(VALU_DEP_1)
	v_dual_sub_f32 v103, v17, v13 :: v_dual_sub_f32 v12, v12, v15
	v_sub_f32_e32 v104, v17, v103
	s_delay_alu instid0(VALU_DEP_2) | instskip(NEXT) | instid1(VALU_DEP_2)
	v_dual_sub_f32 v14, v14, v103 :: v_dual_add_f32 v15, v101, v12
	v_sub_f32_e32 v13, v13, v104
	s_delay_alu instid0(VALU_DEP_1) | instskip(NEXT) | instid1(VALU_DEP_3)
	v_add_f32_e32 v13, v14, v13
	v_sub_f32_e32 v14, v15, v101
	s_delay_alu instid0(VALU_DEP_2) | instskip(NEXT) | instid1(VALU_DEP_2)
	v_add_f32_e32 v13, v15, v13
	v_sub_f32_e32 v15, v15, v14
	v_sub_f32_e32 v12, v12, v14
	s_delay_alu instid0(VALU_DEP_3) | instskip(NEXT) | instid1(VALU_DEP_1)
	v_add_f32_e32 v102, v17, v13
	v_dual_sub_f32 v15, v101, v15 :: v_dual_sub_f32 v14, v102, v17
	s_delay_alu instid0(VALU_DEP_1) | instskip(NEXT) | instid1(VALU_DEP_1)
	v_dual_add_f32 v12, v12, v15 :: v_dual_sub_f32 v13, v13, v14
	v_add_f32_e32 v12, v12, v13
	s_delay_alu instid0(VALU_DEP_1) | instskip(NEXT) | instid1(VALU_DEP_1)
	v_add_f32_e32 v12, v102, v12
	v_cndmask_b32_e32 v113, v12, v8, vcc_lo
.LBB24_94:                              ;   in Loop: Header=BB24_12 Depth=1
	s_or_b32 exec_lo, exec_lo, s30
	v_lshlrev_b32_e32 v8, 16, v9
	s_delay_alu instid0(VALU_DEP_1) | instskip(NEXT) | instid1(VALU_DEP_1)
	v_add_f32_e32 v116, s67, v8
	v_cmp_ge_f32_e32 vcc_lo, 0x41a00000, v116
	s_and_b32 s29, s80, vcc_lo
	s_delay_alu instid0(SALU_CYCLE_1)
	s_and_saveexec_b32 s30, s29
	s_cbranch_execz .LBB24_96
; %bb.95:                               ;   in Loop: Header=BB24_12 Depth=1
	v_mul_f32_e32 v8, 0x3fb8aa3b, v116
	v_cmp_ngt_f32_e32 vcc_lo, 0xc2ce8ed0, v116
	s_delay_alu instid0(VALU_DEP_2) | instskip(SKIP_1) | instid1(VALU_DEP_2)
	v_rndne_f32_e32 v12, v8
	v_fma_f32 v13, 0x3fb8aa3b, v116, -v8
	v_sub_f32_e32 v8, v8, v12
	s_delay_alu instid0(VALU_DEP_2) | instskip(SKIP_1) | instid1(VALU_DEP_2)
	v_fmac_f32_e32 v13, 0x32a5705f, v116
	v_cvt_i32_f32_e32 v12, v12
	v_add_f32_e32 v8, v8, v13
	s_delay_alu instid0(VALU_DEP_1) | instskip(SKIP_2) | instid1(VALU_DEP_1)
	v_exp_f32_e32 v8, v8
	s_waitcnt_depctr 0xfff
	v_ldexp_f32 v8, v8, v12
	v_cndmask_b32_e32 v8, 0, v8, vcc_lo
	v_cmp_nlt_f32_e32 vcc_lo, 0x42b17218, v116
	s_delay_alu instid0(VALU_DEP_2) | instskip(NEXT) | instid1(VALU_DEP_1)
	v_cndmask_b32_e32 v8, 0x7f800000, v8, vcc_lo
	v_add_f32_e32 v14, 1.0, v8
	s_delay_alu instid0(VALU_DEP_1) | instskip(NEXT) | instid1(VALU_DEP_1)
	v_cvt_f64_f32_e32 v[12:13], v14
	v_frexp_exp_i32_f64_e32 v12, v[12:13]
	v_frexp_mant_f32_e32 v13, v14
	s_delay_alu instid0(VALU_DEP_1) | instskip(SKIP_1) | instid1(VALU_DEP_1)
	v_cmp_gt_f32_e32 vcc_lo, 0x3f2aaaab, v13
	v_add_f32_e32 v13, -1.0, v14
	v_sub_f32_e32 v17, v13, v14
	v_sub_f32_e32 v13, v8, v13
	s_delay_alu instid0(VALU_DEP_2) | instskip(NEXT) | instid1(VALU_DEP_1)
	v_add_f32_e32 v17, 1.0, v17
	v_add_f32_e32 v13, v13, v17
	v_cmp_gt_f32_e64 s29, 0x33800000, v8
	v_subrev_co_ci_u32_e32 v12, vcc_lo, 0, v12, vcc_lo
	v_cmp_eq_f32_e32 vcc_lo, 0x7f800000, v8
	s_delay_alu instid0(VALU_DEP_2) | instskip(SKIP_2) | instid1(VALU_DEP_2)
	v_sub_nc_u32_e32 v15, 0, v12
	v_cvt_f32_i32_e32 v12, v12
	s_or_b32 vcc_lo, s29, vcc_lo
	v_ldexp_f32 v14, v14, v15
	v_ldexp_f32 v13, v13, v15
	s_delay_alu instid0(VALU_DEP_2) | instskip(SKIP_1) | instid1(VALU_DEP_1)
	v_add_f32_e32 v101, 1.0, v14
	v_add_f32_e32 v15, -1.0, v14
	v_dual_add_f32 v102, 1.0, v15 :: v_dual_add_f32 v17, -1.0, v101
	s_delay_alu instid0(VALU_DEP_1) | instskip(NEXT) | instid1(VALU_DEP_1)
	v_sub_f32_e32 v17, v14, v17
	v_dual_sub_f32 v14, v14, v102 :: v_dual_add_f32 v17, v13, v17
	s_delay_alu instid0(VALU_DEP_1) | instskip(NEXT) | instid1(VALU_DEP_2)
	v_add_f32_e32 v13, v13, v14
	v_add_f32_e32 v102, v101, v17
	s_delay_alu instid0(VALU_DEP_2) | instskip(NEXT) | instid1(VALU_DEP_2)
	v_add_f32_e32 v103, v15, v13
	v_rcp_f32_e32 v14, v102
	v_sub_f32_e32 v101, v101, v102
	s_delay_alu instid0(VALU_DEP_2) | instskip(SKIP_2) | instid1(VALU_DEP_1)
	v_sub_f32_e32 v15, v15, v103
	s_waitcnt_depctr 0xfff
	v_dual_add_f32 v13, v13, v15 :: v_dual_mul_f32 v104, v103, v14
	v_dual_mul_f32 v106, v102, v104 :: v_dual_add_f32 v17, v17, v101
	s_delay_alu instid0(VALU_DEP_1) | instskip(NEXT) | instid1(VALU_DEP_1)
	v_fma_f32 v101, v104, v102, -v106
	v_fmac_f32_e32 v101, v104, v17
	s_delay_alu instid0(VALU_DEP_1) | instskip(NEXT) | instid1(VALU_DEP_1)
	v_add_f32_e32 v107, v106, v101
	v_sub_f32_e32 v109, v103, v107
	v_sub_f32_e32 v15, v107, v106
	s_delay_alu instid0(VALU_DEP_2) | instskip(NEXT) | instid1(VALU_DEP_2)
	v_sub_f32_e32 v103, v103, v109
	v_sub_f32_e32 v15, v15, v101
	s_delay_alu instid0(VALU_DEP_2) | instskip(NEXT) | instid1(VALU_DEP_1)
	v_sub_f32_e32 v103, v103, v107
	v_add_f32_e32 v13, v13, v103
	s_delay_alu instid0(VALU_DEP_1) | instskip(NEXT) | instid1(VALU_DEP_1)
	v_add_f32_e32 v13, v15, v13
	v_add_f32_e32 v15, v109, v13
	s_delay_alu instid0(VALU_DEP_1) | instskip(NEXT) | instid1(VALU_DEP_1)
	v_mul_f32_e32 v101, v14, v15
	v_mul_f32_e32 v103, v102, v101
	s_delay_alu instid0(VALU_DEP_1) | instskip(NEXT) | instid1(VALU_DEP_1)
	v_fma_f32 v102, v101, v102, -v103
	v_fmac_f32_e32 v102, v101, v17
	v_sub_f32_e32 v107, v109, v15
	s_delay_alu instid0(VALU_DEP_2) | instskip(NEXT) | instid1(VALU_DEP_1)
	v_add_f32_e32 v17, v103, v102
	v_dual_add_f32 v13, v13, v107 :: v_dual_sub_f32 v106, v15, v17
	v_sub_f32_e32 v103, v17, v103
	s_delay_alu instid0(VALU_DEP_2) | instskip(NEXT) | instid1(VALU_DEP_1)
	v_sub_f32_e32 v15, v15, v106
	v_sub_f32_e32 v15, v15, v17
	s_delay_alu instid0(VALU_DEP_3) | instskip(NEXT) | instid1(VALU_DEP_2)
	v_sub_f32_e32 v17, v103, v102
	v_add_f32_e32 v13, v13, v15
	v_add_f32_e32 v15, v104, v101
	s_delay_alu instid0(VALU_DEP_2) | instskip(NEXT) | instid1(VALU_DEP_2)
	v_add_f32_e32 v13, v17, v13
	v_sub_f32_e32 v17, v15, v104
	s_delay_alu instid0(VALU_DEP_2) | instskip(NEXT) | instid1(VALU_DEP_2)
	v_add_f32_e32 v13, v106, v13
	v_sub_f32_e32 v17, v101, v17
	s_delay_alu instid0(VALU_DEP_2) | instskip(NEXT) | instid1(VALU_DEP_1)
	v_mul_f32_e32 v13, v14, v13
	v_add_f32_e32 v13, v17, v13
	s_delay_alu instid0(VALU_DEP_1) | instskip(NEXT) | instid1(VALU_DEP_1)
	v_add_f32_e32 v14, v15, v13
	v_mul_f32_e32 v17, v14, v14
	s_delay_alu instid0(VALU_DEP_1) | instskip(SKIP_1) | instid1(VALU_DEP_2)
	v_fmaak_f32 v101, s84, v17, 0x3ecc95a3
	v_mul_f32_e32 v102, v14, v17
	v_fmaak_f32 v17, v17, v101, 0x3f2aaada
	v_ldexp_f32 v101, v14, 1
	v_sub_f32_e32 v14, v14, v15
	s_delay_alu instid0(VALU_DEP_3) | instskip(NEXT) | instid1(VALU_DEP_2)
	v_dual_mul_f32 v17, v102, v17 :: v_dual_mul_f32 v102, 0x3f317218, v12
	v_sub_f32_e32 v13, v13, v14
	s_delay_alu instid0(VALU_DEP_2) | instskip(NEXT) | instid1(VALU_DEP_2)
	v_add_f32_e32 v15, v101, v17
	v_ldexp_f32 v13, v13, 1
	s_delay_alu instid0(VALU_DEP_2) | instskip(SKIP_1) | instid1(VALU_DEP_1)
	v_sub_f32_e32 v14, v15, v101
	v_fma_f32 v101, 0x3f317218, v12, -v102
	v_dual_sub_f32 v14, v17, v14 :: v_dual_fmac_f32 v101, 0xb102e308, v12
	s_delay_alu instid0(VALU_DEP_1) | instskip(NEXT) | instid1(VALU_DEP_1)
	v_dual_add_f32 v12, v13, v14 :: v_dual_add_f32 v13, v102, v101
	v_add_f32_e32 v14, v15, v12
	s_delay_alu instid0(VALU_DEP_2) | instskip(NEXT) | instid1(VALU_DEP_2)
	v_sub_f32_e32 v102, v13, v102
	v_add_f32_e32 v17, v13, v14
	v_sub_f32_e32 v15, v14, v15
	s_delay_alu instid0(VALU_DEP_3) | instskip(NEXT) | instid1(VALU_DEP_2)
	v_sub_f32_e32 v101, v101, v102
	v_dual_sub_f32 v103, v17, v13 :: v_dual_sub_f32 v12, v12, v15
	s_delay_alu instid0(VALU_DEP_1) | instskip(NEXT) | instid1(VALU_DEP_2)
	v_sub_f32_e32 v104, v17, v103
	v_dual_sub_f32 v14, v14, v103 :: v_dual_add_f32 v15, v101, v12
	s_delay_alu instid0(VALU_DEP_2) | instskip(NEXT) | instid1(VALU_DEP_1)
	v_sub_f32_e32 v13, v13, v104
	v_add_f32_e32 v13, v14, v13
	s_delay_alu instid0(VALU_DEP_3) | instskip(NEXT) | instid1(VALU_DEP_2)
	v_sub_f32_e32 v14, v15, v101
	v_add_f32_e32 v13, v15, v13
	s_delay_alu instid0(VALU_DEP_2) | instskip(SKIP_1) | instid1(VALU_DEP_3)
	v_sub_f32_e32 v15, v15, v14
	v_sub_f32_e32 v12, v12, v14
	v_add_f32_e32 v102, v17, v13
	s_delay_alu instid0(VALU_DEP_1) | instskip(NEXT) | instid1(VALU_DEP_1)
	v_dual_sub_f32 v15, v101, v15 :: v_dual_sub_f32 v14, v102, v17
	v_dual_add_f32 v12, v12, v15 :: v_dual_sub_f32 v13, v13, v14
	s_delay_alu instid0(VALU_DEP_1) | instskip(NEXT) | instid1(VALU_DEP_1)
	v_add_f32_e32 v12, v12, v13
	v_add_f32_e32 v12, v102, v12
	s_delay_alu instid0(VALU_DEP_1)
	v_cndmask_b32_e32 v116, v12, v8, vcc_lo
.LBB24_96:                              ;   in Loop: Header=BB24_12 Depth=1
	s_or_b32 exec_lo, exec_lo, s30
	v_and_b32_e32 v8, 0xffff0000, v9
	s_delay_alu instid0(VALU_DEP_1) | instskip(NEXT) | instid1(VALU_DEP_1)
	v_add_f32_e32 v121, s67, v8
	v_cmp_ge_f32_e32 vcc_lo, 0x41a00000, v121
	s_and_b32 s29, s80, vcc_lo
	s_delay_alu instid0(SALU_CYCLE_1)
	s_and_saveexec_b32 s30, s29
	s_cbranch_execz .LBB24_98
; %bb.97:                               ;   in Loop: Header=BB24_12 Depth=1
	v_mul_f32_e32 v8, 0x3fb8aa3b, v121
	v_cmp_ngt_f32_e32 vcc_lo, 0xc2ce8ed0, v121
	s_delay_alu instid0(VALU_DEP_2) | instskip(SKIP_1) | instid1(VALU_DEP_2)
	v_rndne_f32_e32 v9, v8
	v_fma_f32 v12, 0x3fb8aa3b, v121, -v8
	v_sub_f32_e32 v8, v8, v9
	s_delay_alu instid0(VALU_DEP_2) | instskip(SKIP_1) | instid1(VALU_DEP_2)
	v_fmac_f32_e32 v12, 0x32a5705f, v121
	v_cvt_i32_f32_e32 v9, v9
	v_add_f32_e32 v8, v8, v12
	s_delay_alu instid0(VALU_DEP_1) | instskip(SKIP_2) | instid1(VALU_DEP_1)
	v_exp_f32_e32 v8, v8
	s_waitcnt_depctr 0xfff
	v_ldexp_f32 v8, v8, v9
	v_cndmask_b32_e32 v8, 0, v8, vcc_lo
	v_cmp_nlt_f32_e32 vcc_lo, 0x42b17218, v121
	s_delay_alu instid0(VALU_DEP_2) | instskip(NEXT) | instid1(VALU_DEP_1)
	v_cndmask_b32_e32 v12, 0x7f800000, v8, vcc_lo
	v_add_f32_e32 v13, 1.0, v12
	s_delay_alu instid0(VALU_DEP_1) | instskip(NEXT) | instid1(VALU_DEP_1)
	v_cvt_f64_f32_e32 v[8:9], v13
	v_frexp_exp_i32_f64_e32 v8, v[8:9]
	v_frexp_mant_f32_e32 v9, v13
	s_delay_alu instid0(VALU_DEP_1) | instskip(SKIP_1) | instid1(VALU_DEP_1)
	v_cmp_gt_f32_e32 vcc_lo, 0x3f2aaaab, v9
	v_add_f32_e32 v9, -1.0, v13
	v_sub_f32_e32 v15, v9, v13
	s_delay_alu instid0(VALU_DEP_1) | instskip(SKIP_1) | instid1(VALU_DEP_1)
	v_add_f32_e32 v15, 1.0, v15
	v_subrev_co_ci_u32_e32 v8, vcc_lo, 0, v8, vcc_lo
	v_sub_nc_u32_e32 v14, 0, v8
	v_cvt_f32_i32_e32 v8, v8
	s_delay_alu instid0(VALU_DEP_2) | instskip(NEXT) | instid1(VALU_DEP_1)
	v_ldexp_f32 v13, v13, v14
	v_add_f32_e32 v17, 1.0, v13
	v_sub_f32_e32 v9, v12, v9
	v_cmp_eq_f32_e32 vcc_lo, 0x7f800000, v12
	v_cmp_gt_f32_e64 s29, 0x33800000, v12
	s_delay_alu instid0(VALU_DEP_3) | instskip(NEXT) | instid1(VALU_DEP_2)
	v_add_f32_e32 v9, v9, v15
	s_or_b32 vcc_lo, s29, vcc_lo
	s_delay_alu instid0(VALU_DEP_1) | instskip(SKIP_2) | instid1(VALU_DEP_1)
	v_ldexp_f32 v9, v9, v14
	v_add_f32_e32 v14, -1.0, v13
	v_add_f32_e32 v15, -1.0, v17
	v_sub_f32_e32 v15, v13, v15
	s_delay_alu instid0(VALU_DEP_3) | instskip(NEXT) | instid1(VALU_DEP_2)
	v_add_f32_e32 v101, 1.0, v14
	v_add_f32_e32 v15, v9, v15
	s_delay_alu instid0(VALU_DEP_2) | instskip(NEXT) | instid1(VALU_DEP_2)
	v_sub_f32_e32 v13, v13, v101
	v_add_f32_e32 v101, v17, v15
	s_delay_alu instid0(VALU_DEP_2) | instskip(NEXT) | instid1(VALU_DEP_2)
	v_add_f32_e32 v9, v9, v13
	v_rcp_f32_e32 v13, v101
	s_delay_alu instid0(VALU_DEP_1) | instskip(NEXT) | instid1(VALU_DEP_1)
	v_add_f32_e32 v102, v14, v9
	v_dual_sub_f32 v17, v17, v101 :: v_dual_sub_f32 v14, v14, v102
	s_delay_alu instid0(VALU_DEP_1) | instskip(SKIP_2) | instid1(VALU_DEP_1)
	v_add_f32_e32 v15, v15, v17
	s_waitcnt_depctr 0xfff
	v_mul_f32_e32 v103, v102, v13
	v_mul_f32_e32 v104, v101, v103
	s_delay_alu instid0(VALU_DEP_1) | instskip(NEXT) | instid1(VALU_DEP_1)
	v_fma_f32 v17, v103, v101, -v104
	v_fmac_f32_e32 v17, v103, v15
	s_delay_alu instid0(VALU_DEP_1) | instskip(NEXT) | instid1(VALU_DEP_1)
	v_add_f32_e32 v106, v104, v17
	v_sub_f32_e32 v107, v102, v106
	s_delay_alu instid0(VALU_DEP_1) | instskip(NEXT) | instid1(VALU_DEP_1)
	v_sub_f32_e32 v102, v102, v107
	v_sub_f32_e32 v102, v102, v106
	v_dual_add_f32 v9, v9, v14 :: v_dual_sub_f32 v14, v106, v104
	s_delay_alu instid0(VALU_DEP_1) | instskip(NEXT) | instid1(VALU_DEP_1)
	v_dual_sub_f32 v14, v14, v17 :: v_dual_add_f32 v9, v9, v102
	v_add_f32_e32 v9, v14, v9
	s_delay_alu instid0(VALU_DEP_1) | instskip(NEXT) | instid1(VALU_DEP_1)
	v_add_f32_e32 v14, v107, v9
	v_mul_f32_e32 v17, v13, v14
	s_delay_alu instid0(VALU_DEP_1) | instskip(NEXT) | instid1(VALU_DEP_1)
	v_mul_f32_e32 v102, v101, v17
	v_fma_f32 v101, v17, v101, -v102
	s_delay_alu instid0(VALU_DEP_1) | instskip(NEXT) | instid1(VALU_DEP_1)
	v_dual_fmac_f32 v101, v17, v15 :: v_dual_sub_f32 v106, v107, v14
	v_add_f32_e32 v15, v102, v101
	s_delay_alu instid0(VALU_DEP_1) | instskip(SKIP_1) | instid1(VALU_DEP_2)
	v_sub_f32_e32 v104, v14, v15
	v_sub_f32_e32 v102, v15, v102
	v_dual_add_f32 v9, v9, v106 :: v_dual_sub_f32 v14, v14, v104
	s_delay_alu instid0(VALU_DEP_1) | instskip(NEXT) | instid1(VALU_DEP_3)
	v_sub_f32_e32 v14, v14, v15
	v_sub_f32_e32 v15, v102, v101
	s_delay_alu instid0(VALU_DEP_2) | instskip(NEXT) | instid1(VALU_DEP_1)
	v_dual_add_f32 v9, v9, v14 :: v_dual_add_f32 v14, v103, v17
	v_add_f32_e32 v9, v15, v9
	s_delay_alu instid0(VALU_DEP_2) | instskip(NEXT) | instid1(VALU_DEP_2)
	v_sub_f32_e32 v15, v14, v103
	v_add_f32_e32 v9, v104, v9
	s_delay_alu instid0(VALU_DEP_2) | instskip(NEXT) | instid1(VALU_DEP_2)
	v_sub_f32_e32 v15, v17, v15
	v_mul_f32_e32 v9, v13, v9
	s_delay_alu instid0(VALU_DEP_1) | instskip(NEXT) | instid1(VALU_DEP_1)
	v_add_f32_e32 v9, v15, v9
	v_add_f32_e32 v13, v14, v9
	s_delay_alu instid0(VALU_DEP_1) | instskip(NEXT) | instid1(VALU_DEP_1)
	v_mul_f32_e32 v15, v13, v13
	v_fmaak_f32 v17, s84, v15, 0x3ecc95a3
	v_mul_f32_e32 v101, v13, v15
	s_delay_alu instid0(VALU_DEP_2) | instskip(SKIP_2) | instid1(VALU_DEP_3)
	v_fmaak_f32 v15, v15, v17, 0x3f2aaada
	v_ldexp_f32 v17, v13, 1
	v_sub_f32_e32 v13, v13, v14
	v_mul_f32_e32 v15, v101, v15
	v_mul_f32_e32 v101, 0x3f317218, v8
	s_delay_alu instid0(VALU_DEP_3) | instskip(NEXT) | instid1(VALU_DEP_3)
	v_sub_f32_e32 v9, v9, v13
	v_add_f32_e32 v14, v17, v15
	s_delay_alu instid0(VALU_DEP_2) | instskip(NEXT) | instid1(VALU_DEP_2)
	v_ldexp_f32 v9, v9, 1
	v_sub_f32_e32 v13, v14, v17
	v_fma_f32 v17, 0x3f317218, v8, -v101
	s_delay_alu instid0(VALU_DEP_2) | instskip(NEXT) | instid1(VALU_DEP_1)
	v_sub_f32_e32 v13, v15, v13
	v_dual_fmac_f32 v17, 0xb102e308, v8 :: v_dual_add_f32 v8, v9, v13
	s_delay_alu instid0(VALU_DEP_1) | instskip(NEXT) | instid1(VALU_DEP_2)
	v_add_f32_e32 v9, v101, v17
	v_add_f32_e32 v13, v14, v8
	s_delay_alu instid0(VALU_DEP_2) | instskip(NEXT) | instid1(VALU_DEP_2)
	v_sub_f32_e32 v101, v9, v101
	v_add_f32_e32 v15, v9, v13
	v_sub_f32_e32 v14, v13, v14
	s_delay_alu instid0(VALU_DEP_3) | instskip(NEXT) | instid1(VALU_DEP_3)
	v_sub_f32_e32 v17, v17, v101
	v_sub_f32_e32 v102, v15, v9
	s_delay_alu instid0(VALU_DEP_3) | instskip(NEXT) | instid1(VALU_DEP_2)
	v_sub_f32_e32 v8, v8, v14
	v_sub_f32_e32 v103, v15, v102
	;; [unrolled: 1-line block ×3, first 2 shown]
	s_delay_alu instid0(VALU_DEP_3) | instskip(NEXT) | instid1(VALU_DEP_3)
	v_add_f32_e32 v14, v17, v8
	v_sub_f32_e32 v9, v9, v103
	s_delay_alu instid0(VALU_DEP_1) | instskip(NEXT) | instid1(VALU_DEP_3)
	v_add_f32_e32 v9, v13, v9
	v_sub_f32_e32 v13, v14, v17
	s_delay_alu instid0(VALU_DEP_2) | instskip(NEXT) | instid1(VALU_DEP_2)
	v_add_f32_e32 v9, v14, v9
	v_sub_f32_e32 v14, v14, v13
	v_sub_f32_e32 v8, v8, v13
	s_delay_alu instid0(VALU_DEP_2) | instskip(NEXT) | instid1(VALU_DEP_1)
	v_dual_add_f32 v101, v15, v9 :: v_dual_sub_f32 v14, v17, v14
	v_dual_sub_f32 v13, v101, v15 :: v_dual_add_f32 v8, v8, v14
	s_delay_alu instid0(VALU_DEP_1) | instskip(NEXT) | instid1(VALU_DEP_1)
	v_sub_f32_e32 v9, v9, v13
	v_add_f32_e32 v8, v8, v9
	s_delay_alu instid0(VALU_DEP_1) | instskip(NEXT) | instid1(VALU_DEP_1)
	v_add_f32_e32 v8, v101, v8
	v_cndmask_b32_e32 v121, v8, v12, vcc_lo
.LBB24_98:                              ;   in Loop: Header=BB24_12 Depth=1
	s_or_b32 exec_lo, exec_lo, s30
	v_lshlrev_b32_e32 v8, 16, v10
	s_delay_alu instid0(VALU_DEP_1) | instskip(NEXT) | instid1(VALU_DEP_1)
	v_add_f32_e32 v122, s67, v8
	v_cmp_ge_f32_e32 vcc_lo, 0x41a00000, v122
	s_and_b32 s29, s80, vcc_lo
	s_delay_alu instid0(SALU_CYCLE_1)
	s_and_saveexec_b32 s30, s29
	s_cbranch_execz .LBB24_100
; %bb.99:                               ;   in Loop: Header=BB24_12 Depth=1
	v_mul_f32_e32 v8, 0x3fb8aa3b, v122
	v_cmp_ngt_f32_e32 vcc_lo, 0xc2ce8ed0, v122
	s_delay_alu instid0(VALU_DEP_2) | instskip(SKIP_1) | instid1(VALU_DEP_2)
	v_rndne_f32_e32 v9, v8
	v_fma_f32 v12, 0x3fb8aa3b, v122, -v8
	v_sub_f32_e32 v8, v8, v9
	s_delay_alu instid0(VALU_DEP_2) | instskip(SKIP_1) | instid1(VALU_DEP_2)
	v_fmac_f32_e32 v12, 0x32a5705f, v122
	v_cvt_i32_f32_e32 v9, v9
	v_add_f32_e32 v8, v8, v12
	s_delay_alu instid0(VALU_DEP_1) | instskip(SKIP_2) | instid1(VALU_DEP_1)
	v_exp_f32_e32 v8, v8
	s_waitcnt_depctr 0xfff
	v_ldexp_f32 v8, v8, v9
	v_cndmask_b32_e32 v8, 0, v8, vcc_lo
	v_cmp_nlt_f32_e32 vcc_lo, 0x42b17218, v122
	s_delay_alu instid0(VALU_DEP_2) | instskip(NEXT) | instid1(VALU_DEP_1)
	v_cndmask_b32_e32 v12, 0x7f800000, v8, vcc_lo
	v_add_f32_e32 v13, 1.0, v12
	s_delay_alu instid0(VALU_DEP_1) | instskip(NEXT) | instid1(VALU_DEP_1)
	v_cvt_f64_f32_e32 v[8:9], v13
	v_frexp_exp_i32_f64_e32 v8, v[8:9]
	v_frexp_mant_f32_e32 v9, v13
	s_delay_alu instid0(VALU_DEP_1) | instskip(SKIP_1) | instid1(VALU_DEP_1)
	v_cmp_gt_f32_e32 vcc_lo, 0x3f2aaaab, v9
	v_add_f32_e32 v9, -1.0, v13
	v_sub_f32_e32 v15, v9, v13
	s_delay_alu instid0(VALU_DEP_1) | instskip(SKIP_1) | instid1(VALU_DEP_1)
	v_add_f32_e32 v15, 1.0, v15
	v_subrev_co_ci_u32_e32 v8, vcc_lo, 0, v8, vcc_lo
	v_sub_nc_u32_e32 v14, 0, v8
	v_cvt_f32_i32_e32 v8, v8
	s_delay_alu instid0(VALU_DEP_2) | instskip(NEXT) | instid1(VALU_DEP_1)
	v_ldexp_f32 v13, v13, v14
	v_add_f32_e32 v17, 1.0, v13
	v_sub_f32_e32 v9, v12, v9
	v_cmp_eq_f32_e32 vcc_lo, 0x7f800000, v12
	v_cmp_gt_f32_e64 s29, 0x33800000, v12
	s_delay_alu instid0(VALU_DEP_3) | instskip(SKIP_1) | instid1(VALU_DEP_3)
	v_add_f32_e32 v9, v9, v15
	v_add_f32_e32 v15, -1.0, v17
	s_or_b32 vcc_lo, s29, vcc_lo
	s_delay_alu instid0(VALU_DEP_2) | instskip(NEXT) | instid1(VALU_DEP_2)
	v_ldexp_f32 v9, v9, v14
	v_dual_add_f32 v14, -1.0, v13 :: v_dual_sub_f32 v15, v13, v15
	s_delay_alu instid0(VALU_DEP_1) | instskip(NEXT) | instid1(VALU_DEP_2)
	v_add_f32_e32 v101, 1.0, v14
	v_add_f32_e32 v15, v9, v15
	s_delay_alu instid0(VALU_DEP_2) | instskip(NEXT) | instid1(VALU_DEP_1)
	v_sub_f32_e32 v13, v13, v101
	v_add_f32_e32 v9, v9, v13
	s_delay_alu instid0(VALU_DEP_1) | instskip(NEXT) | instid1(VALU_DEP_1)
	v_add_f32_e32 v102, v14, v9
	v_dual_sub_f32 v14, v14, v102 :: v_dual_add_f32 v101, v17, v15
	s_delay_alu instid0(VALU_DEP_1) | instskip(SKIP_1) | instid1(VALU_DEP_1)
	v_rcp_f32_e32 v13, v101
	v_sub_f32_e32 v17, v17, v101
	v_add_f32_e32 v15, v15, v17
	s_waitcnt_depctr 0xfff
	v_mul_f32_e32 v103, v102, v13
	s_delay_alu instid0(VALU_DEP_1) | instskip(NEXT) | instid1(VALU_DEP_1)
	v_mul_f32_e32 v104, v101, v103
	v_fma_f32 v17, v103, v101, -v104
	s_delay_alu instid0(VALU_DEP_1) | instskip(NEXT) | instid1(VALU_DEP_1)
	v_fmac_f32_e32 v17, v103, v15
	v_add_f32_e32 v106, v104, v17
	s_delay_alu instid0(VALU_DEP_1) | instskip(NEXT) | instid1(VALU_DEP_1)
	v_sub_f32_e32 v107, v102, v106
	v_sub_f32_e32 v102, v102, v107
	s_delay_alu instid0(VALU_DEP_1) | instskip(SKIP_1) | instid1(VALU_DEP_1)
	v_sub_f32_e32 v102, v102, v106
	v_dual_add_f32 v9, v9, v14 :: v_dual_sub_f32 v14, v106, v104
	v_dual_sub_f32 v14, v14, v17 :: v_dual_add_f32 v9, v9, v102
	s_delay_alu instid0(VALU_DEP_1) | instskip(NEXT) | instid1(VALU_DEP_1)
	v_add_f32_e32 v9, v14, v9
	v_add_f32_e32 v14, v107, v9
	s_delay_alu instid0(VALU_DEP_1) | instskip(NEXT) | instid1(VALU_DEP_1)
	v_mul_f32_e32 v17, v13, v14
	v_mul_f32_e32 v102, v101, v17
	s_delay_alu instid0(VALU_DEP_1) | instskip(NEXT) | instid1(VALU_DEP_1)
	v_fma_f32 v101, v17, v101, -v102
	v_dual_fmac_f32 v101, v17, v15 :: v_dual_sub_f32 v106, v107, v14
	s_delay_alu instid0(VALU_DEP_1) | instskip(NEXT) | instid1(VALU_DEP_1)
	v_add_f32_e32 v15, v102, v101
	v_sub_f32_e32 v104, v14, v15
	v_sub_f32_e32 v102, v15, v102
	s_delay_alu instid0(VALU_DEP_2) | instskip(NEXT) | instid1(VALU_DEP_1)
	v_dual_add_f32 v9, v9, v106 :: v_dual_sub_f32 v14, v14, v104
	v_sub_f32_e32 v14, v14, v15
	s_delay_alu instid0(VALU_DEP_3) | instskip(NEXT) | instid1(VALU_DEP_2)
	v_sub_f32_e32 v15, v102, v101
	v_dual_add_f32 v9, v9, v14 :: v_dual_add_f32 v14, v103, v17
	s_delay_alu instid0(VALU_DEP_1) | instskip(NEXT) | instid1(VALU_DEP_2)
	v_add_f32_e32 v9, v15, v9
	v_sub_f32_e32 v15, v14, v103
	s_delay_alu instid0(VALU_DEP_2) | instskip(NEXT) | instid1(VALU_DEP_2)
	v_add_f32_e32 v9, v104, v9
	v_sub_f32_e32 v15, v17, v15
	s_delay_alu instid0(VALU_DEP_2) | instskip(NEXT) | instid1(VALU_DEP_1)
	v_mul_f32_e32 v9, v13, v9
	v_add_f32_e32 v9, v15, v9
	s_delay_alu instid0(VALU_DEP_1) | instskip(NEXT) | instid1(VALU_DEP_1)
	v_add_f32_e32 v13, v14, v9
	v_mul_f32_e32 v15, v13, v13
	s_delay_alu instid0(VALU_DEP_1) | instskip(SKIP_1) | instid1(VALU_DEP_2)
	v_fmaak_f32 v17, s84, v15, 0x3ecc95a3
	v_mul_f32_e32 v101, v13, v15
	v_fmaak_f32 v15, v15, v17, 0x3f2aaada
	v_ldexp_f32 v17, v13, 1
	v_sub_f32_e32 v13, v13, v14
	s_delay_alu instid0(VALU_DEP_3) | instskip(SKIP_1) | instid1(VALU_DEP_3)
	v_mul_f32_e32 v15, v101, v15
	v_mul_f32_e32 v101, 0x3f317218, v8
	v_sub_f32_e32 v9, v9, v13
	s_delay_alu instid0(VALU_DEP_3) | instskip(NEXT) | instid1(VALU_DEP_2)
	v_add_f32_e32 v14, v17, v15
	v_ldexp_f32 v9, v9, 1
	s_delay_alu instid0(VALU_DEP_2) | instskip(SKIP_1) | instid1(VALU_DEP_2)
	v_sub_f32_e32 v13, v14, v17
	v_fma_f32 v17, 0x3f317218, v8, -v101
	v_sub_f32_e32 v13, v15, v13
	s_delay_alu instid0(VALU_DEP_1) | instskip(NEXT) | instid1(VALU_DEP_1)
	v_dual_fmac_f32 v17, 0xb102e308, v8 :: v_dual_add_f32 v8, v9, v13
	v_add_f32_e32 v9, v101, v17
	s_delay_alu instid0(VALU_DEP_2) | instskip(NEXT) | instid1(VALU_DEP_2)
	v_add_f32_e32 v13, v14, v8
	v_sub_f32_e32 v101, v9, v101
	s_delay_alu instid0(VALU_DEP_2) | instskip(SKIP_1) | instid1(VALU_DEP_3)
	v_add_f32_e32 v15, v9, v13
	v_sub_f32_e32 v14, v13, v14
	v_sub_f32_e32 v17, v17, v101
	s_delay_alu instid0(VALU_DEP_3) | instskip(NEXT) | instid1(VALU_DEP_3)
	v_sub_f32_e32 v102, v15, v9
	v_sub_f32_e32 v8, v8, v14
	s_delay_alu instid0(VALU_DEP_2) | instskip(SKIP_1) | instid1(VALU_DEP_3)
	v_sub_f32_e32 v103, v15, v102
	v_sub_f32_e32 v13, v13, v102
	v_add_f32_e32 v14, v17, v8
	s_delay_alu instid0(VALU_DEP_3) | instskip(NEXT) | instid1(VALU_DEP_1)
	v_sub_f32_e32 v9, v9, v103
	v_add_f32_e32 v9, v13, v9
	s_delay_alu instid0(VALU_DEP_3) | instskip(NEXT) | instid1(VALU_DEP_2)
	v_sub_f32_e32 v13, v14, v17
	v_add_f32_e32 v9, v14, v9
	s_delay_alu instid0(VALU_DEP_2) | instskip(SKIP_1) | instid1(VALU_DEP_2)
	v_sub_f32_e32 v14, v14, v13
	v_sub_f32_e32 v8, v8, v13
	v_dual_add_f32 v101, v15, v9 :: v_dual_sub_f32 v14, v17, v14
	s_delay_alu instid0(VALU_DEP_1) | instskip(NEXT) | instid1(VALU_DEP_1)
	v_dual_sub_f32 v13, v101, v15 :: v_dual_add_f32 v8, v8, v14
	v_sub_f32_e32 v9, v9, v13
	s_delay_alu instid0(VALU_DEP_1) | instskip(NEXT) | instid1(VALU_DEP_1)
	v_add_f32_e32 v8, v8, v9
	v_add_f32_e32 v8, v101, v8
	s_delay_alu instid0(VALU_DEP_1)
	v_cndmask_b32_e32 v122, v8, v12, vcc_lo
.LBB24_100:                             ;   in Loop: Header=BB24_12 Depth=1
	s_or_b32 exec_lo, exec_lo, s30
	v_and_b32_e32 v8, 0xffff0000, v10
	s_delay_alu instid0(VALU_DEP_1) | instskip(NEXT) | instid1(VALU_DEP_1)
	v_add_f32_e32 v123, s67, v8
	v_cmp_ge_f32_e32 vcc_lo, 0x41a00000, v123
	s_and_b32 s29, s80, vcc_lo
	s_delay_alu instid0(SALU_CYCLE_1)
	s_and_saveexec_b32 s30, s29
	s_cbranch_execz .LBB24_102
; %bb.101:                              ;   in Loop: Header=BB24_12 Depth=1
	v_mul_f32_e32 v8, 0x3fb8aa3b, v123
	v_cmp_ngt_f32_e32 vcc_lo, 0xc2ce8ed0, v123
	s_delay_alu instid0(VALU_DEP_2) | instskip(SKIP_1) | instid1(VALU_DEP_2)
	v_rndne_f32_e32 v9, v8
	v_fma_f32 v10, 0x3fb8aa3b, v123, -v8
	v_sub_f32_e32 v8, v8, v9
	s_delay_alu instid0(VALU_DEP_2) | instskip(SKIP_1) | instid1(VALU_DEP_2)
	v_fmac_f32_e32 v10, 0x32a5705f, v123
	v_cvt_i32_f32_e32 v9, v9
	v_add_f32_e32 v8, v8, v10
	s_delay_alu instid0(VALU_DEP_1) | instskip(SKIP_2) | instid1(VALU_DEP_1)
	v_exp_f32_e32 v8, v8
	s_waitcnt_depctr 0xfff
	v_ldexp_f32 v8, v8, v9
	v_cndmask_b32_e32 v8, 0, v8, vcc_lo
	v_cmp_nlt_f32_e32 vcc_lo, 0x42b17218, v123
	s_delay_alu instid0(VALU_DEP_2) | instskip(NEXT) | instid1(VALU_DEP_1)
	v_cndmask_b32_e32 v10, 0x7f800000, v8, vcc_lo
	v_add_f32_e32 v12, 1.0, v10
	s_delay_alu instid0(VALU_DEP_1) | instskip(NEXT) | instid1(VALU_DEP_1)
	v_cvt_f64_f32_e32 v[8:9], v12
	v_frexp_exp_i32_f64_e32 v8, v[8:9]
	v_frexp_mant_f32_e32 v9, v12
	s_delay_alu instid0(VALU_DEP_1) | instskip(SKIP_1) | instid1(VALU_DEP_1)
	v_cmp_gt_f32_e32 vcc_lo, 0x3f2aaaab, v9
	v_add_f32_e32 v9, -1.0, v12
	v_dual_sub_f32 v14, v9, v12 :: v_dual_sub_f32 v9, v10, v9
	v_subrev_co_ci_u32_e32 v8, vcc_lo, 0, v8, vcc_lo
	s_delay_alu instid0(VALU_DEP_1) | instskip(SKIP_1) | instid1(VALU_DEP_2)
	v_sub_nc_u32_e32 v13, 0, v8
	v_cvt_f32_i32_e32 v8, v8
	v_ldexp_f32 v12, v12, v13
	s_delay_alu instid0(VALU_DEP_1) | instskip(NEXT) | instid1(VALU_DEP_1)
	v_dual_add_f32 v14, 1.0, v14 :: v_dual_add_f32 v15, 1.0, v12
	v_add_f32_e32 v9, v9, v14
	s_delay_alu instid0(VALU_DEP_1) | instskip(NEXT) | instid1(VALU_DEP_3)
	v_ldexp_f32 v9, v9, v13
	v_dual_add_f32 v13, -1.0, v12 :: v_dual_add_f32 v14, -1.0, v15
	s_delay_alu instid0(VALU_DEP_1) | instskip(NEXT) | instid1(VALU_DEP_1)
	v_dual_add_f32 v17, 1.0, v13 :: v_dual_sub_f32 v14, v12, v14
	v_sub_f32_e32 v12, v12, v17
	s_delay_alu instid0(VALU_DEP_2) | instskip(NEXT) | instid1(VALU_DEP_2)
	v_add_f32_e32 v14, v9, v14
	v_add_f32_e32 v9, v9, v12
	s_delay_alu instid0(VALU_DEP_2) | instskip(SKIP_2) | instid1(VALU_DEP_4)
	v_add_f32_e32 v17, v15, v14
	v_cmp_eq_f32_e32 vcc_lo, 0x7f800000, v10
	v_cmp_gt_f32_e64 s29, 0x33800000, v10
	v_add_f32_e32 v101, v13, v9
	s_delay_alu instid0(VALU_DEP_4) | instskip(SKIP_1) | instid1(VALU_DEP_3)
	v_rcp_f32_e32 v12, v17
	v_sub_f32_e32 v15, v15, v17
	s_or_b32 vcc_lo, s29, vcc_lo
	s_delay_alu instid0(VALU_DEP_1) | instskip(NEXT) | instid1(VALU_DEP_1)
	v_dual_sub_f32 v13, v13, v101 :: v_dual_add_f32 v14, v14, v15
	v_add_f32_e32 v9, v9, v13
	s_waitcnt_depctr 0xfff
	v_mul_f32_e32 v102, v101, v12
	s_delay_alu instid0(VALU_DEP_1) | instskip(NEXT) | instid1(VALU_DEP_1)
	v_mul_f32_e32 v103, v17, v102
	v_fma_f32 v15, v102, v17, -v103
	s_delay_alu instid0(VALU_DEP_1) | instskip(NEXT) | instid1(VALU_DEP_1)
	v_fmac_f32_e32 v15, v102, v14
	v_add_f32_e32 v104, v103, v15
	s_delay_alu instid0(VALU_DEP_1) | instskip(NEXT) | instid1(VALU_DEP_1)
	v_dual_sub_f32 v106, v101, v104 :: v_dual_sub_f32 v13, v104, v103
	v_sub_f32_e32 v101, v101, v106
	s_delay_alu instid0(VALU_DEP_2) | instskip(NEXT) | instid1(VALU_DEP_2)
	v_sub_f32_e32 v13, v13, v15
	v_sub_f32_e32 v101, v101, v104
	s_delay_alu instid0(VALU_DEP_1) | instskip(NEXT) | instid1(VALU_DEP_1)
	v_add_f32_e32 v9, v9, v101
	v_add_f32_e32 v9, v13, v9
	s_delay_alu instid0(VALU_DEP_1) | instskip(NEXT) | instid1(VALU_DEP_1)
	v_add_f32_e32 v13, v106, v9
	v_mul_f32_e32 v15, v12, v13
	s_delay_alu instid0(VALU_DEP_1) | instskip(NEXT) | instid1(VALU_DEP_1)
	v_dual_sub_f32 v104, v106, v13 :: v_dual_mul_f32 v101, v17, v15
	v_add_f32_e32 v9, v9, v104
	s_delay_alu instid0(VALU_DEP_2) | instskip(NEXT) | instid1(VALU_DEP_1)
	v_fma_f32 v17, v15, v17, -v101
	v_fmac_f32_e32 v17, v15, v14
	s_delay_alu instid0(VALU_DEP_1) | instskip(NEXT) | instid1(VALU_DEP_1)
	v_add_f32_e32 v14, v101, v17
	v_sub_f32_e32 v103, v13, v14
	s_delay_alu instid0(VALU_DEP_1) | instskip(NEXT) | instid1(VALU_DEP_1)
	v_sub_f32_e32 v13, v13, v103
	v_sub_f32_e32 v13, v13, v14
	s_delay_alu instid0(VALU_DEP_1) | instskip(SKIP_2) | instid1(VALU_DEP_1)
	v_add_f32_e32 v9, v9, v13
	v_add_f32_e32 v13, v102, v15
	v_sub_f32_e32 v101, v14, v101
	v_sub_f32_e32 v14, v101, v17
	s_delay_alu instid0(VALU_DEP_1) | instskip(NEXT) | instid1(VALU_DEP_1)
	v_dual_add_f32 v9, v14, v9 :: v_dual_sub_f32 v14, v13, v102
	v_add_f32_e32 v9, v103, v9
	s_delay_alu instid0(VALU_DEP_1) | instskip(NEXT) | instid1(VALU_DEP_1)
	v_dual_sub_f32 v14, v15, v14 :: v_dual_mul_f32 v9, v12, v9
	v_add_f32_e32 v9, v14, v9
	s_delay_alu instid0(VALU_DEP_1) | instskip(NEXT) | instid1(VALU_DEP_1)
	v_add_f32_e32 v12, v13, v9
	v_mul_f32_e32 v14, v12, v12
	s_delay_alu instid0(VALU_DEP_1) | instskip(NEXT) | instid1(VALU_DEP_1)
	v_fmaak_f32 v15, s84, v14, 0x3ecc95a3
	v_dual_mul_f32 v17, v12, v14 :: v_dual_fmaak_f32 v14, v14, v15, 0x3f2aaada
	v_ldexp_f32 v15, v12, 1
	v_sub_f32_e32 v12, v12, v13
	s_delay_alu instid0(VALU_DEP_3) | instskip(NEXT) | instid1(VALU_DEP_2)
	v_dual_mul_f32 v14, v17, v14 :: v_dual_mul_f32 v17, 0x3f317218, v8
	v_sub_f32_e32 v9, v9, v12
	s_delay_alu instid0(VALU_DEP_2) | instskip(NEXT) | instid1(VALU_DEP_2)
	v_add_f32_e32 v13, v15, v14
	v_ldexp_f32 v9, v9, 1
	s_delay_alu instid0(VALU_DEP_2) | instskip(SKIP_1) | instid1(VALU_DEP_2)
	v_sub_f32_e32 v12, v13, v15
	v_fma_f32 v15, 0x3f317218, v8, -v17
	v_sub_f32_e32 v12, v14, v12
	s_delay_alu instid0(VALU_DEP_2) | instskip(NEXT) | instid1(VALU_DEP_2)
	v_fmac_f32_e32 v15, 0xb102e308, v8
	v_add_f32_e32 v8, v9, v12
	s_delay_alu instid0(VALU_DEP_2) | instskip(NEXT) | instid1(VALU_DEP_2)
	v_add_f32_e32 v9, v17, v15
	v_add_f32_e32 v12, v13, v8
	s_delay_alu instid0(VALU_DEP_2) | instskip(NEXT) | instid1(VALU_DEP_2)
	v_sub_f32_e32 v17, v9, v17
	v_dual_add_f32 v14, v9, v12 :: v_dual_sub_f32 v13, v12, v13
	s_delay_alu instid0(VALU_DEP_2) | instskip(NEXT) | instid1(VALU_DEP_2)
	v_sub_f32_e32 v15, v15, v17
	v_sub_f32_e32 v101, v14, v9
	s_delay_alu instid0(VALU_DEP_3) | instskip(NEXT) | instid1(VALU_DEP_2)
	v_sub_f32_e32 v8, v8, v13
	v_sub_f32_e32 v102, v14, v101
	s_delay_alu instid0(VALU_DEP_2) | instskip(NEXT) | instid1(VALU_DEP_2)
	v_dual_sub_f32 v12, v12, v101 :: v_dual_add_f32 v13, v15, v8
	v_sub_f32_e32 v9, v9, v102
	s_delay_alu instid0(VALU_DEP_1) | instskip(NEXT) | instid1(VALU_DEP_1)
	v_dual_add_f32 v9, v12, v9 :: v_dual_sub_f32 v12, v13, v15
	v_add_f32_e32 v9, v13, v9
	s_delay_alu instid0(VALU_DEP_2) | instskip(NEXT) | instid1(VALU_DEP_2)
	v_sub_f32_e32 v13, v13, v12
	v_dual_sub_f32 v8, v8, v12 :: v_dual_add_f32 v17, v14, v9
	s_delay_alu instid0(VALU_DEP_1) | instskip(NEXT) | instid1(VALU_DEP_1)
	v_dual_sub_f32 v13, v15, v13 :: v_dual_sub_f32 v12, v17, v14
	v_dual_add_f32 v8, v8, v13 :: v_dual_sub_f32 v9, v9, v12
	s_delay_alu instid0(VALU_DEP_1) | instskip(NEXT) | instid1(VALU_DEP_1)
	v_add_f32_e32 v8, v8, v9
	v_add_f32_e32 v8, v17, v8
	s_delay_alu instid0(VALU_DEP_1)
	v_cndmask_b32_e32 v123, v8, v10, vcc_lo
.LBB24_102:                             ;   in Loop: Header=BB24_12 Depth=1
	s_or_b32 exec_lo, exec_lo, s30
	v_lshlrev_b32_e32 v8, 16, v11
	s_delay_alu instid0(VALU_DEP_1) | instskip(NEXT) | instid1(VALU_DEP_1)
	v_add_f32_e32 v124, s67, v8
	v_cmp_ge_f32_e32 vcc_lo, 0x41a00000, v124
	s_and_b32 s29, s80, vcc_lo
	s_delay_alu instid0(SALU_CYCLE_1)
	s_and_saveexec_b32 s30, s29
	s_cbranch_execz .LBB24_104
; %bb.103:                              ;   in Loop: Header=BB24_12 Depth=1
	v_mul_f32_e32 v8, 0x3fb8aa3b, v124
	v_cmp_ngt_f32_e32 vcc_lo, 0xc2ce8ed0, v124
	s_delay_alu instid0(VALU_DEP_2) | instskip(SKIP_1) | instid1(VALU_DEP_2)
	v_rndne_f32_e32 v9, v8
	v_fma_f32 v10, 0x3fb8aa3b, v124, -v8
	v_sub_f32_e32 v8, v8, v9
	s_delay_alu instid0(VALU_DEP_2) | instskip(SKIP_1) | instid1(VALU_DEP_2)
	v_fmac_f32_e32 v10, 0x32a5705f, v124
	v_cvt_i32_f32_e32 v9, v9
	v_add_f32_e32 v8, v8, v10
	s_delay_alu instid0(VALU_DEP_1) | instskip(SKIP_2) | instid1(VALU_DEP_1)
	v_exp_f32_e32 v8, v8
	s_waitcnt_depctr 0xfff
	v_ldexp_f32 v8, v8, v9
	v_cndmask_b32_e32 v8, 0, v8, vcc_lo
	v_cmp_nlt_f32_e32 vcc_lo, 0x42b17218, v124
	s_delay_alu instid0(VALU_DEP_2) | instskip(NEXT) | instid1(VALU_DEP_1)
	v_cndmask_b32_e32 v10, 0x7f800000, v8, vcc_lo
	v_add_f32_e32 v12, 1.0, v10
	s_delay_alu instid0(VALU_DEP_1) | instskip(NEXT) | instid1(VALU_DEP_1)
	v_cvt_f64_f32_e32 v[8:9], v12
	v_frexp_exp_i32_f64_e32 v8, v[8:9]
	v_frexp_mant_f32_e32 v9, v12
	s_delay_alu instid0(VALU_DEP_1) | instskip(SKIP_1) | instid1(VALU_DEP_1)
	v_cmp_gt_f32_e32 vcc_lo, 0x3f2aaaab, v9
	v_add_f32_e32 v9, -1.0, v12
	v_dual_sub_f32 v14, v9, v12 :: v_dual_sub_f32 v9, v10, v9
	v_subrev_co_ci_u32_e32 v8, vcc_lo, 0, v8, vcc_lo
	s_delay_alu instid0(VALU_DEP_1) | instskip(SKIP_1) | instid1(VALU_DEP_2)
	v_sub_nc_u32_e32 v13, 0, v8
	v_cvt_f32_i32_e32 v8, v8
	v_ldexp_f32 v12, v12, v13
	s_delay_alu instid0(VALU_DEP_1) | instskip(NEXT) | instid1(VALU_DEP_1)
	v_dual_add_f32 v14, 1.0, v14 :: v_dual_add_f32 v15, 1.0, v12
	v_add_f32_e32 v9, v9, v14
	s_delay_alu instid0(VALU_DEP_1) | instskip(NEXT) | instid1(VALU_DEP_3)
	v_ldexp_f32 v9, v9, v13
	v_dual_add_f32 v13, -1.0, v12 :: v_dual_add_f32 v14, -1.0, v15
	s_delay_alu instid0(VALU_DEP_1) | instskip(NEXT) | instid1(VALU_DEP_1)
	v_dual_add_f32 v17, 1.0, v13 :: v_dual_sub_f32 v14, v12, v14
	v_sub_f32_e32 v12, v12, v17
	s_delay_alu instid0(VALU_DEP_2) | instskip(NEXT) | instid1(VALU_DEP_2)
	v_add_f32_e32 v14, v9, v14
	v_add_f32_e32 v9, v9, v12
	s_delay_alu instid0(VALU_DEP_2) | instskip(SKIP_2) | instid1(VALU_DEP_4)
	v_add_f32_e32 v17, v15, v14
	v_cmp_eq_f32_e32 vcc_lo, 0x7f800000, v10
	v_cmp_gt_f32_e64 s29, 0x33800000, v10
	v_add_f32_e32 v101, v13, v9
	s_delay_alu instid0(VALU_DEP_4) | instskip(SKIP_1) | instid1(VALU_DEP_3)
	v_rcp_f32_e32 v12, v17
	v_sub_f32_e32 v15, v15, v17
	s_or_b32 vcc_lo, s29, vcc_lo
	s_delay_alu instid0(VALU_DEP_1) | instskip(NEXT) | instid1(VALU_DEP_1)
	v_dual_sub_f32 v13, v13, v101 :: v_dual_add_f32 v14, v14, v15
	v_add_f32_e32 v9, v9, v13
	s_waitcnt_depctr 0xfff
	v_mul_f32_e32 v102, v101, v12
	s_delay_alu instid0(VALU_DEP_1) | instskip(NEXT) | instid1(VALU_DEP_1)
	v_mul_f32_e32 v103, v17, v102
	v_fma_f32 v15, v102, v17, -v103
	s_delay_alu instid0(VALU_DEP_1) | instskip(NEXT) | instid1(VALU_DEP_1)
	v_fmac_f32_e32 v15, v102, v14
	v_add_f32_e32 v104, v103, v15
	s_delay_alu instid0(VALU_DEP_1) | instskip(NEXT) | instid1(VALU_DEP_1)
	v_dual_sub_f32 v106, v101, v104 :: v_dual_sub_f32 v13, v104, v103
	v_sub_f32_e32 v101, v101, v106
	s_delay_alu instid0(VALU_DEP_2) | instskip(NEXT) | instid1(VALU_DEP_2)
	v_sub_f32_e32 v13, v13, v15
	v_sub_f32_e32 v101, v101, v104
	s_delay_alu instid0(VALU_DEP_1) | instskip(NEXT) | instid1(VALU_DEP_1)
	v_add_f32_e32 v9, v9, v101
	v_add_f32_e32 v9, v13, v9
	s_delay_alu instid0(VALU_DEP_1) | instskip(NEXT) | instid1(VALU_DEP_1)
	v_add_f32_e32 v13, v106, v9
	v_mul_f32_e32 v15, v12, v13
	s_delay_alu instid0(VALU_DEP_1) | instskip(NEXT) | instid1(VALU_DEP_1)
	v_dual_sub_f32 v104, v106, v13 :: v_dual_mul_f32 v101, v17, v15
	v_add_f32_e32 v9, v9, v104
	s_delay_alu instid0(VALU_DEP_2) | instskip(NEXT) | instid1(VALU_DEP_1)
	v_fma_f32 v17, v15, v17, -v101
	v_fmac_f32_e32 v17, v15, v14
	s_delay_alu instid0(VALU_DEP_1) | instskip(NEXT) | instid1(VALU_DEP_1)
	v_add_f32_e32 v14, v101, v17
	v_sub_f32_e32 v103, v13, v14
	s_delay_alu instid0(VALU_DEP_1) | instskip(NEXT) | instid1(VALU_DEP_1)
	v_sub_f32_e32 v13, v13, v103
	v_sub_f32_e32 v13, v13, v14
	s_delay_alu instid0(VALU_DEP_1) | instskip(SKIP_2) | instid1(VALU_DEP_1)
	v_add_f32_e32 v9, v9, v13
	v_add_f32_e32 v13, v102, v15
	v_sub_f32_e32 v101, v14, v101
	v_sub_f32_e32 v14, v101, v17
	s_delay_alu instid0(VALU_DEP_1) | instskip(NEXT) | instid1(VALU_DEP_1)
	v_dual_add_f32 v9, v14, v9 :: v_dual_sub_f32 v14, v13, v102
	v_add_f32_e32 v9, v103, v9
	s_delay_alu instid0(VALU_DEP_1) | instskip(NEXT) | instid1(VALU_DEP_1)
	v_dual_sub_f32 v14, v15, v14 :: v_dual_mul_f32 v9, v12, v9
	v_add_f32_e32 v9, v14, v9
	s_delay_alu instid0(VALU_DEP_1) | instskip(NEXT) | instid1(VALU_DEP_1)
	v_add_f32_e32 v12, v13, v9
	v_mul_f32_e32 v14, v12, v12
	s_delay_alu instid0(VALU_DEP_1) | instskip(NEXT) | instid1(VALU_DEP_1)
	v_fmaak_f32 v15, s84, v14, 0x3ecc95a3
	v_dual_mul_f32 v17, v12, v14 :: v_dual_fmaak_f32 v14, v14, v15, 0x3f2aaada
	v_ldexp_f32 v15, v12, 1
	v_sub_f32_e32 v12, v12, v13
	s_delay_alu instid0(VALU_DEP_3) | instskip(NEXT) | instid1(VALU_DEP_2)
	v_dual_mul_f32 v14, v17, v14 :: v_dual_mul_f32 v17, 0x3f317218, v8
	v_sub_f32_e32 v9, v9, v12
	s_delay_alu instid0(VALU_DEP_2) | instskip(NEXT) | instid1(VALU_DEP_2)
	v_add_f32_e32 v13, v15, v14
	v_ldexp_f32 v9, v9, 1
	s_delay_alu instid0(VALU_DEP_2) | instskip(SKIP_1) | instid1(VALU_DEP_2)
	v_sub_f32_e32 v12, v13, v15
	v_fma_f32 v15, 0x3f317218, v8, -v17
	v_sub_f32_e32 v12, v14, v12
	s_delay_alu instid0(VALU_DEP_2) | instskip(NEXT) | instid1(VALU_DEP_2)
	v_fmac_f32_e32 v15, 0xb102e308, v8
	v_add_f32_e32 v8, v9, v12
	s_delay_alu instid0(VALU_DEP_2) | instskip(NEXT) | instid1(VALU_DEP_2)
	v_add_f32_e32 v9, v17, v15
	v_add_f32_e32 v12, v13, v8
	s_delay_alu instid0(VALU_DEP_2) | instskip(NEXT) | instid1(VALU_DEP_2)
	v_sub_f32_e32 v17, v9, v17
	v_dual_add_f32 v14, v9, v12 :: v_dual_sub_f32 v13, v12, v13
	s_delay_alu instid0(VALU_DEP_2) | instskip(NEXT) | instid1(VALU_DEP_2)
	v_sub_f32_e32 v15, v15, v17
	v_sub_f32_e32 v101, v14, v9
	s_delay_alu instid0(VALU_DEP_3) | instskip(NEXT) | instid1(VALU_DEP_2)
	v_sub_f32_e32 v8, v8, v13
	v_sub_f32_e32 v102, v14, v101
	s_delay_alu instid0(VALU_DEP_2) | instskip(NEXT) | instid1(VALU_DEP_2)
	v_dual_sub_f32 v12, v12, v101 :: v_dual_add_f32 v13, v15, v8
	v_sub_f32_e32 v9, v9, v102
	s_delay_alu instid0(VALU_DEP_1) | instskip(NEXT) | instid1(VALU_DEP_1)
	v_dual_add_f32 v9, v12, v9 :: v_dual_sub_f32 v12, v13, v15
	v_add_f32_e32 v9, v13, v9
	s_delay_alu instid0(VALU_DEP_2) | instskip(NEXT) | instid1(VALU_DEP_2)
	v_sub_f32_e32 v13, v13, v12
	v_dual_sub_f32 v8, v8, v12 :: v_dual_add_f32 v17, v14, v9
	s_delay_alu instid0(VALU_DEP_1) | instskip(NEXT) | instid1(VALU_DEP_1)
	v_dual_sub_f32 v13, v15, v13 :: v_dual_sub_f32 v12, v17, v14
	v_dual_add_f32 v8, v8, v13 :: v_dual_sub_f32 v9, v9, v12
	s_delay_alu instid0(VALU_DEP_1) | instskip(NEXT) | instid1(VALU_DEP_1)
	v_add_f32_e32 v8, v8, v9
	v_add_f32_e32 v8, v17, v8
	s_delay_alu instid0(VALU_DEP_1)
	v_cndmask_b32_e32 v124, v8, v10, vcc_lo
.LBB24_104:                             ;   in Loop: Header=BB24_12 Depth=1
	s_or_b32 exec_lo, exec_lo, s30
	v_and_b32_e32 v8, 0xffff0000, v11
	s_delay_alu instid0(VALU_DEP_1) | instskip(NEXT) | instid1(VALU_DEP_1)
	v_add_f32_e32 v125, s67, v8
	v_cmp_ge_f32_e32 vcc_lo, 0x41a00000, v125
	s_and_b32 s29, s80, vcc_lo
	s_delay_alu instid0(SALU_CYCLE_1)
	s_and_saveexec_b32 s30, s29
	s_cbranch_execz .LBB24_106
; %bb.105:                              ;   in Loop: Header=BB24_12 Depth=1
	v_mul_f32_e32 v8, 0x3fb8aa3b, v125
	v_cmp_ngt_f32_e32 vcc_lo, 0xc2ce8ed0, v125
	s_delay_alu instid0(VALU_DEP_2) | instskip(SKIP_1) | instid1(VALU_DEP_2)
	v_rndne_f32_e32 v9, v8
	v_fma_f32 v10, 0x3fb8aa3b, v125, -v8
	v_sub_f32_e32 v8, v8, v9
	s_delay_alu instid0(VALU_DEP_2) | instskip(SKIP_1) | instid1(VALU_DEP_2)
	v_fmac_f32_e32 v10, 0x32a5705f, v125
	v_cvt_i32_f32_e32 v9, v9
	v_add_f32_e32 v8, v8, v10
	s_delay_alu instid0(VALU_DEP_1) | instskip(SKIP_2) | instid1(VALU_DEP_1)
	v_exp_f32_e32 v8, v8
	s_waitcnt_depctr 0xfff
	v_ldexp_f32 v8, v8, v9
	v_cndmask_b32_e32 v8, 0, v8, vcc_lo
	v_cmp_nlt_f32_e32 vcc_lo, 0x42b17218, v125
	s_delay_alu instid0(VALU_DEP_2) | instskip(NEXT) | instid1(VALU_DEP_1)
	v_cndmask_b32_e32 v10, 0x7f800000, v8, vcc_lo
	v_add_f32_e32 v11, 1.0, v10
	s_delay_alu instid0(VALU_DEP_1) | instskip(NEXT) | instid1(VALU_DEP_1)
	v_cvt_f64_f32_e32 v[8:9], v11
	v_frexp_exp_i32_f64_e32 v8, v[8:9]
	v_frexp_mant_f32_e32 v9, v11
	s_delay_alu instid0(VALU_DEP_1) | instskip(SKIP_1) | instid1(VALU_DEP_1)
	v_cmp_gt_f32_e32 vcc_lo, 0x3f2aaaab, v9
	v_add_f32_e32 v9, -1.0, v11
	v_sub_f32_e32 v13, v9, v11
	v_sub_f32_e32 v9, v10, v9
	s_delay_alu instid0(VALU_DEP_2) | instskip(NEXT) | instid1(VALU_DEP_1)
	v_add_f32_e32 v13, 1.0, v13
	v_add_f32_e32 v9, v9, v13
	v_cmp_gt_f32_e64 s29, 0x33800000, v10
	v_subrev_co_ci_u32_e32 v8, vcc_lo, 0, v8, vcc_lo
	v_cmp_eq_f32_e32 vcc_lo, 0x7f800000, v10
	s_delay_alu instid0(VALU_DEP_2) | instskip(SKIP_2) | instid1(VALU_DEP_2)
	v_sub_nc_u32_e32 v12, 0, v8
	v_cvt_f32_i32_e32 v8, v8
	s_or_b32 vcc_lo, s29, vcc_lo
	v_ldexp_f32 v11, v11, v12
	v_ldexp_f32 v9, v9, v12
	s_delay_alu instid0(VALU_DEP_2) | instskip(NEXT) | instid1(VALU_DEP_1)
	v_add_f32_e32 v14, 1.0, v11
	v_dual_add_f32 v12, -1.0, v11 :: v_dual_add_f32 v13, -1.0, v14
	s_delay_alu instid0(VALU_DEP_1) | instskip(NEXT) | instid1(VALU_DEP_2)
	v_add_f32_e32 v15, 1.0, v12
	v_sub_f32_e32 v13, v11, v13
	s_delay_alu instid0(VALU_DEP_2) | instskip(NEXT) | instid1(VALU_DEP_2)
	v_sub_f32_e32 v11, v11, v15
	v_add_f32_e32 v13, v9, v13
	s_delay_alu instid0(VALU_DEP_2) | instskip(NEXT) | instid1(VALU_DEP_1)
	v_add_f32_e32 v9, v9, v11
	v_add_f32_e32 v17, v12, v9
	s_delay_alu instid0(VALU_DEP_3) | instskip(NEXT) | instid1(VALU_DEP_2)
	v_add_f32_e32 v15, v14, v13
	v_sub_f32_e32 v12, v12, v17
	s_delay_alu instid0(VALU_DEP_2) | instskip(SKIP_1) | instid1(VALU_DEP_1)
	v_rcp_f32_e32 v11, v15
	v_sub_f32_e32 v14, v14, v15
	v_add_f32_e32 v13, v13, v14
	s_waitcnt_depctr 0xfff
	v_mul_f32_e32 v101, v17, v11
	s_delay_alu instid0(VALU_DEP_1) | instskip(NEXT) | instid1(VALU_DEP_1)
	v_dual_mul_f32 v102, v15, v101 :: v_dual_add_f32 v9, v9, v12
	v_fma_f32 v14, v101, v15, -v102
	s_delay_alu instid0(VALU_DEP_1) | instskip(NEXT) | instid1(VALU_DEP_1)
	v_fmac_f32_e32 v14, v101, v13
	v_add_f32_e32 v103, v102, v14
	s_delay_alu instid0(VALU_DEP_1) | instskip(SKIP_1) | instid1(VALU_DEP_1)
	v_sub_f32_e32 v12, v103, v102
	v_sub_f32_e32 v104, v17, v103
	v_dual_sub_f32 v12, v12, v14 :: v_dual_sub_f32 v17, v17, v104
	s_delay_alu instid0(VALU_DEP_1) | instskip(NEXT) | instid1(VALU_DEP_1)
	v_sub_f32_e32 v17, v17, v103
	v_add_f32_e32 v9, v9, v17
	s_delay_alu instid0(VALU_DEP_1) | instskip(NEXT) | instid1(VALU_DEP_1)
	v_add_f32_e32 v9, v12, v9
	v_add_f32_e32 v12, v104, v9
	s_delay_alu instid0(VALU_DEP_1) | instskip(SKIP_1) | instid1(VALU_DEP_2)
	v_mul_f32_e32 v14, v11, v12
	v_sub_f32_e32 v103, v104, v12
	v_mul_f32_e32 v17, v15, v14
	s_delay_alu instid0(VALU_DEP_2) | instskip(NEXT) | instid1(VALU_DEP_2)
	v_add_f32_e32 v9, v9, v103
	v_fma_f32 v15, v14, v15, -v17
	s_delay_alu instid0(VALU_DEP_1) | instskip(NEXT) | instid1(VALU_DEP_1)
	v_fmac_f32_e32 v15, v14, v13
	v_add_f32_e32 v13, v17, v15
	s_delay_alu instid0(VALU_DEP_1) | instskip(NEXT) | instid1(VALU_DEP_1)
	v_sub_f32_e32 v102, v12, v13
	v_dual_sub_f32 v17, v13, v17 :: v_dual_sub_f32 v12, v12, v102
	s_delay_alu instid0(VALU_DEP_1) | instskip(NEXT) | instid1(VALU_DEP_1)
	v_dual_sub_f32 v12, v12, v13 :: v_dual_sub_f32 v13, v17, v15
	v_add_f32_e32 v9, v9, v12
	v_add_f32_e32 v12, v101, v14
	s_delay_alu instid0(VALU_DEP_2) | instskip(NEXT) | instid1(VALU_DEP_2)
	v_add_f32_e32 v9, v13, v9
	v_sub_f32_e32 v13, v12, v101
	s_delay_alu instid0(VALU_DEP_2) | instskip(NEXT) | instid1(VALU_DEP_2)
	v_add_f32_e32 v9, v102, v9
	v_sub_f32_e32 v13, v14, v13
	s_delay_alu instid0(VALU_DEP_2) | instskip(NEXT) | instid1(VALU_DEP_1)
	v_mul_f32_e32 v9, v11, v9
	v_add_f32_e32 v9, v13, v9
	s_delay_alu instid0(VALU_DEP_1) | instskip(NEXT) | instid1(VALU_DEP_1)
	v_add_f32_e32 v11, v12, v9
	v_mul_f32_e32 v13, v11, v11
	s_delay_alu instid0(VALU_DEP_1) | instskip(SKIP_1) | instid1(VALU_DEP_2)
	v_fmaak_f32 v14, s84, v13, 0x3ecc95a3
	v_mul_f32_e32 v15, v11, v13
	v_fmaak_f32 v13, v13, v14, 0x3f2aaada
	v_ldexp_f32 v14, v11, 1
	v_sub_f32_e32 v11, v11, v12
	s_delay_alu instid0(VALU_DEP_3) | instskip(SKIP_1) | instid1(VALU_DEP_2)
	v_mul_f32_e32 v13, v15, v13
	v_mul_f32_e32 v15, 0x3f317218, v8
	v_dual_sub_f32 v9, v9, v11 :: v_dual_add_f32 v12, v14, v13
	s_delay_alu instid0(VALU_DEP_1) | instskip(NEXT) | instid1(VALU_DEP_2)
	v_ldexp_f32 v9, v9, 1
	v_sub_f32_e32 v11, v12, v14
	s_delay_alu instid0(VALU_DEP_4) | instskip(NEXT) | instid1(VALU_DEP_1)
	v_fma_f32 v14, 0x3f317218, v8, -v15
	v_dual_sub_f32 v11, v13, v11 :: v_dual_fmac_f32 v14, 0xb102e308, v8
	s_delay_alu instid0(VALU_DEP_1) | instskip(NEXT) | instid1(VALU_DEP_1)
	v_dual_add_f32 v8, v9, v11 :: v_dual_add_f32 v9, v15, v14
	v_add_f32_e32 v11, v12, v8
	s_delay_alu instid0(VALU_DEP_2) | instskip(NEXT) | instid1(VALU_DEP_2)
	v_sub_f32_e32 v15, v9, v15
	v_dual_add_f32 v13, v9, v11 :: v_dual_sub_f32 v12, v11, v12
	s_delay_alu instid0(VALU_DEP_1) | instskip(NEXT) | instid1(VALU_DEP_1)
	v_dual_sub_f32 v14, v14, v15 :: v_dual_sub_f32 v17, v13, v9
	v_dual_sub_f32 v8, v8, v12 :: v_dual_sub_f32 v101, v13, v17
	s_delay_alu instid0(VALU_DEP_1) | instskip(NEXT) | instid1(VALU_DEP_2)
	v_dual_sub_f32 v11, v11, v17 :: v_dual_add_f32 v12, v14, v8
	v_sub_f32_e32 v9, v9, v101
	s_delay_alu instid0(VALU_DEP_1) | instskip(NEXT) | instid1(VALU_DEP_3)
	v_add_f32_e32 v9, v11, v9
	v_sub_f32_e32 v11, v12, v14
	s_delay_alu instid0(VALU_DEP_2) | instskip(NEXT) | instid1(VALU_DEP_2)
	v_add_f32_e32 v9, v12, v9
	v_sub_f32_e32 v12, v12, v11
	s_delay_alu instid0(VALU_DEP_2) | instskip(NEXT) | instid1(VALU_DEP_1)
	v_dual_sub_f32 v8, v8, v11 :: v_dual_add_f32 v15, v13, v9
	v_dual_sub_f32 v12, v14, v12 :: v_dual_sub_f32 v11, v15, v13
	s_delay_alu instid0(VALU_DEP_1) | instskip(NEXT) | instid1(VALU_DEP_1)
	v_dual_add_f32 v8, v8, v12 :: v_dual_sub_f32 v9, v9, v11
	v_add_f32_e32 v8, v8, v9
	s_delay_alu instid0(VALU_DEP_1) | instskip(NEXT) | instid1(VALU_DEP_1)
	v_add_f32_e32 v8, v15, v8
	v_cndmask_b32_e32 v125, v8, v10, vcc_lo
.LBB24_106:                             ;   in Loop: Header=BB24_12 Depth=1
	s_or_b32 exec_lo, exec_lo, s30
	v_and_b32_e32 v10, 0xffff0000, v5
	v_lshlrev_b32_e32 v5, 16, v5
	v_and_b32_e32 v9, 0xffff0000, v6
	v_and_b32_e32 v14, 0xffff0000, v7
	;; [unrolled: 1-line block ×4, first 2 shown]
	v_lshlrev_b32_e32 v1, 16, v1
	v_and_b32_e32 v12, 0xffff0000, v2
	v_lshlrev_b32_e32 v0, 16, v0
	v_lshlrev_b32_e32 v2, 16, v2
	v_mul_f32_e32 v106, s68, v5
	v_dual_mul_f32 v103, s68, v9 :: v_dual_lshlrev_b32 v8, 16, v7
	v_lshlrev_b32_e32 v6, 16, v6
	v_mul_f32_e32 v120, s68, v15
	s_delay_alu instid0(VALU_DEP_3)
	v_dual_mul_f32 v118, s68, v13 :: v_dual_mul_f32 v101, s68, v8
	v_mul_f32_e32 v119, s68, v0
	v_dual_mul_f32 v114, s68, v2 :: v_dual_and_b32 v11, 0xffff0000, v3
	v_and_b32_e32 v7, 0xffff0000, v4
	v_lshlrev_b32_e32 v3, 16, v3
	v_lshlrev_b32_e32 v4, 16, v4
	v_mul_f32_e32 v102, s68, v6
	v_mul_f32_e32 v112, s68, v11
	s_and_b32 vcc_lo, exec_lo, s81
	v_mul_f32_e32 v111, s68, v3
	v_mul_f32_e32 v109, s68, v4
	;; [unrolled: 1-line block ×3, first 2 shown]
	v_dual_mul_f32 v104, s68, v14 :: v_dual_mul_f32 v117, s68, v1
	v_dual_mul_f32 v110, s68, v7 :: v_dual_mul_f32 v115, s68, v12
	s_barrier
	buffer_gl0_inv
	s_cbranch_vccz .LBB24_204
; %bb.107:                              ;   in Loop: Header=BB24_12 Depth=1
	v_dual_mul_f32 v126, v125, v14 :: v_dual_mul_f32 v131, v124, v8
	v_add_co_u32 v14, s29, s61, v16
	s_delay_alu instid0(VALU_DEP_1) | instskip(SKIP_1) | instid1(VALU_DEP_1)
	v_add_co_ci_u32_e64 v17, null, s62, 0, s29
	v_add_co_u32 v16, s29, s49, v16
	v_add_co_ci_u32_e64 v130, null, s74, 0, s29
	s_delay_alu instid0(VALU_DEP_4) | instskip(NEXT) | instid1(VALU_DEP_4)
	v_add_co_u32 v127, vcc_lo, v14, v93
	v_add_co_ci_u32_e32 v128, vcc_lo, 0, v17, vcc_lo
	s_delay_alu instid0(VALU_DEP_4) | instskip(NEXT) | instid1(VALU_DEP_4)
	v_add_co_u32 v129, vcc_lo, v16, v93
	v_add_co_ci_u32_e32 v130, vcc_lo, 0, v130, vcc_lo
	v_cmp_gt_u32_e32 vcc_lo, s41, v18
	s_cmp_lg_u32 s86, 0
	v_cmp_gt_u32_e64 s31, s41, v79
	s_cselect_b32 s51, -1, 0
	s_cmp_eq_u32 s86, s83
	v_cmp_gt_u32_e64 s33, s41, v80
	s_cselect_b32 s87, -1, 0
	s_or_b32 s29, s82, vcc_lo
	v_cmp_gt_u32_e32 vcc_lo, s41, v78
	v_cmp_gt_u32_e64 s34, s41, v81
	v_cmp_gt_u32_e64 s35, s41, v82
	;; [unrolled: 1-line block ×4, first 2 shown]
	s_or_b32 s30, s82, vcc_lo
	v_cmp_gt_u32_e32 vcc_lo, s41, v83
	v_cmp_gt_u32_e64 s39, s41, v86
	v_cmp_gt_u32_e64 s40, s41, v87
	;; [unrolled: 1-line block ×4, first 2 shown]
	s_or_b32 s36, s82, vcc_lo
	v_cmp_gt_u32_e32 vcc_lo, s41, v88
	v_cmp_gt_u32_e64 s44, s41, v91
	v_cmp_gt_u32_e64 s45, s41, v92
	v_dual_mul_f32 v132, v123, v9 :: v_dual_mul_f32 v133, v122, v6
	v_dual_mul_f32 v134, v121, v10 :: v_dual_mul_f32 v135, v116, v5
	;; [unrolled: 1-line block ×7, first 2 shown]
	s_mov_b32 s64, 0
	s_or_b32 s31, s82, s31
	s_or_b32 s33, s82, s33
	;; [unrolled: 1-line block ×8, first 2 shown]
	s_or_b32 s41, s82, vcc_lo
	s_or_b32 s42, s82, s42
	s_or_b32 s43, s82, s43
	s_or_b32 s44, s82, s44
	s_or_b32 s45, s82, s45
	s_mov_b32 s52, s64
	s_mov_b32 s54, s64
	;; [unrolled: 1-line block ×5, first 2 shown]
	s_branch .LBB24_109
.LBB24_108:                             ;   in Loop: Header=BB24_109 Depth=2
	s_or_b32 exec_lo, exec_lo, s46
	v_cndmask_b32_e64 v9, v175, v11, s12
	v_cndmask_b32_e64 v10, v174, v10, s12
	s_add_i32 s88, s88, -1
	s_add_i32 s89, s89, 8
	s_add_i32 s58, s58, s75
	v_fma_f32 v9, v9, v149, v148
	v_mul_f32_e32 v10, v10, v149
	s_add_i32 s54, s54, s48
	s_add_i32 s52, s52, s60
	;; [unrolled: 1-line block ×3, first 2 shown]
	v_cndmask_b32_e64 v9, v9, v148, s11
	v_cndmask_b32_e64 v10, v10, v149, s11
	s_cmp_eq_u32 s88, 0
	s_waitcnt lgkmcnt(0)
	s_delay_alu instid0(VALU_DEP_1) | instskip(NEXT) | instid1(VALU_DEP_1)
	v_dual_fmac_f32 v9, v8, v10 :: v_dual_and_b32 v10, 0xffff0000, v5
	v_dual_fmac_f32 v12, v9, v151 :: v_dual_lshlrev_b32 v5, 16, v5
	s_delay_alu instid0(VALU_DEP_1) | instskip(NEXT) | instid1(VALU_DEP_1)
	v_fmac_f32_e32 v13, v12, v152
	v_fmac_f32_e32 v14, v13, v154
	s_delay_alu instid0(VALU_DEP_3) | instskip(NEXT) | instid1(VALU_DEP_2)
	v_fmac_f32_e32 v117, v13, v5
	v_fmac_f32_e32 v15, v14, v157
	s_delay_alu instid0(VALU_DEP_1) | instskip(NEXT) | instid1(VALU_DEP_1)
	v_fmac_f32_e32 v146, v15, v158
	v_fmac_f32_e32 v147, v146, v159
	s_delay_alu instid0(VALU_DEP_1) | instskip(NEXT) | instid1(VALU_DEP_1)
	v_fmac_f32_e32 v150, v147, v160
	v_dual_fmac_f32 v153, v150, v162 :: v_dual_and_b32 v8, 0xffff0000, v4
	v_lshlrev_b32_e32 v4, 16, v4
	s_delay_alu instid0(VALU_DEP_2) | instskip(SKIP_1) | instid1(VALU_DEP_3)
	v_dual_fmac_f32 v120, v12, v8 :: v_dual_fmac_f32 v155, v153, v163
	v_and_b32_e32 v11, 0xffff0000, v6
	v_dual_fmac_f32 v119, v9, v4 :: v_dual_and_b32 v16, 0xffff0000, v7
	s_delay_alu instid0(VALU_DEP_3) | instskip(NEXT) | instid1(VALU_DEP_3)
	v_dual_fmac_f32 v156, v155, v164 :: v_dual_lshlrev_b32 v7, 16, v7
	v_dual_fmac_f32 v115, v146, v11 :: v_dual_and_b32 v148, 0xffff0000, v1
	s_delay_alu instid0(VALU_DEP_2) | instskip(NEXT) | instid1(VALU_DEP_3)
	v_dual_fmac_f32 v112, v150, v16 :: v_dual_fmac_f32 v111, v147, v7
	v_dual_fmac_f32 v161, v156, v172 :: v_dual_lshlrev_b32 v6, 16, v6
	v_dual_fmac_f32 v118, v14, v10 :: v_dual_lshlrev_b32 v1, 16, v1
	s_delay_alu instid0(VALU_DEP_2) | instskip(SKIP_3) | instid1(VALU_DEP_4)
	v_fmac_f32_e32 v165, v161, v167
	v_and_b32_e32 v17, 0xffff0000, v0
	v_lshlrev_b32_e32 v0, 16, v0
	v_dual_fmac_f32 v114, v15, v6 :: v_dual_and_b32 v151, 0xffff0000, v3
	v_dual_fmac_f32 v166, v165, v169 :: v_dual_and_b32 v149, 0xffff0000, v2
	v_lshlrev_b32_e32 v2, 16, v2
	v_lshlrev_b32_e32 v3, 16, v3
	v_dual_fmac_f32 v109, v153, v0 :: v_dual_fmac_f32 v110, v155, v17
	s_delay_alu instid0(VALU_DEP_4) | instskip(SKIP_2) | instid1(VALU_DEP_3)
	v_fmac_f32_e32 v168, v166, v171
	v_dual_fmac_f32 v106, v156, v1 :: v_dual_fmac_f32 v107, v161, v148
	v_dual_fmac_f32 v102, v165, v2 :: v_dual_fmac_f32 v103, v166, v149
	v_fmac_f32_e32 v170, v168, v173
	v_fmac_f32_e32 v101, v168, v3
	s_delay_alu instid0(VALU_DEP_2)
	v_fmac_f32_e32 v104, v170, v151
	s_cbranch_scc1 .LBB24_204
.LBB24_109:                             ;   Parent Loop BB24_12 Depth=1
                                        ; =>  This Inner Loop Header: Depth=2
	s_lshl_b64 s[46:47], s[64:65], 2
	s_mov_b32 s53, s65
	s_add_u32 s46, s72, s46
	s_addc_u32 s47, s73, s47
	v_dual_mov_b32 v2, 0 :: v_dual_mov_b32 v3, 0
	global_load_b32 v146, v21, s[46:47]
	s_lshl_b64 s[46:47], s[52:53], 1
	s_delay_alu instid0(SALU_CYCLE_1)
	v_add_co_u32 v0, vcc_lo, v127, s46
	v_add_co_ci_u32_e32 v1, vcc_lo, s47, v128, vcc_lo
	s_and_saveexec_b32 s46, s13
	s_cbranch_execz .LBB24_111
; %bb.110:                              ;   in Loop: Header=BB24_109 Depth=2
	global_load_u16 v3, v[0:1], off
.LBB24_111:                             ;   in Loop: Header=BB24_109 Depth=2
	s_or_b32 exec_lo, exec_lo, s46
	s_and_saveexec_b32 s46, s14
	s_cbranch_execz .LBB24_113
; %bb.112:                              ;   in Loop: Header=BB24_109 Depth=2
	global_load_u16 v2, v[0:1], off offset:64
.LBB24_113:                             ;   in Loop: Header=BB24_109 Depth=2
	s_or_b32 exec_lo, exec_lo, s46
	v_dual_mov_b32 v4, 0 :: v_dual_mov_b32 v5, 0
	s_and_saveexec_b32 s46, s15
	s_cbranch_execz .LBB24_115
; %bb.114:                              ;   in Loop: Header=BB24_109 Depth=2
	global_load_u16 v5, v[0:1], off offset:128
.LBB24_115:                             ;   in Loop: Header=BB24_109 Depth=2
	s_or_b32 exec_lo, exec_lo, s46
	s_and_saveexec_b32 s46, s16
	s_cbranch_execz .LBB24_117
; %bb.116:                              ;   in Loop: Header=BB24_109 Depth=2
	global_load_u16 v4, v[0:1], off offset:192
.LBB24_117:                             ;   in Loop: Header=BB24_109 Depth=2
	s_or_b32 exec_lo, exec_lo, s46
	v_dual_mov_b32 v6, 0 :: v_dual_mov_b32 v7, 0
	s_and_saveexec_b32 s46, s17
	s_cbranch_execz .LBB24_119
; %bb.118:                              ;   in Loop: Header=BB24_109 Depth=2
	global_load_u16 v7, v[0:1], off offset:256
.LBB24_119:                             ;   in Loop: Header=BB24_109 Depth=2
	s_or_b32 exec_lo, exec_lo, s46
	s_and_saveexec_b32 s46, s18
	s_cbranch_execz .LBB24_121
; %bb.120:                              ;   in Loop: Header=BB24_109 Depth=2
	global_load_u16 v6, v[0:1], off offset:320
.LBB24_121:                             ;   in Loop: Header=BB24_109 Depth=2
	s_or_b32 exec_lo, exec_lo, s46
	v_dual_mov_b32 v8, 0 :: v_dual_mov_b32 v9, 0
	s_and_saveexec_b32 s46, s19
	s_cbranch_execz .LBB24_123
; %bb.122:                              ;   in Loop: Header=BB24_109 Depth=2
	global_load_u16 v9, v[0:1], off offset:384
.LBB24_123:                             ;   in Loop: Header=BB24_109 Depth=2
	s_or_b32 exec_lo, exec_lo, s46
	s_and_saveexec_b32 s46, s20
	s_cbranch_execz .LBB24_125
; %bb.124:                              ;   in Loop: Header=BB24_109 Depth=2
	global_load_u16 v8, v[0:1], off offset:448
.LBB24_125:                             ;   in Loop: Header=BB24_109 Depth=2
	s_or_b32 exec_lo, exec_lo, s46
	v_dual_mov_b32 v10, 0 :: v_dual_mov_b32 v11, 0
	s_and_saveexec_b32 s46, s21
	s_cbranch_execz .LBB24_127
; %bb.126:                              ;   in Loop: Header=BB24_109 Depth=2
	global_load_u16 v11, v[0:1], off offset:512
.LBB24_127:                             ;   in Loop: Header=BB24_109 Depth=2
	s_or_b32 exec_lo, exec_lo, s46
	s_and_saveexec_b32 s46, s22
	s_cbranch_execz .LBB24_129
; %bb.128:                              ;   in Loop: Header=BB24_109 Depth=2
	global_load_u16 v10, v[0:1], off offset:576
.LBB24_129:                             ;   in Loop: Header=BB24_109 Depth=2
	s_or_b32 exec_lo, exec_lo, s46
	v_dual_mov_b32 v12, 0 :: v_dual_mov_b32 v13, 0
	s_and_saveexec_b32 s46, s23
	s_cbranch_execz .LBB24_131
; %bb.130:                              ;   in Loop: Header=BB24_109 Depth=2
	global_load_u16 v13, v[0:1], off offset:640
.LBB24_131:                             ;   in Loop: Header=BB24_109 Depth=2
	s_or_b32 exec_lo, exec_lo, s46
	s_and_saveexec_b32 s46, s24
	s_cbranch_execz .LBB24_133
; %bb.132:                              ;   in Loop: Header=BB24_109 Depth=2
	global_load_u16 v12, v[0:1], off offset:704
.LBB24_133:                             ;   in Loop: Header=BB24_109 Depth=2
	s_or_b32 exec_lo, exec_lo, s46
	v_dual_mov_b32 v14, 0 :: v_dual_mov_b32 v15, 0
	s_and_saveexec_b32 s46, s25
	s_cbranch_execz .LBB24_135
; %bb.134:                              ;   in Loop: Header=BB24_109 Depth=2
	global_load_u16 v15, v[0:1], off offset:768
.LBB24_135:                             ;   in Loop: Header=BB24_109 Depth=2
	s_or_b32 exec_lo, exec_lo, s46
	s_and_saveexec_b32 s46, s26
	s_cbranch_execz .LBB24_137
; %bb.136:                              ;   in Loop: Header=BB24_109 Depth=2
	global_load_u16 v14, v[0:1], off offset:832
.LBB24_137:                             ;   in Loop: Header=BB24_109 Depth=2
	s_or_b32 exec_lo, exec_lo, s46
	v_dual_mov_b32 v16, 0 :: v_dual_mov_b32 v17, 0
	s_and_saveexec_b32 s46, s27
	s_cbranch_execz .LBB24_139
; %bb.138:                              ;   in Loop: Header=BB24_109 Depth=2
	global_load_u16 v17, v[0:1], off offset:896
.LBB24_139:                             ;   in Loop: Header=BB24_109 Depth=2
	s_or_b32 exec_lo, exec_lo, s46
	s_and_saveexec_b32 s46, s28
	s_cbranch_execz .LBB24_141
; %bb.140:                              ;   in Loop: Header=BB24_109 Depth=2
	global_load_u16 v16, v[0:1], off offset:960
.LBB24_141:                             ;   in Loop: Header=BB24_109 Depth=2
	s_or_b32 exec_lo, exec_lo, s46
	s_waitcnt vmcnt(0)
	ds_store_b16 v37, v3
	ds_store_b16 v37, v2 offset:64
	ds_store_b16 v38, v5 offset:128
	;; [unrolled: 1-line block ×15, first 2 shown]
	; wave barrier
	ds_load_b128 v[12:15], v52
	ds_load_b128 v[8:11], v52 offset:16
	s_mov_b32 s55, s65
	v_dual_mov_b32 v2, 0 :: v_dual_mov_b32 v3, 0
	s_lshl_b64 s[46:47], s[54:55], 1
	s_delay_alu instid0(SALU_CYCLE_1)
	v_add_co_u32 v0, vcc_lo, v129, s46
	v_add_co_ci_u32_e32 v1, vcc_lo, s47, v130, vcc_lo
	s_and_saveexec_b32 s46, s13
	s_cbranch_execz .LBB24_143
; %bb.142:                              ;   in Loop: Header=BB24_109 Depth=2
	global_load_u16 v3, v[0:1], off
.LBB24_143:                             ;   in Loop: Header=BB24_109 Depth=2
	s_or_b32 exec_lo, exec_lo, s46
	s_and_saveexec_b32 s46, s14
	s_cbranch_execz .LBB24_145
; %bb.144:                              ;   in Loop: Header=BB24_109 Depth=2
	global_load_u16 v2, v[0:1], off offset:64
.LBB24_145:                             ;   in Loop: Header=BB24_109 Depth=2
	s_or_b32 exec_lo, exec_lo, s46
	v_dual_mov_b32 v4, 0 :: v_dual_mov_b32 v5, 0
	s_and_saveexec_b32 s46, s15
	s_cbranch_execz .LBB24_147
; %bb.146:                              ;   in Loop: Header=BB24_109 Depth=2
	global_load_u16 v5, v[0:1], off offset:128
.LBB24_147:                             ;   in Loop: Header=BB24_109 Depth=2
	s_or_b32 exec_lo, exec_lo, s46
	s_and_saveexec_b32 s46, s16
	s_cbranch_execz .LBB24_149
; %bb.148:                              ;   in Loop: Header=BB24_109 Depth=2
	global_load_u16 v4, v[0:1], off offset:192
.LBB24_149:                             ;   in Loop: Header=BB24_109 Depth=2
	s_or_b32 exec_lo, exec_lo, s46
	v_dual_mov_b32 v6, 0 :: v_dual_mov_b32 v7, 0
	s_and_saveexec_b32 s46, s17
	s_cbranch_execz .LBB24_151
; %bb.150:                              ;   in Loop: Header=BB24_109 Depth=2
	global_load_u16 v7, v[0:1], off offset:256
.LBB24_151:                             ;   in Loop: Header=BB24_109 Depth=2
	;; [unrolled: 13-line block ×7, first 2 shown]
	s_or_b32 exec_lo, exec_lo, s46
	s_and_saveexec_b32 s46, s28
	s_cbranch_execz .LBB24_173
; %bb.172:                              ;   in Loop: Header=BB24_109 Depth=2
	global_load_u16 v153, v[0:1], off offset:960
.LBB24_173:                             ;   in Loop: Header=BB24_109 Depth=2
	s_or_b32 exec_lo, exec_lo, s46
	s_waitcnt vmcnt(0)
	ds_store_b16 v37, v3 offset:4224
	ds_store_b16 v53, v2 offset:64
	;; [unrolled: 1-line block ×16, first 2 shown]
	; wave barrier
	ds_load_b128 v[4:7], v52 offset:4224
	ds_load_b128 v[0:3], v68 offset:16
	s_and_not1_b32 vcc_lo, exec_lo, s51
	s_cbranch_vccnz .LBB24_175
; %bb.174:                              ;   in Loop: Header=BB24_109 Depth=2
	v_mov_b32_e32 v16, s89
	ds_load_b64 v[16:17], v16
	s_cbranch_execz .LBB24_176
	s_branch .LBB24_179
.LBB24_175:                             ;   in Loop: Header=BB24_109 Depth=2
                                        ; implicit-def: $vgpr16
.LBB24_176:                             ;   in Loop: Header=BB24_109 Depth=2
	s_waitcnt lgkmcnt(0)
	v_mov_b32_e32 v17, 0
	s_and_not1_b32 vcc_lo, exec_lo, s66
	s_cbranch_vccnz .LBB24_178
; %bb.177:                              ;   in Loop: Header=BB24_109 Depth=2
	s_mov_b32 s59, s65
	s_delay_alu instid0(SALU_CYCLE_1) | instskip(NEXT) | instid1(SALU_CYCLE_1)
	s_lshl_b64 s[46:47], s[58:59], 1
	s_add_u32 s46, s76, s46
	s_addc_u32 s47, s77, s47
	global_load_u16 v16, v21, s[46:47]
	s_waitcnt vmcnt(0)
	v_lshlrev_b32_e32 v17, 16, v16
.LBB24_178:                             ;   in Loop: Header=BB24_109 Depth=2
	v_mov_b32_e32 v16, 1.0
.LBB24_179:                             ;   in Loop: Header=BB24_109 Depth=2
	s_waitcnt lgkmcnt(19)
	v_dual_mul_f32 v168, 0x3fb8aa3b, v146 :: v_dual_lshlrev_b32 v147, 16, v12
	v_and_b32_e32 v12, 0xffff0000, v12
	v_lshlrev_b32_e32 v146, 16, v13
	v_and_b32_e32 v150, 0xffff0000, v13
	v_lshlrev_b32_e32 v153, 16, v14
	v_mul_f32_e32 v13, v168, v94
	v_dual_mul_f32 v14, v168, v95 :: v_dual_and_b32 v155, 0xffff0000, v14
	v_dual_mul_f32 v149, v168, v97 :: v_dual_lshlrev_b32 v156, 16, v15
	s_delay_alu instid0(VALU_DEP_3) | instskip(SKIP_1) | instid1(VALU_DEP_4)
	v_cmp_gt_f32_e32 vcc_lo, 0xc2fc0000, v13
	v_dual_mul_f32 v12, v144, v12 :: v_dual_and_b32 v159, 0xffff0000, v15
	v_cmp_gt_f32_e64 s46, 0xc2fc0000, v14
	v_mul_f32_e32 v15, v168, v96
	v_cndmask_b32_e64 v13, 0, 0x42800000, vcc_lo
	v_cndmask_b32_e64 v148, 1.0, 0x1f800000, vcc_lo
	s_waitcnt lgkmcnt(18)
	v_lshlrev_b32_e32 v165, 16, v10
	v_cndmask_b32_e64 v14, 0, 0x42800000, s46
	v_mul_f32_e32 v147, v145, v147
	v_fmac_f32_e32 v13, v168, v94
	v_dual_mul_f32 v146, v143, v146 :: v_dual_lshlrev_b32 v161, 16, v8
	v_and_b32_e32 v8, 0xffff0000, v8
	v_fmac_f32_e32 v14, v168, v95
	s_delay_alu instid0(VALU_DEP_4) | instskip(SKIP_2) | instid1(VALU_DEP_3)
	v_exp_f32_e32 v13, v13
	v_cmp_gt_f32_e32 vcc_lo, 0xc2fc0000, v15
	v_dual_mul_f32 v155, v140, v155 :: v_dual_and_b32 v10, 0xffff0000, v10
	v_exp_f32_e32 v14, v14
	v_dual_mul_f32 v161, v137, v161 :: v_dual_mul_f32 v8, v136, v8
	v_cndmask_b32_e64 v15, 0, 0x42800000, vcc_lo
	v_lshlrev_b32_e32 v170, 16, v11
	v_and_b32_e32 v11, 0xffff0000, v11
	s_delay_alu instid0(TRANS32_DEP_2)
	v_mul_f32_e32 v13, v13, v148
	v_cndmask_b32_e64 v148, 0, v147, s29
	v_cndmask_b32_e64 v147, 1.0, 0x1f800000, s46
	v_cmp_gt_f32_e64 s46, 0xc2fc0000, v149
	v_fmac_f32_e32 v15, v168, v96
	v_cndmask_b32_e64 v149, 1.0, v13, s29
	v_cndmask_b32_e64 v12, 0, v12, s30
	v_mul_f32_e32 v13, v14, v147
	v_cndmask_b32_e64 v151, 0, 0x42800000, s46
	v_exp_f32_e32 v14, v15
	v_cndmask_b32_e64 v147, 1.0, 0x1f800000, vcc_lo
	v_lshlrev_b32_e32 v163, 16, v9
	v_mul_f32_e32 v15, v168, v98
	v_fmac_f32_e32 v151, v168, v97
	v_and_b32_e32 v9, 0xffff0000, v9
	v_mul_f32_e32 v171, v168, v123
	v_mul_f32_e32 v173, v168, v125
	v_cmp_gt_f32_e32 vcc_lo, 0xc2fc0000, v15
	v_exp_f32_e32 v154, v151
	v_mul_f32_e32 v14, v14, v147
	v_cndmask_b32_e64 v147, 1.0, 0x1f800000, s46
	v_mul_f32_e32 v157, v168, v105
	v_cndmask_b32_e64 v15, 0, 0x42800000, vcc_lo
	v_mul_f32_e32 v160, v168, v108
	v_cndmask_b32_e64 v152, 1.0, v14, s31
	v_mul_f32_e32 v14, v142, v150
	v_mul_f32_e32 v150, v168, v100
	v_fmac_f32_e32 v15, v168, v98
	v_mul_f32_e32 v147, v154, v147
	v_cmp_gt_f32_e64 s47, 0xc2fc0000, v157
	v_cndmask_b32_e64 v14, 0, v14, s33
	v_mul_f32_e32 v162, v168, v116
	v_exp_f32_e32 v15, v15
	v_cndmask_b32_e64 v154, 1.0, v147, s33
	v_cndmask_b32_e64 v147, 1.0, 0x1f800000, vcc_lo
	v_cmp_gt_f32_e32 vcc_lo, 0xc2fc0000, v150
	v_mul_f32_e32 v170, v131, v170
	v_dual_mul_f32 v10, v132, v10 :: v_dual_mul_f32 v11, v126, v11
	v_cndmask_b32_e64 v150, 0, 0x42800000, vcc_lo
	s_delay_alu instid0(TRANS32_DEP_1) | instskip(SKIP_2) | instid1(VALU_DEP_4)
	v_mul_f32_e32 v147, v15, v147
	v_mul_f32_e32 v15, v141, v153
	v_cndmask_b32_e64 v153, 0, 0x42800000, s47
	v_fmac_f32_e32 v150, v168, v100
	v_cndmask_b32_e64 v151, 1.0, v13, s30
	v_cndmask_b32_e64 v13, 0, v146, s31
	v_mul_f32_e32 v146, v168, v99
	v_cndmask_b32_e64 v157, 1.0, v147, s34
	v_exp_f32_e32 v150, v150
	v_fma_f32 v169, v151, v148, v12
	v_cndmask_b32_e64 v15, 0, v15, s34
	v_cmp_gt_f32_e64 s46, 0xc2fc0000, v146
	s_delay_alu instid0(VALU_DEP_1) | instskip(SKIP_1) | instid1(VALU_DEP_2)
	v_cndmask_b32_e64 v146, 0, 0x42800000, s46
	v_cndmask_b32_e64 v158, 1.0, 0x1f800000, s46
	v_fmac_f32_e32 v146, v168, v99
	s_delay_alu instid0(VALU_DEP_1)
	v_exp_f32_e32 v146, v146
	s_waitcnt_depctr 0xfff
	v_mul_f32_e32 v147, v146, v158
	v_cndmask_b32_e64 v146, 0, v155, s35
	v_cndmask_b32_e64 v155, 1.0, 0x1f800000, vcc_lo
	v_cmp_gt_f32_e32 vcc_lo, 0xc2fc0000, v160
	v_mul_f32_e32 v160, v138, v159
	v_cndmask_b32_e64 v158, 1.0, v147, s35
	s_delay_alu instid0(VALU_DEP_4)
	v_dual_mul_f32 v147, v139, v156 :: v_dual_mul_f32 v150, v150, v155
	v_cndmask_b32_e64 v155, 1.0, 0x1f800000, s47
	v_cmp_gt_f32_e64 s47, 0xc2fc0000, v162
	v_mul_f32_e32 v162, v168, v121
	v_cndmask_b32_e64 v156, 0, 0x42800000, vcc_lo
	v_cndmask_b32_e64 v164, 1.0, 0x1f800000, vcc_lo
	v_cndmask_b32_e64 v159, 1.0, v150, s36
	v_cndmask_b32_e64 v150, 0, v160, s37
	v_cmp_gt_f32_e32 vcc_lo, 0xc2fc0000, v162
	v_fmac_f32_e32 v156, v168, v108
	v_cndmask_b32_e64 v147, 0, v147, s36
	v_cndmask_b32_e64 v166, 0, 0x42800000, vcc_lo
	v_cndmask_b32_e64 v167, 1.0, 0x1f800000, vcc_lo
	s_delay_alu instid0(VALU_DEP_2) | instskip(NEXT) | instid1(VALU_DEP_1)
	v_fmac_f32_e32 v166, v168, v121
	v_exp_f32_e32 v166, v166
	v_fmac_f32_e32 v153, v168, v105
	s_delay_alu instid0(VALU_DEP_1) | instskip(SKIP_3) | instid1(VALU_DEP_2)
	v_exp_f32_e32 v153, v153
	s_waitcnt_depctr 0xfff
	v_mul_f32_e32 v153, v153, v155
	v_mul_f32_e32 v155, v168, v113
	v_cndmask_b32_e64 v160, 1.0, v153, s37
	s_delay_alu instid0(VALU_DEP_2) | instskip(SKIP_2) | instid1(VALU_DEP_2)
	v_cmp_gt_f32_e64 s46, 0xc2fc0000, v155
	v_exp_f32_e32 v153, v156
	v_cndmask_b32_e64 v156, 0, 0x42800000, s47
	v_cndmask_b32_e64 v155, 0, 0x42800000, s46
	s_delay_alu instid0(VALU_DEP_2)
	v_fmac_f32_e32 v156, v168, v116
	s_waitcnt_depctr 0xfff
	v_dual_fmac_f32 v155, v168, v113 :: v_dual_mul_f32 v162, v153, v164
	v_cndmask_b32_e64 v153, 0, v161, s38
	v_exp_f32_e32 v156, v156
	v_cndmask_b32_e64 v161, 1.0, 0x1f800000, s46
	s_delay_alu instid0(VALU_DEP_3) | instskip(SKIP_3) | instid1(VALU_DEP_2)
	v_exp_f32_e32 v155, v155
	v_cndmask_b32_e64 v164, 1.0, 0x1f800000, s47
	v_cmp_gt_f32_e64 s46, 0xc2fc0000, v171
	v_cndmask_b32_e64 v162, 1.0, v162, s38
	v_cndmask_b32_e64 v171, 1.0, 0x1f800000, s46
	s_waitcnt_depctr 0xfff
	v_dual_mul_f32 v164, v156, v164 :: v_dual_mul_f32 v161, v155, v161
	v_cndmask_b32_e64 v155, 0, v8, s39
	v_mul_f32_e32 v8, v135, v163
	s_delay_alu instid0(VALU_DEP_3) | instskip(NEXT) | instid1(VALU_DEP_4)
	v_cndmask_b32_e64 v164, 1.0, v164, s40
	v_cndmask_b32_e64 v163, 1.0, v161, s39
	v_mul_f32_e32 v161, v168, v122
	s_delay_alu instid0(VALU_DEP_4) | instskip(SKIP_1) | instid1(VALU_DEP_3)
	v_cndmask_b32_e64 v156, 0, v8, s40
	v_dual_mul_f32 v8, v166, v167 :: v_dual_mul_f32 v167, v151, v149
	v_cmp_gt_f32_e32 vcc_lo, 0xc2fc0000, v161
	s_delay_alu instid0(VALU_DEP_2) | instskip(SKIP_3) | instid1(VALU_DEP_3)
	v_cndmask_b32_e64 v172, 1.0, v8, s41
	v_cndmask_b32_e64 v166, 0, 0x42800000, vcc_lo
	v_mul_f32_e32 v9, v134, v9
	v_cndmask_b32_e64 v8, 1.0, 0x1f800000, vcc_lo
	v_fmac_f32_e32 v166, v168, v122
	s_delay_alu instid0(VALU_DEP_3)
	v_cndmask_b32_e64 v161, 0, v9, s41
	v_mul_f32_e32 v9, v167, v152
	v_fma_f32 v167, v169, v152, v13
	v_cndmask_b32_e64 v169, 0, 0x42800000, s46
	v_exp_f32_e32 v166, v166
	v_cmp_gt_f32_e64 s46, 0xc2fc0000, v173
	v_mul_f32_e32 v9, v9, v154
	v_fma_f32 v167, v167, v154, v14
	v_fmac_f32_e32 v169, v168, v123
	s_delay_alu instid0(VALU_DEP_3) | instskip(NEXT) | instid1(VALU_DEP_3)
	v_mul_f32_e32 v9, v9, v157
	v_fma_f32 v167, v167, v157, v15
	s_delay_alu instid0(VALU_DEP_3)
	v_exp_f32_e32 v169, v169
	s_delay_alu instid0(TRANS32_DEP_2) | instid1(VALU_DEP_2)
	v_dual_mul_f32 v8, v166, v8 :: v_dual_mul_f32 v9, v9, v158
	s_delay_alu instid0(VALU_DEP_2) | instskip(NEXT) | instid1(VALU_DEP_2)
	v_fma_f32 v166, v167, v158, v146
	v_cndmask_b32_e64 v167, 1.0, v8, s42
	s_delay_alu instid0(VALU_DEP_3) | instskip(NEXT) | instid1(VALU_DEP_3)
	v_mul_f32_e32 v8, v9, v159
	v_fma_f32 v9, v166, v159, v147
	v_mul_f32_e32 v166, v168, v124
	s_delay_alu instid0(VALU_DEP_3) | instskip(NEXT) | instid1(VALU_DEP_3)
	v_mul_f32_e32 v8, v8, v160
	v_fma_f32 v9, v9, v160, v150
	s_delay_alu instid0(VALU_DEP_3)
	v_cmp_gt_f32_e32 vcc_lo, 0xc2fc0000, v166
	v_mul_f32_e32 v165, v133, v165
	v_cndmask_b32_e64 v166, 0, v10, s43
	v_mul_f32_e32 v8, v8, v162
	v_fma_f32 v9, v9, v162, v153
	v_cndmask_b32_e64 v10, 0, 0x42800000, s46
	v_mul_f32_e32 v169, v169, v171
	v_cndmask_b32_e64 v171, 0, 0x42800000, vcc_lo
	v_mul_f32_e32 v8, v8, v163
	v_fma_f32 v9, v9, v163, v155
	v_fmac_f32_e32 v10, v168, v125
	v_cndmask_b32_e64 v165, 0, v165, s42
	v_fmac_f32_e32 v171, v168, v124
	v_mul_f32_e32 v8, v8, v164
	v_fma_f32 v9, v9, v164, v156
	v_cndmask_b32_e64 v168, 1.0, 0x1f800000, vcc_lo
	v_exp_f32_e32 v10, v10
	v_exp_f32_e32 v171, v171
	v_mul_f32_e32 v8, v8, v172
	v_fma_f32 v9, v9, v172, v161
	v_cndmask_b32_e64 v169, 1.0, v169, s43
	s_delay_alu instid0(VALU_DEP_3) | instskip(NEXT) | instid1(VALU_DEP_3)
	v_mul_f32_e32 v8, v8, v167
	v_fma_f32 v9, v9, v167, v165
	s_waitcnt_depctr 0xfff
	v_mul_f32_e32 v171, v171, v168
	v_cndmask_b32_e64 v168, 0, v170, s44
	v_cndmask_b32_e64 v170, 1.0, 0x1f800000, s46
	v_mul_f32_e32 v8, v8, v169
	v_fma_f32 v9, v9, v169, v166
	v_cndmask_b32_e64 v171, 1.0, v171, s44
	s_delay_alu instid0(VALU_DEP_4) | instskip(SKIP_1) | instid1(VALU_DEP_3)
	v_mul_f32_e32 v10, v10, v170
	v_cndmask_b32_e64 v170, 0, v11, s45
	v_mul_f32_e32 v8, v8, v171
	v_fma_f32 v9, v9, v171, v168
	s_delay_alu instid0(VALU_DEP_4) | instskip(NEXT) | instid1(VALU_DEP_1)
	v_cndmask_b32_e64 v173, 1.0, v10, s45
	v_mul_f32_e32 v8, v8, v173
	s_delay_alu instid0(VALU_DEP_3) | instskip(NEXT) | instid1(VALU_DEP_2)
	v_fma_f32 v9, v9, v173, v170
	v_mov_b32_dpp v11, v8 row_shr:1 row_mask:0xf bank_mask:0xf
	s_delay_alu instid0(VALU_DEP_2)
	v_mov_b32_dpp v10, v9 row_shr:1 row_mask:0xf bank_mask:0xf
	s_and_saveexec_b32 s46, s0
; %bb.180:                              ;   in Loop: Header=BB24_109 Depth=2
	s_delay_alu instid0(VALU_DEP_2) | instskip(NEXT) | instid1(VALU_DEP_1)
	v_mul_f32_e32 v11, v8, v11
	v_dual_fmac_f32 v9, v8, v10 :: v_dual_mov_b32 v8, v11
; %bb.181:                              ;   in Loop: Header=BB24_109 Depth=2
	s_or_b32 exec_lo, exec_lo, s46
	s_delay_alu instid0(VALU_DEP_1) | instskip(NEXT) | instid1(VALU_DEP_2)
	v_mov_b32_dpp v10, v8 row_shr:2 row_mask:0xf bank_mask:0xf
	v_mov_b32_dpp v11, v9 row_shr:2 row_mask:0xf bank_mask:0xf
	s_and_saveexec_b32 s46, s1
; %bb.182:                              ;   in Loop: Header=BB24_109 Depth=2
	s_delay_alu instid0(VALU_DEP_1) | instskip(NEXT) | instid1(VALU_DEP_3)
	v_fmac_f32_e32 v9, v8, v11
	v_mul_f32_e32 v8, v8, v10
; %bb.183:                              ;   in Loop: Header=BB24_109 Depth=2
	s_or_b32 exec_lo, exec_lo, s46
	s_delay_alu instid0(VALU_DEP_1) | instskip(NEXT) | instid1(VALU_DEP_3)
	v_mov_b32_dpp v10, v8 row_shr:4 row_mask:0xf bank_mask:0xf
	v_mov_b32_dpp v11, v9 row_shr:4 row_mask:0xf bank_mask:0xf
	s_and_saveexec_b32 s46, s2
; %bb.184:                              ;   in Loop: Header=BB24_109 Depth=2
	s_delay_alu instid0(VALU_DEP_1) | instskip(NEXT) | instid1(VALU_DEP_3)
	v_fmac_f32_e32 v9, v8, v11
	v_mul_f32_e32 v8, v8, v10
; %bb.185:                              ;   in Loop: Header=BB24_109 Depth=2
	s_or_b32 exec_lo, exec_lo, s46
	s_delay_alu instid0(VALU_DEP_1) | instskip(NEXT) | instid1(VALU_DEP_3)
	v_mov_b32_dpp v10, v8 row_shr:8 row_mask:0xf bank_mask:0xf
	v_mov_b32_dpp v11, v9 row_shr:8 row_mask:0xf bank_mask:0xf
	s_and_saveexec_b32 s46, s3
; %bb.186:                              ;   in Loop: Header=BB24_109 Depth=2
	s_delay_alu instid0(VALU_DEP_1) | instskip(NEXT) | instid1(VALU_DEP_3)
	v_fmac_f32_e32 v9, v8, v11
	v_mul_f32_e32 v8, v8, v10
; %bb.187:                              ;   in Loop: Header=BB24_109 Depth=2
	s_or_b32 exec_lo, exec_lo, s46
	ds_swizzle_b32 v11, v8 offset:swizzle(BROADCAST,32,15)
	ds_swizzle_b32 v10, v9 offset:swizzle(BROADCAST,32,15)
	s_and_saveexec_b32 s46, s4
	s_cbranch_execz .LBB24_189
; %bb.188:                              ;   in Loop: Header=BB24_109 Depth=2
	s_waitcnt lgkmcnt(1)
	v_mul_f32_e32 v11, v8, v11
	s_waitcnt lgkmcnt(0)
	s_delay_alu instid0(VALU_DEP_1)
	v_dual_fmac_f32 v9, v8, v10 :: v_dual_mov_b32 v8, v11
.LBB24_189:                             ;   in Loop: Header=BB24_109 Depth=2
	s_or_b32 exec_lo, exec_lo, s46
	s_and_saveexec_b32 s46, s5
	s_cbranch_execz .LBB24_191
; %bb.190:                              ;   in Loop: Header=BB24_109 Depth=2
	ds_store_b64 v69, v[8:9] offset:8448
.LBB24_191:                             ;   in Loop: Header=BB24_109 Depth=2
	s_or_b32 exec_lo, exec_lo, s46
	s_waitcnt lgkmcnt(0)
	s_waitcnt_vscnt null, 0x0
	s_barrier
	buffer_gl0_inv
	s_and_saveexec_b32 s46, s6
	s_cbranch_execz .LBB24_195
; %bb.192:                              ;   in Loop: Header=BB24_109 Depth=2
	ds_load_b64 v[10:11], v70 offset:8448
	s_waitcnt lgkmcnt(0)
	v_mov_b32_dpp v176, v10 row_shr:1 row_mask:0xf bank_mask:0xf
	v_mov_b32_dpp v175, v11 row_shr:1 row_mask:0xf bank_mask:0xf
	v_mov_b32_e32 v174, v10
	s_and_saveexec_b32 s47, s7
; %bb.193:                              ;   in Loop: Header=BB24_109 Depth=2
	s_delay_alu instid0(VALU_DEP_3) | instskip(NEXT) | instid1(VALU_DEP_3)
	v_mul_f32_e32 v174, v10, v176
	v_fmac_f32_e32 v11, v10, v175
	s_delay_alu instid0(VALU_DEP_2)
	v_mov_b32_e32 v10, v174
; %bb.194:                              ;   in Loop: Header=BB24_109 Depth=2
	s_or_b32 exec_lo, exec_lo, s47
	v_mov_b32_dpp v174, v174 row_shr:2 row_mask:0xf bank_mask:0xf
	s_delay_alu instid0(VALU_DEP_3) | instskip(NEXT) | instid1(VALU_DEP_2)
	v_mov_b32_dpp v175, v11 row_shr:2 row_mask:0xf bank_mask:0xf
	v_mul_f32_e32 v174, v10, v174
	s_delay_alu instid0(VALU_DEP_2) | instskip(NEXT) | instid1(VALU_DEP_2)
	v_fma_f32 v175, v10, v175, v11
	v_cndmask_b32_e64 v10, v10, v174, s8
	s_delay_alu instid0(VALU_DEP_2)
	v_cndmask_b32_e64 v11, v11, v175, s8
	ds_store_b64 v70, v[10:11] offset:8448
.LBB24_195:                             ;   in Loop: Header=BB24_109 Depth=2
	s_or_b32 exec_lo, exec_lo, s46
	s_waitcnt lgkmcnt(0)
	s_barrier
	buffer_gl0_inv
                                        ; implicit-def: $vgpr11
	s_and_saveexec_b32 s46, s10
	s_cbranch_execz .LBB24_197
; %bb.196:                              ;   in Loop: Header=BB24_109 Depth=2
	ds_load_b64 v[10:11], v69 offset:8440
	s_waitcnt lgkmcnt(0)
	v_mul_f32_e32 v174, v8, v10
	s_delay_alu instid0(VALU_DEP_1)
	v_dual_fmac_f32 v9, v8, v11 :: v_dual_mov_b32 v8, v174
.LBB24_197:                             ;   in Loop: Header=BB24_109 Depth=2
	s_or_b32 exec_lo, exec_lo, s46
	ds_bpermute_b32 v174, v71, v8
	ds_bpermute_b32 v175, v71, v9
	s_and_saveexec_b32 s46, s9
	s_cbranch_execz .LBB24_201
; %bb.198:                              ;   in Loop: Header=BB24_109 Depth=2
	ds_load_b64 v[8:9], v21 offset:8472
	s_and_saveexec_b32 s47, s11
	s_cbranch_execz .LBB24_200
; %bb.199:                              ;   in Loop: Header=BB24_109 Depth=2
	ds_store_b64 v21, v[16:17] offset:8472
.LBB24_200:                             ;   in Loop: Header=BB24_109 Depth=2
	s_or_b32 exec_lo, exec_lo, s47
	s_waitcnt lgkmcnt(0)
	v_fmac_f32_e32 v9, v8, v17
	s_delay_alu instid0(VALU_DEP_1)
	v_dual_mul_f32 v16, v16, v8 :: v_dual_mov_b32 v17, v9
.LBB24_201:                             ;   in Loop: Header=BB24_109 Depth=2
	s_or_b32 exec_lo, exec_lo, s46
	s_waitcnt lgkmcnt(0)
	s_barrier
	buffer_gl0_inv
	ds_load_b32 v8, v21 offset:8476
	s_and_saveexec_b32 s46, s11
	s_cbranch_execz .LBB24_108
; %bb.202:                              ;   in Loop: Header=BB24_109 Depth=2
	v_mov_b32_e32 v9, s89
	s_and_not1_b32 vcc_lo, exec_lo, s87
	ds_store_b64 v9, v[16:17]
	s_cbranch_vccnz .LBB24_108
; %bb.203:                              ;   in Loop: Header=BB24_109 Depth=2
	v_bfe_u32 v9, v17, 16, 1
	v_cmp_o_f32_e32 vcc_lo, v17, v17
	s_mov_b32 s59, s65
	s_delay_alu instid0(SALU_CYCLE_1) | instskip(NEXT) | instid1(VALU_DEP_2)
	s_lshl_b64 s[90:91], s[58:59], 1
	v_add3_u32 v9, v17, v9, 0x7fff
	s_add_u32 s90, s76, s90
	s_addc_u32 s91, s77, s91
	s_delay_alu instid0(VALU_DEP_1) | instskip(NEXT) | instid1(VALU_DEP_1)
	v_lshrrev_b32_e32 v9, 16, v9
	v_cndmask_b32_e32 v9, 0x7fc0, v9, vcc_lo
	global_store_b16 v21, v9, s[90:91]
	s_branch .LBB24_108
.LBB24_204:                             ;   in Loop: Header=BB24_12 Depth=1
	v_bfe_u32 v0, v119, 16, 1
	v_bfe_u32 v1, v120, 16, 1
	v_cmp_o_f32_e32 vcc_lo, v119, v119
	v_bfe_u32 v2, v117, 16, 1
	v_bfe_u32 v4, v115, 16, 1
	v_add3_u32 v0, v119, v0, 0x7fff
	v_add3_u32 v1, v120, v1, 0x7fff
	v_bfe_u32 v7, v111, 16, 1
	v_add3_u32 v2, v117, v2, 0x7fff
	v_bfe_u32 v6, v112, 16, 1
	v_lshrrev_b32_e32 v0, 16, v0
	v_lshrrev_b32_e32 v1, 16, v1
	v_add3_u32 v4, v115, v4, 0x7fff
	v_lshrrev_b32_e32 v2, 16, v2
	v_add3_u32 v7, v111, v7, 0x7fff
	v_cndmask_b32_e32 v0, 0x7fc0, v0, vcc_lo
	v_cmp_o_f32_e32 vcc_lo, v120, v120
	v_add3_u32 v6, v112, v6, 0x7fff
	v_bfe_u32 v3, v118, 16, 1
	v_bfe_u32 v10, v107, 16, 1
	v_bfe_u32 v11, v101, 16, 1
	v_cndmask_b32_e32 v5, 0x7fc0, v1, vcc_lo
	v_bfe_u32 v1, v114, 16, 1
	v_cmp_o_f32_e32 vcc_lo, v117, v117
	v_lshrrev_b32_e32 v6, 16, v6
	v_add3_u32 v3, v118, v3, 0x7fff
	v_bfe_u32 v12, v104, 16, 1
	v_add3_u32 v1, v114, v1, 0x7fff
	v_cndmask_b32_e32 v8, 0x7fc0, v2, vcc_lo
	v_cmp_o_f32_e32 vcc_lo, v114, v114
	v_lshrrev_b32_e32 v2, 16, v4
	v_lshrrev_b32_e32 v4, 16, v7
	;; [unrolled: 1-line block ×4, first 2 shown]
	v_bfe_u32 v7, v109, 16, 1
	v_add3_u32 v11, v101, v11, 0x7fff
	v_perm_b32 v0, v5, v0, 0x5040100
	v_cndmask_b32_e32 v1, 0x7fc0, v1, vcc_lo
	v_cmp_o_f32_e32 vcc_lo, v111, v111
	s_waitcnt_vscnt null, 0x0
	s_barrier
	buffer_gl0_inv
	s_mov_b32 s51, s65
	v_cndmask_b32_e32 v4, 0x7fc0, v4, vcc_lo
	v_cmp_o_f32_e32 vcc_lo, v112, v112
	s_lshl_b64 s[34:35], s[50:51], 1
	v_cndmask_b32_e32 v6, 0x7fc0, v6, vcc_lo
	v_cmp_o_f32_e32 vcc_lo, v115, v115
	v_cndmask_b32_e32 v2, 0x7fc0, v2, vcc_lo
	v_cmp_o_f32_e32 vcc_lo, v118, v118
	s_delay_alu instid0(VALU_DEP_2)
	v_perm_b32 v2, v2, v1, 0x5040100
	v_cndmask_b32_e32 v9, 0x7fc0, v3, vcc_lo
	v_perm_b32 v3, v6, v4, 0x5040100
	v_add3_u32 v6, v109, v7, 0x7fff
	v_bfe_u32 v7, v106, 16, 1
	v_cmp_o_f32_e32 vcc_lo, v109, v109
	v_perm_b32 v1, v9, v8, 0x5040100
	v_add3_u32 v8, v107, v10, 0x7fff
	v_lshrrev_b32_e32 v6, 16, v6
	v_add3_u32 v7, v106, v7, 0x7fff
	v_bfe_u32 v10, v103, 16, 1
	v_bfe_u32 v4, v110, 16, 1
	s_delay_alu instid0(VALU_DEP_4) | instskip(NEXT) | instid1(VALU_DEP_4)
	v_cndmask_b32_e32 v9, 0x7fc0, v6, vcc_lo
	v_lshrrev_b32_e32 v6, 16, v7
	v_lshrrev_b32_e32 v7, 16, v8
	v_bfe_u32 v8, v102, 16, 1
	v_cmp_o_f32_e32 vcc_lo, v106, v106
	v_add3_u32 v4, v110, v4, 0x7fff
	s_delay_alu instid0(VALU_DEP_3)
	v_add3_u32 v8, v102, v8, 0x7fff
	v_cndmask_b32_e32 v13, 0x7fc0, v6, vcc_lo
	v_cmp_o_f32_e32 vcc_lo, v107, v107
	v_add3_u32 v6, v103, v10, 0x7fff
	v_add3_u32 v10, v104, v12, 0x7fff
	v_lshrrev_b32_e32 v4, 16, v4
	v_cndmask_b32_e32 v12, 0x7fc0, v7, vcc_lo
	v_lshrrev_b32_e32 v7, 16, v8
	v_cmp_o_f32_e32 vcc_lo, v102, v102
	v_lshrrev_b32_e32 v8, 16, v11
	v_lshrrev_b32_e32 v10, 16, v10
	;; [unrolled: 1-line block ×3, first 2 shown]
	v_perm_b32 v5, v12, v13, 0x5040100
	v_cndmask_b32_e32 v11, 0x7fc0, v7, vcc_lo
	v_cmp_o_f32_e32 vcc_lo, v101, v101
	v_cndmask_b32_e32 v7, 0x7fc0, v8, vcc_lo
	v_cmp_o_f32_e32 vcc_lo, v104, v104
	;; [unrolled: 2-line block ×3, first 2 shown]
	s_delay_alu instid0(VALU_DEP_2) | instskip(SKIP_2) | instid1(VALU_DEP_2)
	v_perm_b32 v7, v8, v7, 0x5040100
	v_cndmask_b32_e32 v6, 0x7fc0, v6, vcc_lo
	v_cmp_o_f32_e32 vcc_lo, v110, v110
	v_perm_b32 v6, v6, v11, 0x5040100
	v_cndmask_b32_e32 v4, 0x7fc0, v4, vcc_lo
	s_delay_alu instid0(VALU_DEP_1)
	v_perm_b32 v4, v4, v9, 0x5040100
	ds_store_b128 v52, v[0:3]
	ds_store_b128 v52, v[4:7] offset:16
	; wave barrier
	ds_load_u16 v16, v37 offset:64
	ds_load_u16 v15, v38 offset:128
	;; [unrolled: 1-line block ×15, first 2 shown]
	v_add_co_u32 v0, vcc_lo, v72, s34
	v_add_co_ci_u32_e32 v1, vcc_lo, s35, v73, vcc_lo
	s_and_saveexec_b32 s29, s13
	s_cbranch_execnz .LBB24_271
; %bb.205:                              ;   in Loop: Header=BB24_12 Depth=1
	s_or_b32 exec_lo, exec_lo, s29
	s_and_saveexec_b32 s29, s14
	s_cbranch_execnz .LBB24_272
.LBB24_206:                             ;   in Loop: Header=BB24_12 Depth=1
	s_or_b32 exec_lo, exec_lo, s29
	s_and_saveexec_b32 s29, s15
	s_cbranch_execnz .LBB24_273
.LBB24_207:                             ;   in Loop: Header=BB24_12 Depth=1
	s_or_b32 exec_lo, exec_lo, s29
	s_and_saveexec_b32 s29, s16
	s_cbranch_execnz .LBB24_274
.LBB24_208:                             ;   in Loop: Header=BB24_12 Depth=1
	s_or_b32 exec_lo, exec_lo, s29
	s_and_saveexec_b32 s29, s17
	s_cbranch_execnz .LBB24_275
.LBB24_209:                             ;   in Loop: Header=BB24_12 Depth=1
	s_or_b32 exec_lo, exec_lo, s29
	s_and_saveexec_b32 s29, s18
	s_cbranch_execnz .LBB24_276
.LBB24_210:                             ;   in Loop: Header=BB24_12 Depth=1
	s_or_b32 exec_lo, exec_lo, s29
	s_and_saveexec_b32 s29, s19
	s_cbranch_execnz .LBB24_277
.LBB24_211:                             ;   in Loop: Header=BB24_12 Depth=1
	s_or_b32 exec_lo, exec_lo, s29
	s_and_saveexec_b32 s29, s20
	s_cbranch_execnz .LBB24_278
.LBB24_212:                             ;   in Loop: Header=BB24_12 Depth=1
	s_or_b32 exec_lo, exec_lo, s29
	s_and_saveexec_b32 s29, s21
	s_cbranch_execnz .LBB24_279
.LBB24_213:                             ;   in Loop: Header=BB24_12 Depth=1
	s_or_b32 exec_lo, exec_lo, s29
	s_and_saveexec_b32 s29, s22
	s_cbranch_execnz .LBB24_280
.LBB24_214:                             ;   in Loop: Header=BB24_12 Depth=1
	s_or_b32 exec_lo, exec_lo, s29
	s_and_saveexec_b32 s29, s23
	s_cbranch_execnz .LBB24_281
.LBB24_215:                             ;   in Loop: Header=BB24_12 Depth=1
	s_or_b32 exec_lo, exec_lo, s29
	s_and_saveexec_b32 s29, s24
	s_cbranch_execnz .LBB24_282
.LBB24_216:                             ;   in Loop: Header=BB24_12 Depth=1
	s_or_b32 exec_lo, exec_lo, s29
	s_and_saveexec_b32 s29, s25
	s_cbranch_execnz .LBB24_283
.LBB24_217:                             ;   in Loop: Header=BB24_12 Depth=1
	s_or_b32 exec_lo, exec_lo, s29
	s_and_saveexec_b32 s29, s26
	s_cbranch_execnz .LBB24_284
.LBB24_218:                             ;   in Loop: Header=BB24_12 Depth=1
	s_or_b32 exec_lo, exec_lo, s29
	s_and_saveexec_b32 s29, s27
	s_cbranch_execnz .LBB24_285
.LBB24_219:                             ;   in Loop: Header=BB24_12 Depth=1
	s_or_b32 exec_lo, exec_lo, s29
	s_and_saveexec_b32 s29, s28
	s_cbranch_execz .LBB24_221
.LBB24_220:                             ;   in Loop: Header=BB24_12 Depth=1
	s_waitcnt lgkmcnt(0)
	global_store_b16 v[0:1], v2, off offset:960
.LBB24_221:                             ;   in Loop: Header=BB24_12 Depth=1
	s_or_b32 exec_lo, exec_lo, s29
	v_add_co_u32 v0, vcc_lo, v74, s34
	v_add_co_ci_u32_e32 v1, vcc_lo, s35, v75, vcc_lo
	s_waitcnt lgkmcnt(0)
	v_dual_mov_b32 v2, 0 :: v_dual_mov_b32 v3, 0
	s_waitcnt_vscnt null, 0x0
	s_barrier
	buffer_gl0_inv
	s_and_saveexec_b32 s29, s13
	s_cbranch_execz .LBB24_223
; %bb.222:                              ;   in Loop: Header=BB24_12 Depth=1
	global_load_u16 v3, v[0:1], off
.LBB24_223:                             ;   in Loop: Header=BB24_12 Depth=1
	s_or_b32 exec_lo, exec_lo, s29
	s_and_saveexec_b32 s29, s14
	s_cbranch_execz .LBB24_225
; %bb.224:                              ;   in Loop: Header=BB24_12 Depth=1
	global_load_u16 v2, v[0:1], off offset:64
.LBB24_225:                             ;   in Loop: Header=BB24_12 Depth=1
	s_or_b32 exec_lo, exec_lo, s29
	v_dual_mov_b32 v4, 0 :: v_dual_mov_b32 v5, 0
	s_and_saveexec_b32 s29, s15
	s_cbranch_execz .LBB24_227
; %bb.226:                              ;   in Loop: Header=BB24_12 Depth=1
	global_load_u16 v5, v[0:1], off offset:128
.LBB24_227:                             ;   in Loop: Header=BB24_12 Depth=1
	s_or_b32 exec_lo, exec_lo, s29
	s_and_saveexec_b32 s29, s16
	s_cbranch_execz .LBB24_229
; %bb.228:                              ;   in Loop: Header=BB24_12 Depth=1
	global_load_u16 v4, v[0:1], off offset:192
.LBB24_229:                             ;   in Loop: Header=BB24_12 Depth=1
	s_or_b32 exec_lo, exec_lo, s29
	v_dual_mov_b32 v6, 0 :: v_dual_mov_b32 v7, 0
	s_and_saveexec_b32 s29, s17
	s_cbranch_execz .LBB24_231
; %bb.230:                              ;   in Loop: Header=BB24_12 Depth=1
	global_load_u16 v7, v[0:1], off offset:256
.LBB24_231:                             ;   in Loop: Header=BB24_12 Depth=1
	;; [unrolled: 13-line block ×7, first 2 shown]
	s_or_b32 exec_lo, exec_lo, s29
	s_and_saveexec_b32 s29, s28
	s_cbranch_execz .LBB24_253
; %bb.252:                              ;   in Loop: Header=BB24_12 Depth=1
	global_load_u16 v16, v[0:1], off offset:960
.LBB24_253:                             ;   in Loop: Header=BB24_12 Depth=1
	s_or_b32 exec_lo, exec_lo, s29
	s_waitcnt vmcnt(0)
	ds_store_b16 v37, v3
	ds_store_b16 v37, v2 offset:64
	ds_store_b16 v38, v5 offset:128
	;; [unrolled: 1-line block ×15, first 2 shown]
	; wave barrier
	ds_load_b128 v[4:7], v52
	ds_load_b128 v[0:3], v52 offset:16
	s_waitcnt lgkmcnt(0)
	s_barrier
	buffer_gl0_inv
	v_and_b32_e32 v8, 0xffff0000, v4
	v_and_b32_e32 v15, 0xffff0000, v5
	;; [unrolled: 1-line block ×3, first 2 shown]
	v_lshlrev_b32_e32 v5, 16, v5
	s_delay_alu instid0(VALU_DEP_4) | instskip(NEXT) | instid1(VALU_DEP_3)
	v_mul_f32_e32 v9, 0xbfb8aa3b, v8
	v_mul_f32_e32 v17, 0xbfb8aa3b, v16
	s_delay_alu instid0(VALU_DEP_3) | instskip(NEXT) | instid1(VALU_DEP_3)
	v_cmp_nlt_f32_e64 s30, 0x42ce8ed0, v5
	v_fma_f32 v11, 0xbfb8aa3b, v8, -v9
	v_rndne_f32_e32 v12, v9
	s_delay_alu instid0(VALU_DEP_4) | instskip(NEXT) | instid1(VALU_DEP_3)
	v_rndne_f32_e32 v100, v17
	v_fmac_f32_e32 v11, 0xb2a5705f, v8
	s_delay_alu instid0(VALU_DEP_3) | instskip(SKIP_1) | instid1(VALU_DEP_2)
	v_sub_f32_e32 v9, v9, v12
	v_cvt_i32_f32_e32 v12, v12
	v_add_f32_e32 v9, v9, v11
	v_cmp_nlt_f32_e32 vcc_lo, 0x42ce8ed0, v8
	v_lshlrev_b32_e32 v11, 16, v6
	s_delay_alu instid0(VALU_DEP_3) | instskip(SKIP_2) | instid1(VALU_DEP_1)
	v_exp_f32_e32 v9, v9
	s_waitcnt_depctr 0xfff
	v_ldexp_f32 v9, v9, v12
	v_dual_cndmask_b32 v9, 0, v9 :: v_dual_lshlrev_b32 v4, 16, v4
	s_delay_alu instid0(VALU_DEP_1) | instskip(SKIP_1) | instid1(VALU_DEP_2)
	v_mul_f32_e32 v10, 0xbfb8aa3b, v4
	v_cmp_nlt_f32_e32 vcc_lo, 0x42ce8ed0, v4
	v_rndne_f32_e32 v13, v10
	v_fma_f32 v14, 0xbfb8aa3b, v4, -v10
	s_delay_alu instid0(VALU_DEP_2) | instskip(NEXT) | instid1(VALU_DEP_2)
	v_sub_f32_e32 v10, v10, v13
	v_fmac_f32_e32 v14, 0xb2a5705f, v4
	v_cvt_i32_f32_e32 v13, v13
	s_delay_alu instid0(VALU_DEP_2) | instskip(SKIP_2) | instid1(VALU_DEP_3)
	v_add_f32_e32 v6, v10, v14
	v_mul_f32_e32 v14, 0xbfb8aa3b, v5
	v_mul_f32_e32 v10, 0xbfb8aa3b, v15
	v_exp_f32_e32 v6, v6
	s_delay_alu instid0(VALU_DEP_1) | instskip(SKIP_1) | instid1(VALU_DEP_2)
	v_fma_f32 v94, 0xbfb8aa3b, v15, -v10
	v_rndne_f32_e32 v95, v10
	v_fmac_f32_e32 v94, 0xb2a5705f, v15
	s_waitcnt_depctr 0xfff
	v_ldexp_f32 v6, v6, v13
	v_mul_f32_e32 v13, 0xbfb8aa3b, v11
	v_rndne_f32_e32 v96, v14
	v_fma_f32 v97, 0xbfb8aa3b, v5, -v14
	v_sub_f32_e32 v10, v10, v95
	v_cndmask_b32_e32 v6, 0, v6, vcc_lo
	v_cmp_ngt_f32_e32 vcc_lo, 0xc2b17218, v8
	s_delay_alu instid0(VALU_DEP_4) | instskip(SKIP_4) | instid1(VALU_DEP_2)
	v_dual_sub_f32 v12, v14, v96 :: v_dual_fmac_f32 v97, 0xb2a5705f, v5
	v_cvt_i32_f32_e32 v95, v95
	v_cvt_i32_f32_e32 v96, v96
	v_cndmask_b32_e32 v9, 0x7f800000, v9, vcc_lo
	v_cmp_ngt_f32_e32 vcc_lo, 0xc2b17218, v4
	v_dual_add_f32 v9, 1.0, v9 :: v_dual_cndmask_b32 v6, 0x7f800000, v6
	v_cmp_nlt_f32_e32 vcc_lo, 0x42ce8ed0, v15
	s_delay_alu instid0(VALU_DEP_2) | instskip(NEXT) | instid1(VALU_DEP_3)
	v_div_scale_f32 v14, null, v9, v9, v8
	v_add_f32_e32 v6, 1.0, v6
	s_delay_alu instid0(VALU_DEP_2) | instskip(NEXT) | instid1(VALU_DEP_1)
	v_rcp_f32_e32 v98, v14
	v_div_scale_f32 v113, s29, v4, v6, v4
	v_add_f32_e32 v12, v12, v97
	v_fma_f32 v97, 0xbfb8aa3b, v16, -v17
	v_dual_add_f32 v10, v10, v94 :: v_dual_sub_f32 v17, v17, v100
	v_div_scale_f32 v94, null, v6, v6, v4
	s_delay_alu instid0(VALU_DEP_3) | instskip(NEXT) | instid1(VALU_DEP_3)
	v_fmac_f32_e32 v97, 0xb2a5705f, v16
	v_exp_f32_e32 v10, v10
	v_cvt_i32_f32_e32 v100, v100
	s_delay_alu instid0(VALU_DEP_3) | instskip(NEXT) | instid1(VALU_DEP_2)
	v_rcp_f32_e32 v99, v94
	v_add_f32_e32 v17, v17, v97
	s_waitcnt_depctr 0xfff
	v_ldexp_f32 v10, v10, v95
	v_rndne_f32_e32 v95, v13
	v_fma_f32 v105, -v94, v99, 1.0
	s_delay_alu instid0(VALU_DEP_1) | instskip(NEXT) | instid1(VALU_DEP_1)
	v_fmac_f32_e32 v99, v105, v99
	v_mul_f32_e32 v105, v113, v99
	v_exp_f32_e32 v12, v12
	s_delay_alu instid0(VALU_DEP_1) | instskip(SKIP_2) | instid1(VALU_DEP_3)
	v_fma_f32 v121, -v94, v105, v113
	v_cndmask_b32_e32 v10, 0, v10, vcc_lo
	v_div_scale_f32 v108, vcc_lo, v8, v9, v8
	v_fmac_f32_e32 v105, v121, v99
	s_waitcnt_depctr 0xfff
	v_ldexp_f32 v12, v12, v96
	v_fma_f32 v96, -v14, v98, 1.0
	v_fma_f32 v94, -v94, v105, v113
	s_delay_alu instid0(VALU_DEP_3) | instskip(SKIP_1) | instid1(VALU_DEP_4)
	v_cndmask_b32_e64 v12, 0, v12, s30
	v_cmp_ngt_f32_e64 s30, 0xc2b17218, v15
	v_fmac_f32_e32 v98, v96, v98
	s_delay_alu instid0(VALU_DEP_2) | instskip(SKIP_1) | instid1(VALU_DEP_2)
	v_cndmask_b32_e64 v10, 0x7f800000, v10, s30
	v_cmp_ngt_f32_e64 s30, 0xc2b17218, v5
	v_add_f32_e32 v10, 1.0, v10
	s_delay_alu instid0(VALU_DEP_2) | instskip(SKIP_1) | instid1(VALU_DEP_3)
	v_cndmask_b32_e64 v12, 0x7f800000, v12, s30
	v_cmp_nlt_f32_e64 s30, 0x42ce8ed0, v16
	v_div_scale_f32 v122, null, v10, v10, v15
	s_delay_alu instid0(VALU_DEP_1) | instskip(SKIP_1) | instid1(VALU_DEP_1)
	v_rcp_f32_e32 v121, v122
	v_mul_f32_e32 v96, v108, v98
	v_fma_f32 v116, -v14, v96, v108
	s_delay_alu instid0(VALU_DEP_1) | instskip(NEXT) | instid1(VALU_DEP_1)
	v_fmac_f32_e32 v96, v116, v98
	v_fma_f32 v14, -v14, v96, v108
	v_sub_f32_e32 v108, v13, v95
	v_fma_f32 v13, 0xbfb8aa3b, v11, -v13
	v_add_f32_e32 v12, 1.0, v12
	v_cvt_i32_f32_e32 v95, v95
	v_div_fmas_f32 v14, v14, v98, v96
	s_mov_b32 vcc_lo, s29
	v_fmac_f32_e32 v13, 0xb2a5705f, v11
	v_div_scale_f32 v116, null, v12, v12, v5
	v_div_fmas_f32 v94, v94, v99, v105
	v_div_fixup_f32 v8, v14, v9, v8
	v_fma_f32 v9, -v122, v121, 1.0
	s_delay_alu instid0(VALU_DEP_4) | instskip(SKIP_2) | instid1(VALU_DEP_3)
	v_rcp_f32_e32 v96, v116
	v_div_scale_f32 v98, s29, v5, v12, v5
	v_div_fixup_f32 v4, v94, v6, v4
	v_fmac_f32_e32 v121, v9, v121
	s_delay_alu instid0(VALU_DEP_2)
	v_mul_f32_e32 v9, v119, v4
	v_div_scale_f32 v6, vcc_lo, v15, v10, v15
	s_waitcnt_depctr 0xfff
	v_fma_f32 v14, -v116, v96, 1.0
	v_exp_f32_e32 v4, v17
	v_bfe_u32 v97, v9, 16, 1
	s_delay_alu instid0(VALU_DEP_2) | instskip(NEXT) | instid1(VALU_DEP_2)
	v_fmac_f32_e32 v96, v14, v96
	v_add3_u32 v14, v9, v97, 0x7fff
	s_delay_alu instid0(VALU_DEP_2) | instskip(SKIP_2) | instid1(VALU_DEP_4)
	v_mul_f32_e32 v97, v98, v96
	v_add_f32_e32 v13, v108, v13
	v_mul_f32_e32 v94, v6, v121
	v_lshrrev_b32_e32 v14, 16, v14
	s_delay_alu instid0(TRANS32_DEP_1) | instskip(NEXT) | instid1(VALU_DEP_4)
	v_ldexp_f32 v4, v4, v100
	v_exp_f32_e32 v13, v13
	s_delay_alu instid0(VALU_DEP_3) | instskip(NEXT) | instid1(VALU_DEP_2)
	v_fma_f32 v99, -v122, v94, v6
	v_cndmask_b32_e64 v4, 0, v4, s30
	s_delay_alu instid0(VALU_DEP_2) | instskip(SKIP_1) | instid1(VALU_DEP_2)
	v_fmac_f32_e32 v94, v99, v121
	v_fma_f32 v99, -v116, v97, v98
	v_fma_f32 v6, -v122, v94, v6
	s_delay_alu instid0(VALU_DEP_2) | instskip(SKIP_1) | instid1(VALU_DEP_3)
	v_fmac_f32_e32 v97, v99, v96
	v_lshlrev_b32_e32 v99, 16, v7
	v_div_fmas_f32 v6, v6, v121, v94
	v_cmp_ngt_f32_e32 vcc_lo, 0xc2b17218, v16
	s_delay_alu instid0(VALU_DEP_3) | instskip(NEXT) | instid1(VALU_DEP_3)
	v_mul_f32_e32 v100, 0xbfb8aa3b, v99
	v_div_fixup_f32 v6, v6, v10, v15
	v_cndmask_b32_e32 v94, 0x7f800000, v4, vcc_lo
	v_mul_f32_e32 v8, v120, v8
	v_ldexp_f32 v10, v13, v95
	v_fma_f32 v113, 0xbfb8aa3b, v99, -v100
	s_delay_alu instid0(VALU_DEP_4) | instskip(NEXT) | instid1(VALU_DEP_4)
	v_add_f32_e32 v13, 1.0, v94
	v_bfe_u32 v17, v8, 16, 1
	v_cmp_o_f32_e32 vcc_lo, v8, v8
	s_delay_alu instid0(VALU_DEP_4) | instskip(NEXT) | instid1(VALU_DEP_4)
	v_fmac_f32_e32 v113, 0xb2a5705f, v99
	v_div_scale_f32 v15, null, v13, v13, v16
	s_delay_alu instid0(VALU_DEP_4) | instskip(SKIP_1) | instid1(VALU_DEP_2)
	v_add3_u32 v17, v8, v17, 0x7fff
	v_fma_f32 v8, -v116, v97, v98
	v_lshrrev_b32_e32 v17, 16, v17
	s_delay_alu instid0(VALU_DEP_1) | instskip(SKIP_1) | instid1(VALU_DEP_3)
	v_cndmask_b32_e32 v4, 0x7fc0, v17, vcc_lo
	s_mov_b32 vcc_lo, s29
	v_div_fmas_f32 v8, v8, v96, v97
	v_cmp_nlt_f32_e32 vcc_lo, 0x42ce8ed0, v11
	s_delay_alu instid0(VALU_DEP_2) | instskip(SKIP_3) | instid1(VALU_DEP_3)
	v_div_fixup_f32 v5, v8, v12, v5
	v_cndmask_b32_e32 v10, 0, v10, vcc_lo
	v_cmp_ngt_f32_e32 vcc_lo, 0xc2b17218, v11
	v_rcp_f32_e32 v8, v15
	v_mul_f32_e32 v12, v117, v5
	s_delay_alu instid0(VALU_DEP_3)
	v_cndmask_b32_e32 v10, 0x7f800000, v10, vcc_lo
	v_cmp_o_f32_e32 vcc_lo, v9, v9
	v_cndmask_b32_e32 v5, 0x7fc0, v14, vcc_lo
	v_and_b32_e32 v14, 0xffff0000, v7
	s_waitcnt_depctr 0xfff
	v_fma_f32 v94, -v15, v8, 1.0
	v_div_scale_f32 v7, vcc_lo, v16, v13, v16
	v_mul_f32_e32 v96, 0xbfb8aa3b, v14
	s_delay_alu instid0(VALU_DEP_3) | instskip(NEXT) | instid1(VALU_DEP_2)
	v_fmac_f32_e32 v8, v94, v8
	v_fma_f32 v97, 0xbfb8aa3b, v14, -v96
	v_rndne_f32_e32 v98, v96
	s_delay_alu instid0(VALU_DEP_3) | instskip(NEXT) | instid1(VALU_DEP_3)
	v_mul_f32_e32 v105, v7, v8
	v_fmac_f32_e32 v97, 0xb2a5705f, v14
	v_bfe_u32 v17, v12, 16, 1
	s_delay_alu instid0(VALU_DEP_3) | instskip(SKIP_1) | instid1(VALU_DEP_3)
	v_fma_f32 v116, -v15, v105, v7
	v_mul_f32_e32 v6, v118, v6
	v_add3_u32 v17, v12, v17, 0x7fff
	s_delay_alu instid0(VALU_DEP_3) | instskip(NEXT) | instid1(VALU_DEP_3)
	v_fmac_f32_e32 v105, v116, v8
	v_bfe_u32 v9, v6, 16, 1
	v_cmp_o_f32_e64 s30, v6, v6
	s_delay_alu instid0(VALU_DEP_4) | instskip(SKIP_1) | instid1(VALU_DEP_4)
	v_lshrrev_b32_e32 v17, 16, v17
	v_sub_f32_e32 v96, v96, v98
	v_add3_u32 v9, v6, v9, 0x7fff
	v_cvt_i32_f32_e32 v98, v98
	v_fma_f32 v7, -v15, v105, v7
	s_delay_alu instid0(VALU_DEP_4) | instskip(NEXT) | instid1(VALU_DEP_4)
	v_add_f32_e32 v96, v96, v97
	v_lshrrev_b32_e32 v9, 16, v9
	v_rndne_f32_e32 v97, v100
	s_delay_alu instid0(VALU_DEP_4)
	v_div_fmas_f32 v7, v7, v8, v105
	v_cmp_ngt_f32_e32 vcc_lo, 0xc2b17218, v14
	v_exp_f32_e32 v96, v96
	v_cndmask_b32_e64 v6, 0x7fc0, v9, s30
	v_cmp_nlt_f32_e64 s30, 0x42ce8ed0, v14
	v_sub_f32_e32 v100, v100, v97
	v_cvt_i32_f32_e32 v97, v97
	v_div_fixup_f32 v13, v7, v13, v16
	s_delay_alu instid0(VALU_DEP_3) | instskip(NEXT) | instid1(TRANS32_DEP_1)
	v_add_f32_e32 v100, v100, v113
	v_ldexp_f32 v9, v96, v98
	s_delay_alu instid0(VALU_DEP_2) | instskip(NEXT) | instid1(VALU_DEP_1)
	v_exp_f32_e32 v96, v100
	v_cndmask_b32_e64 v9, 0, v9, s30
	s_delay_alu instid0(VALU_DEP_1) | instskip(NEXT) | instid1(VALU_DEP_1)
	v_dual_add_f32 v10, 1.0, v10 :: v_dual_cndmask_b32 v9, 0x7f800000, v9
	v_div_scale_f32 v95, null, v10, v10, v11
	s_waitcnt_depctr 0xfff
	v_ldexp_f32 v8, v96, v97
	v_cmp_nlt_f32_e32 vcc_lo, 0x42ce8ed0, v99
	v_add_f32_e32 v9, 1.0, v9
	v_rcp_f32_e32 v94, v95
	s_delay_alu instid0(VALU_DEP_3) | instskip(SKIP_2) | instid1(VALU_DEP_1)
	v_cndmask_b32_e32 v8, 0, v8, vcc_lo
	s_waitcnt_depctr 0xfff
	v_fma_f32 v108, -v95, v94, 1.0
	v_fmac_f32_e32 v94, v108, v94
	v_div_scale_f32 v108, s29, v11, v10, v11
	s_delay_alu instid0(VALU_DEP_1) | instskip(NEXT) | instid1(VALU_DEP_1)
	s_mov_b32 vcc_lo, s29
	v_mul_f32_e32 v113, v108, v94
	v_div_scale_f32 v16, null, v9, v9, v14
	s_delay_alu instid0(VALU_DEP_2) | instskip(NEXT) | instid1(VALU_DEP_1)
	v_fma_f32 v15, -v95, v113, v108
	v_fmac_f32_e32 v113, v15, v94
	s_delay_alu instid0(VALU_DEP_1) | instskip(NEXT) | instid1(VALU_DEP_1)
	v_fma_f32 v7, -v95, v113, v108
	v_div_fmas_f32 v15, v7, v94, v113
	v_cmp_ngt_f32_e32 vcc_lo, 0xc2b17218, v99
	s_delay_alu instid0(VALU_DEP_2)
	v_div_fixup_f32 v10, v15, v10, v11
	v_cndmask_b32_e32 v8, 0x7f800000, v8, vcc_lo
	v_cmp_o_f32_e32 vcc_lo, v12, v12
	v_mul_f32_e32 v11, v115, v13
	v_rcp_f32_e32 v12, v16
	v_and_b32_e32 v13, 0xffff0000, v0
	v_dual_cndmask_b32 v7, 0x7fc0, v17 :: v_dual_lshlrev_b32 v0, 16, v0
	v_div_scale_f32 v105, vcc_lo, v14, v9, v14
	s_delay_alu instid0(VALU_DEP_3) | instskip(SKIP_3) | instid1(TRANS32_DEP_1)
	v_mul_f32_e32 v94, 0xbfb8aa3b, v13
	v_mul_f32_e32 v10, v114, v10
	v_cmp_nlt_f32_e64 s30, 0x42ce8ed0, v13
	v_bfe_u32 v15, v11, 16, 1
	v_fma_f32 v96, -v16, v12, 1.0
	v_fma_f32 v98, 0xbfb8aa3b, v13, -v94
	v_rndne_f32_e32 v100, v94
	s_delay_alu instid0(VALU_DEP_4) | instskip(NEXT) | instid1(VALU_DEP_4)
	v_add3_u32 v15, v11, v15, 0x7fff
	v_fmac_f32_e32 v12, v96, v12
	s_delay_alu instid0(VALU_DEP_4) | instskip(NEXT) | instid1(VALU_DEP_4)
	v_fmac_f32_e32 v98, 0xb2a5705f, v13
	v_sub_f32_e32 v94, v94, v100
	v_mul_f32_e32 v96, 0xbfb8aa3b, v0
	v_cvt_i32_f32_e32 v100, v100
	v_lshrrev_b32_e32 v15, 16, v15
	s_delay_alu instid0(VALU_DEP_4) | instskip(NEXT) | instid1(VALU_DEP_4)
	v_add_f32_e32 v94, v94, v98
	v_rndne_f32_e32 v98, v96
	v_fma_f32 v113, 0xbfb8aa3b, v0, -v96
	s_delay_alu instid0(VALU_DEP_1) | instskip(SKIP_1) | instid1(VALU_DEP_2)
	v_dual_sub_f32 v96, v96, v98 :: v_dual_fmac_f32 v113, 0xb2a5705f, v0
	v_cvt_i32_f32_e32 v98, v98
	v_add_f32_e32 v96, v96, v113
	s_delay_alu instid0(VALU_DEP_1) | instskip(SKIP_4) | instid1(VALU_DEP_1)
	v_exp_f32_e32 v96, v96
	s_waitcnt_depctr 0xfff
	v_ldexp_f32 v96, v96, v98
	v_and_b32_e32 v98, 0xffff0000, v1
	v_dual_mul_f32 v114, v105, v12 :: v_dual_lshlrev_b32 v1, 16, v1
	v_fma_f32 v113, -v16, v114, v105
	s_delay_alu instid0(VALU_DEP_1) | instskip(NEXT) | instid1(VALU_DEP_1)
	v_fmac_f32_e32 v114, v113, v12
	v_fma_f32 v16, -v16, v114, v105
	s_delay_alu instid0(VALU_DEP_1) | instskip(SKIP_1) | instid1(VALU_DEP_2)
	v_div_fmas_f32 v12, v16, v12, v114
	v_cmp_nlt_f32_e32 vcc_lo, 0x42ce8ed0, v0
	v_div_fixup_f32 v9, v12, v9, v14
	s_delay_alu instid0(VALU_DEP_1) | instskip(NEXT) | instid1(VALU_DEP_1)
	v_dual_add_f32 v8, 1.0, v8 :: v_dual_mul_f32 v9, v112, v9
	v_div_scale_f32 v17, null, v8, v8, v99
	v_mul_f32_e32 v112, 0xbfb8aa3b, v1
	s_delay_alu instid0(VALU_DEP_2) | instskip(NEXT) | instid1(VALU_DEP_1)
	v_rcp_f32_e32 v97, v17
	v_fma_f32 v113, 0xbfb8aa3b, v1, -v112
	s_delay_alu instid0(VALU_DEP_1) | instskip(SKIP_3) | instid1(VALU_DEP_1)
	v_fmac_f32_e32 v113, 0xb2a5705f, v1
	v_exp_f32_e32 v94, v94
	s_waitcnt_depctr 0xfff
	v_fma_f32 v108, -v17, v97, 1.0
	v_fmac_f32_e32 v97, v108, v97
	v_div_scale_f32 v108, s29, v99, v8, v99
	v_ldexp_f32 v94, v94, v100
	s_delay_alu instid0(VALU_DEP_2) | instskip(NEXT) | instid1(VALU_DEP_2)
	v_mul_f32_e32 v115, v108, v97
	v_cndmask_b32_e64 v94, 0, v94, s30
	v_cmp_ngt_f32_e64 s30, 0xc2b17218, v13
	s_delay_alu instid0(VALU_DEP_3) | instskip(NEXT) | instid1(VALU_DEP_2)
	v_fma_f32 v100, -v17, v115, v108
	v_cndmask_b32_e64 v94, 0x7f800000, v94, s30
	v_cmp_nlt_f32_e64 s30, 0x42ce8ed0, v98
	s_delay_alu instid0(VALU_DEP_3) | instskip(NEXT) | instid1(VALU_DEP_3)
	v_dual_fmac_f32 v115, v100, v97 :: v_dual_mul_f32 v100, 0xbfb8aa3b, v98
	v_add_f32_e32 v16, 1.0, v94
	v_cndmask_b32_e32 v94, 0, v96, vcc_lo
	s_delay_alu instid0(VALU_DEP_3) | instskip(SKIP_3) | instid1(VALU_DEP_3)
	v_fma_f32 v17, -v17, v115, v108
	s_mov_b32 vcc_lo, s29
	v_fma_f32 v14, 0xbfb8aa3b, v98, -v100
	v_div_scale_f32 v96, null, v16, v16, v13
	v_div_fmas_f32 v17, v17, v97, v115
	v_cmp_ngt_f32_e32 vcc_lo, 0xc2b17218, v0
	s_delay_alu instid0(VALU_DEP_4) | instskip(NEXT) | instid1(VALU_DEP_4)
	v_fmac_f32_e32 v14, 0xb2a5705f, v98
	v_rcp_f32_e32 v97, v96
	s_delay_alu instid0(VALU_DEP_3) | instskip(SKIP_2) | instid1(VALU_DEP_3)
	v_div_fixup_f32 v8, v17, v8, v99
	v_cndmask_b32_e32 v94, 0x7f800000, v94, vcc_lo
	v_cmp_o_f32_e32 vcc_lo, v11, v11
	v_mul_f32_e32 v8, v111, v8
	s_delay_alu instid0(VALU_DEP_3) | instskip(SKIP_1) | instid1(TRANS32_DEP_1)
	v_dual_add_f32 v12, 1.0, v94 :: v_dual_cndmask_b32 v11, 0x7fc0, v15
	v_rndne_f32_e32 v15, v100
	v_fma_f32 v17, -v96, v97, 1.0
	s_delay_alu instid0(VALU_DEP_2) | instskip(NEXT) | instid1(VALU_DEP_2)
	v_sub_f32_e32 v99, v100, v15
	v_fmac_f32_e32 v97, v17, v97
	v_bfe_u32 v95, v10, 16, 1
	v_cmp_o_f32_e64 s29, v10, v10
	v_cvt_i32_f32_e32 v15, v15
	v_add_f32_e32 v14, v99, v14
	v_div_scale_f32 v99, vcc_lo, v13, v16, v13
	v_add3_u32 v95, v10, v95, 0x7fff
	v_bfe_u32 v100, v8, 16, 1
	s_delay_alu instid0(VALU_DEP_4) | instskip(NEXT) | instid1(VALU_DEP_3)
	v_exp_f32_e32 v14, v14
	v_mul_f32_e32 v105, v99, v97
	v_div_scale_f32 v94, null, v12, v12, v0
	v_lshrrev_b32_e32 v95, 16, v95
	v_add3_u32 v100, v8, v100, 0x7fff
	s_delay_alu instid0(VALU_DEP_4) | instskip(NEXT) | instid1(VALU_DEP_4)
	v_fma_f32 v111, -v96, v105, v99
	v_rcp_f32_e32 v17, v94
	s_delay_alu instid0(VALU_DEP_3) | instskip(NEXT) | instid1(TRANS32_DEP_2)
	v_cndmask_b32_e64 v10, 0x7fc0, v95, s29
	v_ldexp_f32 v14, v14, v15
	v_div_scale_f32 v15, s29, v0, v12, v0
	v_fmac_f32_e32 v105, v111, v97
	v_bfe_u32 v95, v9, 16, 1
	s_delay_alu instid0(VALU_DEP_4) | instskip(SKIP_1) | instid1(TRANS32_DEP_1)
	v_cndmask_b32_e64 v14, 0, v14, s30
	v_cmp_ngt_f32_e64 s30, 0xc2b17218, v98
	v_fma_f32 v108, -v94, v17, 1.0
	v_fma_f32 v96, -v96, v105, v99
	v_add3_u32 v95, v9, v95, 0x7fff
	s_delay_alu instid0(VALU_DEP_4) | instskip(NEXT) | instid1(VALU_DEP_4)
	v_cndmask_b32_e64 v14, 0x7f800000, v14, s30
	v_fmac_f32_e32 v17, v108, v17
	v_rndne_f32_e32 v108, v112
	v_div_fmas_f32 v96, v96, v97, v105
	s_mov_b32 vcc_lo, s29
	v_add_f32_e32 v14, 1.0, v14
	v_mul_f32_e32 v114, v15, v17
	v_sub_f32_e32 v112, v112, v108
	v_div_fixup_f32 v13, v96, v16, v13
	v_lshrrev_b32_e32 v16, 16, v95
	v_cmp_o_f32_e64 s29, v9, v9
	v_fma_f32 v111, -v94, v114, v15
	v_add_f32_e32 v112, v112, v113
	s_delay_alu instid0(VALU_DEP_3) | instskip(NEXT) | instid1(VALU_DEP_3)
	v_cndmask_b32_e64 v9, 0x7fc0, v16, s29
	v_fmac_f32_e32 v114, v111, v17
	s_delay_alu instid0(VALU_DEP_3) | instskip(SKIP_2) | instid1(VALU_DEP_3)
	v_exp_f32_e32 v99, v112
	v_div_scale_f32 v111, null, v14, v14, v98
	v_cmp_o_f32_e64 s29, v8, v8
	v_fma_f32 v15, -v94, v114, v15
	v_cvt_i32_f32_e32 v94, v108
	s_delay_alu instid0(VALU_DEP_4) | instskip(NEXT) | instid1(VALU_DEP_2)
	v_rcp_f32_e32 v97, v111
	v_div_fmas_f32 v15, v15, v17, v114
	s_delay_alu instid0(TRANS32_DEP_2) | instid1(VALU_DEP_2)
	v_ldexp_f32 v17, v99, v94
	v_cmp_nlt_f32_e32 vcc_lo, 0x42ce8ed0, v1
	v_lshrrev_b32_e32 v94, 16, v100
	v_and_b32_e32 v100, 0xffff0000, v2
	v_div_fixup_f32 v0, v15, v12, v0
	v_mul_f32_e32 v12, v110, v13
	v_cndmask_b32_e32 v13, 0, v17, vcc_lo
	v_cmp_ngt_f32_e32 vcc_lo, 0xc2b17218, v1
	v_fma_f32 v15, -v111, v97, 1.0
	v_mul_f32_e32 v0, v109, v0
	v_bfe_u32 v17, v12, 16, 1
	v_cndmask_b32_e64 v8, 0x7fc0, v94, s29
	v_cndmask_b32_e32 v13, 0x7f800000, v13, vcc_lo
	v_fmac_f32_e32 v97, v15, v97
	v_div_scale_f32 v15, vcc_lo, v98, v14, v98
	v_add3_u32 v17, v12, v17, 0x7fff
	s_delay_alu instid0(VALU_DEP_4) | instskip(SKIP_1) | instid1(VALU_DEP_4)
	v_add_f32_e32 v13, 1.0, v13
	v_bfe_u32 v16, v0, 16, 1
	v_mul_f32_e32 v95, v15, v97
	v_cmp_o_f32_e64 s29, v12, v12
	v_lshrrev_b32_e32 v17, 16, v17
	v_div_scale_f32 v96, null, v13, v13, v1
	s_delay_alu instid0(VALU_DEP_4) | instskip(SKIP_1) | instid1(VALU_DEP_4)
	v_fma_f32 v94, -v111, v95, v15
	v_add3_u32 v16, v0, v16, 0x7fff
	v_cndmask_b32_e64 v12, 0x7fc0, v17, s29
	s_delay_alu instid0(VALU_DEP_4) | instskip(SKIP_4) | instid1(VALU_DEP_3)
	v_rcp_f32_e32 v99, v96
	v_cmp_o_f32_e64 s29, v0, v0
	v_fmac_f32_e32 v95, v94, v97
	v_mul_f32_e32 v17, 0xbfb8aa3b, v100
	v_lshrrev_b32_e32 v16, 16, v16
	v_fma_f32 v0, -v111, v95, v15
	s_delay_alu instid0(VALU_DEP_3) | instskip(SKIP_1) | instid1(TRANS32_DEP_1)
	v_fma_f32 v94, 0xbfb8aa3b, v100, -v17
	v_rndne_f32_e32 v105, v17
	v_fma_f32 v15, -v96, v99, 1.0
	v_cndmask_b32_e64 v16, 0x7fc0, v16, s29
	v_div_fmas_f32 v0, v0, v97, v95
	v_div_scale_f32 v95, vcc_lo, v1, v13, v1
	s_delay_alu instid0(VALU_DEP_4) | instskip(SKIP_3) | instid1(VALU_DEP_4)
	v_dual_fmac_f32 v99, v15, v99 :: v_dual_fmac_f32 v94, 0xb2a5705f, v100
	v_sub_f32_e32 v17, v17, v105
	v_cvt_i32_f32_e32 v105, v105
	v_cmp_nlt_f32_e64 s29, 0x42ce8ed0, v100
	v_mul_f32_e32 v97, v95, v99
	v_div_fixup_f32 v0, v0, v14, v98
	v_dual_add_f32 v17, v17, v94 :: v_dual_and_b32 v98, 0xffff0000, v3
	v_lshlrev_b32_e32 v3, 16, v3
	s_delay_alu instid0(VALU_DEP_4) | instskip(NEXT) | instid1(VALU_DEP_4)
	v_fma_f32 v108, -v96, v97, v95
	v_mul_f32_e32 v0, v107, v0
	s_delay_alu instid0(VALU_DEP_4) | instskip(SKIP_1) | instid1(VALU_DEP_3)
	v_exp_f32_e32 v17, v17
	v_mul_f32_e32 v109, 0xbfb8aa3b, v98
	v_fmac_f32_e32 v97, v108, v99
	s_delay_alu instid0(VALU_DEP_2) | instskip(NEXT) | instid1(VALU_DEP_2)
	v_rndne_f32_e32 v108, v109
	v_fma_f32 v95, -v96, v97, v95
	s_waitcnt_depctr 0xfff
	v_ldexp_f32 v17, v17, v105
	v_mul_f32_e32 v105, 0xbfb8aa3b, v3
	v_div_fmas_f32 v95, v95, v99, v97
	s_delay_alu instid0(VALU_DEP_3) | instskip(SKIP_1) | instid1(VALU_DEP_4)
	v_cndmask_b32_e64 v17, 0, v17, s29
	v_cmp_ngt_f32_e64 s29, 0xc2b17218, v100
	v_rndne_f32_e32 v110, v105
	s_delay_alu instid0(VALU_DEP_4)
	v_div_fixup_f32 v1, v95, v13, v1
	v_lshlrev_b32_e32 v2, 16, v2
	v_fma_f32 v111, 0xbfb8aa3b, v3, -v105
	v_cndmask_b32_e64 v17, 0x7f800000, v17, s29
	v_sub_f32_e32 v105, v105, v110
	v_mul_f32_e32 v1, v106, v1
	v_mul_f32_e32 v15, 0xbfb8aa3b, v2
	v_fmac_f32_e32 v111, 0xb2a5705f, v3
	v_add_f32_e32 v17, 1.0, v17
	v_cmp_nlt_f32_e64 s29, 0x42ce8ed0, v2
	v_bfe_u32 v116, v1, 16, 1
	v_rndne_f32_e32 v14, v15
	v_fma_f32 v94, 0xbfb8aa3b, v2, -v15
	v_div_scale_f32 v99, vcc_lo, v100, v17, v100
	s_delay_alu instid0(VALU_DEP_3) | instskip(NEXT) | instid1(VALU_DEP_3)
	v_sub_f32_e32 v15, v15, v14
	v_fmac_f32_e32 v94, 0xb2a5705f, v2
	v_cvt_i32_f32_e32 v14, v14
	s_delay_alu instid0(VALU_DEP_2) | instskip(SKIP_2) | instid1(VALU_DEP_3)
	v_add_f32_e32 v15, v15, v94
	v_fma_f32 v94, 0xbfb8aa3b, v98, -v109
	v_sub_f32_e32 v109, v109, v108
	v_exp_f32_e32 v15, v15
	s_delay_alu instid0(VALU_DEP_2)
	v_fmac_f32_e32 v94, 0xb2a5705f, v98
	s_waitcnt_depctr 0xfff
	v_ldexp_f32 v14, v15, v14
	v_add_f32_e32 v15, v109, v94
	v_add_f32_e32 v94, v105, v111
	v_cvt_i32_f32_e32 v105, v108
	v_div_scale_f32 v108, null, v17, v17, v100
	v_cvt_i32_f32_e32 v109, v110
	s_delay_alu instid0(VALU_DEP_4) | instskip(SKIP_1) | instid1(VALU_DEP_2)
	v_exp_f32_e32 v94, v94
	v_exp_f32_e32 v15, v15
	v_rcp_f32_e32 v96, v108
	v_cndmask_b32_e64 v14, 0, v14, s29
	v_cmp_ngt_f32_e64 s29, 0xc2b17218, v2
	s_delay_alu instid0(VALU_DEP_1) | instskip(NEXT) | instid1(TRANS32_DEP_3)
	v_cndmask_b32_e64 v14, 0x7f800000, v14, s29
	v_ldexp_f32 v94, v94, v109
	s_waitcnt_depctr 0xfff
	v_ldexp_f32 v15, v15, v105
	v_fma_f32 v109, -v108, v96, 1.0
	s_delay_alu instid0(VALU_DEP_1) | instskip(NEXT) | instid1(VALU_DEP_1)
	v_fmac_f32_e32 v96, v109, v96
	v_mul_f32_e32 v13, v99, v96
	s_delay_alu instid0(VALU_DEP_1) | instskip(NEXT) | instid1(VALU_DEP_1)
	v_fma_f32 v113, -v108, v13, v99
	v_fmac_f32_e32 v13, v113, v96
	v_cmp_nlt_f32_e64 s29, 0x42ce8ed0, v98
	s_delay_alu instid0(VALU_DEP_2) | instskip(NEXT) | instid1(VALU_DEP_2)
	v_fma_f32 v99, -v108, v13, v99
	v_cndmask_b32_e64 v15, 0, v15, s29
	v_cmp_nlt_f32_e64 s29, 0x42ce8ed0, v3
	s_delay_alu instid0(VALU_DEP_1) | instskip(SKIP_1) | instid1(VALU_DEP_1)
	v_cndmask_b32_e64 v94, 0, v94, s29
	v_cmp_ngt_f32_e64 s29, 0xc2b17218, v98
	v_cndmask_b32_e64 v15, 0x7f800000, v15, s29
	v_cmp_ngt_f32_e64 s29, 0xc2b17218, v3
	s_delay_alu instid0(VALU_DEP_2) | instskip(NEXT) | instid1(VALU_DEP_2)
	v_add_f32_e32 v15, 1.0, v15
	v_cndmask_b32_e64 v94, 0x7f800000, v94, s29
	s_delay_alu instid0(VALU_DEP_2) | instskip(NEXT) | instid1(VALU_DEP_2)
	v_div_scale_f32 v97, null, v15, v15, v98
	v_add_f32_e32 v94, 1.0, v94
	s_delay_alu instid0(VALU_DEP_2) | instskip(NEXT) | instid1(VALU_DEP_1)
	v_rcp_f32_e32 v111, v97
	v_div_scale_f32 v112, null, v94, v94, v3
	s_delay_alu instid0(VALU_DEP_1) | instskip(SKIP_2) | instid1(VALU_DEP_1)
	v_rcp_f32_e32 v95, v112
	s_waitcnt_depctr 0xfff
	v_fma_f32 v115, -v112, v95, 1.0
	v_fmac_f32_e32 v95, v115, v95
	v_div_scale_f32 v115, s31, v3, v94, v3
	v_add_f32_e32 v14, 1.0, v14
	s_delay_alu instid0(VALU_DEP_1) | instskip(SKIP_1) | instid1(VALU_DEP_2)
	v_div_scale_f32 v105, null, v14, v14, v2
	v_div_scale_f32 v107, s29, v2, v14, v2
	v_rcp_f32_e32 v110, v105
	s_waitcnt_depctr 0xfff
	v_fma_f32 v109, -v105, v110, 1.0
	s_delay_alu instid0(VALU_DEP_1) | instskip(SKIP_1) | instid1(VALU_DEP_1)
	v_fmac_f32_e32 v110, v109, v110
	v_fma_f32 v109, -v97, v111, 1.0
	v_dual_mul_f32 v114, v107, v110 :: v_dual_fmac_f32 v111, v109, v111
	v_div_scale_f32 v109, s30, v98, v15, v98
	s_delay_alu instid0(VALU_DEP_2) | instskip(NEXT) | instid1(VALU_DEP_2)
	v_fma_f32 v113, -v105, v114, v107
	v_mul_f32_e32 v117, v109, v111
	s_delay_alu instid0(VALU_DEP_2) | instskip(NEXT) | instid1(VALU_DEP_2)
	v_dual_fmac_f32 v114, v113, v110 :: v_dual_mul_f32 v113, v115, v95
	v_fma_f32 v108, -v97, v117, v109
	s_delay_alu instid0(VALU_DEP_1) | instskip(SKIP_1) | instid1(VALU_DEP_4)
	v_fmac_f32_e32 v117, v108, v111
	v_div_fmas_f32 v13, v99, v96, v13
	v_fma_f32 v96, -v105, v114, v107
	s_mov_b32 vcc_lo, s29
	v_fma_f32 v99, -v112, v113, v115
	s_delay_alu instid0(VALU_DEP_3)
	v_div_fixup_f32 v13, v13, v17, v100
	v_fma_f32 v17, -v97, v117, v109
	v_div_fmas_f32 v96, v96, v110, v114
	s_mov_b32 vcc_lo, s30
	v_fmac_f32_e32 v113, v99, v95
	v_mul_f32_e32 v13, v103, v13
	v_div_fmas_f32 v17, v17, v111, v117
	v_div_fixup_f32 v2, v96, v14, v2
	s_mov_b32 vcc_lo, s31
	v_fma_f32 v14, -v112, v113, v115
	v_add3_u32 v99, v1, v116, 0x7fff
	v_div_fixup_f32 v15, v17, v15, v98
	v_mul_f32_e32 v2, v102, v2
	v_bfe_u32 v17, v13, 16, 1
	v_div_fmas_f32 v14, v14, v95, v113
	s_delay_alu instid0(VALU_DEP_4) | instskip(SKIP_2) | instid1(VALU_DEP_4)
	v_mul_f32_e32 v15, v104, v15
	v_bfe_u32 v106, v0, 16, 1
	v_cmp_o_f32_e32 vcc_lo, v0, v0
	v_div_fixup_f32 v3, v14, v94, v3
	v_lshrrev_b32_e32 v14, 16, v99
	v_bfe_u32 v94, v2, 16, 1
	v_add3_u32 v106, v0, v106, 0x7fff
	v_add3_u32 v0, v13, v17, 0x7fff
	v_mul_f32_e32 v3, v101, v3
	s_delay_alu instid0(VALU_DEP_4) | instskip(NEXT) | instid1(VALU_DEP_4)
	v_add3_u32 v17, v2, v94, 0x7fff
	v_lshrrev_b32_e32 v95, 16, v106
	v_bfe_u32 v94, v15, 16, 1
	v_lshrrev_b32_e32 v0, 16, v0
	v_bfe_u32 v96, v3, 16, 1
	v_lshrrev_b32_e32 v17, 16, v17
	v_cndmask_b32_e32 v95, 0x7fc0, v95, vcc_lo
	v_cmp_o_f32_e32 vcc_lo, v1, v1
	v_add3_u32 v1, v15, v94, 0x7fff
	v_add3_u32 v94, v3, v96, 0x7fff
	v_cndmask_b32_e32 v14, 0x7fc0, v14, vcc_lo
	v_cmp_o_f32_e32 vcc_lo, v13, v13
	v_cndmask_b32_e32 v13, 0x7fc0, v0, vcc_lo
	v_cmp_o_f32_e32 vcc_lo, v2, v2
	v_lshrrev_b32_e32 v0, 16, v1
	v_lshrrev_b32_e32 v1, 16, v94
	v_perm_b32 v2, v11, v10, 0x5040100
	v_cndmask_b32_e32 v17, 0x7fc0, v17, vcc_lo
	v_cmp_o_f32_e32 vcc_lo, v15, v15
	v_cndmask_b32_e32 v15, 0x7fc0, v0, vcc_lo
	v_cmp_o_f32_e32 vcc_lo, v3, v3
	v_perm_b32 v3, v9, v8, 0x5040100
	v_perm_b32 v0, v4, v5, 0x5040100
	;; [unrolled: 1-line block ×4, first 2 shown]
	v_cndmask_b32_e32 v94, 0x7fc0, v1, vcc_lo
	v_perm_b32 v1, v6, v7, 0x5040100
	v_perm_b32 v6, v13, v17, 0x5040100
	s_delay_alu instid0(VALU_DEP_3)
	v_perm_b32 v7, v15, v94, 0x5040100
	ds_store_b128 v52, v[0:3]
	ds_store_b128 v52, v[4:7] offset:16
	; wave barrier
	ds_load_u16 v16, v37 offset:64
	ds_load_u16 v15, v38 offset:128
	ds_load_u16 v14, v39 offset:192
	ds_load_u16 v13, v40 offset:256
	ds_load_u16 v12, v41 offset:320
	ds_load_u16 v11, v42 offset:384
	ds_load_u16 v10, v43 offset:448
	ds_load_u16 v9, v44 offset:512
	ds_load_u16 v8, v45 offset:576
	ds_load_u16 v7, v46 offset:640
	ds_load_u16 v6, v47 offset:704
	ds_load_u16 v5, v48 offset:768
	ds_load_u16 v4, v49 offset:832
	ds_load_u16 v3, v50 offset:896
	ds_load_u16 v2, v51 offset:960
	v_add_co_u32 v0, vcc_lo, v76, s34
	v_add_co_ci_u32_e32 v1, vcc_lo, s35, v77, vcc_lo
	s_and_saveexec_b32 s29, s13
	s_cbranch_execnz .LBB24_286
; %bb.254:                              ;   in Loop: Header=BB24_12 Depth=1
	s_or_b32 exec_lo, exec_lo, s29
	s_and_saveexec_b32 s13, s14
	s_cbranch_execnz .LBB24_287
.LBB24_255:                             ;   in Loop: Header=BB24_12 Depth=1
	s_or_b32 exec_lo, exec_lo, s13
	s_and_saveexec_b32 s13, s15
	s_cbranch_execnz .LBB24_288
.LBB24_256:                             ;   in Loop: Header=BB24_12 Depth=1
	s_or_b32 exec_lo, exec_lo, s13
	s_and_saveexec_b32 s13, s16
	s_cbranch_execnz .LBB24_289
.LBB24_257:                             ;   in Loop: Header=BB24_12 Depth=1
	s_or_b32 exec_lo, exec_lo, s13
	s_and_saveexec_b32 s13, s17
	s_cbranch_execnz .LBB24_290
.LBB24_258:                             ;   in Loop: Header=BB24_12 Depth=1
	s_or_b32 exec_lo, exec_lo, s13
	s_and_saveexec_b32 s13, s18
	s_cbranch_execnz .LBB24_291
.LBB24_259:                             ;   in Loop: Header=BB24_12 Depth=1
	s_or_b32 exec_lo, exec_lo, s13
	s_and_saveexec_b32 s13, s19
	s_cbranch_execnz .LBB24_292
.LBB24_260:                             ;   in Loop: Header=BB24_12 Depth=1
	s_or_b32 exec_lo, exec_lo, s13
	s_and_saveexec_b32 s13, s20
	s_cbranch_execnz .LBB24_293
.LBB24_261:                             ;   in Loop: Header=BB24_12 Depth=1
	s_or_b32 exec_lo, exec_lo, s13
	s_and_saveexec_b32 s13, s21
	s_cbranch_execnz .LBB24_294
.LBB24_262:                             ;   in Loop: Header=BB24_12 Depth=1
	s_or_b32 exec_lo, exec_lo, s13
	s_and_saveexec_b32 s13, s22
	s_cbranch_execnz .LBB24_295
.LBB24_263:                             ;   in Loop: Header=BB24_12 Depth=1
	s_or_b32 exec_lo, exec_lo, s13
	s_and_saveexec_b32 s13, s23
	s_cbranch_execnz .LBB24_296
.LBB24_264:                             ;   in Loop: Header=BB24_12 Depth=1
	s_or_b32 exec_lo, exec_lo, s13
	s_and_saveexec_b32 s13, s24
	s_cbranch_execnz .LBB24_297
.LBB24_265:                             ;   in Loop: Header=BB24_12 Depth=1
	s_or_b32 exec_lo, exec_lo, s13
	s_and_saveexec_b32 s13, s25
	s_cbranch_execnz .LBB24_298
.LBB24_266:                             ;   in Loop: Header=BB24_12 Depth=1
	s_or_b32 exec_lo, exec_lo, s13
	s_and_saveexec_b32 s13, s26
	s_cbranch_execnz .LBB24_299
.LBB24_267:                             ;   in Loop: Header=BB24_12 Depth=1
	s_or_b32 exec_lo, exec_lo, s13
	s_and_saveexec_b32 s13, s27
	s_cbranch_execnz .LBB24_300
.LBB24_268:                             ;   in Loop: Header=BB24_12 Depth=1
	s_or_b32 exec_lo, exec_lo, s13
	s_and_saveexec_b32 s13, s28
	s_cbranch_execz .LBB24_11
	s_branch .LBB24_301
.LBB24_269:                             ;   in Loop: Header=BB24_12 Depth=1
	global_load_u16 v101, v[8:9], off offset:832
	s_or_b32 exec_lo, exec_lo, s29
	s_and_saveexec_b32 s29, s27
	s_cbranch_execz .LBB24_72
.LBB24_270:                             ;   in Loop: Header=BB24_12 Depth=1
	global_load_u16 v100, v[8:9], off offset:896
	s_or_b32 exec_lo, exec_lo, s29
	v_mov_b32_e32 v102, 0
	s_and_saveexec_b32 s29, s28
	s_cbranch_execnz .LBB24_73
	s_branch .LBB24_74
.LBB24_271:                             ;   in Loop: Header=BB24_12 Depth=1
	ds_load_u16 v17, v37
	s_waitcnt lgkmcnt(0)
	global_store_b16 v[0:1], v17, off
	s_or_b32 exec_lo, exec_lo, s29
	s_and_saveexec_b32 s29, s14
	s_cbranch_execz .LBB24_206
.LBB24_272:                             ;   in Loop: Header=BB24_12 Depth=1
	s_waitcnt lgkmcnt(14)
	global_store_b16 v[0:1], v16, off offset:64
	s_or_b32 exec_lo, exec_lo, s29
	s_and_saveexec_b32 s29, s15
	s_cbranch_execz .LBB24_207
.LBB24_273:                             ;   in Loop: Header=BB24_12 Depth=1
	s_waitcnt lgkmcnt(13)
	global_store_b16 v[0:1], v15, off offset:128
	s_or_b32 exec_lo, exec_lo, s29
	s_and_saveexec_b32 s29, s16
	s_cbranch_execz .LBB24_208
.LBB24_274:                             ;   in Loop: Header=BB24_12 Depth=1
	s_waitcnt lgkmcnt(12)
	global_store_b16 v[0:1], v14, off offset:192
	s_or_b32 exec_lo, exec_lo, s29
	s_and_saveexec_b32 s29, s17
	s_cbranch_execz .LBB24_209
.LBB24_275:                             ;   in Loop: Header=BB24_12 Depth=1
	s_waitcnt lgkmcnt(11)
	global_store_b16 v[0:1], v13, off offset:256
	s_or_b32 exec_lo, exec_lo, s29
	s_and_saveexec_b32 s29, s18
	s_cbranch_execz .LBB24_210
.LBB24_276:                             ;   in Loop: Header=BB24_12 Depth=1
	s_waitcnt lgkmcnt(10)
	global_store_b16 v[0:1], v12, off offset:320
	s_or_b32 exec_lo, exec_lo, s29
	s_and_saveexec_b32 s29, s19
	s_cbranch_execz .LBB24_211
.LBB24_277:                             ;   in Loop: Header=BB24_12 Depth=1
	s_waitcnt lgkmcnt(9)
	global_store_b16 v[0:1], v11, off offset:384
	s_or_b32 exec_lo, exec_lo, s29
	s_and_saveexec_b32 s29, s20
	s_cbranch_execz .LBB24_212
.LBB24_278:                             ;   in Loop: Header=BB24_12 Depth=1
	s_waitcnt lgkmcnt(8)
	global_store_b16 v[0:1], v10, off offset:448
	s_or_b32 exec_lo, exec_lo, s29
	s_and_saveexec_b32 s29, s21
	s_cbranch_execz .LBB24_213
.LBB24_279:                             ;   in Loop: Header=BB24_12 Depth=1
	s_waitcnt lgkmcnt(7)
	global_store_b16 v[0:1], v9, off offset:512
	s_or_b32 exec_lo, exec_lo, s29
	s_and_saveexec_b32 s29, s22
	s_cbranch_execz .LBB24_214
.LBB24_280:                             ;   in Loop: Header=BB24_12 Depth=1
	s_waitcnt lgkmcnt(6)
	global_store_b16 v[0:1], v8, off offset:576
	s_or_b32 exec_lo, exec_lo, s29
	s_and_saveexec_b32 s29, s23
	s_cbranch_execz .LBB24_215
.LBB24_281:                             ;   in Loop: Header=BB24_12 Depth=1
	s_waitcnt lgkmcnt(5)
	global_store_b16 v[0:1], v7, off offset:640
	s_or_b32 exec_lo, exec_lo, s29
	s_and_saveexec_b32 s29, s24
	s_cbranch_execz .LBB24_216
.LBB24_282:                             ;   in Loop: Header=BB24_12 Depth=1
	s_waitcnt lgkmcnt(4)
	global_store_b16 v[0:1], v6, off offset:704
	s_or_b32 exec_lo, exec_lo, s29
	s_and_saveexec_b32 s29, s25
	s_cbranch_execz .LBB24_217
.LBB24_283:                             ;   in Loop: Header=BB24_12 Depth=1
	s_waitcnt lgkmcnt(3)
	global_store_b16 v[0:1], v5, off offset:768
	s_or_b32 exec_lo, exec_lo, s29
	s_and_saveexec_b32 s29, s26
	s_cbranch_execz .LBB24_218
.LBB24_284:                             ;   in Loop: Header=BB24_12 Depth=1
	s_waitcnt lgkmcnt(2)
	global_store_b16 v[0:1], v4, off offset:832
	s_or_b32 exec_lo, exec_lo, s29
	s_and_saveexec_b32 s29, s27
	s_cbranch_execz .LBB24_219
.LBB24_285:                             ;   in Loop: Header=BB24_12 Depth=1
	s_waitcnt lgkmcnt(1)
	global_store_b16 v[0:1], v3, off offset:896
	s_or_b32 exec_lo, exec_lo, s29
	s_and_saveexec_b32 s29, s28
	s_cbranch_execnz .LBB24_220
	s_branch .LBB24_221
.LBB24_286:                             ;   in Loop: Header=BB24_12 Depth=1
	ds_load_u16 v17, v37
	s_waitcnt lgkmcnt(0)
	global_store_b16 v[0:1], v17, off
	s_or_b32 exec_lo, exec_lo, s29
	s_and_saveexec_b32 s13, s14
	s_cbranch_execz .LBB24_255
.LBB24_287:                             ;   in Loop: Header=BB24_12 Depth=1
	s_waitcnt lgkmcnt(14)
	global_store_b16 v[0:1], v16, off offset:64
	s_or_b32 exec_lo, exec_lo, s13
	s_and_saveexec_b32 s13, s15
	s_cbranch_execz .LBB24_256
.LBB24_288:                             ;   in Loop: Header=BB24_12 Depth=1
	s_waitcnt lgkmcnt(13)
	global_store_b16 v[0:1], v15, off offset:128
	s_or_b32 exec_lo, exec_lo, s13
	s_and_saveexec_b32 s13, s16
	s_cbranch_execz .LBB24_257
.LBB24_289:                             ;   in Loop: Header=BB24_12 Depth=1
	s_waitcnt lgkmcnt(12)
	global_store_b16 v[0:1], v14, off offset:192
	s_or_b32 exec_lo, exec_lo, s13
	s_and_saveexec_b32 s13, s17
	s_cbranch_execz .LBB24_258
.LBB24_290:                             ;   in Loop: Header=BB24_12 Depth=1
	s_waitcnt lgkmcnt(11)
	global_store_b16 v[0:1], v13, off offset:256
	s_or_b32 exec_lo, exec_lo, s13
	s_and_saveexec_b32 s13, s18
	s_cbranch_execz .LBB24_259
.LBB24_291:                             ;   in Loop: Header=BB24_12 Depth=1
	s_waitcnt lgkmcnt(10)
	global_store_b16 v[0:1], v12, off offset:320
	s_or_b32 exec_lo, exec_lo, s13
	s_and_saveexec_b32 s13, s19
	s_cbranch_execz .LBB24_260
.LBB24_292:                             ;   in Loop: Header=BB24_12 Depth=1
	s_waitcnt lgkmcnt(9)
	global_store_b16 v[0:1], v11, off offset:384
	s_or_b32 exec_lo, exec_lo, s13
	s_and_saveexec_b32 s13, s20
	s_cbranch_execz .LBB24_261
.LBB24_293:                             ;   in Loop: Header=BB24_12 Depth=1
	s_waitcnt lgkmcnt(8)
	global_store_b16 v[0:1], v10, off offset:448
	s_or_b32 exec_lo, exec_lo, s13
	s_and_saveexec_b32 s13, s21
	s_cbranch_execz .LBB24_262
.LBB24_294:                             ;   in Loop: Header=BB24_12 Depth=1
	s_waitcnt lgkmcnt(7)
	global_store_b16 v[0:1], v9, off offset:512
	s_or_b32 exec_lo, exec_lo, s13
	s_and_saveexec_b32 s13, s22
	s_cbranch_execz .LBB24_263
.LBB24_295:                             ;   in Loop: Header=BB24_12 Depth=1
	s_waitcnt lgkmcnt(6)
	global_store_b16 v[0:1], v8, off offset:576
	s_or_b32 exec_lo, exec_lo, s13
	s_and_saveexec_b32 s13, s23
	s_cbranch_execz .LBB24_264
.LBB24_296:                             ;   in Loop: Header=BB24_12 Depth=1
	s_waitcnt lgkmcnt(5)
	global_store_b16 v[0:1], v7, off offset:640
	s_or_b32 exec_lo, exec_lo, s13
	s_and_saveexec_b32 s13, s24
	s_cbranch_execz .LBB24_265
.LBB24_297:                             ;   in Loop: Header=BB24_12 Depth=1
	s_waitcnt lgkmcnt(4)
	global_store_b16 v[0:1], v6, off offset:704
	s_or_b32 exec_lo, exec_lo, s13
	s_and_saveexec_b32 s13, s25
	s_cbranch_execz .LBB24_266
.LBB24_298:                             ;   in Loop: Header=BB24_12 Depth=1
	s_waitcnt lgkmcnt(3)
	global_store_b16 v[0:1], v5, off offset:768
	s_or_b32 exec_lo, exec_lo, s13
	s_and_saveexec_b32 s13, s26
	s_cbranch_execz .LBB24_267
.LBB24_299:                             ;   in Loop: Header=BB24_12 Depth=1
	s_waitcnt lgkmcnt(2)
	global_store_b16 v[0:1], v4, off offset:832
	s_or_b32 exec_lo, exec_lo, s13
	s_and_saveexec_b32 s13, s27
	s_cbranch_execz .LBB24_268
.LBB24_300:                             ;   in Loop: Header=BB24_12 Depth=1
	s_waitcnt lgkmcnt(1)
	global_store_b16 v[0:1], v3, off offset:896
	s_or_b32 exec_lo, exec_lo, s13
	s_and_saveexec_b32 s13, s28
	s_cbranch_execz .LBB24_11
.LBB24_301:                             ;   in Loop: Header=BB24_12 Depth=1
	s_waitcnt lgkmcnt(0)
	global_store_b16 v[0:1], v2, off offset:960
	s_branch .LBB24_11
.LBB24_302:
	s_nop 0
	s_sendmsg sendmsg(MSG_DEALLOC_VGPRS)
	s_endpgm
	.section	.rodata,"a",@progbits
	.p2align	6, 0x0
	.amdhsa_kernel _Z25selective_scan_fwd_kernelI32Selective_Scan_fwd_kernel_traitsILi128ELi16ELi1ELb1ELb1ELb1ELb1ELb1EN3c108BFloat16EfS2_EEv13SSMParamsBase
		.amdhsa_group_segment_fixed_size 0
		.amdhsa_private_segment_fixed_size 0
		.amdhsa_kernarg_size 248
		.amdhsa_user_sgpr_count 14
		.amdhsa_user_sgpr_dispatch_ptr 0
		.amdhsa_user_sgpr_queue_ptr 0
		.amdhsa_user_sgpr_kernarg_segment_ptr 1
		.amdhsa_user_sgpr_dispatch_id 0
		.amdhsa_user_sgpr_private_segment_size 0
		.amdhsa_wavefront_size32 1
		.amdhsa_uses_dynamic_stack 0
		.amdhsa_enable_private_segment 0
		.amdhsa_system_sgpr_workgroup_id_x 1
		.amdhsa_system_sgpr_workgroup_id_y 1
		.amdhsa_system_sgpr_workgroup_id_z 0
		.amdhsa_system_sgpr_workgroup_info 0
		.amdhsa_system_vgpr_workitem_id 0
		.amdhsa_next_free_vgpr 177
		.amdhsa_next_free_sgpr 92
		.amdhsa_reserve_vcc 1
		.amdhsa_float_round_mode_32 0
		.amdhsa_float_round_mode_16_64 0
		.amdhsa_float_denorm_mode_32 3
		.amdhsa_float_denorm_mode_16_64 3
		.amdhsa_dx10_clamp 1
		.amdhsa_ieee_mode 1
		.amdhsa_fp16_overflow 0
		.amdhsa_workgroup_processor_mode 1
		.amdhsa_memory_ordered 1
		.amdhsa_forward_progress 0
		.amdhsa_shared_vgpr_count 0
		.amdhsa_exception_fp_ieee_invalid_op 0
		.amdhsa_exception_fp_denorm_src 0
		.amdhsa_exception_fp_ieee_div_zero 0
		.amdhsa_exception_fp_ieee_overflow 0
		.amdhsa_exception_fp_ieee_underflow 0
		.amdhsa_exception_fp_ieee_inexact 0
		.amdhsa_exception_int_div_zero 0
	.end_amdhsa_kernel
	.section	.text._Z25selective_scan_fwd_kernelI32Selective_Scan_fwd_kernel_traitsILi128ELi16ELi1ELb1ELb1ELb1ELb1ELb1EN3c108BFloat16EfS2_EEv13SSMParamsBase,"axG",@progbits,_Z25selective_scan_fwd_kernelI32Selective_Scan_fwd_kernel_traitsILi128ELi16ELi1ELb1ELb1ELb1ELb1ELb1EN3c108BFloat16EfS2_EEv13SSMParamsBase,comdat
.Lfunc_end24:
	.size	_Z25selective_scan_fwd_kernelI32Selective_Scan_fwd_kernel_traitsILi128ELi16ELi1ELb1ELb1ELb1ELb1ELb1EN3c108BFloat16EfS2_EEv13SSMParamsBase, .Lfunc_end24-_Z25selective_scan_fwd_kernelI32Selective_Scan_fwd_kernel_traitsILi128ELi16ELi1ELb1ELb1ELb1ELb1ELb1EN3c108BFloat16EfS2_EEv13SSMParamsBase
                                        ; -- End function
	.section	.AMDGPU.csdata,"",@progbits
; Kernel info:
; codeLenInByte = 27076
; NumSgprs: 94
; NumVgprs: 177
; ScratchSize: 0
; MemoryBound: 0
; FloatMode: 240
; IeeeMode: 1
; LDSByteSize: 0 bytes/workgroup (compile time only)
; SGPRBlocks: 11
; VGPRBlocks: 22
; NumSGPRsForWavesPerEU: 94
; NumVGPRsForWavesPerEU: 177
; Occupancy: 8
; WaveLimiterHint : 1
; COMPUTE_PGM_RSRC2:SCRATCH_EN: 0
; COMPUTE_PGM_RSRC2:USER_SGPR: 14
; COMPUTE_PGM_RSRC2:TRAP_HANDLER: 0
; COMPUTE_PGM_RSRC2:TGID_X_EN: 1
; COMPUTE_PGM_RSRC2:TGID_Y_EN: 1
; COMPUTE_PGM_RSRC2:TGID_Z_EN: 0
; COMPUTE_PGM_RSRC2:TIDIG_COMP_CNT: 0
	.section	.text._Z25selective_scan_fwd_kernelI32Selective_Scan_fwd_kernel_traitsILi128ELi16ELi1ELb1ELb1ELb1ELb1ELb0EN3c108BFloat16EfS2_EEv13SSMParamsBase,"axG",@progbits,_Z25selective_scan_fwd_kernelI32Selective_Scan_fwd_kernel_traitsILi128ELi16ELi1ELb1ELb1ELb1ELb1ELb0EN3c108BFloat16EfS2_EEv13SSMParamsBase,comdat
	.protected	_Z25selective_scan_fwd_kernelI32Selective_Scan_fwd_kernel_traitsILi128ELi16ELi1ELb1ELb1ELb1ELb1ELb0EN3c108BFloat16EfS2_EEv13SSMParamsBase ; -- Begin function _Z25selective_scan_fwd_kernelI32Selective_Scan_fwd_kernel_traitsILi128ELi16ELi1ELb1ELb1ELb1ELb1ELb0EN3c108BFloat16EfS2_EEv13SSMParamsBase
	.globl	_Z25selective_scan_fwd_kernelI32Selective_Scan_fwd_kernel_traitsILi128ELi16ELi1ELb1ELb1ELb1ELb1ELb0EN3c108BFloat16EfS2_EEv13SSMParamsBase
	.p2align	8
	.type	_Z25selective_scan_fwd_kernelI32Selective_Scan_fwd_kernel_traitsILi128ELi16ELi1ELb1ELb1ELb1ELb1ELb0EN3c108BFloat16EfS2_EEv13SSMParamsBase,@function
_Z25selective_scan_fwd_kernelI32Selective_Scan_fwd_kernel_traitsILi128ELi16ELi1ELb1ELb1ELb1ELb1ELb0EN3c108BFloat16EfS2_EEv13SSMParamsBase: ; @_Z25selective_scan_fwd_kernelI32Selective_Scan_fwd_kernel_traitsILi128ELi16ELi1ELb1ELb1ELb1ELb1ELb0EN3c108BFloat16EfS2_EEv13SSMParamsBase
; %bb.0:
	s_clause 0x1
	s_load_b32 s9, s[0:1], 0x18
	s_load_b128 s[4:7], s[0:1], 0xe8
	s_mov_b32 s54, s15
	s_mov_b32 s56, 0
	s_waitcnt lgkmcnt(0)
	s_abs_i32 s8, s9
	s_cmp_eq_u64 s[6:7], 0
	v_cvt_f32_u32_e32 v1, s8
	s_delay_alu instid0(VALU_DEP_1) | instskip(SKIP_2) | instid1(VALU_DEP_1)
	v_rcp_iflag_f32_e32 v1, v1
	s_waitcnt_depctr 0xfff
	v_mul_f32_e32 v1, 0x4f7ffffe, v1
	v_cvt_u32_f32_e32 v1, v1
	s_delay_alu instid0(VALU_DEP_1)
	v_readfirstlane_b32 s10, v1
	s_cbranch_scc1 .LBB25_2
; %bb.1:
	v_mov_b32_e32 v1, 0
	s_ashr_i32 s3, s14, 31
	s_add_u32 s2, s6, s14
	s_addc_u32 s3, s7, s3
	global_load_u8 v1, v1, s[2:3]
	s_waitcnt vmcnt(0)
	v_and_b32_e32 v1, 1, v1
	s_delay_alu instid0(VALU_DEP_1)
	v_cmp_eq_u32_e64 s56, 1, v1
.LBB25_2:
	s_load_b64 s[6:7], s[0:1], 0x20
	s_cmp_eq_u64 s[4:5], 0
	s_cbranch_scc1 .LBB25_4
; %bb.3:
	s_ashr_i32 s15, s14, 31
	s_delay_alu instid0(SALU_CYCLE_1) | instskip(NEXT) | instid1(SALU_CYCLE_1)
	s_lshl_b64 s[2:3], s[14:15], 2
	s_add_u32 s2, s4, s2
	s_addc_u32 s3, s5, s3
	s_load_b32 s2, s[2:3], 0x0
	s_waitcnt lgkmcnt(0)
	s_ashr_i32 s3, s2, 31
	s_delay_alu instid0(SALU_CYCLE_1)
	s_cmp_eq_u64 s[6:7], s[2:3]
	s_cbranch_scc0 .LBB25_5
	s_branch .LBB25_90
.LBB25_4:
	s_mov_b32 s2, s14
	s_delay_alu instid0(SALU_CYCLE_1)
	s_ashr_i32 s3, s2, 31
	s_waitcnt lgkmcnt(0)
	s_cmp_eq_u64 s[6:7], s[2:3]
	s_cbranch_scc1 .LBB25_90
.LBB25_5:
	s_clause 0x1
	s_load_b512 s[16:31], s[0:1], 0x88
	s_load_b64 s[34:35], s[0:1], 0x8
	s_mov_b32 s57, 0
	s_mov_b32 s58, 0
	s_waitcnt lgkmcnt(0)
	s_cmp_eq_u64 s[22:23], 0
	s_cbranch_scc1 .LBB25_7
; %bb.6:
	s_ashr_i32 s55, s54, 31
	s_delay_alu instid0(SALU_CYCLE_1) | instskip(NEXT) | instid1(SALU_CYCLE_1)
	s_lshl_b64 s[4:5], s[54:55], 2
	s_add_u32 s4, s22, s4
	s_addc_u32 s5, s23, s5
	s_load_b32 s58, s[4:5], 0x0
.LBB25_7:
	s_cmp_eq_u64 s[28:29], 0
	s_cbranch_scc1 .LBB25_9
; %bb.8:
	s_ashr_i32 s55, s54, 31
	s_delay_alu instid0(SALU_CYCLE_1) | instskip(NEXT) | instid1(SALU_CYCLE_1)
	s_lshl_b64 s[4:5], s[54:55], 2
	s_add_u32 s4, s28, s4
	s_addc_u32 s5, s29, s5
	s_load_b32 s57, s[4:5], 0x0
.LBB25_9:
	s_cmp_lt_i32 s34, 1
	s_cbranch_scc1 .LBB25_90
; %bb.10:
	s_sub_i32 s3, 0, s8
	s_load_b256 s[36:43], s[0:1], 0x4c
	s_mul_i32 s3, s3, s10
	s_abs_i32 s4, s54
	s_mul_hi_u32 s3, s10, s3
	s_ashr_i32 s6, s9, 31
	s_add_i32 s10, s10, s3
	s_ashr_i32 s3, s54, 31
	s_mul_hi_u32 s5, s4, s10
	s_xor_b32 s3, s3, s6
	s_mul_i32 s7, s5, s8
	s_add_i32 s6, s5, 1
	s_sub_i32 s4, s4, s7
	s_load_b256 s[44:51], s[0:1], 0x2c
	s_sub_i32 s7, s4, s8
	s_cmp_ge_u32 s4, s8
	s_mov_b32 s53, 0
	s_cselect_b32 s5, s6, s5
	s_cselect_b32 s4, s7, s4
	s_add_i32 s6, s5, 1
	s_cmp_ge_u32 s4, s8
	s_waitcnt lgkmcnt(0)
	s_mul_i32 s52, s38, s14
	s_cselect_b32 s6, s6, s5
	s_lshl_b64 s[4:5], s[52:53], 1
	s_xor_b32 s6, s6, s3
	s_mul_i32 s52, s39, s54
	s_sub_i32 s3, s6, s3
	s_add_u32 s6, s24, s4
	s_addc_u32 s7, s25, s5
	s_lshl_b64 s[4:5], s[52:53], 1
	s_mul_i32 s52, s40, s14
	s_add_u32 s51, s6, s4
	s_addc_u32 s55, s7, s5
	s_lshl_b64 s[4:5], s[52:53], 1
	s_mul_i32 s52, s41, s54
	;; [unrolled: 4-line block ×3, first 2 shown]
	s_add_u32 s59, s6, s4
	s_addc_u32 s44, s7, s5
	s_clause 0x1
	s_load_b64 s[6:7], s[0:1], 0x7c
	s_load_b32 s63, s[0:1], 0x84
	s_lshl_b64 s[4:5], s[52:53], 2
	s_mul_i32 s52, s46, s14
	s_add_u32 s60, s16, s4
	s_addc_u32 s61, s17, s5
	s_lshl_b64 s[4:5], s[52:53], 1
	s_mul_i32 s52, s3, s49
	s_load_b128 s[24:27], s[0:1], 0xc8
	s_add_u32 s8, s18, s4
	s_addc_u32 s9, s19, s5
	s_lshl_b64 s[4:5], s[52:53], 1
	s_mul_i32 s52, s50, s14
	s_add_u32 s49, s8, s4
	v_dual_mov_b32 v42, 0 :: v_dual_lshlrev_b32 v1, 1, v0
	s_addc_u32 s50, s9, s5
	s_lshl_b64 s[4:5], s[52:53], 1
	s_mul_i32 s52, s3, s37
	s_add_u32 s8, s20, s4
	s_addc_u32 s3, s21, s5
	s_lshl_b64 s[4:5], s[52:53], 1
	s_load_b128 s[16:19], s[0:1], 0x6c
	s_waitcnt lgkmcnt(0)
	s_mul_i32 s52, s2, s6
	s_load_b32 s6, s[0:1], 0x28
	v_mbcnt_lo_u32_b32 v2, -1, 0
	v_and_b32_e32 v1, 0xc0, v1
	s_add_u32 s37, s8, s4
	s_addc_u32 s62, s3, s5
	s_lshl_b64 s[2:3], s[52:53], 1
	v_and_b32_e32 v4, 0x60, v0
	v_or_b32_e32 v3, v2, v1
	s_mul_i32 s52, s7, s54
	s_load_b64 s[20:21], s[0:1], 0xd8
	s_add_u32 s4, s24, s2
	s_addc_u32 s5, s25, s3
	v_or_b32_e32 v6, 32, v3
	s_lshl_b64 s[2:3], s[52:53], 1
	v_lshrrev_b32_e32 v5, 5, v1
	s_add_u32 s64, s4, s2
	v_or_b32_e32 v7, v2, v4
	v_lshrrev_b32_e32 v8, 5, v6
	s_addc_u32 s65, s5, s3
	s_add_i32 s2, s34, 0x7ff
	v_cmp_gt_u32_e64 s0, 0x100, v3
	s_lshr_b32 s66, s2, 11
	s_waitcnt lgkmcnt(0)
	s_bitcmp1_b32 s6, 0
	v_add_nc_u32_e32 v5, v5, v3
	v_lshlrev_b32_e32 v9, 1, v7
	v_bfe_u32 v7, v7, 4, 27
	v_add_lshl_u32 v3, v8, v3, 4
	s_cselect_b32 s67, -1, 0
	s_cmp_gt_i32 s35, 0
	v_lshl_add_u32 v43, v5, 4, 0
	s_cselect_b32 s68, -1, 0
	s_add_i32 s2, 0, 0x1080
	v_add_lshl_u32 v5, v7, v9, 4
	v_add_nc_u32_e32 v44, 0, v3
	v_add_nc_u32_e32 v46, s2, v3
	v_and_b32_e32 v3, 15, v2
	s_and_b32 s3, s34, 0x7ff
	v_add_nc_u32_e32 v47, s2, v5
	s_cmp_eq_u32 s3, 0
	s_mul_i32 s52, s16, s14
	v_cmp_ne_u32_e64 s2, 0, v3
	v_cmp_lt_u32_e64 s3, 1, v3
	v_cmp_lt_u32_e64 s4, 3, v3
	v_cmp_lt_u32_e64 s5, 7, v3
	v_add_nc_u32_e32 v3, -1, v2
	s_cselect_b32 s69, -1, 0
	s_lshl_b64 s[22:23], s[52:53], 1
	s_add_i32 s70, s66, -1
	s_mul_i32 s52, s17, s54
	v_cmp_gt_i32_e32 vcc_lo, 0, v3
	v_add_nc_u32_e32 v45, 0, v5
	v_lshrrev_b32_e32 v5, 2, v0
	s_add_u32 s22, s30, s22
	s_addc_u32 s23, s31, s23
	v_cndmask_b32_e32 v3, v3, v2, vcc_lo
	v_or_b32_e32 v4, 31, v4
	s_lshl_b64 s[16:17], s[52:53], 1
	v_lshlrev_b32_e32 v48, 4, v0
	v_cmp_gt_u32_e64 s8, 4, v0
	v_lshl_add_u32 v50, v0, 3, 0
	v_cmp_eq_u32_e64 s7, v4, v0
	v_cmp_gt_u32_e64 s11, 32, v0
	v_cmp_lt_u32_e64 s12, 31, v0
	v_cmp_eq_u32_e64 s13, 0, v0
	s_mul_i32 s52, s42, s14
	v_lshlrev_b32_e32 v0, 4, v2
	s_add_u32 s22, s22, s16
	v_and_b32_e32 v4, 3, v2
	s_addc_u32 s23, s23, s17
	s_lshl_b64 s[16:17], s[52:53], 1
	v_and_b32_e32 v5, 24, v5
	s_mul_i32 s52, s43, s54
	s_add_u32 s24, s26, s16
	v_lshlrev_b32_e32 v51, 2, v3
	s_addc_u32 s25, s27, s17
	s_lshl_b64 s[16:17], s[52:53], 1
	v_add_co_u32 v3, s22, s22, v0
	s_mul_i32 s52, s18, s14
	v_cmp_ne_u32_e64 s9, 0, v4
	v_cmp_lt_u32_e64 s10, 1, v4
	v_add_co_ci_u32_e64 v4, null, s23, 0, s22
	s_add_u32 s22, s24, s16
	v_add_nc_u32_e32 v49, 0, v5
	s_addc_u32 s14, s25, s17
	s_lshl_b64 s[16:17], s[52:53], 1
	v_lshlrev_b32_e32 v5, 4, v1
	s_mul_i32 s52, s19, s54
	s_add_u32 s18, s20, s16
	s_addc_u32 s19, s21, s17
	s_lshl_b64 s[16:17], s[52:53], 1
	v_cmp_gt_u32_e64 s1, 0x100, v6
	v_and_b32_e32 v6, 16, v2
	v_add_co_u32 v52, vcc_lo, v3, v5
	s_add_u32 s16, s18, s16
	v_add_co_u32 v3, s18, s22, v0
	v_add_co_ci_u32_e32 v53, vcc_lo, 0, v4, vcc_lo
	v_add_co_ci_u32_e64 v4, null, s14, 0, s18
	s_addc_u32 s17, s19, s17
	v_add_co_u32 v0, s14, s16, v0
	v_cmp_ne_u32_e64 s6, 0, v6
	v_add_co_ci_u32_e64 v6, null, s17, 0, s14
	v_add_co_u32 v54, vcc_lo, v3, v5
	v_add_co_ci_u32_e32 v55, vcc_lo, 0, v4, vcc_lo
	v_add_co_u32 v56, vcc_lo, v0, v5
	v_cmp_eq_u32_e64 s15, 0, v2
	v_add_co_ci_u32_e32 v57, vcc_lo, 0, v6, vcc_lo
	v_or_b32_e32 v58, 1, v48
	v_or_b32_e32 v59, 2, v48
	;; [unrolled: 1-line block ×15, first 2 shown]
	v_lshlrev_b32_e32 v73, 4, v2
	v_lshlrev_b32_e32 v74, 4, v1
	s_mov_b32 s54, 0x3e9b6dac
	s_add_i32 s71, 0, 0x2120
	s_mov_b32 s72, 0
                                        ; implicit-def: $vgpr4
                                        ; implicit-def: $vgpr0
                                        ; implicit-def: $vgpr12
                                        ; implicit-def: $vgpr8
                                        ; implicit-def: $vgpr20
                                        ; implicit-def: $vgpr16
	s_branch .LBB25_12
.LBB25_11:                              ;   in Loop: Header=BB25_12 Depth=1
	s_or_b32 exec_lo, exec_lo, s14
	s_waitcnt vmcnt(0)
	ds_store_b128 v43, v[4:7]
	ds_store_b128 v44, v[0:3] offset:512
	; wave barrier
	ds_load_b128 v[4:7], v45
	ds_load_b128 v[0:3], v45 offset:16
	s_waitcnt lgkmcnt(0)
	s_barrier
	buffer_gl0_inv
	s_add_u32 s59, s59, 0x1000
	s_addc_u32 s44, s44, 0
	s_add_u32 s51, s51, 0x1000
	s_addc_u32 s55, s55, 0
	;; [unrolled: 2-line block ×4, first 2 shown]
	s_add_i32 s72, s72, 1
	s_delay_alu instid0(SALU_CYCLE_1) | instskip(SKIP_1) | instid1(VALU_DEP_1)
	s_cmp_eq_u32 s72, s66
	v_and_b32_e32 v26, 0xffff0000, v5
	v_dual_mul_f32 v32, 0xbfb8aa3b, v26 :: v_dual_lshlrev_b32 v25, 16, v4
	s_delay_alu instid0(VALU_DEP_1) | instskip(NEXT) | instid1(VALU_DEP_2)
	v_mul_f32_e32 v31, 0xbfb8aa3b, v25
	v_rndne_f32_e32 v41, v32
	s_delay_alu instid0(VALU_DEP_2) | instskip(SKIP_2) | instid1(VALU_DEP_3)
	v_rndne_f32_e32 v38, v31
	v_and_b32_e32 v24, 0xffff0000, v4
	v_fma_f32 v39, 0xbfb8aa3b, v25, -v31
	v_sub_f32_e32 v31, v31, v38
	s_delay_alu instid0(VALU_DEP_3) | instskip(SKIP_1) | instid1(VALU_DEP_4)
	v_dual_mul_f32 v30, 0xbfb8aa3b, v24 :: v_dual_lshlrev_b32 v27, 16, v5
	v_cmp_nlt_f32_e32 vcc_lo, 0x42ce8ed0, v24
	v_fmac_f32_e32 v39, 0xb2a5705f, v25
	s_delay_alu instid0(VALU_DEP_3) | instskip(SKIP_2) | instid1(VALU_DEP_4)
	v_fma_f32 v36, 0xbfb8aa3b, v24, -v30
	v_rndne_f32_e32 v37, v30
	v_mul_f32_e32 v33, 0xbfb8aa3b, v27
	v_add_f32_e32 v31, v31, v39
	v_fma_f32 v40, 0xbfb8aa3b, v26, -v32
	v_fmac_f32_e32 v36, 0xb2a5705f, v24
	v_sub_f32_e32 v30, v30, v37
	v_rndne_f32_e32 v75, v33
	v_and_b32_e32 v28, 0xffff0000, v6
	v_fma_f32 v76, 0xbfb8aa3b, v27, -v33
	v_exp_f32_e32 v31, v31
	s_delay_alu instid0(VALU_DEP_3) | instskip(NEXT) | instid1(VALU_DEP_3)
	v_dual_add_f32 v30, v30, v36 :: v_dual_sub_f32 v33, v33, v75
	v_dual_mul_f32 v34, 0xbfb8aa3b, v28 :: v_dual_lshlrev_b32 v29, 16, v6
	v_cvt_i32_f32_e32 v36, v37
	s_delay_alu instid0(VALU_DEP_3)
	v_exp_f32_e32 v30, v30
	v_cvt_i32_f32_e32 v37, v38
	v_fmac_f32_e32 v76, 0xb2a5705f, v27
	v_fma_f32 v77, 0xbfb8aa3b, v28, -v34
	v_fmac_f32_e32 v40, 0xb2a5705f, v26
	v_sub_f32_e32 v32, v32, v41
	v_rndne_f32_e32 v78, v34
	v_add_f32_e32 v33, v33, v76
	v_fmac_f32_e32 v77, 0xb2a5705f, v28
	s_delay_alu instid0(VALU_DEP_4) | instskip(SKIP_3) | instid1(VALU_DEP_4)
	v_dual_mul_f32 v35, 0xbfb8aa3b, v29 :: v_dual_add_f32 v32, v32, v40
	v_ldexp_f32 v30, v30, v36
	v_ldexp_f32 v31, v31, v37
	v_cvt_i32_f32_e32 v38, v41
	v_rndne_f32_e32 v79, v35
	v_exp_f32_e32 v32, v32
	v_cndmask_b32_e32 v30, 0, v30, vcc_lo
	v_cmp_nlt_f32_e32 vcc_lo, 0x42ce8ed0, v25
	v_sub_f32_e32 v34, v34, v78
	v_exp_f32_e32 v33, v33
	v_cvt_i32_f32_e32 v39, v75
	v_fma_f32 v80, 0xbfb8aa3b, v29, -v35
	v_cndmask_b32_e32 v31, 0, v31, vcc_lo
	v_cmp_ngt_f32_e32 vcc_lo, 0xc2b17218, v24
	v_add_f32_e32 v34, v34, v77
	v_ldexp_f32 v32, v32, v38
	v_sub_f32_e32 v35, v35, v79
	v_cvt_i32_f32_e32 v36, v78
	v_cndmask_b32_e32 v30, 0x7f800000, v30, vcc_lo
	v_cmp_ngt_f32_e32 vcc_lo, 0xc2b17218, v25
	v_ldexp_f32 v33, v33, v39
	v_cvt_i32_f32_e32 v79, v79
	v_exp_f32_e32 v34, v34
	v_cndmask_b32_e32 v31, 0x7f800000, v31, vcc_lo
	v_cmp_nlt_f32_e32 vcc_lo, 0x42ce8ed0, v26
	s_delay_alu instid0(VALU_DEP_2)
	v_dual_add_f32 v31, 1.0, v31 :: v_dual_cndmask_b32 v32, 0, v32
	v_cmp_nlt_f32_e32 vcc_lo, 0x42ce8ed0, v27
	s_waitcnt_depctr 0xfff
	v_ldexp_f32 v34, v34, v36
	v_div_scale_f32 v38, null, v31, v31, v25
	v_cndmask_b32_e32 v33, 0, v33, vcc_lo
	v_cmp_ngt_f32_e32 vcc_lo, 0xc2b17218, v26
	v_div_scale_f32 v77, s14, v25, v31, v25
	s_delay_alu instid0(VALU_DEP_4) | instskip(SKIP_3) | instid1(VALU_DEP_1)
	v_rcp_f32_e32 v40, v38
	v_cndmask_b32_e32 v32, 0x7f800000, v32, vcc_lo
	v_cmp_ngt_f32_e32 vcc_lo, 0xc2b17218, v27
	v_dual_add_f32 v30, 1.0, v30 :: v_dual_cndmask_b32 v33, 0x7f800000, v33
	v_div_scale_f32 v37, null, v30, v30, v24
	s_waitcnt_depctr 0xfff
	v_fma_f32 v75, -v38, v40, 1.0
	v_div_scale_f32 v76, vcc_lo, v24, v30, v24
	v_rcp_f32_e32 v39, v37
	s_delay_alu instid0(VALU_DEP_2) | instskip(SKIP_1) | instid1(VALU_DEP_2)
	v_dual_add_f32 v33, 1.0, v33 :: v_dual_fmac_f32 v40, v75, v40
	v_fmac_f32_e32 v80, 0xb2a5705f, v29
	v_div_scale_f32 v75, null, v33, v33, v27
	s_delay_alu instid0(VALU_DEP_3) | instskip(NEXT) | instid1(VALU_DEP_3)
	v_mul_f32_e32 v81, v77, v40
	v_add_f32_e32 v35, v35, v80
	s_waitcnt_depctr 0xfff
	v_fma_f32 v41, -v37, v39, 1.0
	v_rcp_f32_e32 v82, v75
	v_fma_f32 v90, -v38, v81, v77
	v_exp_f32_e32 v35, v35
	s_delay_alu instid0(VALU_DEP_2) | instskip(NEXT) | instid1(VALU_DEP_1)
	v_fmac_f32_e32 v39, v41, v39
	v_dual_fmac_f32 v81, v90, v40 :: v_dual_mul_f32 v78, v76, v39
	s_delay_alu instid0(VALU_DEP_1) | instskip(NEXT) | instid1(VALU_DEP_2)
	v_fma_f32 v38, -v38, v81, v77
	v_fma_f32 v83, -v37, v78, v76
	s_delay_alu instid0(VALU_DEP_1) | instskip(NEXT) | instid1(VALU_DEP_1)
	v_fmac_f32_e32 v78, v83, v39
	v_fma_f32 v37, -v37, v78, v76
	s_delay_alu instid0(TRANS32_DEP_2) | instskip(NEXT) | instid1(VALU_DEP_2)
	v_fma_f32 v76, -v75, v82, 1.0
	v_div_fmas_f32 v37, v37, v39, v78
	s_mov_b32 vcc_lo, s14
	s_delay_alu instid0(VALU_DEP_2)
	v_fmac_f32_e32 v82, v76, v82
	v_div_fmas_f32 v38, v38, v40, v81
	v_cmp_nlt_f32_e32 vcc_lo, 0x42ce8ed0, v28
	v_div_fixup_f32 v24, v37, v30, v24
	v_div_scale_f32 v30, s14, v27, v33, v27
	v_add_f32_e32 v32, 1.0, v32
	v_div_fixup_f32 v25, v38, v31, v25
	v_ldexp_f32 v31, v35, v79
	s_delay_alu instid0(VALU_DEP_4) | instskip(SKIP_3) | instid1(VALU_DEP_4)
	v_mul_f32_e32 v35, v30, v82
	v_cndmask_b32_e32 v34, 0, v34, vcc_lo
	v_div_scale_f32 v41, null, v32, v32, v26
	v_div_scale_f32 v36, s16, v26, v32, v26
	v_fma_f32 v40, -v75, v35, v30
	s_delay_alu instid0(VALU_DEP_3) | instskip(SKIP_2) | instid1(VALU_DEP_3)
	v_rcp_f32_e32 v80, v41
	v_cmp_ngt_f32_e32 vcc_lo, 0xc2b17218, v28
	v_mul_f32_e32 v25, v102, v25
	v_fmac_f32_e32 v35, v40, v82
	v_cndmask_b32_e32 v34, 0x7f800000, v34, vcc_lo
	v_cmp_nlt_f32_e32 vcc_lo, 0x42ce8ed0, v29
	v_mul_f32_e32 v24, v103, v24
	s_delay_alu instid0(VALU_DEP_4) | instskip(NEXT) | instid1(TRANS32_DEP_1)
	v_fma_f32 v30, -v75, v35, v30
	v_fma_f32 v83, -v41, v80, 1.0
	v_cndmask_b32_e32 v31, 0, v31, vcc_lo
	s_mov_b32 vcc_lo, s16
	v_bfe_u32 v39, v24, 16, 1
	s_delay_alu instid0(VALU_DEP_3) | instskip(NEXT) | instid1(VALU_DEP_2)
	v_fmac_f32_e32 v80, v83, v80
	v_add3_u32 v39, v24, v39, 0x7fff
	s_delay_alu instid0(VALU_DEP_2) | instskip(NEXT) | instid1(VALU_DEP_2)
	v_mul_f32_e32 v37, v36, v80
	v_lshrrev_b32_e32 v39, 16, v39
	s_delay_alu instid0(VALU_DEP_2) | instskip(NEXT) | instid1(VALU_DEP_1)
	v_fma_f32 v38, -v41, v37, v36
	v_fmac_f32_e32 v37, v38, v80
	v_bfe_u32 v38, v25, 16, 1
	s_delay_alu instid0(VALU_DEP_2) | instskip(NEXT) | instid1(VALU_DEP_2)
	v_fma_f32 v36, -v41, v37, v36
	v_add3_u32 v38, v25, v38, 0x7fff
	s_delay_alu instid0(VALU_DEP_2) | instskip(SKIP_1) | instid1(VALU_DEP_2)
	v_div_fmas_f32 v36, v36, v80, v37
	v_cmp_ngt_f32_e32 vcc_lo, 0xc2b17218, v29
	v_div_fixup_f32 v26, v36, v32, v26
	v_cndmask_b32_e32 v31, 0x7f800000, v31, vcc_lo
	s_mov_b32 vcc_lo, s14
	v_div_fmas_f32 v30, v30, v82, v35
	s_delay_alu instid0(VALU_DEP_2) | instskip(SKIP_2) | instid1(VALU_DEP_4)
	v_dual_mul_f32 v26, v100, v26 :: v_dual_add_f32 v31, 1.0, v31
	v_lshrrev_b32_e32 v35, 16, v38
	v_cmp_o_f32_e32 vcc_lo, v24, v24
	v_div_fixup_f32 v27, v30, v33, v27
	v_add_f32_e32 v34, 1.0, v34
	v_div_scale_f32 v30, null, v31, v31, v29
	v_div_scale_f32 v78, s14, v29, v31, v29
	s_delay_alu instid0(VALU_DEP_4) | instskip(NEXT) | instid1(VALU_DEP_4)
	v_mul_f32_e32 v27, v99, v27
	v_div_scale_f32 v37, null, v34, v34, v28
	s_delay_alu instid0(VALU_DEP_4) | instskip(NEXT) | instid1(VALU_DEP_2)
	v_rcp_f32_e32 v32, v30
	v_bfe_u32 v36, v27, 16, 1
	s_delay_alu instid0(VALU_DEP_2) | instskip(NEXT) | instid1(VALU_DEP_1)
	v_rcp_f32_e32 v38, v37
	v_add3_u32 v36, v27, v36, 0x7fff
	s_waitcnt_depctr 0xfff
	v_fma_f32 v40, -v30, v32, 1.0
	v_lshrrev_b32_e32 v36, 16, v36
	v_fma_f32 v33, -v37, v38, 1.0
	s_delay_alu instid0(VALU_DEP_3) | instskip(SKIP_1) | instid1(VALU_DEP_3)
	v_fmac_f32_e32 v32, v40, v32
	v_lshlrev_b32_e32 v40, 16, v7
	v_dual_fmac_f32 v38, v33, v38 :: v_dual_and_b32 v33, 0xffff0000, v7
	v_cndmask_b32_e32 v24, 0x7fc0, v39, vcc_lo
	v_cmp_o_f32_e32 vcc_lo, v25, v25
	v_mul_f32_e32 v81, v78, v32
	s_delay_alu instid0(VALU_DEP_4) | instskip(SKIP_2) | instid1(VALU_DEP_3)
	v_mul_f32_e32 v41, 0xbfb8aa3b, v33
	v_cndmask_b32_e32 v25, 0x7fc0, v35, vcc_lo
	v_div_scale_f32 v39, vcc_lo, v28, v34, v28
	v_fma_f32 v76, 0xbfb8aa3b, v33, -v41
	v_rndne_f32_e32 v77, v41
	v_bfe_u32 v35, v26, 16, 1
	s_delay_alu instid0(VALU_DEP_4)
	v_mul_f32_e32 v75, v39, v38
	v_perm_b32 v25, v24, v25, 0x5040100
	v_fmac_f32_e32 v76, 0xb2a5705f, v33
	v_sub_f32_e32 v41, v41, v77
	v_add3_u32 v35, v26, v35, 0x7fff
	v_fma_f32 v80, -v37, v75, v39
	s_delay_alu instid0(VALU_DEP_3) | instskip(SKIP_1) | instid1(VALU_DEP_3)
	v_add_f32_e32 v41, v41, v76
	v_fma_f32 v76, -v30, v81, v78
	v_fmac_f32_e32 v75, v80, v38
	v_lshrrev_b32_e32 v35, 16, v35
	s_delay_alu instid0(VALU_DEP_4) | instskip(NEXT) | instid1(VALU_DEP_3)
	v_exp_f32_e32 v41, v41
	v_fmac_f32_e32 v81, v76, v32
	s_delay_alu instid0(VALU_DEP_3) | instskip(SKIP_1) | instid1(VALU_DEP_3)
	v_fma_f32 v37, -v37, v75, v39
	v_cvt_i32_f32_e32 v76, v77
	v_fma_f32 v30, -v30, v81, v78
	s_delay_alu instid0(VALU_DEP_3) | instskip(SKIP_1) | instid1(VALU_DEP_2)
	v_div_fmas_f32 v37, v37, v38, v75
	s_mov_b32 vcc_lo, s14
	v_div_fmas_f32 v30, v30, v32, v81
	v_cmp_nlt_f32_e32 vcc_lo, 0x42ce8ed0, v33
	v_mul_f32_e32 v79, 0xbfb8aa3b, v40
	v_div_fixup_f32 v28, v37, v34, v28
	s_delay_alu instid0(VALU_DEP_4) | instskip(NEXT) | instid1(VALU_DEP_3)
	v_div_fixup_f32 v29, v30, v31, v29
	v_rndne_f32_e32 v82, v79
	v_fma_f32 v83, 0xbfb8aa3b, v40, -v79
	s_delay_alu instid0(VALU_DEP_2) | instskip(NEXT) | instid1(VALU_DEP_2)
	v_dual_mul_f32 v28, v97, v28 :: v_dual_sub_f32 v79, v79, v82
	v_fmac_f32_e32 v83, 0xb2a5705f, v40
	s_delay_alu instid0(VALU_DEP_1) | instskip(NEXT) | instid1(VALU_DEP_1)
	v_add_f32_e32 v39, v79, v83
	v_exp_f32_e32 v38, v39
	v_ldexp_f32 v39, v41, v76
	v_cvt_i32_f32_e32 v41, v82
	s_delay_alu instid0(VALU_DEP_2)
	v_cndmask_b32_e32 v32, 0, v39, vcc_lo
	v_cmp_ngt_f32_e32 vcc_lo, 0xc2b17218, v33
	s_waitcnt_depctr 0xfff
	v_ldexp_f32 v34, v38, v41
	v_cndmask_b32_e32 v30, 0x7f800000, v32, vcc_lo
	v_cmp_nlt_f32_e32 vcc_lo, 0x42ce8ed0, v40
	v_bfe_u32 v32, v28, 16, 1
	s_delay_alu instid0(VALU_DEP_3) | instskip(SKIP_2) | instid1(VALU_DEP_4)
	v_add_f32_e32 v30, 1.0, v30
	v_cndmask_b32_e32 v31, 0, v34, vcc_lo
	v_cmp_ngt_f32_e32 vcc_lo, 0xc2b17218, v40
	v_add3_u32 v32, v28, v32, 0x7fff
	s_delay_alu instid0(VALU_DEP_4) | instskip(NEXT) | instid1(VALU_DEP_4)
	v_div_scale_f32 v34, null, v30, v30, v33
	v_cndmask_b32_e32 v31, 0x7f800000, v31, vcc_lo
	v_cmp_o_f32_e32 vcc_lo, v26, v26
	s_delay_alu instid0(VALU_DEP_4) | instskip(NEXT) | instid1(VALU_DEP_4)
	v_lshrrev_b32_e32 v32, 16, v32
	v_rcp_f32_e32 v38, v34
	v_cndmask_b32_e32 v26, 0x7fc0, v35, vcc_lo
	v_cmp_o_f32_e32 vcc_lo, v27, v27
	v_cndmask_b32_e32 v36, 0x7fc0, v36, vcc_lo
	v_cmp_o_f32_e32 vcc_lo, v28, v28
	v_dual_mul_f32 v29, v98, v29 :: v_dual_and_b32 v28, 0xffff0000, v0
	s_waitcnt_depctr 0xfff
	v_fma_f32 v27, -v34, v38, 1.0
	v_perm_b32 v26, v26, v36, 0x5040100
	v_cndmask_b32_e32 v32, 0x7fc0, v32, vcc_lo
	v_mul_f32_e32 v75, 0xbfb8aa3b, v28
	v_bfe_u32 v37, v29, 16, 1
	v_fmac_f32_e32 v38, v27, v38
	v_div_scale_f32 v27, vcc_lo, v33, v30, v33
	s_delay_alu instid0(VALU_DEP_4)
	v_fma_f32 v76, 0xbfb8aa3b, v28, -v75
	v_add_f32_e32 v31, 1.0, v31
	v_add3_u32 v35, v29, v37, 0x7fff
	v_cmp_o_f32_e64 s14, v29, v29
	v_rndne_f32_e32 v77, v75
	v_fmac_f32_e32 v76, 0xb2a5705f, v28
	v_div_scale_f32 v39, null, v31, v31, v40
	v_lshrrev_b32_e32 v35, 16, v35
	s_delay_alu instid0(VALU_DEP_4) | instskip(NEXT) | instid1(VALU_DEP_3)
	v_sub_f32_e32 v75, v75, v77
	v_rcp_f32_e32 v37, v39
	s_delay_alu instid0(VALU_DEP_2) | instskip(SKIP_3) | instid1(VALU_DEP_3)
	v_cndmask_b32_e64 v29, 0x7fc0, v35, s14
	v_mul_f32_e32 v35, v27, v38
	v_div_scale_f32 v78, s14, v40, v31, v40
	v_add_f32_e32 v75, v75, v76
	v_fma_f32 v80, -v34, v35, v27
	s_waitcnt_depctr 0xfff
	v_fma_f32 v41, -v39, v37, 1.0
	v_fmac_f32_e32 v35, v80, v38
	s_delay_alu instid0(VALU_DEP_2) | instskip(NEXT) | instid1(VALU_DEP_2)
	v_fmac_f32_e32 v37, v41, v37
	v_fma_f32 v27, -v34, v35, v27
	v_cvt_i32_f32_e32 v34, v77
	s_delay_alu instid0(VALU_DEP_3) | instskip(NEXT) | instid1(VALU_DEP_3)
	v_mul_f32_e32 v81, v78, v37
	v_div_fmas_f32 v27, v27, v38, v35
	s_mov_b32 vcc_lo, s14
	s_delay_alu instid0(VALU_DEP_2) | instskip(NEXT) | instid1(VALU_DEP_2)
	v_fma_f32 v76, -v39, v81, v78
	v_div_fixup_f32 v27, v27, v30, v33
	s_delay_alu instid0(VALU_DEP_2) | instskip(NEXT) | instid1(VALU_DEP_1)
	v_fmac_f32_e32 v81, v76, v37
	v_fma_f32 v35, -v39, v81, v78
	v_lshlrev_b32_e32 v78, 16, v1
	v_exp_f32_e32 v75, v75
	s_delay_alu instid0(VALU_DEP_1) | instskip(NEXT) | instid1(VALU_DEP_3)
	v_mul_f32_e32 v80, 0xbfb8aa3b, v78
	v_div_fmas_f32 v35, v35, v37, v81
	v_cmp_nlt_f32_e32 vcc_lo, 0x42ce8ed0, v28
	s_delay_alu instid0(VALU_DEP_3) | instskip(SKIP_4) | instid1(VALU_DEP_3)
	v_rndne_f32_e32 v81, v80
	s_waitcnt_depctr 0xfff
	v_ldexp_f32 v34, v75, v34
	v_lshlrev_b32_e32 v41, 16, v0
	v_div_fixup_f32 v30, v35, v31, v40
	v_cndmask_b32_e32 v34, 0, v34, vcc_lo
	v_cmp_ngt_f32_e32 vcc_lo, 0xc2b17218, v28
	s_delay_alu instid0(VALU_DEP_3) | instskip(NEXT) | instid1(VALU_DEP_3)
	v_mul_f32_e32 v30, v94, v30
	v_cndmask_b32_e32 v33, 0x7f800000, v34, vcc_lo
	v_and_b32_e32 v34, 0xffff0000, v1
	s_delay_alu instid0(VALU_DEP_3) | instskip(NEXT) | instid1(VALU_DEP_3)
	v_bfe_u32 v39, v30, 16, 1
	v_add_f32_e32 v33, 1.0, v33
	s_delay_alu instid0(VALU_DEP_3) | instskip(NEXT) | instid1(VALU_DEP_3)
	v_cmp_nlt_f32_e64 s16, 0x42ce8ed0, v34
	v_add3_u32 v39, v30, v39, 0x7fff
	s_delay_alu instid0(VALU_DEP_3) | instskip(NEXT) | instid1(VALU_DEP_2)
	v_div_scale_f32 v35, null, v33, v33, v28
	v_lshrrev_b32_e32 v39, 16, v39
	s_delay_alu instid0(VALU_DEP_2) | instskip(SKIP_1) | instid1(VALU_DEP_1)
	v_rcp_f32_e32 v40, v35
	v_mul_f32_e32 v79, 0xbfb8aa3b, v41
	v_rndne_f32_e32 v82, v79
	v_fma_f32 v83, 0xbfb8aa3b, v41, -v79
	s_delay_alu instid0(VALU_DEP_2)
	v_sub_f32_e32 v79, v79, v82
	v_cvt_i32_f32_e32 v37, v82
	v_fma_f32 v82, 0xbfb8aa3b, v78, -v80
	v_sub_f32_e32 v80, v80, v81
	v_fmac_f32_e32 v83, 0xb2a5705f, v41
	v_cmp_nlt_f32_e32 vcc_lo, 0x42ce8ed0, v41
	v_cvt_i32_f32_e32 v81, v81
	v_fmac_f32_e32 v82, 0xb2a5705f, v78
	s_delay_alu instid0(VALU_DEP_4) | instskip(NEXT) | instid1(VALU_DEP_1)
	v_add_f32_e32 v76, v79, v83
	v_exp_f32_e32 v38, v76
	s_waitcnt_depctr 0xfff
	v_ldexp_f32 v31, v38, v37
	v_mul_f32_e32 v37, 0xbfb8aa3b, v34
	s_delay_alu instid0(VALU_DEP_2) | instskip(SKIP_1) | instid1(VALU_DEP_3)
	v_cndmask_b32_e32 v31, 0, v31, vcc_lo
	v_cmp_ngt_f32_e32 vcc_lo, 0xc2b17218, v41
	v_fma_f32 v75, 0xbfb8aa3b, v34, -v37
	v_rndne_f32_e32 v76, v37
	s_delay_alu instid0(VALU_DEP_4) | instskip(NEXT) | instid1(VALU_DEP_3)
	v_cndmask_b32_e32 v31, 0x7f800000, v31, vcc_lo
	v_fmac_f32_e32 v75, 0xb2a5705f, v34
	s_delay_alu instid0(VALU_DEP_3) | instskip(SKIP_3) | instid1(VALU_DEP_4)
	v_sub_f32_e32 v37, v37, v76
	v_cvt_i32_f32_e32 v76, v76
	v_div_scale_f32 v83, vcc_lo, v28, v33, v28
	v_add_f32_e32 v31, 1.0, v31
	v_add_f32_e32 v37, v37, v75
	v_fma_f32 v75, -v35, v40, 1.0
	s_delay_alu instid0(VALU_DEP_3) | instskip(NEXT) | instid1(VALU_DEP_3)
	v_div_scale_f32 v77, null, v31, v31, v41
	v_exp_f32_e32 v37, v37
	s_delay_alu instid0(VALU_DEP_2) | instskip(NEXT) | instid1(VALU_DEP_2)
	v_fmac_f32_e32 v40, v75, v40
	v_rcp_f32_e32 v79, v77
	s_waitcnt_depctr 0xfff
	v_ldexp_f32 v37, v37, v76
	v_div_scale_f32 v76, s14, v41, v31, v41
	v_fma_f32 v75, -v77, v79, 1.0
	s_delay_alu instid0(VALU_DEP_3) | instskip(SKIP_1) | instid1(VALU_DEP_3)
	v_cndmask_b32_e64 v37, 0, v37, s16
	v_cmp_ngt_f32_e64 s16, 0xc2b17218, v34
	v_fmac_f32_e32 v79, v75, v79
	v_dual_add_f32 v75, v80, v82 :: v_dual_mul_f32 v80, v83, v40
	s_delay_alu instid0(VALU_DEP_3) | instskip(SKIP_1) | instid1(VALU_DEP_4)
	v_cndmask_b32_e64 v37, 0x7f800000, v37, s16
	v_cmp_nlt_f32_e64 s16, 0x42ce8ed0, v78
	v_mul_f32_e32 v82, v76, v79
	s_delay_alu instid0(VALU_DEP_4) | instskip(SKIP_2) | instid1(VALU_DEP_3)
	v_exp_f32_e32 v75, v75
	v_fma_f32 v90, -v35, v80, v83
	v_add_f32_e32 v37, 1.0, v37
	v_fma_f32 v93, -v77, v82, v76
	s_delay_alu instid0(VALU_DEP_3) | instskip(NEXT) | instid1(VALU_DEP_2)
	v_fmac_f32_e32 v80, v90, v40
	v_fmac_f32_e32 v82, v93, v79
	s_waitcnt_depctr 0xfff
	v_ldexp_f32 v75, v75, v81
	v_fma_f32 v35, -v35, v80, v83
	v_div_scale_f32 v81, null, v37, v37, v34
	v_fma_f32 v76, -v77, v82, v76
	s_delay_alu instid0(VALU_DEP_4)
	v_cndmask_b32_e64 v75, 0, v75, s16
	v_cmp_ngt_f32_e64 s16, 0xc2b17218, v78
	v_div_fmas_f32 v35, v35, v40, v80
	s_mov_b32 vcc_lo, s14
	v_cmp_o_f32_e64 s14, v30, v30
	v_rcp_f32_e32 v77, v81
	v_cndmask_b32_e64 v75, 0x7f800000, v75, s16
	v_div_fixup_f32 v28, v35, v33, v28
	s_delay_alu instid0(VALU_DEP_3) | instskip(NEXT) | instid1(VALU_DEP_3)
	v_cndmask_b32_e64 v30, 0x7fc0, v39, s14
	v_add_f32_e32 v40, 1.0, v75
	v_div_fmas_f32 v75, v76, v79, v82
	s_waitcnt_depctr 0xfff
	v_fma_f32 v79, -v81, v77, 1.0
	v_div_scale_f32 v76, null, v40, v40, v78
	v_div_fixup_f32 v31, v75, v31, v41
	s_delay_alu instid0(VALU_DEP_3) | instskip(NEXT) | instid1(VALU_DEP_3)
	v_fmac_f32_e32 v77, v79, v77
	v_rcp_f32_e32 v33, v76
	s_delay_alu instid0(VALU_DEP_2) | instskip(NEXT) | instid1(VALU_DEP_1)
	v_mul_f32_e32 v31, v91, v31
	v_bfe_u32 v75, v31, 16, 1
	s_waitcnt_depctr 0xfff
	v_fma_f32 v41, -v76, v33, 1.0
	s_delay_alu instid0(VALU_DEP_1) | instskip(SKIP_2) | instid1(VALU_DEP_1)
	v_fmac_f32_e32 v33, v41, v33
	v_div_scale_f32 v41, s14, v78, v40, v78
	v_mul_f32_e32 v27, v95, v27
	v_bfe_u32 v38, v27, 16, 1
	v_cmp_o_f32_e32 vcc_lo, v27, v27
	s_delay_alu instid0(VALU_DEP_2) | instskip(NEXT) | instid1(VALU_DEP_1)
	v_add3_u32 v38, v27, v38, 0x7fff
	v_lshrrev_b32_e32 v38, 16, v38
	s_delay_alu instid0(VALU_DEP_1) | instskip(SKIP_2) | instid1(VALU_DEP_3)
	v_cndmask_b32_e32 v27, 0x7fc0, v38, vcc_lo
	v_div_scale_f32 v35, vcc_lo, v34, v37, v34
	v_mul_f32_e32 v38, v92, v28
	v_perm_b32 v28, v27, v30, 0x5040100
	s_delay_alu instid0(VALU_DEP_3) | instskip(SKIP_1) | instid1(VALU_DEP_4)
	v_mul_f32_e32 v39, v35, v77
	v_perm_b32 v27, v32, v29, 0x5040100
	v_bfe_u32 v30, v38, 16, 1
	v_mul_f32_e32 v32, v41, v33
	s_delay_alu instid0(VALU_DEP_4) | instskip(NEXT) | instid1(VALU_DEP_3)
	v_fma_f32 v79, -v81, v39, v35
	v_add3_u32 v29, v38, v30, 0x7fff
	v_add3_u32 v30, v31, v75, 0x7fff
	s_delay_alu instid0(VALU_DEP_4) | instskip(NEXT) | instid1(VALU_DEP_4)
	v_fma_f32 v36, -v76, v32, v41
	v_fmac_f32_e32 v39, v79, v77
	v_and_b32_e32 v75, 0xffff0000, v2
	v_lshrrev_b32_e32 v29, 16, v29
	s_delay_alu instid0(VALU_DEP_4) | instskip(NEXT) | instid1(VALU_DEP_4)
	v_dual_fmac_f32 v32, v36, v33 :: v_dual_and_b32 v79, 0xffff0000, v3
	v_fma_f32 v35, -v81, v39, v35
	s_delay_alu instid0(VALU_DEP_4) | instskip(SKIP_1) | instid1(VALU_DEP_4)
	v_mul_f32_e32 v36, 0xbfb8aa3b, v75
	v_lshrrev_b32_e32 v30, 16, v30
	v_mul_f32_e32 v80, 0xbfb8aa3b, v79
	s_delay_alu instid0(VALU_DEP_4) | instskip(SKIP_2) | instid1(VALU_DEP_3)
	v_div_fmas_f32 v35, v35, v77, v39
	v_lshlrev_b32_e32 v39, 16, v2
	v_cmp_o_f32_e32 vcc_lo, v38, v38
	v_div_fixup_f32 v34, v35, v37, v34
	s_delay_alu instid0(VALU_DEP_3)
	v_mul_f32_e32 v38, 0xbfb8aa3b, v39
	v_fma_f32 v35, -v76, v32, v41
	v_fma_f32 v37, 0xbfb8aa3b, v75, -v36
	v_rndne_f32_e32 v41, v36
	v_cndmask_b32_e32 v29, 0x7fc0, v29, vcc_lo
	v_rndne_f32_e32 v76, v38
	v_fma_f32 v77, 0xbfb8aa3b, v39, -v38
	s_delay_alu instid0(VALU_DEP_4) | instskip(SKIP_1) | instid1(VALU_DEP_2)
	v_dual_fmac_f32 v37, 0xb2a5705f, v75 :: v_dual_sub_f32 v36, v36, v41
	s_mov_b32 vcc_lo, s14
	v_dual_sub_f32 v38, v38, v76 :: v_dual_fmac_f32 v77, 0xb2a5705f, v39
	v_div_fmas_f32 v32, v35, v33, v32
	s_delay_alu instid0(VALU_DEP_3) | instskip(SKIP_1) | instid1(VALU_DEP_4)
	v_dual_add_f32 v33, v36, v37 :: v_dual_lshlrev_b32 v36, 16, v3
	v_fma_f32 v37, 0xbfb8aa3b, v79, -v80
	v_add_f32_e32 v35, v38, v77
	v_rndne_f32_e32 v38, v80
	s_delay_alu instid0(VALU_DEP_4)
	v_exp_f32_e32 v33, v33
	v_cvt_i32_f32_e32 v41, v41
	v_mul_f32_e32 v77, 0xbfb8aa3b, v36
	v_exp_f32_e32 v35, v35
	v_dual_fmac_f32 v37, 0xb2a5705f, v79 :: v_dual_sub_f32 v80, v80, v38
	v_cvt_i32_f32_e32 v76, v76
	v_cmp_nlt_f32_e32 vcc_lo, 0x42ce8ed0, v75
	v_rndne_f32_e32 v81, v77
	v_fma_f32 v82, 0xbfb8aa3b, v36, -v77
	s_delay_alu instid0(TRANS32_DEP_2) | instskip(SKIP_2) | instid1(TRANS32_DEP_1)
	v_ldexp_f32 v33, v33, v41
	v_add_f32_e32 v37, v80, v37
	v_cvt_i32_f32_e32 v38, v38
	v_ldexp_f32 v35, v35, v76
	v_sub_f32_e32 v41, v77, v81
	v_cndmask_b32_e32 v33, 0, v33, vcc_lo
	v_cmp_nlt_f32_e32 vcc_lo, 0x42ce8ed0, v39
	v_fmac_f32_e32 v82, 0xb2a5705f, v36
	v_exp_f32_e32 v37, v37
	v_div_fixup_f32 v32, v32, v40, v78
	v_dual_mul_f32 v34, v89, v34 :: v_dual_cndmask_b32 v35, 0, v35
	v_cmp_ngt_f32_e32 vcc_lo, 0xc2b17218, v75
	s_delay_alu instid0(VALU_DEP_3) | instskip(NEXT) | instid1(VALU_DEP_3)
	v_dual_add_f32 v41, v41, v82 :: v_dual_mul_f32 v32, v88, v32
	v_bfe_u32 v92, v34, 16, 1
	v_cndmask_b32_e32 v33, 0x7f800000, v33, vcc_lo
	v_cmp_ngt_f32_e32 vcc_lo, 0xc2b17218, v39
	s_delay_alu instid0(VALU_DEP_4) | instskip(NEXT) | instid1(TRANS32_DEP_2)
	v_exp_f32_e32 v41, v41
	v_ldexp_f32 v37, v37, v38
	v_cvt_i32_f32_e32 v38, v81
	v_add_f32_e32 v33, 1.0, v33
	v_cndmask_b32_e32 v35, 0x7f800000, v35, vcc_lo
	v_cmp_nlt_f32_e32 vcc_lo, 0x42ce8ed0, v79
	v_bfe_u32 v96, v32, 16, 1
	v_add3_u32 v92, v34, v92, 0x7fff
	s_delay_alu instid0(VALU_DEP_4) | instskip(SKIP_3) | instid1(VALU_DEP_4)
	v_add_f32_e32 v35, 1.0, v35
	v_cndmask_b32_e32 v37, 0, v37, vcc_lo
	v_cmp_ngt_f32_e32 vcc_lo, 0xc2b17218, v79
	v_ldexp_f32 v38, v41, v38
	v_div_scale_f32 v77, null, v35, v35, v39
	s_delay_alu instid0(VALU_DEP_4) | instskip(SKIP_1) | instid1(VALU_DEP_3)
	v_cndmask_b32_e32 v37, 0x7f800000, v37, vcc_lo
	v_cmp_nlt_f32_e32 vcc_lo, 0x42ce8ed0, v36
	v_rcp_f32_e32 v40, v77
	s_delay_alu instid0(VALU_DEP_2) | instskip(SKIP_1) | instid1(VALU_DEP_2)
	v_dual_add_f32 v37, 1.0, v37 :: v_dual_cndmask_b32 v38, 0, v38
	v_cmp_ngt_f32_e32 vcc_lo, 0xc2b17218, v36
	v_cndmask_b32_e32 v38, 0x7f800000, v38, vcc_lo
	s_waitcnt_depctr 0xfff
	v_fma_f32 v83, -v77, v40, 1.0
	v_add_f32_e32 v38, 1.0, v38
	s_delay_alu instid0(VALU_DEP_2) | instskip(SKIP_1) | instid1(VALU_DEP_3)
	v_fmac_f32_e32 v40, v83, v40
	v_div_scale_f32 v83, s14, v39, v35, v39
	v_div_scale_f32 v82, null, v38, v38, v36
	s_delay_alu instid0(VALU_DEP_2) | instskip(SKIP_1) | instid1(VALU_DEP_3)
	v_mul_f32_e32 v94, v83, v40
	v_div_scale_f32 v76, null, v33, v33, v75
	v_rcp_f32_e32 v89, v82
	s_delay_alu instid0(VALU_DEP_1) | instskip(SKIP_3) | instid1(VALU_DEP_2)
	v_rcp_f32_e32 v41, v76
	s_waitcnt_depctr 0xfff
	v_fma_f32 v91, -v82, v89, 1.0
	v_fma_f32 v78, -v76, v41, 1.0
	v_fmac_f32_e32 v89, v91, v89
	v_div_scale_f32 v91, s17, v36, v38, v36
	s_delay_alu instid0(VALU_DEP_3) | instskip(SKIP_1) | instid1(VALU_DEP_3)
	v_fmac_f32_e32 v41, v78, v41
	v_div_scale_f32 v78, vcc_lo, v75, v33, v75
	v_mul_f32_e32 v98, v91, v89
	v_div_scale_f32 v80, null, v37, v37, v79
	s_delay_alu instid0(VALU_DEP_3) | instskip(NEXT) | instid1(VALU_DEP_2)
	v_mul_f32_e32 v90, v78, v41
	v_rcp_f32_e32 v81, v80
	s_delay_alu instid0(VALU_DEP_1) | instskip(NEXT) | instid1(VALU_DEP_1)
	v_fma_f32 v93, -v76, v90, v78
	v_fmac_f32_e32 v90, v93, v41
	v_fma_f32 v93, -v77, v94, v83
	s_waitcnt_depctr 0xfff
	v_fma_f32 v88, -v80, v81, 1.0
	v_fma_f32 v76, -v76, v90, v78
	v_fmac_f32_e32 v94, v93, v40
	v_fma_f32 v78, -v82, v98, v91
	s_delay_alu instid0(VALU_DEP_4) | instskip(SKIP_4) | instid1(VALU_DEP_4)
	v_fmac_f32_e32 v81, v88, v81
	v_div_scale_f32 v88, s16, v79, v37, v79
	v_div_fmas_f32 v41, v76, v41, v90
	v_fma_f32 v76, -v77, v94, v83
	v_fmac_f32_e32 v98, v78, v89
	v_mul_f32_e32 v95, v88, v81
	s_mov_b32 vcc_lo, s14
	v_div_fixup_f32 v33, v41, v33, v75
	v_div_fmas_f32 v40, v76, v40, v94
	s_mov_b32 vcc_lo, s16
	v_fma_f32 v97, -v80, v95, v88
	v_fma_f32 v76, -v82, v98, v91
	v_mul_f32_e32 v33, v86, v33
	v_div_fixup_f32 v35, v40, v35, v39
	v_add3_u32 v78, v32, v96, 0x7fff
	v_fmac_f32_e32 v95, v97, v81
	s_delay_alu instid0(VALU_DEP_4) | instskip(NEXT) | instid1(VALU_DEP_4)
	v_bfe_u32 v40, v33, 16, 1
	v_mul_f32_e32 v35, v85, v35
	s_delay_alu instid0(VALU_DEP_4) | instskip(NEXT) | instid1(VALU_DEP_4)
	v_lshrrev_b32_e32 v39, 16, v78
	v_fma_f32 v77, -v80, v95, v88
	s_delay_alu instid0(VALU_DEP_3) | instskip(NEXT) | instid1(VALU_DEP_2)
	v_bfe_u32 v41, v35, 16, 1
	v_div_fmas_f32 v77, v77, v81, v95
	s_mov_b32 vcc_lo, s17
	v_div_fmas_f32 v76, v76, v89, v98
	v_cmp_o_f32_e32 vcc_lo, v34, v34
	s_delay_alu instid0(VALU_DEP_3) | instskip(NEXT) | instid1(VALU_DEP_3)
	v_div_fixup_f32 v37, v77, v37, v79
	v_div_fixup_f32 v36, v76, v38, v36
	v_lshrrev_b32_e32 v38, 16, v92
	s_delay_alu instid0(VALU_DEP_2) | instskip(NEXT) | instid1(VALU_DEP_2)
	v_dual_mul_f32 v37, v87, v37 :: v_dual_mul_f32 v36, v84, v36
	v_cndmask_b32_e32 v34, 0x7fc0, v38, vcc_lo
	s_delay_alu instid0(VALU_DEP_2)
	v_bfe_u32 v75, v37, 16, 1
	v_add3_u32 v38, v33, v40, 0x7fff
	v_cmp_o_f32_e32 vcc_lo, v32, v32
	v_bfe_u32 v76, v36, 16, 1
	v_add3_u32 v40, v35, v41, 0x7fff
	v_add3_u32 v41, v37, v75, 0x7fff
	v_lshrrev_b32_e32 v32, 16, v38
	v_cndmask_b32_e32 v39, 0x7fc0, v39, vcc_lo
	v_cmp_o_f32_e32 vcc_lo, v33, v33
	v_add3_u32 v75, v36, v76, 0x7fff
	v_lshrrev_b32_e32 v38, 16, v40
	v_lshrrev_b32_e32 v40, 16, v41
	v_cndmask_b32_e32 v33, 0x7fc0, v32, vcc_lo
	v_cmp_o_f32_e32 vcc_lo, v37, v37
	v_lshrrev_b32_e32 v41, 16, v75
	s_delay_alu instid0(VALU_DEP_4) | instskip(SKIP_1) | instid1(VALU_DEP_3)
	v_cndmask_b32_e32 v32, 0x7fc0, v40, vcc_lo
	v_cmp_o_f32_e32 vcc_lo, v36, v36
	v_cndmask_b32_e32 v36, 0x7fc0, v41, vcc_lo
	v_cmp_o_f32_e32 vcc_lo, v35, v35
	s_delay_alu instid0(VALU_DEP_2) | instskip(SKIP_2) | instid1(VALU_DEP_2)
	v_perm_b32 v32, v32, v36, 0x5040100
	v_cndmask_b32_e32 v35, 0x7fc0, v38, vcc_lo
	v_cmp_o_f32_e32 vcc_lo, v31, v31
	v_perm_b32 v31, v33, v35, 0x5040100
	v_cndmask_b32_e32 v37, 0x7fc0, v30, vcc_lo
	v_perm_b32 v30, v34, v39, 0x5040100
	s_delay_alu instid0(VALU_DEP_2)
	v_perm_b32 v29, v29, v37, 0x5040100
	ds_store_b128 v45, v[25:28]
	ds_store_b128 v45, v[29:32] offset:16
	; wave barrier
	ds_load_b128 v[24:27], v43
	ds_load_b128 v[28:31], v44 offset:512
	v_add_co_u32 v32, vcc_lo, v56, s18
	v_add_co_ci_u32_e32 v33, vcc_lo, s19, v57, vcc_lo
	s_waitcnt lgkmcnt(1)
	v_alignbit_b32 v35, v26, v25, 16
	v_alignbit_b32 v34, v25, v24, 16
	;; [unrolled: 1-line block ×3, first 2 shown]
	s_clause 0x3
	global_store_b16 v[32:33], v24, off
	global_store_d16_hi_b16 v[32:33], v27, off offset:14
	global_store_b32 v[32:33], v25, off offset:10
	global_store_b64 v[32:33], v[34:35], off offset:2
	s_waitcnt lgkmcnt(0)
	global_store_b128 v[32:33], v[28:31], off offset:512
	s_cbranch_scc1 .LBB25_90
.LBB25_12:                              ; =>This Loop Header: Depth=1
                                        ;     Child Loop BB25_55 Depth 2
	v_add_co_u32 v24, s14, s51, v73
	s_delay_alu instid0(VALU_DEP_1) | instskip(NEXT) | instid1(VALU_DEP_2)
	v_add_co_ci_u32_e64 v25, null, s55, 0, s14
	v_add_co_u32 v24, vcc_lo, v24, v74
	s_delay_alu instid0(VALU_DEP_2)
	v_add_co_ci_u32_e32 v25, vcc_lo, 0, v25, vcc_lo
	s_waitcnt_vscnt null, 0x0
	s_barrier
	buffer_gl0_inv
	s_and_saveexec_b32 s14, s0
	s_cbranch_execz .LBB25_14
; %bb.13:                               ;   in Loop: Header=BB25_12 Depth=1
	global_load_b128 v[20:23], v[24:25], off
.LBB25_14:                              ;   in Loop: Header=BB25_12 Depth=1
	s_or_b32 exec_lo, exec_lo, s14
	s_and_saveexec_b32 s14, s1
	s_cbranch_execz .LBB25_16
; %bb.15:                               ;   in Loop: Header=BB25_12 Depth=1
	global_load_b128 v[16:19], v[24:25], off offset:512
.LBB25_16:                              ;   in Loop: Header=BB25_12 Depth=1
	s_or_b32 exec_lo, exec_lo, s14
	s_waitcnt vmcnt(0)
	ds_store_b128 v43, v[20:23]
	ds_store_b128 v44, v[16:19] offset:512
	; wave barrier
	ds_load_b128 v[20:23], v45
	ds_load_b128 v[16:19], v45 offset:16
	v_add_co_u32 v24, s14, s59, v73
	s_delay_alu instid0(VALU_DEP_1) | instskip(SKIP_1) | instid1(VALU_DEP_2)
	v_add_co_ci_u32_e64 v25, null, s44, 0, s14
	s_waitcnt lgkmcnt(0)
	v_add_co_u32 v24, vcc_lo, v24, v74
	s_delay_alu instid0(VALU_DEP_2)
	v_add_co_ci_u32_e32 v25, vcc_lo, 0, v25, vcc_lo
	s_barrier
	buffer_gl0_inv
	s_and_saveexec_b32 s14, s0
	s_cbranch_execz .LBB25_18
; %bb.17:                               ;   in Loop: Header=BB25_12 Depth=1
	global_load_b128 v[12:15], v[24:25], off
.LBB25_18:                              ;   in Loop: Header=BB25_12 Depth=1
	s_or_b32 exec_lo, exec_lo, s14
	s_and_saveexec_b32 s14, s1
	s_cbranch_execz .LBB25_20
; %bb.19:                               ;   in Loop: Header=BB25_12 Depth=1
	global_load_b128 v[8:11], v[24:25], off offset:512
.LBB25_20:                              ;   in Loop: Header=BB25_12 Depth=1
	s_or_b32 exec_lo, exec_lo, s14
	s_waitcnt vmcnt(0)
	ds_store_b128 v43, v[12:15]
	ds_store_b128 v44, v[8:11] offset:512
	; wave barrier
	ds_load_b128 v[12:15], v45
	ds_load_b128 v[8:11], v45 offset:16
	s_waitcnt lgkmcnt(1)
	v_lshlrev_b32_e32 v24, 16, v12
	s_delay_alu instid0(VALU_DEP_1) | instskip(NEXT) | instid1(VALU_DEP_1)
	v_add_f32_e32 v75, s57, v24
	v_cmp_ge_f32_e32 vcc_lo, 0x41a00000, v75
	s_and_b32 s14, s67, vcc_lo
	s_delay_alu instid0(SALU_CYCLE_1)
	s_and_saveexec_b32 s16, s14
	s_cbranch_execz .LBB25_22
; %bb.21:                               ;   in Loop: Header=BB25_12 Depth=1
	v_mul_f32_e32 v24, 0x3fb8aa3b, v75
	v_cmp_ngt_f32_e32 vcc_lo, 0xc2ce8ed0, v75
	s_delay_alu instid0(VALU_DEP_2) | instskip(SKIP_1) | instid1(VALU_DEP_2)
	v_rndne_f32_e32 v25, v24
	v_fma_f32 v26, 0x3fb8aa3b, v75, -v24
	v_sub_f32_e32 v24, v24, v25
	s_delay_alu instid0(VALU_DEP_2) | instskip(SKIP_1) | instid1(VALU_DEP_2)
	v_fmac_f32_e32 v26, 0x32a5705f, v75
	v_cvt_i32_f32_e32 v25, v25
	v_add_f32_e32 v24, v24, v26
	s_delay_alu instid0(VALU_DEP_1) | instskip(SKIP_2) | instid1(VALU_DEP_1)
	v_exp_f32_e32 v24, v24
	s_waitcnt_depctr 0xfff
	v_ldexp_f32 v24, v24, v25
	v_cndmask_b32_e32 v24, 0, v24, vcc_lo
	v_cmp_nlt_f32_e32 vcc_lo, 0x42b17218, v75
	s_delay_alu instid0(VALU_DEP_2) | instskip(NEXT) | instid1(VALU_DEP_1)
	v_cndmask_b32_e32 v26, 0x7f800000, v24, vcc_lo
	v_add_f32_e32 v27, 1.0, v26
	s_delay_alu instid0(VALU_DEP_1) | instskip(NEXT) | instid1(VALU_DEP_1)
	v_cvt_f64_f32_e32 v[24:25], v27
	v_frexp_exp_i32_f64_e32 v24, v[24:25]
	v_frexp_mant_f32_e32 v25, v27
	s_delay_alu instid0(VALU_DEP_1) | instskip(SKIP_1) | instid1(VALU_DEP_1)
	v_cmp_gt_f32_e32 vcc_lo, 0x3f2aaaab, v25
	v_add_f32_e32 v25, -1.0, v27
	v_sub_f32_e32 v29, v25, v27
	v_sub_f32_e32 v25, v26, v25
	s_delay_alu instid0(VALU_DEP_2) | instskip(NEXT) | instid1(VALU_DEP_1)
	v_add_f32_e32 v29, 1.0, v29
	v_add_f32_e32 v25, v25, v29
	v_cmp_gt_f32_e64 s14, 0x33800000, v26
	v_subrev_co_ci_u32_e32 v24, vcc_lo, 0, v24, vcc_lo
	v_cmp_eq_f32_e32 vcc_lo, 0x7f800000, v26
	s_delay_alu instid0(VALU_DEP_2) | instskip(SKIP_2) | instid1(VALU_DEP_2)
	v_sub_nc_u32_e32 v28, 0, v24
	v_cvt_f32_i32_e32 v24, v24
	s_or_b32 vcc_lo, s14, vcc_lo
	v_ldexp_f32 v27, v27, v28
	v_ldexp_f32 v25, v25, v28
	s_delay_alu instid0(VALU_DEP_2) | instskip(NEXT) | instid1(VALU_DEP_1)
	v_add_f32_e32 v30, 1.0, v27
	v_dual_add_f32 v28, -1.0, v27 :: v_dual_add_f32 v29, -1.0, v30
	s_delay_alu instid0(VALU_DEP_1) | instskip(NEXT) | instid1(VALU_DEP_2)
	v_add_f32_e32 v31, 1.0, v28
	v_sub_f32_e32 v29, v27, v29
	s_delay_alu instid0(VALU_DEP_2) | instskip(NEXT) | instid1(VALU_DEP_2)
	v_sub_f32_e32 v27, v27, v31
	v_add_f32_e32 v29, v25, v29
	s_delay_alu instid0(VALU_DEP_2) | instskip(NEXT) | instid1(VALU_DEP_1)
	v_add_f32_e32 v25, v25, v27
	v_add_f32_e32 v32, v28, v25
	s_delay_alu instid0(VALU_DEP_1) | instskip(NEXT) | instid1(VALU_DEP_1)
	v_dual_add_f32 v31, v30, v29 :: v_dual_sub_f32 v28, v28, v32
	v_rcp_f32_e32 v27, v31
	v_sub_f32_e32 v30, v30, v31
	s_delay_alu instid0(VALU_DEP_1) | instskip(SKIP_2) | instid1(VALU_DEP_1)
	v_add_f32_e32 v29, v29, v30
	s_waitcnt_depctr 0xfff
	v_mul_f32_e32 v33, v32, v27
	v_mul_f32_e32 v34, v31, v33
	s_delay_alu instid0(VALU_DEP_1) | instskip(NEXT) | instid1(VALU_DEP_1)
	v_fma_f32 v30, v33, v31, -v34
	v_fmac_f32_e32 v30, v33, v29
	s_delay_alu instid0(VALU_DEP_1) | instskip(NEXT) | instid1(VALU_DEP_1)
	v_add_f32_e32 v35, v34, v30
	v_sub_f32_e32 v36, v32, v35
	s_delay_alu instid0(VALU_DEP_1) | instskip(SKIP_1) | instid1(VALU_DEP_2)
	v_sub_f32_e32 v32, v32, v36
	v_dual_add_f32 v25, v25, v28 :: v_dual_sub_f32 v28, v35, v34
	v_sub_f32_e32 v32, v32, v35
	s_delay_alu instid0(VALU_DEP_1) | instskip(NEXT) | instid1(VALU_DEP_1)
	v_dual_sub_f32 v28, v28, v30 :: v_dual_add_f32 v25, v25, v32
	v_add_f32_e32 v25, v28, v25
	s_delay_alu instid0(VALU_DEP_1) | instskip(NEXT) | instid1(VALU_DEP_1)
	v_add_f32_e32 v28, v36, v25
	v_mul_f32_e32 v30, v27, v28
	s_delay_alu instid0(VALU_DEP_1) | instskip(NEXT) | instid1(VALU_DEP_1)
	v_dual_sub_f32 v35, v36, v28 :: v_dual_mul_f32 v32, v31, v30
	v_add_f32_e32 v25, v25, v35
	s_delay_alu instid0(VALU_DEP_2) | instskip(NEXT) | instid1(VALU_DEP_1)
	v_fma_f32 v31, v30, v31, -v32
	v_fmac_f32_e32 v31, v30, v29
	s_delay_alu instid0(VALU_DEP_1) | instskip(NEXT) | instid1(VALU_DEP_1)
	v_add_f32_e32 v29, v32, v31
	v_sub_f32_e32 v34, v28, v29
	s_delay_alu instid0(VALU_DEP_1) | instskip(NEXT) | instid1(VALU_DEP_1)
	v_sub_f32_e32 v28, v28, v34
	v_sub_f32_e32 v28, v28, v29
	s_delay_alu instid0(VALU_DEP_1) | instskip(SKIP_2) | instid1(VALU_DEP_1)
	v_add_f32_e32 v25, v25, v28
	v_add_f32_e32 v28, v33, v30
	v_sub_f32_e32 v32, v29, v32
	v_sub_f32_e32 v29, v32, v31
	s_delay_alu instid0(VALU_DEP_1) | instskip(NEXT) | instid1(VALU_DEP_4)
	v_add_f32_e32 v25, v29, v25
	v_sub_f32_e32 v29, v28, v33
	s_delay_alu instid0(VALU_DEP_2) | instskip(NEXT) | instid1(VALU_DEP_2)
	v_add_f32_e32 v25, v34, v25
	v_sub_f32_e32 v29, v30, v29
	s_delay_alu instid0(VALU_DEP_2) | instskip(NEXT) | instid1(VALU_DEP_1)
	v_mul_f32_e32 v25, v27, v25
	v_add_f32_e32 v25, v29, v25
	s_delay_alu instid0(VALU_DEP_1) | instskip(NEXT) | instid1(VALU_DEP_1)
	v_add_f32_e32 v27, v28, v25
	v_mul_f32_e32 v29, v27, v27
	s_delay_alu instid0(VALU_DEP_1) | instskip(SKIP_1) | instid1(VALU_DEP_2)
	v_fmaak_f32 v30, s54, v29, 0x3ecc95a3
	v_mul_f32_e32 v31, v27, v29
	v_fmaak_f32 v29, v29, v30, 0x3f2aaada
	v_ldexp_f32 v30, v27, 1
	s_delay_alu instid0(VALU_DEP_2) | instskip(SKIP_1) | instid1(VALU_DEP_2)
	v_mul_f32_e32 v29, v31, v29
	v_sub_f32_e32 v27, v27, v28
	v_dual_mul_f32 v31, 0x3f317218, v24 :: v_dual_add_f32 v28, v30, v29
	s_delay_alu instid0(VALU_DEP_2) | instskip(NEXT) | instid1(VALU_DEP_2)
	v_sub_f32_e32 v25, v25, v27
	v_sub_f32_e32 v27, v28, v30
	s_delay_alu instid0(VALU_DEP_3) | instskip(NEXT) | instid1(VALU_DEP_3)
	v_fma_f32 v30, 0x3f317218, v24, -v31
	v_ldexp_f32 v25, v25, 1
	s_delay_alu instid0(VALU_DEP_2) | instskip(NEXT) | instid1(VALU_DEP_1)
	v_dual_sub_f32 v27, v29, v27 :: v_dual_fmac_f32 v30, 0xb102e308, v24
	v_dual_add_f32 v24, v25, v27 :: v_dual_add_f32 v25, v31, v30
	s_delay_alu instid0(VALU_DEP_1) | instskip(NEXT) | instid1(VALU_DEP_1)
	v_add_f32_e32 v27, v28, v24
	v_dual_add_f32 v29, v25, v27 :: v_dual_sub_f32 v28, v27, v28
	s_delay_alu instid0(VALU_DEP_1) | instskip(NEXT) | instid1(VALU_DEP_2)
	v_sub_f32_e32 v32, v29, v25
	v_dual_sub_f32 v31, v25, v31 :: v_dual_sub_f32 v24, v24, v28
	s_delay_alu instid0(VALU_DEP_1) | instskip(SKIP_1) | instid1(VALU_DEP_2)
	v_dual_sub_f32 v33, v29, v32 :: v_dual_sub_f32 v30, v30, v31
	v_sub_f32_e32 v27, v27, v32
	v_dual_sub_f32 v25, v25, v33 :: v_dual_add_f32 v28, v30, v24
	s_delay_alu instid0(VALU_DEP_1) | instskip(NEXT) | instid1(VALU_DEP_2)
	v_add_f32_e32 v25, v27, v25
	v_sub_f32_e32 v27, v28, v30
	s_delay_alu instid0(VALU_DEP_2) | instskip(NEXT) | instid1(VALU_DEP_2)
	v_add_f32_e32 v25, v28, v25
	v_sub_f32_e32 v28, v28, v27
	s_delay_alu instid0(VALU_DEP_2) | instskip(NEXT) | instid1(VALU_DEP_1)
	v_dual_sub_f32 v24, v24, v27 :: v_dual_add_f32 v31, v29, v25
	v_dual_sub_f32 v28, v30, v28 :: v_dual_sub_f32 v27, v31, v29
	s_delay_alu instid0(VALU_DEP_1) | instskip(NEXT) | instid1(VALU_DEP_1)
	v_dual_add_f32 v24, v24, v28 :: v_dual_sub_f32 v25, v25, v27
	v_add_f32_e32 v24, v24, v25
	s_delay_alu instid0(VALU_DEP_1) | instskip(NEXT) | instid1(VALU_DEP_1)
	v_add_f32_e32 v24, v31, v24
	v_cndmask_b32_e32 v75, v24, v26, vcc_lo
.LBB25_22:                              ;   in Loop: Header=BB25_12 Depth=1
	s_or_b32 exec_lo, exec_lo, s16
	v_and_b32_e32 v24, 0xffff0000, v12
	s_delay_alu instid0(VALU_DEP_1) | instskip(NEXT) | instid1(VALU_DEP_1)
	v_add_f32_e32 v76, s57, v24
	v_cmp_ge_f32_e32 vcc_lo, 0x41a00000, v76
	s_and_b32 s14, s67, vcc_lo
	s_delay_alu instid0(SALU_CYCLE_1)
	s_and_saveexec_b32 s16, s14
	s_cbranch_execz .LBB25_24
; %bb.23:                               ;   in Loop: Header=BB25_12 Depth=1
	v_mul_f32_e32 v24, 0x3fb8aa3b, v76
	v_cmp_ngt_f32_e32 vcc_lo, 0xc2ce8ed0, v76
	s_delay_alu instid0(VALU_DEP_2) | instskip(SKIP_1) | instid1(VALU_DEP_2)
	v_rndne_f32_e32 v25, v24
	v_fma_f32 v26, 0x3fb8aa3b, v76, -v24
	v_sub_f32_e32 v24, v24, v25
	s_delay_alu instid0(VALU_DEP_2) | instskip(SKIP_1) | instid1(VALU_DEP_2)
	v_fmac_f32_e32 v26, 0x32a5705f, v76
	v_cvt_i32_f32_e32 v25, v25
	v_add_f32_e32 v24, v24, v26
	s_delay_alu instid0(VALU_DEP_1) | instskip(SKIP_2) | instid1(VALU_DEP_1)
	v_exp_f32_e32 v24, v24
	s_waitcnt_depctr 0xfff
	v_ldexp_f32 v24, v24, v25
	v_cndmask_b32_e32 v24, 0, v24, vcc_lo
	v_cmp_nlt_f32_e32 vcc_lo, 0x42b17218, v76
	s_delay_alu instid0(VALU_DEP_2) | instskip(NEXT) | instid1(VALU_DEP_1)
	v_cndmask_b32_e32 v26, 0x7f800000, v24, vcc_lo
	v_add_f32_e32 v27, 1.0, v26
	s_delay_alu instid0(VALU_DEP_1) | instskip(NEXT) | instid1(VALU_DEP_1)
	v_cvt_f64_f32_e32 v[24:25], v27
	v_frexp_exp_i32_f64_e32 v24, v[24:25]
	v_frexp_mant_f32_e32 v25, v27
	s_delay_alu instid0(VALU_DEP_1) | instskip(SKIP_1) | instid1(VALU_DEP_1)
	v_cmp_gt_f32_e32 vcc_lo, 0x3f2aaaab, v25
	v_add_f32_e32 v25, -1.0, v27
	v_sub_f32_e32 v29, v25, v27
	v_sub_f32_e32 v25, v26, v25
	s_delay_alu instid0(VALU_DEP_2) | instskip(NEXT) | instid1(VALU_DEP_1)
	v_add_f32_e32 v29, 1.0, v29
	v_add_f32_e32 v25, v25, v29
	v_cmp_gt_f32_e64 s14, 0x33800000, v26
	v_subrev_co_ci_u32_e32 v24, vcc_lo, 0, v24, vcc_lo
	v_cmp_eq_f32_e32 vcc_lo, 0x7f800000, v26
	s_delay_alu instid0(VALU_DEP_2) | instskip(SKIP_2) | instid1(VALU_DEP_2)
	v_sub_nc_u32_e32 v28, 0, v24
	v_cvt_f32_i32_e32 v24, v24
	s_or_b32 vcc_lo, s14, vcc_lo
	v_ldexp_f32 v27, v27, v28
	v_ldexp_f32 v25, v25, v28
	s_delay_alu instid0(VALU_DEP_2) | instskip(NEXT) | instid1(VALU_DEP_1)
	v_add_f32_e32 v30, 1.0, v27
	v_dual_add_f32 v28, -1.0, v27 :: v_dual_add_f32 v29, -1.0, v30
	s_delay_alu instid0(VALU_DEP_1) | instskip(NEXT) | instid1(VALU_DEP_2)
	v_add_f32_e32 v31, 1.0, v28
	v_sub_f32_e32 v29, v27, v29
	s_delay_alu instid0(VALU_DEP_2) | instskip(NEXT) | instid1(VALU_DEP_2)
	v_sub_f32_e32 v27, v27, v31
	v_add_f32_e32 v29, v25, v29
	s_delay_alu instid0(VALU_DEP_2) | instskip(NEXT) | instid1(VALU_DEP_1)
	v_add_f32_e32 v25, v25, v27
	v_add_f32_e32 v32, v28, v25
	s_delay_alu instid0(VALU_DEP_1) | instskip(NEXT) | instid1(VALU_DEP_1)
	v_dual_add_f32 v31, v30, v29 :: v_dual_sub_f32 v28, v28, v32
	v_rcp_f32_e32 v27, v31
	v_sub_f32_e32 v30, v30, v31
	s_delay_alu instid0(VALU_DEP_1) | instskip(SKIP_2) | instid1(VALU_DEP_1)
	v_add_f32_e32 v29, v29, v30
	s_waitcnt_depctr 0xfff
	v_mul_f32_e32 v33, v32, v27
	v_mul_f32_e32 v34, v31, v33
	s_delay_alu instid0(VALU_DEP_1) | instskip(NEXT) | instid1(VALU_DEP_1)
	v_fma_f32 v30, v33, v31, -v34
	v_fmac_f32_e32 v30, v33, v29
	s_delay_alu instid0(VALU_DEP_1) | instskip(NEXT) | instid1(VALU_DEP_1)
	v_add_f32_e32 v35, v34, v30
	v_sub_f32_e32 v36, v32, v35
	s_delay_alu instid0(VALU_DEP_1) | instskip(SKIP_1) | instid1(VALU_DEP_2)
	v_sub_f32_e32 v32, v32, v36
	v_dual_add_f32 v25, v25, v28 :: v_dual_sub_f32 v28, v35, v34
	v_sub_f32_e32 v32, v32, v35
	s_delay_alu instid0(VALU_DEP_1) | instskip(NEXT) | instid1(VALU_DEP_1)
	v_dual_sub_f32 v28, v28, v30 :: v_dual_add_f32 v25, v25, v32
	v_add_f32_e32 v25, v28, v25
	s_delay_alu instid0(VALU_DEP_1) | instskip(NEXT) | instid1(VALU_DEP_1)
	v_add_f32_e32 v28, v36, v25
	v_mul_f32_e32 v30, v27, v28
	s_delay_alu instid0(VALU_DEP_1) | instskip(NEXT) | instid1(VALU_DEP_1)
	v_dual_sub_f32 v35, v36, v28 :: v_dual_mul_f32 v32, v31, v30
	v_add_f32_e32 v25, v25, v35
	s_delay_alu instid0(VALU_DEP_2) | instskip(NEXT) | instid1(VALU_DEP_1)
	v_fma_f32 v31, v30, v31, -v32
	v_fmac_f32_e32 v31, v30, v29
	s_delay_alu instid0(VALU_DEP_1) | instskip(NEXT) | instid1(VALU_DEP_1)
	v_add_f32_e32 v29, v32, v31
	v_sub_f32_e32 v34, v28, v29
	s_delay_alu instid0(VALU_DEP_1) | instskip(NEXT) | instid1(VALU_DEP_1)
	v_sub_f32_e32 v28, v28, v34
	v_sub_f32_e32 v28, v28, v29
	s_delay_alu instid0(VALU_DEP_1) | instskip(SKIP_2) | instid1(VALU_DEP_1)
	v_add_f32_e32 v25, v25, v28
	v_add_f32_e32 v28, v33, v30
	v_sub_f32_e32 v32, v29, v32
	v_sub_f32_e32 v29, v32, v31
	s_delay_alu instid0(VALU_DEP_1) | instskip(NEXT) | instid1(VALU_DEP_4)
	v_add_f32_e32 v25, v29, v25
	v_sub_f32_e32 v29, v28, v33
	s_delay_alu instid0(VALU_DEP_2) | instskip(NEXT) | instid1(VALU_DEP_2)
	v_add_f32_e32 v25, v34, v25
	v_sub_f32_e32 v29, v30, v29
	s_delay_alu instid0(VALU_DEP_2) | instskip(NEXT) | instid1(VALU_DEP_1)
	v_mul_f32_e32 v25, v27, v25
	v_add_f32_e32 v25, v29, v25
	s_delay_alu instid0(VALU_DEP_1) | instskip(NEXT) | instid1(VALU_DEP_1)
	v_add_f32_e32 v27, v28, v25
	v_mul_f32_e32 v29, v27, v27
	s_delay_alu instid0(VALU_DEP_1) | instskip(SKIP_1) | instid1(VALU_DEP_2)
	v_fmaak_f32 v30, s54, v29, 0x3ecc95a3
	v_mul_f32_e32 v31, v27, v29
	v_fmaak_f32 v29, v29, v30, 0x3f2aaada
	v_ldexp_f32 v30, v27, 1
	s_delay_alu instid0(VALU_DEP_2) | instskip(SKIP_1) | instid1(VALU_DEP_2)
	v_mul_f32_e32 v29, v31, v29
	v_sub_f32_e32 v27, v27, v28
	v_dual_mul_f32 v31, 0x3f317218, v24 :: v_dual_add_f32 v28, v30, v29
	s_delay_alu instid0(VALU_DEP_2) | instskip(NEXT) | instid1(VALU_DEP_2)
	v_sub_f32_e32 v25, v25, v27
	v_sub_f32_e32 v27, v28, v30
	s_delay_alu instid0(VALU_DEP_3) | instskip(NEXT) | instid1(VALU_DEP_3)
	v_fma_f32 v30, 0x3f317218, v24, -v31
	v_ldexp_f32 v25, v25, 1
	s_delay_alu instid0(VALU_DEP_2) | instskip(NEXT) | instid1(VALU_DEP_1)
	v_dual_sub_f32 v27, v29, v27 :: v_dual_fmac_f32 v30, 0xb102e308, v24
	v_dual_add_f32 v24, v25, v27 :: v_dual_add_f32 v25, v31, v30
	s_delay_alu instid0(VALU_DEP_1) | instskip(NEXT) | instid1(VALU_DEP_1)
	v_add_f32_e32 v27, v28, v24
	v_dual_add_f32 v29, v25, v27 :: v_dual_sub_f32 v28, v27, v28
	s_delay_alu instid0(VALU_DEP_1) | instskip(NEXT) | instid1(VALU_DEP_2)
	v_sub_f32_e32 v32, v29, v25
	v_dual_sub_f32 v31, v25, v31 :: v_dual_sub_f32 v24, v24, v28
	s_delay_alu instid0(VALU_DEP_1) | instskip(SKIP_1) | instid1(VALU_DEP_2)
	v_dual_sub_f32 v33, v29, v32 :: v_dual_sub_f32 v30, v30, v31
	v_sub_f32_e32 v27, v27, v32
	v_dual_sub_f32 v25, v25, v33 :: v_dual_add_f32 v28, v30, v24
	s_delay_alu instid0(VALU_DEP_1) | instskip(NEXT) | instid1(VALU_DEP_2)
	v_add_f32_e32 v25, v27, v25
	v_sub_f32_e32 v27, v28, v30
	s_delay_alu instid0(VALU_DEP_2) | instskip(NEXT) | instid1(VALU_DEP_2)
	v_add_f32_e32 v25, v28, v25
	v_sub_f32_e32 v28, v28, v27
	s_delay_alu instid0(VALU_DEP_2) | instskip(NEXT) | instid1(VALU_DEP_1)
	v_dual_sub_f32 v24, v24, v27 :: v_dual_add_f32 v31, v29, v25
	v_dual_sub_f32 v28, v30, v28 :: v_dual_sub_f32 v27, v31, v29
	s_delay_alu instid0(VALU_DEP_1) | instskip(NEXT) | instid1(VALU_DEP_1)
	v_dual_add_f32 v24, v24, v28 :: v_dual_sub_f32 v25, v25, v27
	v_add_f32_e32 v24, v24, v25
	s_delay_alu instid0(VALU_DEP_1) | instskip(NEXT) | instid1(VALU_DEP_1)
	v_add_f32_e32 v24, v31, v24
	v_cndmask_b32_e32 v76, v24, v26, vcc_lo
.LBB25_24:                              ;   in Loop: Header=BB25_12 Depth=1
	s_or_b32 exec_lo, exec_lo, s16
	v_lshlrev_b32_e32 v24, 16, v13
	s_delay_alu instid0(VALU_DEP_1) | instskip(NEXT) | instid1(VALU_DEP_1)
	v_add_f32_e32 v77, s57, v24
	v_cmp_ge_f32_e32 vcc_lo, 0x41a00000, v77
	s_and_b32 s14, s67, vcc_lo
	s_delay_alu instid0(SALU_CYCLE_1)
	s_and_saveexec_b32 s16, s14
	s_cbranch_execz .LBB25_26
; %bb.25:                               ;   in Loop: Header=BB25_12 Depth=1
	v_mul_f32_e32 v24, 0x3fb8aa3b, v77
	v_cmp_ngt_f32_e32 vcc_lo, 0xc2ce8ed0, v77
	s_delay_alu instid0(VALU_DEP_2) | instskip(SKIP_1) | instid1(VALU_DEP_2)
	v_rndne_f32_e32 v25, v24
	v_fma_f32 v26, 0x3fb8aa3b, v77, -v24
	v_sub_f32_e32 v24, v24, v25
	s_delay_alu instid0(VALU_DEP_2) | instskip(SKIP_1) | instid1(VALU_DEP_2)
	v_fmac_f32_e32 v26, 0x32a5705f, v77
	v_cvt_i32_f32_e32 v25, v25
	v_add_f32_e32 v24, v24, v26
	s_delay_alu instid0(VALU_DEP_1) | instskip(SKIP_2) | instid1(VALU_DEP_1)
	v_exp_f32_e32 v24, v24
	s_waitcnt_depctr 0xfff
	v_ldexp_f32 v24, v24, v25
	v_cndmask_b32_e32 v24, 0, v24, vcc_lo
	v_cmp_nlt_f32_e32 vcc_lo, 0x42b17218, v77
	s_delay_alu instid0(VALU_DEP_2) | instskip(NEXT) | instid1(VALU_DEP_1)
	v_cndmask_b32_e32 v26, 0x7f800000, v24, vcc_lo
	v_add_f32_e32 v27, 1.0, v26
	s_delay_alu instid0(VALU_DEP_1) | instskip(NEXT) | instid1(VALU_DEP_1)
	v_cvt_f64_f32_e32 v[24:25], v27
	v_frexp_exp_i32_f64_e32 v24, v[24:25]
	v_frexp_mant_f32_e32 v25, v27
	s_delay_alu instid0(VALU_DEP_1) | instskip(SKIP_1) | instid1(VALU_DEP_1)
	v_cmp_gt_f32_e32 vcc_lo, 0x3f2aaaab, v25
	v_add_f32_e32 v25, -1.0, v27
	v_sub_f32_e32 v29, v25, v27
	v_sub_f32_e32 v25, v26, v25
	s_delay_alu instid0(VALU_DEP_2) | instskip(NEXT) | instid1(VALU_DEP_1)
	v_add_f32_e32 v29, 1.0, v29
	v_add_f32_e32 v25, v25, v29
	v_cmp_gt_f32_e64 s14, 0x33800000, v26
	v_subrev_co_ci_u32_e32 v24, vcc_lo, 0, v24, vcc_lo
	v_cmp_eq_f32_e32 vcc_lo, 0x7f800000, v26
	s_delay_alu instid0(VALU_DEP_2) | instskip(SKIP_2) | instid1(VALU_DEP_2)
	v_sub_nc_u32_e32 v28, 0, v24
	v_cvt_f32_i32_e32 v24, v24
	s_or_b32 vcc_lo, s14, vcc_lo
	v_ldexp_f32 v27, v27, v28
	v_ldexp_f32 v25, v25, v28
	s_delay_alu instid0(VALU_DEP_2) | instskip(NEXT) | instid1(VALU_DEP_1)
	v_add_f32_e32 v30, 1.0, v27
	v_dual_add_f32 v28, -1.0, v27 :: v_dual_add_f32 v29, -1.0, v30
	s_delay_alu instid0(VALU_DEP_1) | instskip(NEXT) | instid1(VALU_DEP_2)
	v_add_f32_e32 v31, 1.0, v28
	v_sub_f32_e32 v29, v27, v29
	s_delay_alu instid0(VALU_DEP_2) | instskip(NEXT) | instid1(VALU_DEP_2)
	v_sub_f32_e32 v27, v27, v31
	v_add_f32_e32 v29, v25, v29
	s_delay_alu instid0(VALU_DEP_2) | instskip(NEXT) | instid1(VALU_DEP_1)
	v_add_f32_e32 v25, v25, v27
	v_add_f32_e32 v32, v28, v25
	s_delay_alu instid0(VALU_DEP_1) | instskip(NEXT) | instid1(VALU_DEP_1)
	v_dual_add_f32 v31, v30, v29 :: v_dual_sub_f32 v28, v28, v32
	v_rcp_f32_e32 v27, v31
	v_sub_f32_e32 v30, v30, v31
	s_delay_alu instid0(VALU_DEP_1) | instskip(SKIP_2) | instid1(VALU_DEP_1)
	v_add_f32_e32 v29, v29, v30
	s_waitcnt_depctr 0xfff
	v_mul_f32_e32 v33, v32, v27
	v_mul_f32_e32 v34, v31, v33
	s_delay_alu instid0(VALU_DEP_1) | instskip(NEXT) | instid1(VALU_DEP_1)
	v_fma_f32 v30, v33, v31, -v34
	v_fmac_f32_e32 v30, v33, v29
	s_delay_alu instid0(VALU_DEP_1) | instskip(NEXT) | instid1(VALU_DEP_1)
	v_add_f32_e32 v35, v34, v30
	v_sub_f32_e32 v36, v32, v35
	s_delay_alu instid0(VALU_DEP_1) | instskip(SKIP_1) | instid1(VALU_DEP_2)
	v_sub_f32_e32 v32, v32, v36
	v_dual_add_f32 v25, v25, v28 :: v_dual_sub_f32 v28, v35, v34
	v_sub_f32_e32 v32, v32, v35
	s_delay_alu instid0(VALU_DEP_1) | instskip(NEXT) | instid1(VALU_DEP_1)
	v_dual_sub_f32 v28, v28, v30 :: v_dual_add_f32 v25, v25, v32
	v_add_f32_e32 v25, v28, v25
	s_delay_alu instid0(VALU_DEP_1) | instskip(NEXT) | instid1(VALU_DEP_1)
	v_add_f32_e32 v28, v36, v25
	v_mul_f32_e32 v30, v27, v28
	s_delay_alu instid0(VALU_DEP_1) | instskip(NEXT) | instid1(VALU_DEP_1)
	v_dual_sub_f32 v35, v36, v28 :: v_dual_mul_f32 v32, v31, v30
	v_add_f32_e32 v25, v25, v35
	s_delay_alu instid0(VALU_DEP_2) | instskip(NEXT) | instid1(VALU_DEP_1)
	v_fma_f32 v31, v30, v31, -v32
	v_fmac_f32_e32 v31, v30, v29
	s_delay_alu instid0(VALU_DEP_1) | instskip(NEXT) | instid1(VALU_DEP_1)
	v_add_f32_e32 v29, v32, v31
	v_sub_f32_e32 v34, v28, v29
	s_delay_alu instid0(VALU_DEP_1) | instskip(NEXT) | instid1(VALU_DEP_1)
	v_sub_f32_e32 v28, v28, v34
	v_sub_f32_e32 v28, v28, v29
	s_delay_alu instid0(VALU_DEP_1) | instskip(SKIP_2) | instid1(VALU_DEP_1)
	v_add_f32_e32 v25, v25, v28
	v_add_f32_e32 v28, v33, v30
	v_sub_f32_e32 v32, v29, v32
	v_sub_f32_e32 v29, v32, v31
	s_delay_alu instid0(VALU_DEP_1) | instskip(NEXT) | instid1(VALU_DEP_4)
	v_add_f32_e32 v25, v29, v25
	v_sub_f32_e32 v29, v28, v33
	s_delay_alu instid0(VALU_DEP_2) | instskip(NEXT) | instid1(VALU_DEP_2)
	v_add_f32_e32 v25, v34, v25
	v_sub_f32_e32 v29, v30, v29
	s_delay_alu instid0(VALU_DEP_2) | instskip(NEXT) | instid1(VALU_DEP_1)
	v_mul_f32_e32 v25, v27, v25
	v_add_f32_e32 v25, v29, v25
	s_delay_alu instid0(VALU_DEP_1) | instskip(NEXT) | instid1(VALU_DEP_1)
	v_add_f32_e32 v27, v28, v25
	v_mul_f32_e32 v29, v27, v27
	s_delay_alu instid0(VALU_DEP_1) | instskip(SKIP_1) | instid1(VALU_DEP_2)
	v_fmaak_f32 v30, s54, v29, 0x3ecc95a3
	v_mul_f32_e32 v31, v27, v29
	v_fmaak_f32 v29, v29, v30, 0x3f2aaada
	v_ldexp_f32 v30, v27, 1
	s_delay_alu instid0(VALU_DEP_2) | instskip(SKIP_1) | instid1(VALU_DEP_2)
	v_mul_f32_e32 v29, v31, v29
	v_sub_f32_e32 v27, v27, v28
	v_dual_mul_f32 v31, 0x3f317218, v24 :: v_dual_add_f32 v28, v30, v29
	s_delay_alu instid0(VALU_DEP_2) | instskip(NEXT) | instid1(VALU_DEP_2)
	v_sub_f32_e32 v25, v25, v27
	v_sub_f32_e32 v27, v28, v30
	s_delay_alu instid0(VALU_DEP_3) | instskip(NEXT) | instid1(VALU_DEP_3)
	v_fma_f32 v30, 0x3f317218, v24, -v31
	v_ldexp_f32 v25, v25, 1
	s_delay_alu instid0(VALU_DEP_2) | instskip(NEXT) | instid1(VALU_DEP_1)
	v_dual_sub_f32 v27, v29, v27 :: v_dual_fmac_f32 v30, 0xb102e308, v24
	v_dual_add_f32 v24, v25, v27 :: v_dual_add_f32 v25, v31, v30
	s_delay_alu instid0(VALU_DEP_1) | instskip(NEXT) | instid1(VALU_DEP_1)
	v_add_f32_e32 v27, v28, v24
	v_dual_add_f32 v29, v25, v27 :: v_dual_sub_f32 v28, v27, v28
	s_delay_alu instid0(VALU_DEP_1) | instskip(NEXT) | instid1(VALU_DEP_2)
	v_sub_f32_e32 v32, v29, v25
	v_dual_sub_f32 v31, v25, v31 :: v_dual_sub_f32 v24, v24, v28
	s_delay_alu instid0(VALU_DEP_1) | instskip(SKIP_1) | instid1(VALU_DEP_2)
	v_dual_sub_f32 v33, v29, v32 :: v_dual_sub_f32 v30, v30, v31
	v_sub_f32_e32 v27, v27, v32
	v_dual_sub_f32 v25, v25, v33 :: v_dual_add_f32 v28, v30, v24
	s_delay_alu instid0(VALU_DEP_1) | instskip(NEXT) | instid1(VALU_DEP_2)
	v_add_f32_e32 v25, v27, v25
	v_sub_f32_e32 v27, v28, v30
	s_delay_alu instid0(VALU_DEP_2) | instskip(NEXT) | instid1(VALU_DEP_2)
	v_add_f32_e32 v25, v28, v25
	v_sub_f32_e32 v28, v28, v27
	s_delay_alu instid0(VALU_DEP_2) | instskip(NEXT) | instid1(VALU_DEP_1)
	v_dual_sub_f32 v24, v24, v27 :: v_dual_add_f32 v31, v29, v25
	v_dual_sub_f32 v28, v30, v28 :: v_dual_sub_f32 v27, v31, v29
	s_delay_alu instid0(VALU_DEP_1) | instskip(NEXT) | instid1(VALU_DEP_1)
	v_dual_add_f32 v24, v24, v28 :: v_dual_sub_f32 v25, v25, v27
	v_add_f32_e32 v24, v24, v25
	s_delay_alu instid0(VALU_DEP_1) | instskip(NEXT) | instid1(VALU_DEP_1)
	v_add_f32_e32 v24, v31, v24
	v_cndmask_b32_e32 v77, v24, v26, vcc_lo
.LBB25_26:                              ;   in Loop: Header=BB25_12 Depth=1
	s_or_b32 exec_lo, exec_lo, s16
	v_and_b32_e32 v24, 0xffff0000, v13
	s_delay_alu instid0(VALU_DEP_1) | instskip(NEXT) | instid1(VALU_DEP_1)
	v_add_f32_e32 v78, s57, v24
	v_cmp_ge_f32_e32 vcc_lo, 0x41a00000, v78
	s_and_b32 s14, s67, vcc_lo
	s_delay_alu instid0(SALU_CYCLE_1)
	s_and_saveexec_b32 s16, s14
	s_cbranch_execz .LBB25_28
; %bb.27:                               ;   in Loop: Header=BB25_12 Depth=1
	v_mul_f32_e32 v24, 0x3fb8aa3b, v78
	v_cmp_ngt_f32_e32 vcc_lo, 0xc2ce8ed0, v78
	s_delay_alu instid0(VALU_DEP_2) | instskip(SKIP_1) | instid1(VALU_DEP_2)
	v_rndne_f32_e32 v25, v24
	v_fma_f32 v26, 0x3fb8aa3b, v78, -v24
	v_sub_f32_e32 v24, v24, v25
	s_delay_alu instid0(VALU_DEP_2) | instskip(SKIP_1) | instid1(VALU_DEP_2)
	v_fmac_f32_e32 v26, 0x32a5705f, v78
	v_cvt_i32_f32_e32 v25, v25
	v_add_f32_e32 v24, v24, v26
	s_delay_alu instid0(VALU_DEP_1) | instskip(SKIP_2) | instid1(VALU_DEP_1)
	v_exp_f32_e32 v24, v24
	s_waitcnt_depctr 0xfff
	v_ldexp_f32 v24, v24, v25
	v_cndmask_b32_e32 v24, 0, v24, vcc_lo
	v_cmp_nlt_f32_e32 vcc_lo, 0x42b17218, v78
	s_delay_alu instid0(VALU_DEP_2) | instskip(NEXT) | instid1(VALU_DEP_1)
	v_cndmask_b32_e32 v26, 0x7f800000, v24, vcc_lo
	v_add_f32_e32 v27, 1.0, v26
	s_delay_alu instid0(VALU_DEP_1) | instskip(NEXT) | instid1(VALU_DEP_1)
	v_cvt_f64_f32_e32 v[24:25], v27
	v_frexp_exp_i32_f64_e32 v24, v[24:25]
	v_frexp_mant_f32_e32 v25, v27
	s_delay_alu instid0(VALU_DEP_1) | instskip(SKIP_1) | instid1(VALU_DEP_1)
	v_cmp_gt_f32_e32 vcc_lo, 0x3f2aaaab, v25
	v_add_f32_e32 v25, -1.0, v27
	v_sub_f32_e32 v29, v25, v27
	v_sub_f32_e32 v25, v26, v25
	s_delay_alu instid0(VALU_DEP_2) | instskip(NEXT) | instid1(VALU_DEP_1)
	v_add_f32_e32 v29, 1.0, v29
	v_add_f32_e32 v25, v25, v29
	v_cmp_gt_f32_e64 s14, 0x33800000, v26
	v_subrev_co_ci_u32_e32 v24, vcc_lo, 0, v24, vcc_lo
	v_cmp_eq_f32_e32 vcc_lo, 0x7f800000, v26
	s_delay_alu instid0(VALU_DEP_2) | instskip(SKIP_2) | instid1(VALU_DEP_2)
	v_sub_nc_u32_e32 v28, 0, v24
	v_cvt_f32_i32_e32 v24, v24
	s_or_b32 vcc_lo, s14, vcc_lo
	v_ldexp_f32 v27, v27, v28
	v_ldexp_f32 v25, v25, v28
	s_delay_alu instid0(VALU_DEP_2) | instskip(NEXT) | instid1(VALU_DEP_1)
	v_add_f32_e32 v30, 1.0, v27
	v_dual_add_f32 v28, -1.0, v27 :: v_dual_add_f32 v29, -1.0, v30
	s_delay_alu instid0(VALU_DEP_1) | instskip(NEXT) | instid1(VALU_DEP_2)
	v_add_f32_e32 v31, 1.0, v28
	v_sub_f32_e32 v29, v27, v29
	s_delay_alu instid0(VALU_DEP_2) | instskip(NEXT) | instid1(VALU_DEP_2)
	v_sub_f32_e32 v27, v27, v31
	v_add_f32_e32 v29, v25, v29
	s_delay_alu instid0(VALU_DEP_2) | instskip(NEXT) | instid1(VALU_DEP_1)
	v_add_f32_e32 v25, v25, v27
	v_add_f32_e32 v32, v28, v25
	s_delay_alu instid0(VALU_DEP_1) | instskip(NEXT) | instid1(VALU_DEP_1)
	v_dual_add_f32 v31, v30, v29 :: v_dual_sub_f32 v28, v28, v32
	v_rcp_f32_e32 v27, v31
	v_sub_f32_e32 v30, v30, v31
	s_delay_alu instid0(VALU_DEP_1) | instskip(SKIP_2) | instid1(VALU_DEP_1)
	v_add_f32_e32 v29, v29, v30
	s_waitcnt_depctr 0xfff
	v_mul_f32_e32 v33, v32, v27
	v_mul_f32_e32 v34, v31, v33
	s_delay_alu instid0(VALU_DEP_1) | instskip(NEXT) | instid1(VALU_DEP_1)
	v_fma_f32 v30, v33, v31, -v34
	v_fmac_f32_e32 v30, v33, v29
	s_delay_alu instid0(VALU_DEP_1) | instskip(NEXT) | instid1(VALU_DEP_1)
	v_add_f32_e32 v35, v34, v30
	v_sub_f32_e32 v36, v32, v35
	s_delay_alu instid0(VALU_DEP_1) | instskip(SKIP_1) | instid1(VALU_DEP_2)
	v_sub_f32_e32 v32, v32, v36
	v_dual_add_f32 v25, v25, v28 :: v_dual_sub_f32 v28, v35, v34
	v_sub_f32_e32 v32, v32, v35
	s_delay_alu instid0(VALU_DEP_1) | instskip(NEXT) | instid1(VALU_DEP_1)
	v_dual_sub_f32 v28, v28, v30 :: v_dual_add_f32 v25, v25, v32
	v_add_f32_e32 v25, v28, v25
	s_delay_alu instid0(VALU_DEP_1) | instskip(NEXT) | instid1(VALU_DEP_1)
	v_add_f32_e32 v28, v36, v25
	v_mul_f32_e32 v30, v27, v28
	s_delay_alu instid0(VALU_DEP_1) | instskip(NEXT) | instid1(VALU_DEP_1)
	v_dual_sub_f32 v35, v36, v28 :: v_dual_mul_f32 v32, v31, v30
	v_add_f32_e32 v25, v25, v35
	s_delay_alu instid0(VALU_DEP_2) | instskip(NEXT) | instid1(VALU_DEP_1)
	v_fma_f32 v31, v30, v31, -v32
	v_fmac_f32_e32 v31, v30, v29
	s_delay_alu instid0(VALU_DEP_1) | instskip(NEXT) | instid1(VALU_DEP_1)
	v_add_f32_e32 v29, v32, v31
	v_sub_f32_e32 v34, v28, v29
	s_delay_alu instid0(VALU_DEP_1) | instskip(NEXT) | instid1(VALU_DEP_1)
	v_sub_f32_e32 v28, v28, v34
	v_sub_f32_e32 v28, v28, v29
	s_delay_alu instid0(VALU_DEP_1) | instskip(SKIP_2) | instid1(VALU_DEP_1)
	v_add_f32_e32 v25, v25, v28
	v_add_f32_e32 v28, v33, v30
	v_sub_f32_e32 v32, v29, v32
	v_sub_f32_e32 v29, v32, v31
	s_delay_alu instid0(VALU_DEP_1) | instskip(NEXT) | instid1(VALU_DEP_4)
	v_add_f32_e32 v25, v29, v25
	v_sub_f32_e32 v29, v28, v33
	s_delay_alu instid0(VALU_DEP_2) | instskip(NEXT) | instid1(VALU_DEP_2)
	v_add_f32_e32 v25, v34, v25
	v_sub_f32_e32 v29, v30, v29
	s_delay_alu instid0(VALU_DEP_2) | instskip(NEXT) | instid1(VALU_DEP_1)
	v_mul_f32_e32 v25, v27, v25
	v_add_f32_e32 v25, v29, v25
	s_delay_alu instid0(VALU_DEP_1) | instskip(NEXT) | instid1(VALU_DEP_1)
	v_add_f32_e32 v27, v28, v25
	v_mul_f32_e32 v29, v27, v27
	s_delay_alu instid0(VALU_DEP_1) | instskip(SKIP_1) | instid1(VALU_DEP_2)
	v_fmaak_f32 v30, s54, v29, 0x3ecc95a3
	v_mul_f32_e32 v31, v27, v29
	v_fmaak_f32 v29, v29, v30, 0x3f2aaada
	v_ldexp_f32 v30, v27, 1
	s_delay_alu instid0(VALU_DEP_2) | instskip(SKIP_1) | instid1(VALU_DEP_2)
	v_mul_f32_e32 v29, v31, v29
	v_sub_f32_e32 v27, v27, v28
	v_dual_mul_f32 v31, 0x3f317218, v24 :: v_dual_add_f32 v28, v30, v29
	s_delay_alu instid0(VALU_DEP_2) | instskip(NEXT) | instid1(VALU_DEP_2)
	v_sub_f32_e32 v25, v25, v27
	v_sub_f32_e32 v27, v28, v30
	s_delay_alu instid0(VALU_DEP_3) | instskip(NEXT) | instid1(VALU_DEP_3)
	v_fma_f32 v30, 0x3f317218, v24, -v31
	v_ldexp_f32 v25, v25, 1
	s_delay_alu instid0(VALU_DEP_2) | instskip(NEXT) | instid1(VALU_DEP_1)
	v_dual_sub_f32 v27, v29, v27 :: v_dual_fmac_f32 v30, 0xb102e308, v24
	v_dual_add_f32 v24, v25, v27 :: v_dual_add_f32 v25, v31, v30
	s_delay_alu instid0(VALU_DEP_1) | instskip(NEXT) | instid1(VALU_DEP_1)
	v_add_f32_e32 v27, v28, v24
	v_dual_add_f32 v29, v25, v27 :: v_dual_sub_f32 v28, v27, v28
	s_delay_alu instid0(VALU_DEP_1) | instskip(NEXT) | instid1(VALU_DEP_2)
	v_sub_f32_e32 v32, v29, v25
	v_dual_sub_f32 v31, v25, v31 :: v_dual_sub_f32 v24, v24, v28
	s_delay_alu instid0(VALU_DEP_1) | instskip(SKIP_1) | instid1(VALU_DEP_2)
	v_dual_sub_f32 v33, v29, v32 :: v_dual_sub_f32 v30, v30, v31
	v_sub_f32_e32 v27, v27, v32
	v_dual_sub_f32 v25, v25, v33 :: v_dual_add_f32 v28, v30, v24
	s_delay_alu instid0(VALU_DEP_1) | instskip(NEXT) | instid1(VALU_DEP_2)
	v_add_f32_e32 v25, v27, v25
	v_sub_f32_e32 v27, v28, v30
	s_delay_alu instid0(VALU_DEP_2) | instskip(NEXT) | instid1(VALU_DEP_2)
	v_add_f32_e32 v25, v28, v25
	v_sub_f32_e32 v28, v28, v27
	s_delay_alu instid0(VALU_DEP_2) | instskip(NEXT) | instid1(VALU_DEP_1)
	v_dual_sub_f32 v24, v24, v27 :: v_dual_add_f32 v31, v29, v25
	v_dual_sub_f32 v28, v30, v28 :: v_dual_sub_f32 v27, v31, v29
	s_delay_alu instid0(VALU_DEP_1) | instskip(NEXT) | instid1(VALU_DEP_1)
	v_dual_add_f32 v24, v24, v28 :: v_dual_sub_f32 v25, v25, v27
	v_add_f32_e32 v24, v24, v25
	s_delay_alu instid0(VALU_DEP_1) | instskip(NEXT) | instid1(VALU_DEP_1)
	v_add_f32_e32 v24, v31, v24
	v_cndmask_b32_e32 v78, v24, v26, vcc_lo
.LBB25_28:                              ;   in Loop: Header=BB25_12 Depth=1
	s_or_b32 exec_lo, exec_lo, s16
	v_lshlrev_b32_e32 v24, 16, v14
	s_delay_alu instid0(VALU_DEP_1) | instskip(NEXT) | instid1(VALU_DEP_1)
	v_add_f32_e32 v79, s57, v24
	v_cmp_ge_f32_e32 vcc_lo, 0x41a00000, v79
	s_and_b32 s14, s67, vcc_lo
	s_delay_alu instid0(SALU_CYCLE_1)
	s_and_saveexec_b32 s16, s14
	s_cbranch_execz .LBB25_30
; %bb.29:                               ;   in Loop: Header=BB25_12 Depth=1
	v_mul_f32_e32 v24, 0x3fb8aa3b, v79
	v_cmp_ngt_f32_e32 vcc_lo, 0xc2ce8ed0, v79
	s_delay_alu instid0(VALU_DEP_2) | instskip(SKIP_1) | instid1(VALU_DEP_2)
	v_rndne_f32_e32 v25, v24
	v_fma_f32 v26, 0x3fb8aa3b, v79, -v24
	v_sub_f32_e32 v24, v24, v25
	s_delay_alu instid0(VALU_DEP_2) | instskip(SKIP_1) | instid1(VALU_DEP_2)
	v_fmac_f32_e32 v26, 0x32a5705f, v79
	v_cvt_i32_f32_e32 v25, v25
	v_add_f32_e32 v24, v24, v26
	s_delay_alu instid0(VALU_DEP_1) | instskip(SKIP_2) | instid1(VALU_DEP_1)
	v_exp_f32_e32 v24, v24
	s_waitcnt_depctr 0xfff
	v_ldexp_f32 v24, v24, v25
	v_cndmask_b32_e32 v24, 0, v24, vcc_lo
	v_cmp_nlt_f32_e32 vcc_lo, 0x42b17218, v79
	s_delay_alu instid0(VALU_DEP_2) | instskip(NEXT) | instid1(VALU_DEP_1)
	v_cndmask_b32_e32 v26, 0x7f800000, v24, vcc_lo
	v_add_f32_e32 v27, 1.0, v26
	s_delay_alu instid0(VALU_DEP_1) | instskip(NEXT) | instid1(VALU_DEP_1)
	v_cvt_f64_f32_e32 v[24:25], v27
	v_frexp_exp_i32_f64_e32 v24, v[24:25]
	v_frexp_mant_f32_e32 v25, v27
	s_delay_alu instid0(VALU_DEP_1) | instskip(SKIP_1) | instid1(VALU_DEP_1)
	v_cmp_gt_f32_e32 vcc_lo, 0x3f2aaaab, v25
	v_add_f32_e32 v25, -1.0, v27
	v_sub_f32_e32 v29, v25, v27
	v_sub_f32_e32 v25, v26, v25
	s_delay_alu instid0(VALU_DEP_2) | instskip(NEXT) | instid1(VALU_DEP_1)
	v_add_f32_e32 v29, 1.0, v29
	v_add_f32_e32 v25, v25, v29
	v_cmp_gt_f32_e64 s14, 0x33800000, v26
	v_subrev_co_ci_u32_e32 v24, vcc_lo, 0, v24, vcc_lo
	v_cmp_eq_f32_e32 vcc_lo, 0x7f800000, v26
	s_delay_alu instid0(VALU_DEP_2) | instskip(SKIP_2) | instid1(VALU_DEP_2)
	v_sub_nc_u32_e32 v28, 0, v24
	v_cvt_f32_i32_e32 v24, v24
	s_or_b32 vcc_lo, s14, vcc_lo
	v_ldexp_f32 v27, v27, v28
	v_ldexp_f32 v25, v25, v28
	s_delay_alu instid0(VALU_DEP_2) | instskip(NEXT) | instid1(VALU_DEP_1)
	v_add_f32_e32 v30, 1.0, v27
	v_dual_add_f32 v28, -1.0, v27 :: v_dual_add_f32 v29, -1.0, v30
	s_delay_alu instid0(VALU_DEP_1) | instskip(NEXT) | instid1(VALU_DEP_2)
	v_add_f32_e32 v31, 1.0, v28
	v_sub_f32_e32 v29, v27, v29
	s_delay_alu instid0(VALU_DEP_2) | instskip(NEXT) | instid1(VALU_DEP_2)
	v_sub_f32_e32 v27, v27, v31
	v_add_f32_e32 v29, v25, v29
	s_delay_alu instid0(VALU_DEP_2) | instskip(NEXT) | instid1(VALU_DEP_1)
	v_add_f32_e32 v25, v25, v27
	v_add_f32_e32 v32, v28, v25
	s_delay_alu instid0(VALU_DEP_1) | instskip(NEXT) | instid1(VALU_DEP_1)
	v_dual_add_f32 v31, v30, v29 :: v_dual_sub_f32 v28, v28, v32
	v_rcp_f32_e32 v27, v31
	v_sub_f32_e32 v30, v30, v31
	s_delay_alu instid0(VALU_DEP_1) | instskip(SKIP_2) | instid1(VALU_DEP_1)
	v_add_f32_e32 v29, v29, v30
	s_waitcnt_depctr 0xfff
	v_mul_f32_e32 v33, v32, v27
	v_mul_f32_e32 v34, v31, v33
	s_delay_alu instid0(VALU_DEP_1) | instskip(NEXT) | instid1(VALU_DEP_1)
	v_fma_f32 v30, v33, v31, -v34
	v_fmac_f32_e32 v30, v33, v29
	s_delay_alu instid0(VALU_DEP_1) | instskip(NEXT) | instid1(VALU_DEP_1)
	v_add_f32_e32 v35, v34, v30
	v_sub_f32_e32 v36, v32, v35
	s_delay_alu instid0(VALU_DEP_1) | instskip(SKIP_1) | instid1(VALU_DEP_2)
	v_sub_f32_e32 v32, v32, v36
	v_dual_add_f32 v25, v25, v28 :: v_dual_sub_f32 v28, v35, v34
	v_sub_f32_e32 v32, v32, v35
	s_delay_alu instid0(VALU_DEP_1) | instskip(NEXT) | instid1(VALU_DEP_1)
	v_dual_sub_f32 v28, v28, v30 :: v_dual_add_f32 v25, v25, v32
	v_add_f32_e32 v25, v28, v25
	s_delay_alu instid0(VALU_DEP_1) | instskip(NEXT) | instid1(VALU_DEP_1)
	v_add_f32_e32 v28, v36, v25
	v_mul_f32_e32 v30, v27, v28
	s_delay_alu instid0(VALU_DEP_1) | instskip(NEXT) | instid1(VALU_DEP_1)
	v_dual_sub_f32 v35, v36, v28 :: v_dual_mul_f32 v32, v31, v30
	v_add_f32_e32 v25, v25, v35
	s_delay_alu instid0(VALU_DEP_2) | instskip(NEXT) | instid1(VALU_DEP_1)
	v_fma_f32 v31, v30, v31, -v32
	v_fmac_f32_e32 v31, v30, v29
	s_delay_alu instid0(VALU_DEP_1) | instskip(NEXT) | instid1(VALU_DEP_1)
	v_add_f32_e32 v29, v32, v31
	v_sub_f32_e32 v34, v28, v29
	s_delay_alu instid0(VALU_DEP_1) | instskip(NEXT) | instid1(VALU_DEP_1)
	v_sub_f32_e32 v28, v28, v34
	v_sub_f32_e32 v28, v28, v29
	s_delay_alu instid0(VALU_DEP_1) | instskip(SKIP_2) | instid1(VALU_DEP_1)
	v_add_f32_e32 v25, v25, v28
	v_add_f32_e32 v28, v33, v30
	v_sub_f32_e32 v32, v29, v32
	v_sub_f32_e32 v29, v32, v31
	s_delay_alu instid0(VALU_DEP_1) | instskip(NEXT) | instid1(VALU_DEP_4)
	v_add_f32_e32 v25, v29, v25
	v_sub_f32_e32 v29, v28, v33
	s_delay_alu instid0(VALU_DEP_2) | instskip(NEXT) | instid1(VALU_DEP_2)
	v_add_f32_e32 v25, v34, v25
	v_sub_f32_e32 v29, v30, v29
	s_delay_alu instid0(VALU_DEP_2) | instskip(NEXT) | instid1(VALU_DEP_1)
	v_mul_f32_e32 v25, v27, v25
	v_add_f32_e32 v25, v29, v25
	s_delay_alu instid0(VALU_DEP_1) | instskip(NEXT) | instid1(VALU_DEP_1)
	v_add_f32_e32 v27, v28, v25
	v_mul_f32_e32 v29, v27, v27
	s_delay_alu instid0(VALU_DEP_1) | instskip(SKIP_1) | instid1(VALU_DEP_2)
	v_fmaak_f32 v30, s54, v29, 0x3ecc95a3
	v_mul_f32_e32 v31, v27, v29
	v_fmaak_f32 v29, v29, v30, 0x3f2aaada
	v_ldexp_f32 v30, v27, 1
	s_delay_alu instid0(VALU_DEP_2) | instskip(SKIP_1) | instid1(VALU_DEP_2)
	v_mul_f32_e32 v29, v31, v29
	v_sub_f32_e32 v27, v27, v28
	v_dual_mul_f32 v31, 0x3f317218, v24 :: v_dual_add_f32 v28, v30, v29
	s_delay_alu instid0(VALU_DEP_2) | instskip(NEXT) | instid1(VALU_DEP_2)
	v_sub_f32_e32 v25, v25, v27
	v_sub_f32_e32 v27, v28, v30
	s_delay_alu instid0(VALU_DEP_3) | instskip(NEXT) | instid1(VALU_DEP_3)
	v_fma_f32 v30, 0x3f317218, v24, -v31
	v_ldexp_f32 v25, v25, 1
	s_delay_alu instid0(VALU_DEP_2) | instskip(NEXT) | instid1(VALU_DEP_1)
	v_dual_sub_f32 v27, v29, v27 :: v_dual_fmac_f32 v30, 0xb102e308, v24
	v_dual_add_f32 v24, v25, v27 :: v_dual_add_f32 v25, v31, v30
	s_delay_alu instid0(VALU_DEP_1) | instskip(NEXT) | instid1(VALU_DEP_1)
	v_add_f32_e32 v27, v28, v24
	v_dual_add_f32 v29, v25, v27 :: v_dual_sub_f32 v28, v27, v28
	s_delay_alu instid0(VALU_DEP_1) | instskip(NEXT) | instid1(VALU_DEP_2)
	v_sub_f32_e32 v32, v29, v25
	v_dual_sub_f32 v31, v25, v31 :: v_dual_sub_f32 v24, v24, v28
	s_delay_alu instid0(VALU_DEP_1) | instskip(SKIP_1) | instid1(VALU_DEP_2)
	v_dual_sub_f32 v33, v29, v32 :: v_dual_sub_f32 v30, v30, v31
	v_sub_f32_e32 v27, v27, v32
	v_dual_sub_f32 v25, v25, v33 :: v_dual_add_f32 v28, v30, v24
	s_delay_alu instid0(VALU_DEP_1) | instskip(NEXT) | instid1(VALU_DEP_2)
	v_add_f32_e32 v25, v27, v25
	v_sub_f32_e32 v27, v28, v30
	s_delay_alu instid0(VALU_DEP_2) | instskip(NEXT) | instid1(VALU_DEP_2)
	v_add_f32_e32 v25, v28, v25
	v_sub_f32_e32 v28, v28, v27
	s_delay_alu instid0(VALU_DEP_2) | instskip(NEXT) | instid1(VALU_DEP_1)
	v_dual_sub_f32 v24, v24, v27 :: v_dual_add_f32 v31, v29, v25
	v_dual_sub_f32 v28, v30, v28 :: v_dual_sub_f32 v27, v31, v29
	s_delay_alu instid0(VALU_DEP_1) | instskip(NEXT) | instid1(VALU_DEP_1)
	v_dual_add_f32 v24, v24, v28 :: v_dual_sub_f32 v25, v25, v27
	v_add_f32_e32 v24, v24, v25
	s_delay_alu instid0(VALU_DEP_1) | instskip(NEXT) | instid1(VALU_DEP_1)
	v_add_f32_e32 v24, v31, v24
	v_cndmask_b32_e32 v79, v24, v26, vcc_lo
.LBB25_30:                              ;   in Loop: Header=BB25_12 Depth=1
	s_or_b32 exec_lo, exec_lo, s16
	v_and_b32_e32 v24, 0xffff0000, v14
	s_delay_alu instid0(VALU_DEP_1) | instskip(NEXT) | instid1(VALU_DEP_1)
	v_add_f32_e32 v80, s57, v24
	v_cmp_ge_f32_e32 vcc_lo, 0x41a00000, v80
	s_and_b32 s14, s67, vcc_lo
	s_delay_alu instid0(SALU_CYCLE_1)
	s_and_saveexec_b32 s16, s14
	s_cbranch_execz .LBB25_32
; %bb.31:                               ;   in Loop: Header=BB25_12 Depth=1
	v_mul_f32_e32 v24, 0x3fb8aa3b, v80
	v_cmp_ngt_f32_e32 vcc_lo, 0xc2ce8ed0, v80
	s_delay_alu instid0(VALU_DEP_2) | instskip(SKIP_1) | instid1(VALU_DEP_2)
	v_rndne_f32_e32 v25, v24
	v_fma_f32 v26, 0x3fb8aa3b, v80, -v24
	v_sub_f32_e32 v24, v24, v25
	s_delay_alu instid0(VALU_DEP_2) | instskip(SKIP_1) | instid1(VALU_DEP_2)
	v_fmac_f32_e32 v26, 0x32a5705f, v80
	v_cvt_i32_f32_e32 v25, v25
	v_add_f32_e32 v24, v24, v26
	s_delay_alu instid0(VALU_DEP_1) | instskip(SKIP_2) | instid1(VALU_DEP_1)
	v_exp_f32_e32 v24, v24
	s_waitcnt_depctr 0xfff
	v_ldexp_f32 v24, v24, v25
	v_cndmask_b32_e32 v24, 0, v24, vcc_lo
	v_cmp_nlt_f32_e32 vcc_lo, 0x42b17218, v80
	s_delay_alu instid0(VALU_DEP_2) | instskip(NEXT) | instid1(VALU_DEP_1)
	v_cndmask_b32_e32 v26, 0x7f800000, v24, vcc_lo
	v_add_f32_e32 v27, 1.0, v26
	s_delay_alu instid0(VALU_DEP_1) | instskip(NEXT) | instid1(VALU_DEP_1)
	v_cvt_f64_f32_e32 v[24:25], v27
	v_frexp_exp_i32_f64_e32 v24, v[24:25]
	v_frexp_mant_f32_e32 v25, v27
	s_delay_alu instid0(VALU_DEP_1) | instskip(SKIP_1) | instid1(VALU_DEP_1)
	v_cmp_gt_f32_e32 vcc_lo, 0x3f2aaaab, v25
	v_add_f32_e32 v25, -1.0, v27
	v_sub_f32_e32 v29, v25, v27
	v_sub_f32_e32 v25, v26, v25
	s_delay_alu instid0(VALU_DEP_2) | instskip(NEXT) | instid1(VALU_DEP_1)
	v_add_f32_e32 v29, 1.0, v29
	v_add_f32_e32 v25, v25, v29
	v_cmp_gt_f32_e64 s14, 0x33800000, v26
	v_subrev_co_ci_u32_e32 v24, vcc_lo, 0, v24, vcc_lo
	v_cmp_eq_f32_e32 vcc_lo, 0x7f800000, v26
	s_delay_alu instid0(VALU_DEP_2) | instskip(SKIP_2) | instid1(VALU_DEP_2)
	v_sub_nc_u32_e32 v28, 0, v24
	v_cvt_f32_i32_e32 v24, v24
	s_or_b32 vcc_lo, s14, vcc_lo
	v_ldexp_f32 v27, v27, v28
	v_ldexp_f32 v25, v25, v28
	s_delay_alu instid0(VALU_DEP_2) | instskip(NEXT) | instid1(VALU_DEP_1)
	v_add_f32_e32 v30, 1.0, v27
	v_dual_add_f32 v28, -1.0, v27 :: v_dual_add_f32 v29, -1.0, v30
	s_delay_alu instid0(VALU_DEP_1) | instskip(NEXT) | instid1(VALU_DEP_2)
	v_add_f32_e32 v31, 1.0, v28
	v_sub_f32_e32 v29, v27, v29
	s_delay_alu instid0(VALU_DEP_2) | instskip(NEXT) | instid1(VALU_DEP_2)
	v_sub_f32_e32 v27, v27, v31
	v_add_f32_e32 v29, v25, v29
	s_delay_alu instid0(VALU_DEP_2) | instskip(NEXT) | instid1(VALU_DEP_1)
	v_add_f32_e32 v25, v25, v27
	v_add_f32_e32 v32, v28, v25
	s_delay_alu instid0(VALU_DEP_1) | instskip(NEXT) | instid1(VALU_DEP_1)
	v_dual_add_f32 v31, v30, v29 :: v_dual_sub_f32 v28, v28, v32
	v_rcp_f32_e32 v27, v31
	v_sub_f32_e32 v30, v30, v31
	s_delay_alu instid0(VALU_DEP_1) | instskip(SKIP_2) | instid1(VALU_DEP_1)
	v_add_f32_e32 v29, v29, v30
	s_waitcnt_depctr 0xfff
	v_mul_f32_e32 v33, v32, v27
	v_mul_f32_e32 v34, v31, v33
	s_delay_alu instid0(VALU_DEP_1) | instskip(NEXT) | instid1(VALU_DEP_1)
	v_fma_f32 v30, v33, v31, -v34
	v_fmac_f32_e32 v30, v33, v29
	s_delay_alu instid0(VALU_DEP_1) | instskip(NEXT) | instid1(VALU_DEP_1)
	v_add_f32_e32 v35, v34, v30
	v_sub_f32_e32 v36, v32, v35
	s_delay_alu instid0(VALU_DEP_1) | instskip(SKIP_1) | instid1(VALU_DEP_2)
	v_sub_f32_e32 v32, v32, v36
	v_dual_add_f32 v25, v25, v28 :: v_dual_sub_f32 v28, v35, v34
	v_sub_f32_e32 v32, v32, v35
	s_delay_alu instid0(VALU_DEP_1) | instskip(NEXT) | instid1(VALU_DEP_1)
	v_dual_sub_f32 v28, v28, v30 :: v_dual_add_f32 v25, v25, v32
	v_add_f32_e32 v25, v28, v25
	s_delay_alu instid0(VALU_DEP_1) | instskip(NEXT) | instid1(VALU_DEP_1)
	v_add_f32_e32 v28, v36, v25
	v_mul_f32_e32 v30, v27, v28
	s_delay_alu instid0(VALU_DEP_1) | instskip(NEXT) | instid1(VALU_DEP_1)
	v_dual_sub_f32 v35, v36, v28 :: v_dual_mul_f32 v32, v31, v30
	v_add_f32_e32 v25, v25, v35
	s_delay_alu instid0(VALU_DEP_2) | instskip(NEXT) | instid1(VALU_DEP_1)
	v_fma_f32 v31, v30, v31, -v32
	v_fmac_f32_e32 v31, v30, v29
	s_delay_alu instid0(VALU_DEP_1) | instskip(NEXT) | instid1(VALU_DEP_1)
	v_add_f32_e32 v29, v32, v31
	v_sub_f32_e32 v34, v28, v29
	s_delay_alu instid0(VALU_DEP_1) | instskip(NEXT) | instid1(VALU_DEP_1)
	v_sub_f32_e32 v28, v28, v34
	v_sub_f32_e32 v28, v28, v29
	s_delay_alu instid0(VALU_DEP_1) | instskip(SKIP_2) | instid1(VALU_DEP_1)
	v_add_f32_e32 v25, v25, v28
	v_add_f32_e32 v28, v33, v30
	v_sub_f32_e32 v32, v29, v32
	v_sub_f32_e32 v29, v32, v31
	s_delay_alu instid0(VALU_DEP_1) | instskip(NEXT) | instid1(VALU_DEP_4)
	v_add_f32_e32 v25, v29, v25
	v_sub_f32_e32 v29, v28, v33
	s_delay_alu instid0(VALU_DEP_2) | instskip(NEXT) | instid1(VALU_DEP_2)
	v_add_f32_e32 v25, v34, v25
	v_sub_f32_e32 v29, v30, v29
	s_delay_alu instid0(VALU_DEP_2) | instskip(NEXT) | instid1(VALU_DEP_1)
	v_mul_f32_e32 v25, v27, v25
	v_add_f32_e32 v25, v29, v25
	s_delay_alu instid0(VALU_DEP_1) | instskip(NEXT) | instid1(VALU_DEP_1)
	v_add_f32_e32 v27, v28, v25
	v_mul_f32_e32 v29, v27, v27
	s_delay_alu instid0(VALU_DEP_1) | instskip(SKIP_1) | instid1(VALU_DEP_2)
	v_fmaak_f32 v30, s54, v29, 0x3ecc95a3
	v_mul_f32_e32 v31, v27, v29
	v_fmaak_f32 v29, v29, v30, 0x3f2aaada
	v_ldexp_f32 v30, v27, 1
	s_delay_alu instid0(VALU_DEP_2) | instskip(SKIP_1) | instid1(VALU_DEP_2)
	v_mul_f32_e32 v29, v31, v29
	v_sub_f32_e32 v27, v27, v28
	v_dual_mul_f32 v31, 0x3f317218, v24 :: v_dual_add_f32 v28, v30, v29
	s_delay_alu instid0(VALU_DEP_2) | instskip(NEXT) | instid1(VALU_DEP_2)
	v_sub_f32_e32 v25, v25, v27
	v_sub_f32_e32 v27, v28, v30
	s_delay_alu instid0(VALU_DEP_3) | instskip(NEXT) | instid1(VALU_DEP_3)
	v_fma_f32 v30, 0x3f317218, v24, -v31
	v_ldexp_f32 v25, v25, 1
	s_delay_alu instid0(VALU_DEP_2) | instskip(NEXT) | instid1(VALU_DEP_1)
	v_dual_sub_f32 v27, v29, v27 :: v_dual_fmac_f32 v30, 0xb102e308, v24
	v_dual_add_f32 v24, v25, v27 :: v_dual_add_f32 v25, v31, v30
	s_delay_alu instid0(VALU_DEP_1) | instskip(NEXT) | instid1(VALU_DEP_1)
	v_add_f32_e32 v27, v28, v24
	v_dual_add_f32 v29, v25, v27 :: v_dual_sub_f32 v28, v27, v28
	s_delay_alu instid0(VALU_DEP_1) | instskip(NEXT) | instid1(VALU_DEP_2)
	v_sub_f32_e32 v32, v29, v25
	v_dual_sub_f32 v31, v25, v31 :: v_dual_sub_f32 v24, v24, v28
	s_delay_alu instid0(VALU_DEP_1) | instskip(SKIP_1) | instid1(VALU_DEP_2)
	v_dual_sub_f32 v33, v29, v32 :: v_dual_sub_f32 v30, v30, v31
	v_sub_f32_e32 v27, v27, v32
	v_dual_sub_f32 v25, v25, v33 :: v_dual_add_f32 v28, v30, v24
	s_delay_alu instid0(VALU_DEP_1) | instskip(NEXT) | instid1(VALU_DEP_2)
	v_add_f32_e32 v25, v27, v25
	v_sub_f32_e32 v27, v28, v30
	s_delay_alu instid0(VALU_DEP_2) | instskip(NEXT) | instid1(VALU_DEP_2)
	v_add_f32_e32 v25, v28, v25
	v_sub_f32_e32 v28, v28, v27
	s_delay_alu instid0(VALU_DEP_2) | instskip(NEXT) | instid1(VALU_DEP_1)
	v_dual_sub_f32 v24, v24, v27 :: v_dual_add_f32 v31, v29, v25
	v_dual_sub_f32 v28, v30, v28 :: v_dual_sub_f32 v27, v31, v29
	s_delay_alu instid0(VALU_DEP_1) | instskip(NEXT) | instid1(VALU_DEP_1)
	v_dual_add_f32 v24, v24, v28 :: v_dual_sub_f32 v25, v25, v27
	v_add_f32_e32 v24, v24, v25
	s_delay_alu instid0(VALU_DEP_1) | instskip(NEXT) | instid1(VALU_DEP_1)
	v_add_f32_e32 v24, v31, v24
	v_cndmask_b32_e32 v80, v24, v26, vcc_lo
.LBB25_32:                              ;   in Loop: Header=BB25_12 Depth=1
	s_or_b32 exec_lo, exec_lo, s16
	v_lshlrev_b32_e32 v24, 16, v15
	s_delay_alu instid0(VALU_DEP_1) | instskip(NEXT) | instid1(VALU_DEP_1)
	v_add_f32_e32 v81, s57, v24
	v_cmp_ge_f32_e32 vcc_lo, 0x41a00000, v81
	s_and_b32 s14, s67, vcc_lo
	s_delay_alu instid0(SALU_CYCLE_1)
	s_and_saveexec_b32 s16, s14
	s_cbranch_execz .LBB25_34
; %bb.33:                               ;   in Loop: Header=BB25_12 Depth=1
	v_mul_f32_e32 v24, 0x3fb8aa3b, v81
	v_cmp_ngt_f32_e32 vcc_lo, 0xc2ce8ed0, v81
	s_delay_alu instid0(VALU_DEP_2) | instskip(SKIP_1) | instid1(VALU_DEP_2)
	v_rndne_f32_e32 v25, v24
	v_fma_f32 v26, 0x3fb8aa3b, v81, -v24
	v_sub_f32_e32 v24, v24, v25
	s_delay_alu instid0(VALU_DEP_2) | instskip(SKIP_1) | instid1(VALU_DEP_2)
	v_fmac_f32_e32 v26, 0x32a5705f, v81
	v_cvt_i32_f32_e32 v25, v25
	v_add_f32_e32 v24, v24, v26
	s_delay_alu instid0(VALU_DEP_1) | instskip(SKIP_2) | instid1(VALU_DEP_1)
	v_exp_f32_e32 v24, v24
	s_waitcnt_depctr 0xfff
	v_ldexp_f32 v24, v24, v25
	v_cndmask_b32_e32 v24, 0, v24, vcc_lo
	v_cmp_nlt_f32_e32 vcc_lo, 0x42b17218, v81
	s_delay_alu instid0(VALU_DEP_2) | instskip(NEXT) | instid1(VALU_DEP_1)
	v_cndmask_b32_e32 v26, 0x7f800000, v24, vcc_lo
	v_add_f32_e32 v27, 1.0, v26
	s_delay_alu instid0(VALU_DEP_1) | instskip(NEXT) | instid1(VALU_DEP_1)
	v_cvt_f64_f32_e32 v[24:25], v27
	v_frexp_exp_i32_f64_e32 v24, v[24:25]
	v_frexp_mant_f32_e32 v25, v27
	s_delay_alu instid0(VALU_DEP_1) | instskip(SKIP_1) | instid1(VALU_DEP_1)
	v_cmp_gt_f32_e32 vcc_lo, 0x3f2aaaab, v25
	v_add_f32_e32 v25, -1.0, v27
	v_sub_f32_e32 v29, v25, v27
	v_sub_f32_e32 v25, v26, v25
	s_delay_alu instid0(VALU_DEP_2) | instskip(NEXT) | instid1(VALU_DEP_1)
	v_add_f32_e32 v29, 1.0, v29
	v_add_f32_e32 v25, v25, v29
	v_cmp_gt_f32_e64 s14, 0x33800000, v26
	v_subrev_co_ci_u32_e32 v24, vcc_lo, 0, v24, vcc_lo
	v_cmp_eq_f32_e32 vcc_lo, 0x7f800000, v26
	s_delay_alu instid0(VALU_DEP_2) | instskip(SKIP_2) | instid1(VALU_DEP_2)
	v_sub_nc_u32_e32 v28, 0, v24
	v_cvt_f32_i32_e32 v24, v24
	s_or_b32 vcc_lo, s14, vcc_lo
	v_ldexp_f32 v27, v27, v28
	v_ldexp_f32 v25, v25, v28
	s_delay_alu instid0(VALU_DEP_2) | instskip(NEXT) | instid1(VALU_DEP_1)
	v_add_f32_e32 v30, 1.0, v27
	v_dual_add_f32 v28, -1.0, v27 :: v_dual_add_f32 v29, -1.0, v30
	s_delay_alu instid0(VALU_DEP_1) | instskip(NEXT) | instid1(VALU_DEP_2)
	v_add_f32_e32 v31, 1.0, v28
	v_sub_f32_e32 v29, v27, v29
	s_delay_alu instid0(VALU_DEP_2) | instskip(NEXT) | instid1(VALU_DEP_2)
	v_sub_f32_e32 v27, v27, v31
	v_add_f32_e32 v29, v25, v29
	s_delay_alu instid0(VALU_DEP_2) | instskip(NEXT) | instid1(VALU_DEP_1)
	v_add_f32_e32 v25, v25, v27
	v_add_f32_e32 v32, v28, v25
	s_delay_alu instid0(VALU_DEP_1) | instskip(NEXT) | instid1(VALU_DEP_1)
	v_dual_add_f32 v31, v30, v29 :: v_dual_sub_f32 v28, v28, v32
	v_rcp_f32_e32 v27, v31
	v_sub_f32_e32 v30, v30, v31
	s_delay_alu instid0(VALU_DEP_1) | instskip(SKIP_2) | instid1(VALU_DEP_1)
	v_add_f32_e32 v29, v29, v30
	s_waitcnt_depctr 0xfff
	v_mul_f32_e32 v33, v32, v27
	v_mul_f32_e32 v34, v31, v33
	s_delay_alu instid0(VALU_DEP_1) | instskip(NEXT) | instid1(VALU_DEP_1)
	v_fma_f32 v30, v33, v31, -v34
	v_fmac_f32_e32 v30, v33, v29
	s_delay_alu instid0(VALU_DEP_1) | instskip(NEXT) | instid1(VALU_DEP_1)
	v_add_f32_e32 v35, v34, v30
	v_sub_f32_e32 v36, v32, v35
	s_delay_alu instid0(VALU_DEP_1) | instskip(SKIP_1) | instid1(VALU_DEP_2)
	v_sub_f32_e32 v32, v32, v36
	v_dual_add_f32 v25, v25, v28 :: v_dual_sub_f32 v28, v35, v34
	v_sub_f32_e32 v32, v32, v35
	s_delay_alu instid0(VALU_DEP_1) | instskip(NEXT) | instid1(VALU_DEP_1)
	v_dual_sub_f32 v28, v28, v30 :: v_dual_add_f32 v25, v25, v32
	v_add_f32_e32 v25, v28, v25
	s_delay_alu instid0(VALU_DEP_1) | instskip(NEXT) | instid1(VALU_DEP_1)
	v_add_f32_e32 v28, v36, v25
	v_mul_f32_e32 v30, v27, v28
	s_delay_alu instid0(VALU_DEP_1) | instskip(NEXT) | instid1(VALU_DEP_1)
	v_dual_sub_f32 v35, v36, v28 :: v_dual_mul_f32 v32, v31, v30
	v_add_f32_e32 v25, v25, v35
	s_delay_alu instid0(VALU_DEP_2) | instskip(NEXT) | instid1(VALU_DEP_1)
	v_fma_f32 v31, v30, v31, -v32
	v_fmac_f32_e32 v31, v30, v29
	s_delay_alu instid0(VALU_DEP_1) | instskip(NEXT) | instid1(VALU_DEP_1)
	v_add_f32_e32 v29, v32, v31
	v_sub_f32_e32 v34, v28, v29
	s_delay_alu instid0(VALU_DEP_1) | instskip(NEXT) | instid1(VALU_DEP_1)
	v_sub_f32_e32 v28, v28, v34
	v_sub_f32_e32 v28, v28, v29
	s_delay_alu instid0(VALU_DEP_1) | instskip(SKIP_2) | instid1(VALU_DEP_1)
	v_add_f32_e32 v25, v25, v28
	v_add_f32_e32 v28, v33, v30
	v_sub_f32_e32 v32, v29, v32
	v_sub_f32_e32 v29, v32, v31
	s_delay_alu instid0(VALU_DEP_1) | instskip(NEXT) | instid1(VALU_DEP_4)
	v_add_f32_e32 v25, v29, v25
	v_sub_f32_e32 v29, v28, v33
	s_delay_alu instid0(VALU_DEP_2) | instskip(NEXT) | instid1(VALU_DEP_2)
	v_add_f32_e32 v25, v34, v25
	v_sub_f32_e32 v29, v30, v29
	s_delay_alu instid0(VALU_DEP_2) | instskip(NEXT) | instid1(VALU_DEP_1)
	v_mul_f32_e32 v25, v27, v25
	v_add_f32_e32 v25, v29, v25
	s_delay_alu instid0(VALU_DEP_1) | instskip(NEXT) | instid1(VALU_DEP_1)
	v_add_f32_e32 v27, v28, v25
	v_mul_f32_e32 v29, v27, v27
	s_delay_alu instid0(VALU_DEP_1) | instskip(SKIP_1) | instid1(VALU_DEP_2)
	v_fmaak_f32 v30, s54, v29, 0x3ecc95a3
	v_mul_f32_e32 v31, v27, v29
	v_fmaak_f32 v29, v29, v30, 0x3f2aaada
	v_ldexp_f32 v30, v27, 1
	s_delay_alu instid0(VALU_DEP_2) | instskip(SKIP_1) | instid1(VALU_DEP_2)
	v_mul_f32_e32 v29, v31, v29
	v_sub_f32_e32 v27, v27, v28
	v_dual_mul_f32 v31, 0x3f317218, v24 :: v_dual_add_f32 v28, v30, v29
	s_delay_alu instid0(VALU_DEP_2) | instskip(NEXT) | instid1(VALU_DEP_2)
	v_sub_f32_e32 v25, v25, v27
	v_sub_f32_e32 v27, v28, v30
	s_delay_alu instid0(VALU_DEP_3) | instskip(NEXT) | instid1(VALU_DEP_3)
	v_fma_f32 v30, 0x3f317218, v24, -v31
	v_ldexp_f32 v25, v25, 1
	s_delay_alu instid0(VALU_DEP_2) | instskip(NEXT) | instid1(VALU_DEP_1)
	v_dual_sub_f32 v27, v29, v27 :: v_dual_fmac_f32 v30, 0xb102e308, v24
	v_dual_add_f32 v24, v25, v27 :: v_dual_add_f32 v25, v31, v30
	s_delay_alu instid0(VALU_DEP_1) | instskip(NEXT) | instid1(VALU_DEP_1)
	v_add_f32_e32 v27, v28, v24
	v_dual_add_f32 v29, v25, v27 :: v_dual_sub_f32 v28, v27, v28
	s_delay_alu instid0(VALU_DEP_1) | instskip(NEXT) | instid1(VALU_DEP_2)
	v_sub_f32_e32 v32, v29, v25
	v_dual_sub_f32 v31, v25, v31 :: v_dual_sub_f32 v24, v24, v28
	s_delay_alu instid0(VALU_DEP_1) | instskip(SKIP_1) | instid1(VALU_DEP_2)
	v_dual_sub_f32 v33, v29, v32 :: v_dual_sub_f32 v30, v30, v31
	v_sub_f32_e32 v27, v27, v32
	v_dual_sub_f32 v25, v25, v33 :: v_dual_add_f32 v28, v30, v24
	s_delay_alu instid0(VALU_DEP_1) | instskip(NEXT) | instid1(VALU_DEP_2)
	v_add_f32_e32 v25, v27, v25
	v_sub_f32_e32 v27, v28, v30
	s_delay_alu instid0(VALU_DEP_2) | instskip(NEXT) | instid1(VALU_DEP_2)
	v_add_f32_e32 v25, v28, v25
	v_sub_f32_e32 v28, v28, v27
	s_delay_alu instid0(VALU_DEP_2) | instskip(NEXT) | instid1(VALU_DEP_1)
	v_dual_sub_f32 v24, v24, v27 :: v_dual_add_f32 v31, v29, v25
	v_dual_sub_f32 v28, v30, v28 :: v_dual_sub_f32 v27, v31, v29
	s_delay_alu instid0(VALU_DEP_1) | instskip(NEXT) | instid1(VALU_DEP_1)
	v_dual_add_f32 v24, v24, v28 :: v_dual_sub_f32 v25, v25, v27
	v_add_f32_e32 v24, v24, v25
	s_delay_alu instid0(VALU_DEP_1) | instskip(NEXT) | instid1(VALU_DEP_1)
	v_add_f32_e32 v24, v31, v24
	v_cndmask_b32_e32 v81, v24, v26, vcc_lo
.LBB25_34:                              ;   in Loop: Header=BB25_12 Depth=1
	s_or_b32 exec_lo, exec_lo, s16
	v_and_b32_e32 v24, 0xffff0000, v15
	s_delay_alu instid0(VALU_DEP_1) | instskip(NEXT) | instid1(VALU_DEP_1)
	v_add_f32_e32 v82, s57, v24
	v_cmp_ge_f32_e32 vcc_lo, 0x41a00000, v82
	s_and_b32 s14, s67, vcc_lo
	s_delay_alu instid0(SALU_CYCLE_1)
	s_and_saveexec_b32 s16, s14
	s_cbranch_execz .LBB25_36
; %bb.35:                               ;   in Loop: Header=BB25_12 Depth=1
	v_mul_f32_e32 v24, 0x3fb8aa3b, v82
	v_cmp_ngt_f32_e32 vcc_lo, 0xc2ce8ed0, v82
	s_delay_alu instid0(VALU_DEP_2) | instskip(SKIP_1) | instid1(VALU_DEP_2)
	v_rndne_f32_e32 v25, v24
	v_fma_f32 v26, 0x3fb8aa3b, v82, -v24
	v_sub_f32_e32 v24, v24, v25
	s_delay_alu instid0(VALU_DEP_2) | instskip(SKIP_1) | instid1(VALU_DEP_2)
	v_fmac_f32_e32 v26, 0x32a5705f, v82
	v_cvt_i32_f32_e32 v25, v25
	v_add_f32_e32 v24, v24, v26
	s_delay_alu instid0(VALU_DEP_1) | instskip(SKIP_2) | instid1(VALU_DEP_1)
	v_exp_f32_e32 v24, v24
	s_waitcnt_depctr 0xfff
	v_ldexp_f32 v24, v24, v25
	v_cndmask_b32_e32 v24, 0, v24, vcc_lo
	v_cmp_nlt_f32_e32 vcc_lo, 0x42b17218, v82
	s_delay_alu instid0(VALU_DEP_2) | instskip(NEXT) | instid1(VALU_DEP_1)
	v_cndmask_b32_e32 v26, 0x7f800000, v24, vcc_lo
	v_add_f32_e32 v27, 1.0, v26
	s_delay_alu instid0(VALU_DEP_1) | instskip(NEXT) | instid1(VALU_DEP_1)
	v_cvt_f64_f32_e32 v[24:25], v27
	v_frexp_exp_i32_f64_e32 v24, v[24:25]
	v_frexp_mant_f32_e32 v25, v27
	s_delay_alu instid0(VALU_DEP_1) | instskip(SKIP_1) | instid1(VALU_DEP_1)
	v_cmp_gt_f32_e32 vcc_lo, 0x3f2aaaab, v25
	v_add_f32_e32 v25, -1.0, v27
	v_sub_f32_e32 v29, v25, v27
	v_sub_f32_e32 v25, v26, v25
	s_delay_alu instid0(VALU_DEP_2) | instskip(NEXT) | instid1(VALU_DEP_1)
	v_add_f32_e32 v29, 1.0, v29
	v_add_f32_e32 v25, v25, v29
	v_cmp_gt_f32_e64 s14, 0x33800000, v26
	v_subrev_co_ci_u32_e32 v24, vcc_lo, 0, v24, vcc_lo
	v_cmp_eq_f32_e32 vcc_lo, 0x7f800000, v26
	s_delay_alu instid0(VALU_DEP_2) | instskip(SKIP_2) | instid1(VALU_DEP_2)
	v_sub_nc_u32_e32 v28, 0, v24
	v_cvt_f32_i32_e32 v24, v24
	s_or_b32 vcc_lo, s14, vcc_lo
	v_ldexp_f32 v27, v27, v28
	v_ldexp_f32 v25, v25, v28
	s_delay_alu instid0(VALU_DEP_2) | instskip(NEXT) | instid1(VALU_DEP_1)
	v_add_f32_e32 v30, 1.0, v27
	v_dual_add_f32 v28, -1.0, v27 :: v_dual_add_f32 v29, -1.0, v30
	s_delay_alu instid0(VALU_DEP_1) | instskip(NEXT) | instid1(VALU_DEP_2)
	v_add_f32_e32 v31, 1.0, v28
	v_sub_f32_e32 v29, v27, v29
	s_delay_alu instid0(VALU_DEP_2) | instskip(NEXT) | instid1(VALU_DEP_2)
	v_sub_f32_e32 v27, v27, v31
	v_add_f32_e32 v29, v25, v29
	s_delay_alu instid0(VALU_DEP_2) | instskip(NEXT) | instid1(VALU_DEP_1)
	v_add_f32_e32 v25, v25, v27
	v_add_f32_e32 v32, v28, v25
	s_delay_alu instid0(VALU_DEP_1) | instskip(NEXT) | instid1(VALU_DEP_1)
	v_dual_add_f32 v31, v30, v29 :: v_dual_sub_f32 v28, v28, v32
	v_rcp_f32_e32 v27, v31
	v_sub_f32_e32 v30, v30, v31
	s_delay_alu instid0(VALU_DEP_1) | instskip(SKIP_2) | instid1(VALU_DEP_1)
	v_add_f32_e32 v29, v29, v30
	s_waitcnt_depctr 0xfff
	v_mul_f32_e32 v33, v32, v27
	v_mul_f32_e32 v34, v31, v33
	s_delay_alu instid0(VALU_DEP_1) | instskip(NEXT) | instid1(VALU_DEP_1)
	v_fma_f32 v30, v33, v31, -v34
	v_fmac_f32_e32 v30, v33, v29
	s_delay_alu instid0(VALU_DEP_1) | instskip(NEXT) | instid1(VALU_DEP_1)
	v_add_f32_e32 v35, v34, v30
	v_sub_f32_e32 v36, v32, v35
	s_delay_alu instid0(VALU_DEP_1) | instskip(SKIP_1) | instid1(VALU_DEP_2)
	v_sub_f32_e32 v32, v32, v36
	v_dual_add_f32 v25, v25, v28 :: v_dual_sub_f32 v28, v35, v34
	v_sub_f32_e32 v32, v32, v35
	s_delay_alu instid0(VALU_DEP_1) | instskip(NEXT) | instid1(VALU_DEP_1)
	v_dual_sub_f32 v28, v28, v30 :: v_dual_add_f32 v25, v25, v32
	v_add_f32_e32 v25, v28, v25
	s_delay_alu instid0(VALU_DEP_1) | instskip(NEXT) | instid1(VALU_DEP_1)
	v_add_f32_e32 v28, v36, v25
	v_mul_f32_e32 v30, v27, v28
	s_delay_alu instid0(VALU_DEP_1) | instskip(NEXT) | instid1(VALU_DEP_1)
	v_dual_sub_f32 v35, v36, v28 :: v_dual_mul_f32 v32, v31, v30
	v_add_f32_e32 v25, v25, v35
	s_delay_alu instid0(VALU_DEP_2) | instskip(NEXT) | instid1(VALU_DEP_1)
	v_fma_f32 v31, v30, v31, -v32
	v_fmac_f32_e32 v31, v30, v29
	s_delay_alu instid0(VALU_DEP_1) | instskip(NEXT) | instid1(VALU_DEP_1)
	v_add_f32_e32 v29, v32, v31
	v_sub_f32_e32 v34, v28, v29
	s_delay_alu instid0(VALU_DEP_1) | instskip(NEXT) | instid1(VALU_DEP_1)
	v_sub_f32_e32 v28, v28, v34
	v_sub_f32_e32 v28, v28, v29
	s_delay_alu instid0(VALU_DEP_1) | instskip(SKIP_2) | instid1(VALU_DEP_1)
	v_add_f32_e32 v25, v25, v28
	v_add_f32_e32 v28, v33, v30
	v_sub_f32_e32 v32, v29, v32
	v_sub_f32_e32 v29, v32, v31
	s_delay_alu instid0(VALU_DEP_1) | instskip(NEXT) | instid1(VALU_DEP_4)
	v_add_f32_e32 v25, v29, v25
	v_sub_f32_e32 v29, v28, v33
	s_delay_alu instid0(VALU_DEP_2) | instskip(NEXT) | instid1(VALU_DEP_2)
	v_add_f32_e32 v25, v34, v25
	v_sub_f32_e32 v29, v30, v29
	s_delay_alu instid0(VALU_DEP_2) | instskip(NEXT) | instid1(VALU_DEP_1)
	v_mul_f32_e32 v25, v27, v25
	v_add_f32_e32 v25, v29, v25
	s_delay_alu instid0(VALU_DEP_1) | instskip(NEXT) | instid1(VALU_DEP_1)
	v_add_f32_e32 v27, v28, v25
	v_mul_f32_e32 v29, v27, v27
	s_delay_alu instid0(VALU_DEP_1) | instskip(SKIP_1) | instid1(VALU_DEP_2)
	v_fmaak_f32 v30, s54, v29, 0x3ecc95a3
	v_mul_f32_e32 v31, v27, v29
	v_fmaak_f32 v29, v29, v30, 0x3f2aaada
	v_ldexp_f32 v30, v27, 1
	s_delay_alu instid0(VALU_DEP_2) | instskip(SKIP_1) | instid1(VALU_DEP_2)
	v_mul_f32_e32 v29, v31, v29
	v_sub_f32_e32 v27, v27, v28
	v_dual_mul_f32 v31, 0x3f317218, v24 :: v_dual_add_f32 v28, v30, v29
	s_delay_alu instid0(VALU_DEP_2) | instskip(NEXT) | instid1(VALU_DEP_2)
	v_sub_f32_e32 v25, v25, v27
	v_sub_f32_e32 v27, v28, v30
	s_delay_alu instid0(VALU_DEP_3) | instskip(NEXT) | instid1(VALU_DEP_3)
	v_fma_f32 v30, 0x3f317218, v24, -v31
	v_ldexp_f32 v25, v25, 1
	s_delay_alu instid0(VALU_DEP_2) | instskip(NEXT) | instid1(VALU_DEP_1)
	v_dual_sub_f32 v27, v29, v27 :: v_dual_fmac_f32 v30, 0xb102e308, v24
	v_dual_add_f32 v24, v25, v27 :: v_dual_add_f32 v25, v31, v30
	s_delay_alu instid0(VALU_DEP_1) | instskip(NEXT) | instid1(VALU_DEP_1)
	v_add_f32_e32 v27, v28, v24
	v_dual_add_f32 v29, v25, v27 :: v_dual_sub_f32 v28, v27, v28
	s_delay_alu instid0(VALU_DEP_1) | instskip(NEXT) | instid1(VALU_DEP_2)
	v_sub_f32_e32 v32, v29, v25
	v_dual_sub_f32 v31, v25, v31 :: v_dual_sub_f32 v24, v24, v28
	s_delay_alu instid0(VALU_DEP_1) | instskip(SKIP_1) | instid1(VALU_DEP_2)
	v_dual_sub_f32 v33, v29, v32 :: v_dual_sub_f32 v30, v30, v31
	v_sub_f32_e32 v27, v27, v32
	v_dual_sub_f32 v25, v25, v33 :: v_dual_add_f32 v28, v30, v24
	s_delay_alu instid0(VALU_DEP_1) | instskip(NEXT) | instid1(VALU_DEP_2)
	v_add_f32_e32 v25, v27, v25
	v_sub_f32_e32 v27, v28, v30
	s_delay_alu instid0(VALU_DEP_2) | instskip(NEXT) | instid1(VALU_DEP_2)
	v_add_f32_e32 v25, v28, v25
	v_sub_f32_e32 v28, v28, v27
	s_delay_alu instid0(VALU_DEP_2) | instskip(NEXT) | instid1(VALU_DEP_1)
	v_dual_sub_f32 v24, v24, v27 :: v_dual_add_f32 v31, v29, v25
	v_dual_sub_f32 v28, v30, v28 :: v_dual_sub_f32 v27, v31, v29
	s_delay_alu instid0(VALU_DEP_1) | instskip(NEXT) | instid1(VALU_DEP_1)
	v_dual_add_f32 v24, v24, v28 :: v_dual_sub_f32 v25, v25, v27
	v_add_f32_e32 v24, v24, v25
	s_delay_alu instid0(VALU_DEP_1) | instskip(NEXT) | instid1(VALU_DEP_1)
	v_add_f32_e32 v24, v31, v24
	v_cndmask_b32_e32 v82, v24, v26, vcc_lo
.LBB25_36:                              ;   in Loop: Header=BB25_12 Depth=1
	s_or_b32 exec_lo, exec_lo, s16
	s_waitcnt lgkmcnt(0)
	v_lshlrev_b32_e32 v24, 16, v8
	s_delay_alu instid0(VALU_DEP_1) | instskip(NEXT) | instid1(VALU_DEP_1)
	v_add_f32_e32 v83, s57, v24
	v_cmp_ge_f32_e32 vcc_lo, 0x41a00000, v83
	s_and_b32 s14, s67, vcc_lo
	s_delay_alu instid0(SALU_CYCLE_1)
	s_and_saveexec_b32 s16, s14
	s_cbranch_execz .LBB25_38
; %bb.37:                               ;   in Loop: Header=BB25_12 Depth=1
	v_mul_f32_e32 v24, 0x3fb8aa3b, v83
	v_cmp_ngt_f32_e32 vcc_lo, 0xc2ce8ed0, v83
	s_delay_alu instid0(VALU_DEP_2) | instskip(SKIP_1) | instid1(VALU_DEP_2)
	v_rndne_f32_e32 v25, v24
	v_fma_f32 v26, 0x3fb8aa3b, v83, -v24
	v_sub_f32_e32 v24, v24, v25
	s_delay_alu instid0(VALU_DEP_2) | instskip(SKIP_1) | instid1(VALU_DEP_2)
	v_fmac_f32_e32 v26, 0x32a5705f, v83
	v_cvt_i32_f32_e32 v25, v25
	v_add_f32_e32 v24, v24, v26
	s_delay_alu instid0(VALU_DEP_1) | instskip(SKIP_2) | instid1(VALU_DEP_1)
	v_exp_f32_e32 v24, v24
	s_waitcnt_depctr 0xfff
	v_ldexp_f32 v24, v24, v25
	v_cndmask_b32_e32 v24, 0, v24, vcc_lo
	v_cmp_nlt_f32_e32 vcc_lo, 0x42b17218, v83
	s_delay_alu instid0(VALU_DEP_2) | instskip(NEXT) | instid1(VALU_DEP_1)
	v_cndmask_b32_e32 v26, 0x7f800000, v24, vcc_lo
	v_add_f32_e32 v27, 1.0, v26
	s_delay_alu instid0(VALU_DEP_1) | instskip(NEXT) | instid1(VALU_DEP_1)
	v_cvt_f64_f32_e32 v[24:25], v27
	v_frexp_exp_i32_f64_e32 v24, v[24:25]
	v_frexp_mant_f32_e32 v25, v27
	s_delay_alu instid0(VALU_DEP_1) | instskip(SKIP_1) | instid1(VALU_DEP_1)
	v_cmp_gt_f32_e32 vcc_lo, 0x3f2aaaab, v25
	v_add_f32_e32 v25, -1.0, v27
	v_sub_f32_e32 v29, v25, v27
	v_sub_f32_e32 v25, v26, v25
	s_delay_alu instid0(VALU_DEP_2) | instskip(NEXT) | instid1(VALU_DEP_1)
	v_add_f32_e32 v29, 1.0, v29
	v_add_f32_e32 v25, v25, v29
	v_cmp_gt_f32_e64 s14, 0x33800000, v26
	v_subrev_co_ci_u32_e32 v24, vcc_lo, 0, v24, vcc_lo
	v_cmp_eq_f32_e32 vcc_lo, 0x7f800000, v26
	s_delay_alu instid0(VALU_DEP_2) | instskip(SKIP_2) | instid1(VALU_DEP_2)
	v_sub_nc_u32_e32 v28, 0, v24
	v_cvt_f32_i32_e32 v24, v24
	s_or_b32 vcc_lo, s14, vcc_lo
	v_ldexp_f32 v27, v27, v28
	v_ldexp_f32 v25, v25, v28
	s_delay_alu instid0(VALU_DEP_2) | instskip(NEXT) | instid1(VALU_DEP_1)
	v_add_f32_e32 v30, 1.0, v27
	v_dual_add_f32 v28, -1.0, v27 :: v_dual_add_f32 v29, -1.0, v30
	s_delay_alu instid0(VALU_DEP_1) | instskip(NEXT) | instid1(VALU_DEP_2)
	v_add_f32_e32 v31, 1.0, v28
	v_sub_f32_e32 v29, v27, v29
	s_delay_alu instid0(VALU_DEP_2) | instskip(NEXT) | instid1(VALU_DEP_2)
	v_sub_f32_e32 v27, v27, v31
	v_add_f32_e32 v29, v25, v29
	s_delay_alu instid0(VALU_DEP_2) | instskip(NEXT) | instid1(VALU_DEP_1)
	v_add_f32_e32 v25, v25, v27
	v_add_f32_e32 v32, v28, v25
	s_delay_alu instid0(VALU_DEP_1) | instskip(NEXT) | instid1(VALU_DEP_1)
	v_dual_add_f32 v31, v30, v29 :: v_dual_sub_f32 v28, v28, v32
	v_rcp_f32_e32 v27, v31
	v_sub_f32_e32 v30, v30, v31
	s_delay_alu instid0(VALU_DEP_1) | instskip(SKIP_2) | instid1(VALU_DEP_1)
	v_add_f32_e32 v29, v29, v30
	s_waitcnt_depctr 0xfff
	v_mul_f32_e32 v33, v32, v27
	v_mul_f32_e32 v34, v31, v33
	s_delay_alu instid0(VALU_DEP_1) | instskip(NEXT) | instid1(VALU_DEP_1)
	v_fma_f32 v30, v33, v31, -v34
	v_fmac_f32_e32 v30, v33, v29
	s_delay_alu instid0(VALU_DEP_1) | instskip(NEXT) | instid1(VALU_DEP_1)
	v_add_f32_e32 v35, v34, v30
	v_sub_f32_e32 v36, v32, v35
	s_delay_alu instid0(VALU_DEP_1) | instskip(SKIP_1) | instid1(VALU_DEP_2)
	v_sub_f32_e32 v32, v32, v36
	v_dual_add_f32 v25, v25, v28 :: v_dual_sub_f32 v28, v35, v34
	v_sub_f32_e32 v32, v32, v35
	s_delay_alu instid0(VALU_DEP_1) | instskip(NEXT) | instid1(VALU_DEP_1)
	v_dual_sub_f32 v28, v28, v30 :: v_dual_add_f32 v25, v25, v32
	v_add_f32_e32 v25, v28, v25
	s_delay_alu instid0(VALU_DEP_1) | instskip(NEXT) | instid1(VALU_DEP_1)
	v_add_f32_e32 v28, v36, v25
	v_mul_f32_e32 v30, v27, v28
	s_delay_alu instid0(VALU_DEP_1) | instskip(NEXT) | instid1(VALU_DEP_1)
	v_dual_sub_f32 v35, v36, v28 :: v_dual_mul_f32 v32, v31, v30
	v_add_f32_e32 v25, v25, v35
	s_delay_alu instid0(VALU_DEP_2) | instskip(NEXT) | instid1(VALU_DEP_1)
	v_fma_f32 v31, v30, v31, -v32
	v_fmac_f32_e32 v31, v30, v29
	s_delay_alu instid0(VALU_DEP_1) | instskip(NEXT) | instid1(VALU_DEP_1)
	v_add_f32_e32 v29, v32, v31
	v_sub_f32_e32 v34, v28, v29
	s_delay_alu instid0(VALU_DEP_1) | instskip(NEXT) | instid1(VALU_DEP_1)
	v_sub_f32_e32 v28, v28, v34
	v_sub_f32_e32 v28, v28, v29
	s_delay_alu instid0(VALU_DEP_1) | instskip(SKIP_2) | instid1(VALU_DEP_1)
	v_add_f32_e32 v25, v25, v28
	v_add_f32_e32 v28, v33, v30
	v_sub_f32_e32 v32, v29, v32
	v_sub_f32_e32 v29, v32, v31
	s_delay_alu instid0(VALU_DEP_1) | instskip(NEXT) | instid1(VALU_DEP_4)
	v_add_f32_e32 v25, v29, v25
	v_sub_f32_e32 v29, v28, v33
	s_delay_alu instid0(VALU_DEP_2) | instskip(NEXT) | instid1(VALU_DEP_2)
	v_add_f32_e32 v25, v34, v25
	v_sub_f32_e32 v29, v30, v29
	s_delay_alu instid0(VALU_DEP_2) | instskip(NEXT) | instid1(VALU_DEP_1)
	v_mul_f32_e32 v25, v27, v25
	v_add_f32_e32 v25, v29, v25
	s_delay_alu instid0(VALU_DEP_1) | instskip(NEXT) | instid1(VALU_DEP_1)
	v_add_f32_e32 v27, v28, v25
	v_mul_f32_e32 v29, v27, v27
	s_delay_alu instid0(VALU_DEP_1) | instskip(SKIP_1) | instid1(VALU_DEP_2)
	v_fmaak_f32 v30, s54, v29, 0x3ecc95a3
	v_mul_f32_e32 v31, v27, v29
	v_fmaak_f32 v29, v29, v30, 0x3f2aaada
	v_ldexp_f32 v30, v27, 1
	s_delay_alu instid0(VALU_DEP_2) | instskip(SKIP_1) | instid1(VALU_DEP_2)
	v_mul_f32_e32 v29, v31, v29
	v_sub_f32_e32 v27, v27, v28
	v_dual_mul_f32 v31, 0x3f317218, v24 :: v_dual_add_f32 v28, v30, v29
	s_delay_alu instid0(VALU_DEP_2) | instskip(NEXT) | instid1(VALU_DEP_2)
	v_sub_f32_e32 v25, v25, v27
	v_sub_f32_e32 v27, v28, v30
	s_delay_alu instid0(VALU_DEP_3) | instskip(NEXT) | instid1(VALU_DEP_3)
	v_fma_f32 v30, 0x3f317218, v24, -v31
	v_ldexp_f32 v25, v25, 1
	s_delay_alu instid0(VALU_DEP_2) | instskip(NEXT) | instid1(VALU_DEP_1)
	v_dual_sub_f32 v27, v29, v27 :: v_dual_fmac_f32 v30, 0xb102e308, v24
	v_dual_add_f32 v24, v25, v27 :: v_dual_add_f32 v25, v31, v30
	s_delay_alu instid0(VALU_DEP_1) | instskip(NEXT) | instid1(VALU_DEP_1)
	v_add_f32_e32 v27, v28, v24
	v_dual_add_f32 v29, v25, v27 :: v_dual_sub_f32 v28, v27, v28
	s_delay_alu instid0(VALU_DEP_1) | instskip(NEXT) | instid1(VALU_DEP_2)
	v_sub_f32_e32 v32, v29, v25
	v_dual_sub_f32 v31, v25, v31 :: v_dual_sub_f32 v24, v24, v28
	s_delay_alu instid0(VALU_DEP_1) | instskip(SKIP_1) | instid1(VALU_DEP_2)
	v_dual_sub_f32 v33, v29, v32 :: v_dual_sub_f32 v30, v30, v31
	v_sub_f32_e32 v27, v27, v32
	v_dual_sub_f32 v25, v25, v33 :: v_dual_add_f32 v28, v30, v24
	s_delay_alu instid0(VALU_DEP_1) | instskip(NEXT) | instid1(VALU_DEP_2)
	v_add_f32_e32 v25, v27, v25
	v_sub_f32_e32 v27, v28, v30
	s_delay_alu instid0(VALU_DEP_2) | instskip(NEXT) | instid1(VALU_DEP_2)
	v_add_f32_e32 v25, v28, v25
	v_sub_f32_e32 v28, v28, v27
	s_delay_alu instid0(VALU_DEP_2) | instskip(NEXT) | instid1(VALU_DEP_1)
	v_dual_sub_f32 v24, v24, v27 :: v_dual_add_f32 v31, v29, v25
	v_dual_sub_f32 v28, v30, v28 :: v_dual_sub_f32 v27, v31, v29
	s_delay_alu instid0(VALU_DEP_1) | instskip(NEXT) | instid1(VALU_DEP_1)
	v_dual_add_f32 v24, v24, v28 :: v_dual_sub_f32 v25, v25, v27
	v_add_f32_e32 v24, v24, v25
	s_delay_alu instid0(VALU_DEP_1) | instskip(NEXT) | instid1(VALU_DEP_1)
	v_add_f32_e32 v24, v31, v24
	v_cndmask_b32_e32 v83, v24, v26, vcc_lo
.LBB25_38:                              ;   in Loop: Header=BB25_12 Depth=1
	s_or_b32 exec_lo, exec_lo, s16
	v_and_b32_e32 v24, 0xffff0000, v8
	s_delay_alu instid0(VALU_DEP_1) | instskip(NEXT) | instid1(VALU_DEP_1)
	v_add_f32_e32 v90, s57, v24
	v_cmp_ge_f32_e32 vcc_lo, 0x41a00000, v90
	s_and_b32 s14, s67, vcc_lo
	s_delay_alu instid0(SALU_CYCLE_1)
	s_and_saveexec_b32 s16, s14
	s_cbranch_execz .LBB25_40
; %bb.39:                               ;   in Loop: Header=BB25_12 Depth=1
	v_mul_f32_e32 v24, 0x3fb8aa3b, v90
	v_cmp_ngt_f32_e32 vcc_lo, 0xc2ce8ed0, v90
	s_delay_alu instid0(VALU_DEP_2) | instskip(SKIP_1) | instid1(VALU_DEP_2)
	v_rndne_f32_e32 v25, v24
	v_fma_f32 v26, 0x3fb8aa3b, v90, -v24
	v_sub_f32_e32 v24, v24, v25
	s_delay_alu instid0(VALU_DEP_2) | instskip(SKIP_1) | instid1(VALU_DEP_2)
	v_fmac_f32_e32 v26, 0x32a5705f, v90
	v_cvt_i32_f32_e32 v25, v25
	v_add_f32_e32 v24, v24, v26
	s_delay_alu instid0(VALU_DEP_1) | instskip(SKIP_2) | instid1(VALU_DEP_1)
	v_exp_f32_e32 v24, v24
	s_waitcnt_depctr 0xfff
	v_ldexp_f32 v24, v24, v25
	v_cndmask_b32_e32 v24, 0, v24, vcc_lo
	v_cmp_nlt_f32_e32 vcc_lo, 0x42b17218, v90
	s_delay_alu instid0(VALU_DEP_2) | instskip(NEXT) | instid1(VALU_DEP_1)
	v_cndmask_b32_e32 v26, 0x7f800000, v24, vcc_lo
	v_add_f32_e32 v27, 1.0, v26
	s_delay_alu instid0(VALU_DEP_1) | instskip(NEXT) | instid1(VALU_DEP_1)
	v_cvt_f64_f32_e32 v[24:25], v27
	v_frexp_exp_i32_f64_e32 v24, v[24:25]
	v_frexp_mant_f32_e32 v25, v27
	s_delay_alu instid0(VALU_DEP_1) | instskip(SKIP_1) | instid1(VALU_DEP_1)
	v_cmp_gt_f32_e32 vcc_lo, 0x3f2aaaab, v25
	v_add_f32_e32 v25, -1.0, v27
	v_sub_f32_e32 v29, v25, v27
	v_sub_f32_e32 v25, v26, v25
	s_delay_alu instid0(VALU_DEP_2) | instskip(NEXT) | instid1(VALU_DEP_1)
	v_add_f32_e32 v29, 1.0, v29
	v_add_f32_e32 v25, v25, v29
	v_cmp_gt_f32_e64 s14, 0x33800000, v26
	v_subrev_co_ci_u32_e32 v24, vcc_lo, 0, v24, vcc_lo
	v_cmp_eq_f32_e32 vcc_lo, 0x7f800000, v26
	s_delay_alu instid0(VALU_DEP_2) | instskip(SKIP_2) | instid1(VALU_DEP_2)
	v_sub_nc_u32_e32 v28, 0, v24
	v_cvt_f32_i32_e32 v24, v24
	s_or_b32 vcc_lo, s14, vcc_lo
	v_ldexp_f32 v27, v27, v28
	v_ldexp_f32 v25, v25, v28
	s_delay_alu instid0(VALU_DEP_2) | instskip(NEXT) | instid1(VALU_DEP_1)
	v_add_f32_e32 v30, 1.0, v27
	v_dual_add_f32 v28, -1.0, v27 :: v_dual_add_f32 v29, -1.0, v30
	s_delay_alu instid0(VALU_DEP_1) | instskip(NEXT) | instid1(VALU_DEP_2)
	v_add_f32_e32 v31, 1.0, v28
	v_sub_f32_e32 v29, v27, v29
	s_delay_alu instid0(VALU_DEP_2) | instskip(NEXT) | instid1(VALU_DEP_2)
	v_sub_f32_e32 v27, v27, v31
	v_add_f32_e32 v29, v25, v29
	s_delay_alu instid0(VALU_DEP_2) | instskip(NEXT) | instid1(VALU_DEP_1)
	v_add_f32_e32 v25, v25, v27
	v_add_f32_e32 v32, v28, v25
	s_delay_alu instid0(VALU_DEP_1) | instskip(NEXT) | instid1(VALU_DEP_1)
	v_dual_add_f32 v31, v30, v29 :: v_dual_sub_f32 v28, v28, v32
	v_rcp_f32_e32 v27, v31
	v_sub_f32_e32 v30, v30, v31
	s_delay_alu instid0(VALU_DEP_1) | instskip(SKIP_2) | instid1(VALU_DEP_1)
	v_add_f32_e32 v29, v29, v30
	s_waitcnt_depctr 0xfff
	v_mul_f32_e32 v33, v32, v27
	v_mul_f32_e32 v34, v31, v33
	s_delay_alu instid0(VALU_DEP_1) | instskip(NEXT) | instid1(VALU_DEP_1)
	v_fma_f32 v30, v33, v31, -v34
	v_fmac_f32_e32 v30, v33, v29
	s_delay_alu instid0(VALU_DEP_1) | instskip(NEXT) | instid1(VALU_DEP_1)
	v_add_f32_e32 v35, v34, v30
	v_sub_f32_e32 v36, v32, v35
	s_delay_alu instid0(VALU_DEP_1) | instskip(SKIP_1) | instid1(VALU_DEP_2)
	v_sub_f32_e32 v32, v32, v36
	v_dual_add_f32 v25, v25, v28 :: v_dual_sub_f32 v28, v35, v34
	v_sub_f32_e32 v32, v32, v35
	s_delay_alu instid0(VALU_DEP_1) | instskip(NEXT) | instid1(VALU_DEP_1)
	v_dual_sub_f32 v28, v28, v30 :: v_dual_add_f32 v25, v25, v32
	v_add_f32_e32 v25, v28, v25
	s_delay_alu instid0(VALU_DEP_1) | instskip(NEXT) | instid1(VALU_DEP_1)
	v_add_f32_e32 v28, v36, v25
	v_mul_f32_e32 v30, v27, v28
	s_delay_alu instid0(VALU_DEP_1) | instskip(NEXT) | instid1(VALU_DEP_1)
	v_dual_sub_f32 v35, v36, v28 :: v_dual_mul_f32 v32, v31, v30
	v_add_f32_e32 v25, v25, v35
	s_delay_alu instid0(VALU_DEP_2) | instskip(NEXT) | instid1(VALU_DEP_1)
	v_fma_f32 v31, v30, v31, -v32
	v_fmac_f32_e32 v31, v30, v29
	s_delay_alu instid0(VALU_DEP_1) | instskip(NEXT) | instid1(VALU_DEP_1)
	v_add_f32_e32 v29, v32, v31
	v_sub_f32_e32 v34, v28, v29
	s_delay_alu instid0(VALU_DEP_1) | instskip(NEXT) | instid1(VALU_DEP_1)
	v_sub_f32_e32 v28, v28, v34
	v_sub_f32_e32 v28, v28, v29
	s_delay_alu instid0(VALU_DEP_1) | instskip(SKIP_2) | instid1(VALU_DEP_1)
	v_add_f32_e32 v25, v25, v28
	v_add_f32_e32 v28, v33, v30
	v_sub_f32_e32 v32, v29, v32
	v_sub_f32_e32 v29, v32, v31
	s_delay_alu instid0(VALU_DEP_1) | instskip(NEXT) | instid1(VALU_DEP_4)
	v_add_f32_e32 v25, v29, v25
	v_sub_f32_e32 v29, v28, v33
	s_delay_alu instid0(VALU_DEP_2) | instskip(NEXT) | instid1(VALU_DEP_2)
	v_add_f32_e32 v25, v34, v25
	v_sub_f32_e32 v29, v30, v29
	s_delay_alu instid0(VALU_DEP_2) | instskip(NEXT) | instid1(VALU_DEP_1)
	v_mul_f32_e32 v25, v27, v25
	v_add_f32_e32 v25, v29, v25
	s_delay_alu instid0(VALU_DEP_1) | instskip(NEXT) | instid1(VALU_DEP_1)
	v_add_f32_e32 v27, v28, v25
	v_mul_f32_e32 v29, v27, v27
	s_delay_alu instid0(VALU_DEP_1) | instskip(SKIP_1) | instid1(VALU_DEP_2)
	v_fmaak_f32 v30, s54, v29, 0x3ecc95a3
	v_mul_f32_e32 v31, v27, v29
	v_fmaak_f32 v29, v29, v30, 0x3f2aaada
	v_ldexp_f32 v30, v27, 1
	s_delay_alu instid0(VALU_DEP_2) | instskip(SKIP_1) | instid1(VALU_DEP_2)
	v_mul_f32_e32 v29, v31, v29
	v_sub_f32_e32 v27, v27, v28
	v_dual_mul_f32 v31, 0x3f317218, v24 :: v_dual_add_f32 v28, v30, v29
	s_delay_alu instid0(VALU_DEP_2) | instskip(NEXT) | instid1(VALU_DEP_2)
	v_sub_f32_e32 v25, v25, v27
	v_sub_f32_e32 v27, v28, v30
	s_delay_alu instid0(VALU_DEP_3) | instskip(NEXT) | instid1(VALU_DEP_3)
	v_fma_f32 v30, 0x3f317218, v24, -v31
	v_ldexp_f32 v25, v25, 1
	s_delay_alu instid0(VALU_DEP_2) | instskip(NEXT) | instid1(VALU_DEP_1)
	v_dual_sub_f32 v27, v29, v27 :: v_dual_fmac_f32 v30, 0xb102e308, v24
	v_dual_add_f32 v24, v25, v27 :: v_dual_add_f32 v25, v31, v30
	s_delay_alu instid0(VALU_DEP_1) | instskip(NEXT) | instid1(VALU_DEP_1)
	v_add_f32_e32 v27, v28, v24
	v_dual_add_f32 v29, v25, v27 :: v_dual_sub_f32 v28, v27, v28
	s_delay_alu instid0(VALU_DEP_1) | instskip(NEXT) | instid1(VALU_DEP_2)
	v_sub_f32_e32 v32, v29, v25
	v_dual_sub_f32 v31, v25, v31 :: v_dual_sub_f32 v24, v24, v28
	s_delay_alu instid0(VALU_DEP_1) | instskip(SKIP_1) | instid1(VALU_DEP_2)
	v_dual_sub_f32 v33, v29, v32 :: v_dual_sub_f32 v30, v30, v31
	v_sub_f32_e32 v27, v27, v32
	v_dual_sub_f32 v25, v25, v33 :: v_dual_add_f32 v28, v30, v24
	s_delay_alu instid0(VALU_DEP_1) | instskip(NEXT) | instid1(VALU_DEP_2)
	v_add_f32_e32 v25, v27, v25
	v_sub_f32_e32 v27, v28, v30
	s_delay_alu instid0(VALU_DEP_2) | instskip(NEXT) | instid1(VALU_DEP_2)
	v_add_f32_e32 v25, v28, v25
	v_sub_f32_e32 v28, v28, v27
	s_delay_alu instid0(VALU_DEP_2) | instskip(NEXT) | instid1(VALU_DEP_1)
	v_dual_sub_f32 v24, v24, v27 :: v_dual_add_f32 v31, v29, v25
	v_dual_sub_f32 v28, v30, v28 :: v_dual_sub_f32 v27, v31, v29
	s_delay_alu instid0(VALU_DEP_1) | instskip(NEXT) | instid1(VALU_DEP_1)
	v_dual_add_f32 v24, v24, v28 :: v_dual_sub_f32 v25, v25, v27
	v_add_f32_e32 v24, v24, v25
	s_delay_alu instid0(VALU_DEP_1) | instskip(NEXT) | instid1(VALU_DEP_1)
	v_add_f32_e32 v24, v31, v24
	v_cndmask_b32_e32 v90, v24, v26, vcc_lo
.LBB25_40:                              ;   in Loop: Header=BB25_12 Depth=1
	s_or_b32 exec_lo, exec_lo, s16
	v_lshlrev_b32_e32 v24, 16, v9
	s_delay_alu instid0(VALU_DEP_1) | instskip(NEXT) | instid1(VALU_DEP_1)
	v_add_f32_e32 v93, s57, v24
	v_cmp_ge_f32_e32 vcc_lo, 0x41a00000, v93
	s_and_b32 s14, s67, vcc_lo
	s_delay_alu instid0(SALU_CYCLE_1)
	s_and_saveexec_b32 s16, s14
	s_cbranch_execz .LBB25_42
; %bb.41:                               ;   in Loop: Header=BB25_12 Depth=1
	v_mul_f32_e32 v24, 0x3fb8aa3b, v93
	v_cmp_ngt_f32_e32 vcc_lo, 0xc2ce8ed0, v93
	s_delay_alu instid0(VALU_DEP_2) | instskip(SKIP_1) | instid1(VALU_DEP_2)
	v_rndne_f32_e32 v25, v24
	v_fma_f32 v26, 0x3fb8aa3b, v93, -v24
	v_sub_f32_e32 v24, v24, v25
	s_delay_alu instid0(VALU_DEP_2) | instskip(SKIP_1) | instid1(VALU_DEP_2)
	v_fmac_f32_e32 v26, 0x32a5705f, v93
	v_cvt_i32_f32_e32 v25, v25
	v_add_f32_e32 v24, v24, v26
	s_delay_alu instid0(VALU_DEP_1) | instskip(SKIP_2) | instid1(VALU_DEP_1)
	v_exp_f32_e32 v24, v24
	s_waitcnt_depctr 0xfff
	v_ldexp_f32 v24, v24, v25
	v_cndmask_b32_e32 v24, 0, v24, vcc_lo
	v_cmp_nlt_f32_e32 vcc_lo, 0x42b17218, v93
	s_delay_alu instid0(VALU_DEP_2) | instskip(NEXT) | instid1(VALU_DEP_1)
	v_cndmask_b32_e32 v26, 0x7f800000, v24, vcc_lo
	v_add_f32_e32 v27, 1.0, v26
	s_delay_alu instid0(VALU_DEP_1) | instskip(NEXT) | instid1(VALU_DEP_1)
	v_cvt_f64_f32_e32 v[24:25], v27
	v_frexp_exp_i32_f64_e32 v24, v[24:25]
	v_frexp_mant_f32_e32 v25, v27
	s_delay_alu instid0(VALU_DEP_1) | instskip(SKIP_1) | instid1(VALU_DEP_1)
	v_cmp_gt_f32_e32 vcc_lo, 0x3f2aaaab, v25
	v_add_f32_e32 v25, -1.0, v27
	v_sub_f32_e32 v29, v25, v27
	v_sub_f32_e32 v25, v26, v25
	s_delay_alu instid0(VALU_DEP_2) | instskip(NEXT) | instid1(VALU_DEP_1)
	v_add_f32_e32 v29, 1.0, v29
	v_add_f32_e32 v25, v25, v29
	v_cmp_gt_f32_e64 s14, 0x33800000, v26
	v_subrev_co_ci_u32_e32 v24, vcc_lo, 0, v24, vcc_lo
	v_cmp_eq_f32_e32 vcc_lo, 0x7f800000, v26
	s_delay_alu instid0(VALU_DEP_2) | instskip(SKIP_2) | instid1(VALU_DEP_2)
	v_sub_nc_u32_e32 v28, 0, v24
	v_cvt_f32_i32_e32 v24, v24
	s_or_b32 vcc_lo, s14, vcc_lo
	v_ldexp_f32 v27, v27, v28
	v_ldexp_f32 v25, v25, v28
	s_delay_alu instid0(VALU_DEP_2) | instskip(NEXT) | instid1(VALU_DEP_1)
	v_add_f32_e32 v30, 1.0, v27
	v_dual_add_f32 v28, -1.0, v27 :: v_dual_add_f32 v29, -1.0, v30
	s_delay_alu instid0(VALU_DEP_1) | instskip(NEXT) | instid1(VALU_DEP_2)
	v_add_f32_e32 v31, 1.0, v28
	v_sub_f32_e32 v29, v27, v29
	s_delay_alu instid0(VALU_DEP_2) | instskip(NEXT) | instid1(VALU_DEP_2)
	v_sub_f32_e32 v27, v27, v31
	v_add_f32_e32 v29, v25, v29
	s_delay_alu instid0(VALU_DEP_2) | instskip(NEXT) | instid1(VALU_DEP_1)
	v_add_f32_e32 v25, v25, v27
	v_add_f32_e32 v32, v28, v25
	s_delay_alu instid0(VALU_DEP_1) | instskip(NEXT) | instid1(VALU_DEP_1)
	v_dual_add_f32 v31, v30, v29 :: v_dual_sub_f32 v28, v28, v32
	v_rcp_f32_e32 v27, v31
	v_sub_f32_e32 v30, v30, v31
	s_delay_alu instid0(VALU_DEP_1) | instskip(SKIP_2) | instid1(VALU_DEP_1)
	v_add_f32_e32 v29, v29, v30
	s_waitcnt_depctr 0xfff
	v_mul_f32_e32 v33, v32, v27
	v_mul_f32_e32 v34, v31, v33
	s_delay_alu instid0(VALU_DEP_1) | instskip(NEXT) | instid1(VALU_DEP_1)
	v_fma_f32 v30, v33, v31, -v34
	v_fmac_f32_e32 v30, v33, v29
	s_delay_alu instid0(VALU_DEP_1) | instskip(NEXT) | instid1(VALU_DEP_1)
	v_add_f32_e32 v35, v34, v30
	v_sub_f32_e32 v36, v32, v35
	s_delay_alu instid0(VALU_DEP_1) | instskip(SKIP_1) | instid1(VALU_DEP_2)
	v_sub_f32_e32 v32, v32, v36
	v_dual_add_f32 v25, v25, v28 :: v_dual_sub_f32 v28, v35, v34
	v_sub_f32_e32 v32, v32, v35
	s_delay_alu instid0(VALU_DEP_1) | instskip(NEXT) | instid1(VALU_DEP_1)
	v_dual_sub_f32 v28, v28, v30 :: v_dual_add_f32 v25, v25, v32
	v_add_f32_e32 v25, v28, v25
	s_delay_alu instid0(VALU_DEP_1) | instskip(NEXT) | instid1(VALU_DEP_1)
	v_add_f32_e32 v28, v36, v25
	v_mul_f32_e32 v30, v27, v28
	s_delay_alu instid0(VALU_DEP_1) | instskip(NEXT) | instid1(VALU_DEP_1)
	v_dual_sub_f32 v35, v36, v28 :: v_dual_mul_f32 v32, v31, v30
	v_add_f32_e32 v25, v25, v35
	s_delay_alu instid0(VALU_DEP_2) | instskip(NEXT) | instid1(VALU_DEP_1)
	v_fma_f32 v31, v30, v31, -v32
	v_fmac_f32_e32 v31, v30, v29
	s_delay_alu instid0(VALU_DEP_1) | instskip(NEXT) | instid1(VALU_DEP_1)
	v_add_f32_e32 v29, v32, v31
	v_sub_f32_e32 v34, v28, v29
	s_delay_alu instid0(VALU_DEP_1) | instskip(NEXT) | instid1(VALU_DEP_1)
	v_sub_f32_e32 v28, v28, v34
	v_sub_f32_e32 v28, v28, v29
	s_delay_alu instid0(VALU_DEP_1) | instskip(SKIP_2) | instid1(VALU_DEP_1)
	v_add_f32_e32 v25, v25, v28
	v_add_f32_e32 v28, v33, v30
	v_sub_f32_e32 v32, v29, v32
	v_sub_f32_e32 v29, v32, v31
	s_delay_alu instid0(VALU_DEP_1) | instskip(NEXT) | instid1(VALU_DEP_4)
	v_add_f32_e32 v25, v29, v25
	v_sub_f32_e32 v29, v28, v33
	s_delay_alu instid0(VALU_DEP_2) | instskip(NEXT) | instid1(VALU_DEP_2)
	v_add_f32_e32 v25, v34, v25
	v_sub_f32_e32 v29, v30, v29
	s_delay_alu instid0(VALU_DEP_2) | instskip(NEXT) | instid1(VALU_DEP_1)
	v_mul_f32_e32 v25, v27, v25
	v_add_f32_e32 v25, v29, v25
	s_delay_alu instid0(VALU_DEP_1) | instskip(NEXT) | instid1(VALU_DEP_1)
	v_add_f32_e32 v27, v28, v25
	v_mul_f32_e32 v29, v27, v27
	s_delay_alu instid0(VALU_DEP_1) | instskip(SKIP_1) | instid1(VALU_DEP_2)
	v_fmaak_f32 v30, s54, v29, 0x3ecc95a3
	v_mul_f32_e32 v31, v27, v29
	v_fmaak_f32 v29, v29, v30, 0x3f2aaada
	v_ldexp_f32 v30, v27, 1
	s_delay_alu instid0(VALU_DEP_2) | instskip(SKIP_1) | instid1(VALU_DEP_2)
	v_mul_f32_e32 v29, v31, v29
	v_sub_f32_e32 v27, v27, v28
	v_dual_mul_f32 v31, 0x3f317218, v24 :: v_dual_add_f32 v28, v30, v29
	s_delay_alu instid0(VALU_DEP_2) | instskip(NEXT) | instid1(VALU_DEP_2)
	v_sub_f32_e32 v25, v25, v27
	v_sub_f32_e32 v27, v28, v30
	s_delay_alu instid0(VALU_DEP_3) | instskip(NEXT) | instid1(VALU_DEP_3)
	v_fma_f32 v30, 0x3f317218, v24, -v31
	v_ldexp_f32 v25, v25, 1
	s_delay_alu instid0(VALU_DEP_2) | instskip(NEXT) | instid1(VALU_DEP_1)
	v_dual_sub_f32 v27, v29, v27 :: v_dual_fmac_f32 v30, 0xb102e308, v24
	v_dual_add_f32 v24, v25, v27 :: v_dual_add_f32 v25, v31, v30
	s_delay_alu instid0(VALU_DEP_1) | instskip(NEXT) | instid1(VALU_DEP_1)
	v_add_f32_e32 v27, v28, v24
	v_dual_add_f32 v29, v25, v27 :: v_dual_sub_f32 v28, v27, v28
	s_delay_alu instid0(VALU_DEP_1) | instskip(NEXT) | instid1(VALU_DEP_2)
	v_sub_f32_e32 v32, v29, v25
	v_dual_sub_f32 v31, v25, v31 :: v_dual_sub_f32 v24, v24, v28
	s_delay_alu instid0(VALU_DEP_1) | instskip(SKIP_1) | instid1(VALU_DEP_2)
	v_dual_sub_f32 v33, v29, v32 :: v_dual_sub_f32 v30, v30, v31
	v_sub_f32_e32 v27, v27, v32
	v_dual_sub_f32 v25, v25, v33 :: v_dual_add_f32 v28, v30, v24
	s_delay_alu instid0(VALU_DEP_1) | instskip(NEXT) | instid1(VALU_DEP_2)
	v_add_f32_e32 v25, v27, v25
	v_sub_f32_e32 v27, v28, v30
	s_delay_alu instid0(VALU_DEP_2) | instskip(NEXT) | instid1(VALU_DEP_2)
	v_add_f32_e32 v25, v28, v25
	v_sub_f32_e32 v28, v28, v27
	s_delay_alu instid0(VALU_DEP_2) | instskip(NEXT) | instid1(VALU_DEP_1)
	v_dual_sub_f32 v24, v24, v27 :: v_dual_add_f32 v31, v29, v25
	v_dual_sub_f32 v28, v30, v28 :: v_dual_sub_f32 v27, v31, v29
	s_delay_alu instid0(VALU_DEP_1) | instskip(NEXT) | instid1(VALU_DEP_1)
	v_dual_add_f32 v24, v24, v28 :: v_dual_sub_f32 v25, v25, v27
	v_add_f32_e32 v24, v24, v25
	s_delay_alu instid0(VALU_DEP_1) | instskip(NEXT) | instid1(VALU_DEP_1)
	v_add_f32_e32 v24, v31, v24
	v_cndmask_b32_e32 v93, v24, v26, vcc_lo
.LBB25_42:                              ;   in Loop: Header=BB25_12 Depth=1
	s_or_b32 exec_lo, exec_lo, s16
	v_and_b32_e32 v24, 0xffff0000, v9
	s_delay_alu instid0(VALU_DEP_1) | instskip(NEXT) | instid1(VALU_DEP_1)
	v_add_f32_e32 v96, s57, v24
	v_cmp_ge_f32_e32 vcc_lo, 0x41a00000, v96
	s_and_b32 s14, s67, vcc_lo
	s_delay_alu instid0(SALU_CYCLE_1)
	s_and_saveexec_b32 s16, s14
	s_cbranch_execz .LBB25_44
; %bb.43:                               ;   in Loop: Header=BB25_12 Depth=1
	v_mul_f32_e32 v24, 0x3fb8aa3b, v96
	v_cmp_ngt_f32_e32 vcc_lo, 0xc2ce8ed0, v96
	s_delay_alu instid0(VALU_DEP_2) | instskip(SKIP_1) | instid1(VALU_DEP_2)
	v_rndne_f32_e32 v25, v24
	v_fma_f32 v26, 0x3fb8aa3b, v96, -v24
	v_sub_f32_e32 v24, v24, v25
	s_delay_alu instid0(VALU_DEP_2) | instskip(SKIP_1) | instid1(VALU_DEP_2)
	v_fmac_f32_e32 v26, 0x32a5705f, v96
	v_cvt_i32_f32_e32 v25, v25
	v_add_f32_e32 v24, v24, v26
	s_delay_alu instid0(VALU_DEP_1) | instskip(SKIP_2) | instid1(VALU_DEP_1)
	v_exp_f32_e32 v24, v24
	s_waitcnt_depctr 0xfff
	v_ldexp_f32 v24, v24, v25
	v_cndmask_b32_e32 v24, 0, v24, vcc_lo
	v_cmp_nlt_f32_e32 vcc_lo, 0x42b17218, v96
	s_delay_alu instid0(VALU_DEP_2) | instskip(NEXT) | instid1(VALU_DEP_1)
	v_cndmask_b32_e32 v26, 0x7f800000, v24, vcc_lo
	v_add_f32_e32 v27, 1.0, v26
	s_delay_alu instid0(VALU_DEP_1) | instskip(NEXT) | instid1(VALU_DEP_1)
	v_cvt_f64_f32_e32 v[24:25], v27
	v_frexp_exp_i32_f64_e32 v24, v[24:25]
	v_frexp_mant_f32_e32 v25, v27
	s_delay_alu instid0(VALU_DEP_1) | instskip(SKIP_1) | instid1(VALU_DEP_1)
	v_cmp_gt_f32_e32 vcc_lo, 0x3f2aaaab, v25
	v_add_f32_e32 v25, -1.0, v27
	v_sub_f32_e32 v29, v25, v27
	v_sub_f32_e32 v25, v26, v25
	s_delay_alu instid0(VALU_DEP_2) | instskip(NEXT) | instid1(VALU_DEP_1)
	v_add_f32_e32 v29, 1.0, v29
	v_add_f32_e32 v25, v25, v29
	v_cmp_gt_f32_e64 s14, 0x33800000, v26
	v_subrev_co_ci_u32_e32 v24, vcc_lo, 0, v24, vcc_lo
	v_cmp_eq_f32_e32 vcc_lo, 0x7f800000, v26
	s_delay_alu instid0(VALU_DEP_2) | instskip(SKIP_2) | instid1(VALU_DEP_2)
	v_sub_nc_u32_e32 v28, 0, v24
	v_cvt_f32_i32_e32 v24, v24
	s_or_b32 vcc_lo, s14, vcc_lo
	v_ldexp_f32 v27, v27, v28
	v_ldexp_f32 v25, v25, v28
	s_delay_alu instid0(VALU_DEP_2) | instskip(NEXT) | instid1(VALU_DEP_1)
	v_add_f32_e32 v30, 1.0, v27
	v_dual_add_f32 v28, -1.0, v27 :: v_dual_add_f32 v29, -1.0, v30
	s_delay_alu instid0(VALU_DEP_1) | instskip(NEXT) | instid1(VALU_DEP_2)
	v_add_f32_e32 v31, 1.0, v28
	v_sub_f32_e32 v29, v27, v29
	s_delay_alu instid0(VALU_DEP_2) | instskip(NEXT) | instid1(VALU_DEP_2)
	v_sub_f32_e32 v27, v27, v31
	v_add_f32_e32 v29, v25, v29
	s_delay_alu instid0(VALU_DEP_2) | instskip(NEXT) | instid1(VALU_DEP_1)
	v_add_f32_e32 v25, v25, v27
	v_add_f32_e32 v32, v28, v25
	s_delay_alu instid0(VALU_DEP_1) | instskip(NEXT) | instid1(VALU_DEP_1)
	v_dual_add_f32 v31, v30, v29 :: v_dual_sub_f32 v28, v28, v32
	v_rcp_f32_e32 v27, v31
	v_sub_f32_e32 v30, v30, v31
	s_delay_alu instid0(VALU_DEP_1) | instskip(SKIP_2) | instid1(VALU_DEP_1)
	v_add_f32_e32 v29, v29, v30
	s_waitcnt_depctr 0xfff
	v_mul_f32_e32 v33, v32, v27
	v_mul_f32_e32 v34, v31, v33
	s_delay_alu instid0(VALU_DEP_1) | instskip(NEXT) | instid1(VALU_DEP_1)
	v_fma_f32 v30, v33, v31, -v34
	v_fmac_f32_e32 v30, v33, v29
	s_delay_alu instid0(VALU_DEP_1) | instskip(NEXT) | instid1(VALU_DEP_1)
	v_add_f32_e32 v35, v34, v30
	v_sub_f32_e32 v36, v32, v35
	s_delay_alu instid0(VALU_DEP_1) | instskip(SKIP_1) | instid1(VALU_DEP_2)
	v_sub_f32_e32 v32, v32, v36
	v_dual_add_f32 v25, v25, v28 :: v_dual_sub_f32 v28, v35, v34
	v_sub_f32_e32 v32, v32, v35
	s_delay_alu instid0(VALU_DEP_1) | instskip(NEXT) | instid1(VALU_DEP_1)
	v_dual_sub_f32 v28, v28, v30 :: v_dual_add_f32 v25, v25, v32
	v_add_f32_e32 v25, v28, v25
	s_delay_alu instid0(VALU_DEP_1) | instskip(NEXT) | instid1(VALU_DEP_1)
	v_add_f32_e32 v28, v36, v25
	v_mul_f32_e32 v30, v27, v28
	s_delay_alu instid0(VALU_DEP_1) | instskip(NEXT) | instid1(VALU_DEP_1)
	v_dual_sub_f32 v35, v36, v28 :: v_dual_mul_f32 v32, v31, v30
	v_add_f32_e32 v25, v25, v35
	s_delay_alu instid0(VALU_DEP_2) | instskip(NEXT) | instid1(VALU_DEP_1)
	v_fma_f32 v31, v30, v31, -v32
	v_fmac_f32_e32 v31, v30, v29
	s_delay_alu instid0(VALU_DEP_1) | instskip(NEXT) | instid1(VALU_DEP_1)
	v_add_f32_e32 v29, v32, v31
	v_sub_f32_e32 v34, v28, v29
	s_delay_alu instid0(VALU_DEP_1) | instskip(NEXT) | instid1(VALU_DEP_1)
	v_sub_f32_e32 v28, v28, v34
	v_sub_f32_e32 v28, v28, v29
	s_delay_alu instid0(VALU_DEP_1) | instskip(SKIP_2) | instid1(VALU_DEP_1)
	v_add_f32_e32 v25, v25, v28
	v_add_f32_e32 v28, v33, v30
	v_sub_f32_e32 v32, v29, v32
	v_sub_f32_e32 v29, v32, v31
	s_delay_alu instid0(VALU_DEP_1) | instskip(NEXT) | instid1(VALU_DEP_4)
	v_add_f32_e32 v25, v29, v25
	v_sub_f32_e32 v29, v28, v33
	s_delay_alu instid0(VALU_DEP_2) | instskip(NEXT) | instid1(VALU_DEP_2)
	v_add_f32_e32 v25, v34, v25
	v_sub_f32_e32 v29, v30, v29
	s_delay_alu instid0(VALU_DEP_2) | instskip(NEXT) | instid1(VALU_DEP_1)
	v_mul_f32_e32 v25, v27, v25
	v_add_f32_e32 v25, v29, v25
	s_delay_alu instid0(VALU_DEP_1) | instskip(NEXT) | instid1(VALU_DEP_1)
	v_add_f32_e32 v27, v28, v25
	v_mul_f32_e32 v29, v27, v27
	s_delay_alu instid0(VALU_DEP_1) | instskip(SKIP_1) | instid1(VALU_DEP_2)
	v_fmaak_f32 v30, s54, v29, 0x3ecc95a3
	v_mul_f32_e32 v31, v27, v29
	v_fmaak_f32 v29, v29, v30, 0x3f2aaada
	v_ldexp_f32 v30, v27, 1
	s_delay_alu instid0(VALU_DEP_2) | instskip(SKIP_1) | instid1(VALU_DEP_2)
	v_mul_f32_e32 v29, v31, v29
	v_sub_f32_e32 v27, v27, v28
	v_dual_mul_f32 v31, 0x3f317218, v24 :: v_dual_add_f32 v28, v30, v29
	s_delay_alu instid0(VALU_DEP_2) | instskip(NEXT) | instid1(VALU_DEP_2)
	v_sub_f32_e32 v25, v25, v27
	v_sub_f32_e32 v27, v28, v30
	s_delay_alu instid0(VALU_DEP_3) | instskip(NEXT) | instid1(VALU_DEP_3)
	v_fma_f32 v30, 0x3f317218, v24, -v31
	v_ldexp_f32 v25, v25, 1
	s_delay_alu instid0(VALU_DEP_2) | instskip(NEXT) | instid1(VALU_DEP_1)
	v_dual_sub_f32 v27, v29, v27 :: v_dual_fmac_f32 v30, 0xb102e308, v24
	v_dual_add_f32 v24, v25, v27 :: v_dual_add_f32 v25, v31, v30
	s_delay_alu instid0(VALU_DEP_1) | instskip(NEXT) | instid1(VALU_DEP_1)
	v_add_f32_e32 v27, v28, v24
	v_dual_add_f32 v29, v25, v27 :: v_dual_sub_f32 v28, v27, v28
	s_delay_alu instid0(VALU_DEP_1) | instskip(NEXT) | instid1(VALU_DEP_2)
	v_sub_f32_e32 v32, v29, v25
	v_dual_sub_f32 v31, v25, v31 :: v_dual_sub_f32 v24, v24, v28
	s_delay_alu instid0(VALU_DEP_1) | instskip(SKIP_1) | instid1(VALU_DEP_2)
	v_dual_sub_f32 v33, v29, v32 :: v_dual_sub_f32 v30, v30, v31
	v_sub_f32_e32 v27, v27, v32
	v_dual_sub_f32 v25, v25, v33 :: v_dual_add_f32 v28, v30, v24
	s_delay_alu instid0(VALU_DEP_1) | instskip(NEXT) | instid1(VALU_DEP_2)
	v_add_f32_e32 v25, v27, v25
	v_sub_f32_e32 v27, v28, v30
	s_delay_alu instid0(VALU_DEP_2) | instskip(NEXT) | instid1(VALU_DEP_2)
	v_add_f32_e32 v25, v28, v25
	v_sub_f32_e32 v28, v28, v27
	s_delay_alu instid0(VALU_DEP_2) | instskip(NEXT) | instid1(VALU_DEP_1)
	v_dual_sub_f32 v24, v24, v27 :: v_dual_add_f32 v31, v29, v25
	v_dual_sub_f32 v28, v30, v28 :: v_dual_sub_f32 v27, v31, v29
	s_delay_alu instid0(VALU_DEP_1) | instskip(NEXT) | instid1(VALU_DEP_1)
	v_dual_add_f32 v24, v24, v28 :: v_dual_sub_f32 v25, v25, v27
	v_add_f32_e32 v24, v24, v25
	s_delay_alu instid0(VALU_DEP_1) | instskip(NEXT) | instid1(VALU_DEP_1)
	v_add_f32_e32 v24, v31, v24
	v_cndmask_b32_e32 v96, v24, v26, vcc_lo
.LBB25_44:                              ;   in Loop: Header=BB25_12 Depth=1
	s_or_b32 exec_lo, exec_lo, s16
	v_lshlrev_b32_e32 v24, 16, v10
	s_delay_alu instid0(VALU_DEP_1) | instskip(NEXT) | instid1(VALU_DEP_1)
	v_add_f32_e32 v101, s57, v24
	v_cmp_ge_f32_e32 vcc_lo, 0x41a00000, v101
	s_and_b32 s14, s67, vcc_lo
	s_delay_alu instid0(SALU_CYCLE_1)
	s_and_saveexec_b32 s16, s14
	s_cbranch_execz .LBB25_46
; %bb.45:                               ;   in Loop: Header=BB25_12 Depth=1
	v_mul_f32_e32 v24, 0x3fb8aa3b, v101
	v_cmp_ngt_f32_e32 vcc_lo, 0xc2ce8ed0, v101
	s_delay_alu instid0(VALU_DEP_2) | instskip(SKIP_1) | instid1(VALU_DEP_2)
	v_rndne_f32_e32 v25, v24
	v_fma_f32 v26, 0x3fb8aa3b, v101, -v24
	v_sub_f32_e32 v24, v24, v25
	s_delay_alu instid0(VALU_DEP_2) | instskip(SKIP_1) | instid1(VALU_DEP_2)
	v_fmac_f32_e32 v26, 0x32a5705f, v101
	v_cvt_i32_f32_e32 v25, v25
	v_add_f32_e32 v24, v24, v26
	s_delay_alu instid0(VALU_DEP_1) | instskip(SKIP_2) | instid1(VALU_DEP_1)
	v_exp_f32_e32 v24, v24
	s_waitcnt_depctr 0xfff
	v_ldexp_f32 v24, v24, v25
	v_cndmask_b32_e32 v24, 0, v24, vcc_lo
	v_cmp_nlt_f32_e32 vcc_lo, 0x42b17218, v101
	s_delay_alu instid0(VALU_DEP_2) | instskip(NEXT) | instid1(VALU_DEP_1)
	v_cndmask_b32_e32 v26, 0x7f800000, v24, vcc_lo
	v_add_f32_e32 v27, 1.0, v26
	s_delay_alu instid0(VALU_DEP_1) | instskip(NEXT) | instid1(VALU_DEP_1)
	v_cvt_f64_f32_e32 v[24:25], v27
	v_frexp_exp_i32_f64_e32 v24, v[24:25]
	v_frexp_mant_f32_e32 v25, v27
	s_delay_alu instid0(VALU_DEP_1) | instskip(SKIP_1) | instid1(VALU_DEP_1)
	v_cmp_gt_f32_e32 vcc_lo, 0x3f2aaaab, v25
	v_add_f32_e32 v25, -1.0, v27
	v_sub_f32_e32 v29, v25, v27
	v_sub_f32_e32 v25, v26, v25
	s_delay_alu instid0(VALU_DEP_2) | instskip(NEXT) | instid1(VALU_DEP_1)
	v_add_f32_e32 v29, 1.0, v29
	v_add_f32_e32 v25, v25, v29
	v_cmp_gt_f32_e64 s14, 0x33800000, v26
	v_subrev_co_ci_u32_e32 v24, vcc_lo, 0, v24, vcc_lo
	v_cmp_eq_f32_e32 vcc_lo, 0x7f800000, v26
	s_delay_alu instid0(VALU_DEP_2) | instskip(SKIP_2) | instid1(VALU_DEP_2)
	v_sub_nc_u32_e32 v28, 0, v24
	v_cvt_f32_i32_e32 v24, v24
	s_or_b32 vcc_lo, s14, vcc_lo
	v_ldexp_f32 v27, v27, v28
	v_ldexp_f32 v25, v25, v28
	s_delay_alu instid0(VALU_DEP_2) | instskip(NEXT) | instid1(VALU_DEP_1)
	v_add_f32_e32 v30, 1.0, v27
	v_dual_add_f32 v28, -1.0, v27 :: v_dual_add_f32 v29, -1.0, v30
	s_delay_alu instid0(VALU_DEP_1) | instskip(NEXT) | instid1(VALU_DEP_2)
	v_add_f32_e32 v31, 1.0, v28
	v_sub_f32_e32 v29, v27, v29
	s_delay_alu instid0(VALU_DEP_2) | instskip(NEXT) | instid1(VALU_DEP_2)
	v_sub_f32_e32 v27, v27, v31
	v_add_f32_e32 v29, v25, v29
	s_delay_alu instid0(VALU_DEP_2) | instskip(NEXT) | instid1(VALU_DEP_1)
	v_add_f32_e32 v25, v25, v27
	v_add_f32_e32 v32, v28, v25
	s_delay_alu instid0(VALU_DEP_1) | instskip(NEXT) | instid1(VALU_DEP_1)
	v_dual_add_f32 v31, v30, v29 :: v_dual_sub_f32 v28, v28, v32
	v_rcp_f32_e32 v27, v31
	v_sub_f32_e32 v30, v30, v31
	s_delay_alu instid0(VALU_DEP_1) | instskip(SKIP_2) | instid1(VALU_DEP_1)
	v_add_f32_e32 v29, v29, v30
	s_waitcnt_depctr 0xfff
	v_mul_f32_e32 v33, v32, v27
	v_mul_f32_e32 v34, v31, v33
	s_delay_alu instid0(VALU_DEP_1) | instskip(NEXT) | instid1(VALU_DEP_1)
	v_fma_f32 v30, v33, v31, -v34
	v_fmac_f32_e32 v30, v33, v29
	s_delay_alu instid0(VALU_DEP_1) | instskip(NEXT) | instid1(VALU_DEP_1)
	v_add_f32_e32 v35, v34, v30
	v_sub_f32_e32 v36, v32, v35
	s_delay_alu instid0(VALU_DEP_1) | instskip(SKIP_1) | instid1(VALU_DEP_2)
	v_sub_f32_e32 v32, v32, v36
	v_dual_add_f32 v25, v25, v28 :: v_dual_sub_f32 v28, v35, v34
	v_sub_f32_e32 v32, v32, v35
	s_delay_alu instid0(VALU_DEP_1) | instskip(NEXT) | instid1(VALU_DEP_1)
	v_dual_sub_f32 v28, v28, v30 :: v_dual_add_f32 v25, v25, v32
	v_add_f32_e32 v25, v28, v25
	s_delay_alu instid0(VALU_DEP_1) | instskip(NEXT) | instid1(VALU_DEP_1)
	v_add_f32_e32 v28, v36, v25
	v_mul_f32_e32 v30, v27, v28
	s_delay_alu instid0(VALU_DEP_1) | instskip(NEXT) | instid1(VALU_DEP_1)
	v_dual_sub_f32 v35, v36, v28 :: v_dual_mul_f32 v32, v31, v30
	v_add_f32_e32 v25, v25, v35
	s_delay_alu instid0(VALU_DEP_2) | instskip(NEXT) | instid1(VALU_DEP_1)
	v_fma_f32 v31, v30, v31, -v32
	v_fmac_f32_e32 v31, v30, v29
	s_delay_alu instid0(VALU_DEP_1) | instskip(NEXT) | instid1(VALU_DEP_1)
	v_add_f32_e32 v29, v32, v31
	v_sub_f32_e32 v34, v28, v29
	s_delay_alu instid0(VALU_DEP_1) | instskip(NEXT) | instid1(VALU_DEP_1)
	v_sub_f32_e32 v28, v28, v34
	v_sub_f32_e32 v28, v28, v29
	s_delay_alu instid0(VALU_DEP_1) | instskip(SKIP_2) | instid1(VALU_DEP_1)
	v_add_f32_e32 v25, v25, v28
	v_add_f32_e32 v28, v33, v30
	v_sub_f32_e32 v32, v29, v32
	v_sub_f32_e32 v29, v32, v31
	s_delay_alu instid0(VALU_DEP_1) | instskip(NEXT) | instid1(VALU_DEP_4)
	v_add_f32_e32 v25, v29, v25
	v_sub_f32_e32 v29, v28, v33
	s_delay_alu instid0(VALU_DEP_2) | instskip(NEXT) | instid1(VALU_DEP_2)
	v_add_f32_e32 v25, v34, v25
	v_sub_f32_e32 v29, v30, v29
	s_delay_alu instid0(VALU_DEP_2) | instskip(NEXT) | instid1(VALU_DEP_1)
	v_mul_f32_e32 v25, v27, v25
	v_add_f32_e32 v25, v29, v25
	s_delay_alu instid0(VALU_DEP_1) | instskip(NEXT) | instid1(VALU_DEP_1)
	v_add_f32_e32 v27, v28, v25
	v_mul_f32_e32 v29, v27, v27
	s_delay_alu instid0(VALU_DEP_1) | instskip(SKIP_1) | instid1(VALU_DEP_2)
	v_fmaak_f32 v30, s54, v29, 0x3ecc95a3
	v_mul_f32_e32 v31, v27, v29
	v_fmaak_f32 v29, v29, v30, 0x3f2aaada
	v_ldexp_f32 v30, v27, 1
	s_delay_alu instid0(VALU_DEP_2) | instskip(SKIP_1) | instid1(VALU_DEP_2)
	v_mul_f32_e32 v29, v31, v29
	v_sub_f32_e32 v27, v27, v28
	v_dual_mul_f32 v31, 0x3f317218, v24 :: v_dual_add_f32 v28, v30, v29
	s_delay_alu instid0(VALU_DEP_2) | instskip(NEXT) | instid1(VALU_DEP_2)
	v_sub_f32_e32 v25, v25, v27
	v_sub_f32_e32 v27, v28, v30
	s_delay_alu instid0(VALU_DEP_3) | instskip(NEXT) | instid1(VALU_DEP_3)
	v_fma_f32 v30, 0x3f317218, v24, -v31
	v_ldexp_f32 v25, v25, 1
	s_delay_alu instid0(VALU_DEP_2) | instskip(NEXT) | instid1(VALU_DEP_1)
	v_dual_sub_f32 v27, v29, v27 :: v_dual_fmac_f32 v30, 0xb102e308, v24
	v_dual_add_f32 v24, v25, v27 :: v_dual_add_f32 v25, v31, v30
	s_delay_alu instid0(VALU_DEP_1) | instskip(NEXT) | instid1(VALU_DEP_1)
	v_add_f32_e32 v27, v28, v24
	v_dual_add_f32 v29, v25, v27 :: v_dual_sub_f32 v28, v27, v28
	s_delay_alu instid0(VALU_DEP_1) | instskip(NEXT) | instid1(VALU_DEP_2)
	v_sub_f32_e32 v32, v29, v25
	v_dual_sub_f32 v31, v25, v31 :: v_dual_sub_f32 v24, v24, v28
	s_delay_alu instid0(VALU_DEP_1) | instskip(SKIP_1) | instid1(VALU_DEP_2)
	v_dual_sub_f32 v33, v29, v32 :: v_dual_sub_f32 v30, v30, v31
	v_sub_f32_e32 v27, v27, v32
	v_dual_sub_f32 v25, v25, v33 :: v_dual_add_f32 v28, v30, v24
	s_delay_alu instid0(VALU_DEP_1) | instskip(NEXT) | instid1(VALU_DEP_2)
	v_add_f32_e32 v25, v27, v25
	v_sub_f32_e32 v27, v28, v30
	s_delay_alu instid0(VALU_DEP_2) | instskip(NEXT) | instid1(VALU_DEP_2)
	v_add_f32_e32 v25, v28, v25
	v_sub_f32_e32 v28, v28, v27
	s_delay_alu instid0(VALU_DEP_2) | instskip(NEXT) | instid1(VALU_DEP_1)
	v_dual_sub_f32 v24, v24, v27 :: v_dual_add_f32 v31, v29, v25
	v_dual_sub_f32 v28, v30, v28 :: v_dual_sub_f32 v27, v31, v29
	s_delay_alu instid0(VALU_DEP_1) | instskip(NEXT) | instid1(VALU_DEP_1)
	v_dual_add_f32 v24, v24, v28 :: v_dual_sub_f32 v25, v25, v27
	v_add_f32_e32 v24, v24, v25
	s_delay_alu instid0(VALU_DEP_1) | instskip(NEXT) | instid1(VALU_DEP_1)
	v_add_f32_e32 v24, v31, v24
	v_cndmask_b32_e32 v101, v24, v26, vcc_lo
.LBB25_46:                              ;   in Loop: Header=BB25_12 Depth=1
	s_or_b32 exec_lo, exec_lo, s16
	v_and_b32_e32 v24, 0xffff0000, v10
	s_delay_alu instid0(VALU_DEP_1) | instskip(NEXT) | instid1(VALU_DEP_1)
	v_add_f32_e32 v104, s57, v24
	v_cmp_ge_f32_e32 vcc_lo, 0x41a00000, v104
	s_and_b32 s14, s67, vcc_lo
	s_delay_alu instid0(SALU_CYCLE_1)
	s_and_saveexec_b32 s16, s14
	s_cbranch_execz .LBB25_48
; %bb.47:                               ;   in Loop: Header=BB25_12 Depth=1
	v_mul_f32_e32 v24, 0x3fb8aa3b, v104
	v_cmp_ngt_f32_e32 vcc_lo, 0xc2ce8ed0, v104
	s_delay_alu instid0(VALU_DEP_2) | instskip(SKIP_1) | instid1(VALU_DEP_2)
	v_rndne_f32_e32 v25, v24
	v_fma_f32 v26, 0x3fb8aa3b, v104, -v24
	v_sub_f32_e32 v24, v24, v25
	s_delay_alu instid0(VALU_DEP_2) | instskip(SKIP_1) | instid1(VALU_DEP_2)
	v_fmac_f32_e32 v26, 0x32a5705f, v104
	v_cvt_i32_f32_e32 v25, v25
	v_add_f32_e32 v24, v24, v26
	s_delay_alu instid0(VALU_DEP_1) | instskip(SKIP_2) | instid1(VALU_DEP_1)
	v_exp_f32_e32 v24, v24
	s_waitcnt_depctr 0xfff
	v_ldexp_f32 v24, v24, v25
	v_cndmask_b32_e32 v24, 0, v24, vcc_lo
	v_cmp_nlt_f32_e32 vcc_lo, 0x42b17218, v104
	s_delay_alu instid0(VALU_DEP_2) | instskip(NEXT) | instid1(VALU_DEP_1)
	v_cndmask_b32_e32 v26, 0x7f800000, v24, vcc_lo
	v_add_f32_e32 v27, 1.0, v26
	s_delay_alu instid0(VALU_DEP_1) | instskip(NEXT) | instid1(VALU_DEP_1)
	v_cvt_f64_f32_e32 v[24:25], v27
	v_frexp_exp_i32_f64_e32 v24, v[24:25]
	v_frexp_mant_f32_e32 v25, v27
	s_delay_alu instid0(VALU_DEP_1) | instskip(SKIP_1) | instid1(VALU_DEP_1)
	v_cmp_gt_f32_e32 vcc_lo, 0x3f2aaaab, v25
	v_add_f32_e32 v25, -1.0, v27
	v_sub_f32_e32 v29, v25, v27
	v_sub_f32_e32 v25, v26, v25
	s_delay_alu instid0(VALU_DEP_2) | instskip(NEXT) | instid1(VALU_DEP_1)
	v_add_f32_e32 v29, 1.0, v29
	v_add_f32_e32 v25, v25, v29
	v_cmp_gt_f32_e64 s14, 0x33800000, v26
	v_subrev_co_ci_u32_e32 v24, vcc_lo, 0, v24, vcc_lo
	v_cmp_eq_f32_e32 vcc_lo, 0x7f800000, v26
	s_delay_alu instid0(VALU_DEP_2) | instskip(SKIP_2) | instid1(VALU_DEP_2)
	v_sub_nc_u32_e32 v28, 0, v24
	v_cvt_f32_i32_e32 v24, v24
	s_or_b32 vcc_lo, s14, vcc_lo
	v_ldexp_f32 v27, v27, v28
	v_ldexp_f32 v25, v25, v28
	s_delay_alu instid0(VALU_DEP_2) | instskip(NEXT) | instid1(VALU_DEP_1)
	v_add_f32_e32 v30, 1.0, v27
	v_dual_add_f32 v28, -1.0, v27 :: v_dual_add_f32 v29, -1.0, v30
	s_delay_alu instid0(VALU_DEP_1) | instskip(NEXT) | instid1(VALU_DEP_2)
	v_add_f32_e32 v31, 1.0, v28
	v_sub_f32_e32 v29, v27, v29
	s_delay_alu instid0(VALU_DEP_2) | instskip(NEXT) | instid1(VALU_DEP_2)
	v_sub_f32_e32 v27, v27, v31
	v_add_f32_e32 v29, v25, v29
	s_delay_alu instid0(VALU_DEP_2) | instskip(NEXT) | instid1(VALU_DEP_1)
	v_add_f32_e32 v25, v25, v27
	v_add_f32_e32 v32, v28, v25
	s_delay_alu instid0(VALU_DEP_1) | instskip(NEXT) | instid1(VALU_DEP_1)
	v_dual_add_f32 v31, v30, v29 :: v_dual_sub_f32 v28, v28, v32
	v_rcp_f32_e32 v27, v31
	v_sub_f32_e32 v30, v30, v31
	s_delay_alu instid0(VALU_DEP_1) | instskip(SKIP_2) | instid1(VALU_DEP_1)
	v_add_f32_e32 v29, v29, v30
	s_waitcnt_depctr 0xfff
	v_mul_f32_e32 v33, v32, v27
	v_mul_f32_e32 v34, v31, v33
	s_delay_alu instid0(VALU_DEP_1) | instskip(NEXT) | instid1(VALU_DEP_1)
	v_fma_f32 v30, v33, v31, -v34
	v_fmac_f32_e32 v30, v33, v29
	s_delay_alu instid0(VALU_DEP_1) | instskip(NEXT) | instid1(VALU_DEP_1)
	v_add_f32_e32 v35, v34, v30
	v_sub_f32_e32 v36, v32, v35
	s_delay_alu instid0(VALU_DEP_1) | instskip(SKIP_1) | instid1(VALU_DEP_2)
	v_sub_f32_e32 v32, v32, v36
	v_dual_add_f32 v25, v25, v28 :: v_dual_sub_f32 v28, v35, v34
	v_sub_f32_e32 v32, v32, v35
	s_delay_alu instid0(VALU_DEP_1) | instskip(NEXT) | instid1(VALU_DEP_1)
	v_dual_sub_f32 v28, v28, v30 :: v_dual_add_f32 v25, v25, v32
	v_add_f32_e32 v25, v28, v25
	s_delay_alu instid0(VALU_DEP_1) | instskip(NEXT) | instid1(VALU_DEP_1)
	v_add_f32_e32 v28, v36, v25
	v_mul_f32_e32 v30, v27, v28
	s_delay_alu instid0(VALU_DEP_1) | instskip(NEXT) | instid1(VALU_DEP_1)
	v_dual_sub_f32 v35, v36, v28 :: v_dual_mul_f32 v32, v31, v30
	v_add_f32_e32 v25, v25, v35
	s_delay_alu instid0(VALU_DEP_2) | instskip(NEXT) | instid1(VALU_DEP_1)
	v_fma_f32 v31, v30, v31, -v32
	v_fmac_f32_e32 v31, v30, v29
	s_delay_alu instid0(VALU_DEP_1) | instskip(NEXT) | instid1(VALU_DEP_1)
	v_add_f32_e32 v29, v32, v31
	v_sub_f32_e32 v34, v28, v29
	s_delay_alu instid0(VALU_DEP_1) | instskip(NEXT) | instid1(VALU_DEP_1)
	v_sub_f32_e32 v28, v28, v34
	v_sub_f32_e32 v28, v28, v29
	s_delay_alu instid0(VALU_DEP_1) | instskip(SKIP_2) | instid1(VALU_DEP_1)
	v_add_f32_e32 v25, v25, v28
	v_add_f32_e32 v28, v33, v30
	v_sub_f32_e32 v32, v29, v32
	v_sub_f32_e32 v29, v32, v31
	s_delay_alu instid0(VALU_DEP_1) | instskip(NEXT) | instid1(VALU_DEP_4)
	v_add_f32_e32 v25, v29, v25
	v_sub_f32_e32 v29, v28, v33
	s_delay_alu instid0(VALU_DEP_2) | instskip(NEXT) | instid1(VALU_DEP_2)
	v_add_f32_e32 v25, v34, v25
	v_sub_f32_e32 v29, v30, v29
	s_delay_alu instid0(VALU_DEP_2) | instskip(NEXT) | instid1(VALU_DEP_1)
	v_mul_f32_e32 v25, v27, v25
	v_add_f32_e32 v25, v29, v25
	s_delay_alu instid0(VALU_DEP_1) | instskip(NEXT) | instid1(VALU_DEP_1)
	v_add_f32_e32 v27, v28, v25
	v_mul_f32_e32 v29, v27, v27
	s_delay_alu instid0(VALU_DEP_1) | instskip(SKIP_1) | instid1(VALU_DEP_2)
	v_fmaak_f32 v30, s54, v29, 0x3ecc95a3
	v_mul_f32_e32 v31, v27, v29
	v_fmaak_f32 v29, v29, v30, 0x3f2aaada
	v_ldexp_f32 v30, v27, 1
	s_delay_alu instid0(VALU_DEP_2) | instskip(SKIP_1) | instid1(VALU_DEP_2)
	v_mul_f32_e32 v29, v31, v29
	v_sub_f32_e32 v27, v27, v28
	v_dual_mul_f32 v31, 0x3f317218, v24 :: v_dual_add_f32 v28, v30, v29
	s_delay_alu instid0(VALU_DEP_2) | instskip(NEXT) | instid1(VALU_DEP_2)
	v_sub_f32_e32 v25, v25, v27
	v_sub_f32_e32 v27, v28, v30
	s_delay_alu instid0(VALU_DEP_3) | instskip(NEXT) | instid1(VALU_DEP_3)
	v_fma_f32 v30, 0x3f317218, v24, -v31
	v_ldexp_f32 v25, v25, 1
	s_delay_alu instid0(VALU_DEP_2) | instskip(NEXT) | instid1(VALU_DEP_1)
	v_dual_sub_f32 v27, v29, v27 :: v_dual_fmac_f32 v30, 0xb102e308, v24
	v_dual_add_f32 v24, v25, v27 :: v_dual_add_f32 v25, v31, v30
	s_delay_alu instid0(VALU_DEP_1) | instskip(NEXT) | instid1(VALU_DEP_1)
	v_add_f32_e32 v27, v28, v24
	v_dual_add_f32 v29, v25, v27 :: v_dual_sub_f32 v28, v27, v28
	s_delay_alu instid0(VALU_DEP_1) | instskip(NEXT) | instid1(VALU_DEP_2)
	v_sub_f32_e32 v32, v29, v25
	v_dual_sub_f32 v31, v25, v31 :: v_dual_sub_f32 v24, v24, v28
	s_delay_alu instid0(VALU_DEP_1) | instskip(SKIP_1) | instid1(VALU_DEP_2)
	v_dual_sub_f32 v33, v29, v32 :: v_dual_sub_f32 v30, v30, v31
	v_sub_f32_e32 v27, v27, v32
	v_dual_sub_f32 v25, v25, v33 :: v_dual_add_f32 v28, v30, v24
	s_delay_alu instid0(VALU_DEP_1) | instskip(NEXT) | instid1(VALU_DEP_2)
	v_add_f32_e32 v25, v27, v25
	v_sub_f32_e32 v27, v28, v30
	s_delay_alu instid0(VALU_DEP_2) | instskip(NEXT) | instid1(VALU_DEP_2)
	v_add_f32_e32 v25, v28, v25
	v_sub_f32_e32 v28, v28, v27
	s_delay_alu instid0(VALU_DEP_2) | instskip(NEXT) | instid1(VALU_DEP_1)
	v_dual_sub_f32 v24, v24, v27 :: v_dual_add_f32 v31, v29, v25
	v_dual_sub_f32 v28, v30, v28 :: v_dual_sub_f32 v27, v31, v29
	s_delay_alu instid0(VALU_DEP_1) | instskip(NEXT) | instid1(VALU_DEP_1)
	v_dual_add_f32 v24, v24, v28 :: v_dual_sub_f32 v25, v25, v27
	v_add_f32_e32 v24, v24, v25
	s_delay_alu instid0(VALU_DEP_1) | instskip(NEXT) | instid1(VALU_DEP_1)
	v_add_f32_e32 v24, v31, v24
	v_cndmask_b32_e32 v104, v24, v26, vcc_lo
.LBB25_48:                              ;   in Loop: Header=BB25_12 Depth=1
	s_or_b32 exec_lo, exec_lo, s16
	v_lshlrev_b32_e32 v24, 16, v11
	s_delay_alu instid0(VALU_DEP_1) | instskip(NEXT) | instid1(VALU_DEP_1)
	v_add_f32_e32 v105, s57, v24
	v_cmp_ge_f32_e32 vcc_lo, 0x41a00000, v105
	s_and_b32 s14, s67, vcc_lo
	s_delay_alu instid0(SALU_CYCLE_1)
	s_and_saveexec_b32 s16, s14
	s_cbranch_execz .LBB25_50
; %bb.49:                               ;   in Loop: Header=BB25_12 Depth=1
	v_mul_f32_e32 v24, 0x3fb8aa3b, v105
	v_cmp_ngt_f32_e32 vcc_lo, 0xc2ce8ed0, v105
	s_delay_alu instid0(VALU_DEP_2) | instskip(SKIP_1) | instid1(VALU_DEP_2)
	v_rndne_f32_e32 v25, v24
	v_fma_f32 v26, 0x3fb8aa3b, v105, -v24
	v_sub_f32_e32 v24, v24, v25
	s_delay_alu instid0(VALU_DEP_2) | instskip(SKIP_1) | instid1(VALU_DEP_2)
	v_fmac_f32_e32 v26, 0x32a5705f, v105
	v_cvt_i32_f32_e32 v25, v25
	v_add_f32_e32 v24, v24, v26
	s_delay_alu instid0(VALU_DEP_1) | instskip(SKIP_2) | instid1(VALU_DEP_1)
	v_exp_f32_e32 v24, v24
	s_waitcnt_depctr 0xfff
	v_ldexp_f32 v24, v24, v25
	v_cndmask_b32_e32 v24, 0, v24, vcc_lo
	v_cmp_nlt_f32_e32 vcc_lo, 0x42b17218, v105
	s_delay_alu instid0(VALU_DEP_2) | instskip(NEXT) | instid1(VALU_DEP_1)
	v_cndmask_b32_e32 v26, 0x7f800000, v24, vcc_lo
	v_add_f32_e32 v27, 1.0, v26
	s_delay_alu instid0(VALU_DEP_1) | instskip(NEXT) | instid1(VALU_DEP_1)
	v_cvt_f64_f32_e32 v[24:25], v27
	v_frexp_exp_i32_f64_e32 v24, v[24:25]
	v_frexp_mant_f32_e32 v25, v27
	s_delay_alu instid0(VALU_DEP_1) | instskip(SKIP_1) | instid1(VALU_DEP_1)
	v_cmp_gt_f32_e32 vcc_lo, 0x3f2aaaab, v25
	v_add_f32_e32 v25, -1.0, v27
	v_sub_f32_e32 v29, v25, v27
	v_sub_f32_e32 v25, v26, v25
	s_delay_alu instid0(VALU_DEP_2) | instskip(NEXT) | instid1(VALU_DEP_1)
	v_add_f32_e32 v29, 1.0, v29
	v_add_f32_e32 v25, v25, v29
	v_cmp_gt_f32_e64 s14, 0x33800000, v26
	v_subrev_co_ci_u32_e32 v24, vcc_lo, 0, v24, vcc_lo
	v_cmp_eq_f32_e32 vcc_lo, 0x7f800000, v26
	s_delay_alu instid0(VALU_DEP_2) | instskip(SKIP_2) | instid1(VALU_DEP_2)
	v_sub_nc_u32_e32 v28, 0, v24
	v_cvt_f32_i32_e32 v24, v24
	s_or_b32 vcc_lo, s14, vcc_lo
	v_ldexp_f32 v27, v27, v28
	v_ldexp_f32 v25, v25, v28
	s_delay_alu instid0(VALU_DEP_2) | instskip(NEXT) | instid1(VALU_DEP_1)
	v_add_f32_e32 v30, 1.0, v27
	v_dual_add_f32 v28, -1.0, v27 :: v_dual_add_f32 v29, -1.0, v30
	s_delay_alu instid0(VALU_DEP_1) | instskip(NEXT) | instid1(VALU_DEP_2)
	v_add_f32_e32 v31, 1.0, v28
	v_sub_f32_e32 v29, v27, v29
	s_delay_alu instid0(VALU_DEP_2) | instskip(NEXT) | instid1(VALU_DEP_2)
	v_sub_f32_e32 v27, v27, v31
	v_add_f32_e32 v29, v25, v29
	s_delay_alu instid0(VALU_DEP_2) | instskip(NEXT) | instid1(VALU_DEP_1)
	v_add_f32_e32 v25, v25, v27
	v_add_f32_e32 v32, v28, v25
	s_delay_alu instid0(VALU_DEP_1) | instskip(NEXT) | instid1(VALU_DEP_1)
	v_dual_add_f32 v31, v30, v29 :: v_dual_sub_f32 v28, v28, v32
	v_rcp_f32_e32 v27, v31
	v_sub_f32_e32 v30, v30, v31
	s_delay_alu instid0(VALU_DEP_1) | instskip(SKIP_2) | instid1(VALU_DEP_1)
	v_add_f32_e32 v29, v29, v30
	s_waitcnt_depctr 0xfff
	v_mul_f32_e32 v33, v32, v27
	v_mul_f32_e32 v34, v31, v33
	s_delay_alu instid0(VALU_DEP_1) | instskip(NEXT) | instid1(VALU_DEP_1)
	v_fma_f32 v30, v33, v31, -v34
	v_fmac_f32_e32 v30, v33, v29
	s_delay_alu instid0(VALU_DEP_1) | instskip(NEXT) | instid1(VALU_DEP_1)
	v_add_f32_e32 v35, v34, v30
	v_sub_f32_e32 v36, v32, v35
	s_delay_alu instid0(VALU_DEP_1) | instskip(SKIP_1) | instid1(VALU_DEP_2)
	v_sub_f32_e32 v32, v32, v36
	v_dual_add_f32 v25, v25, v28 :: v_dual_sub_f32 v28, v35, v34
	v_sub_f32_e32 v32, v32, v35
	s_delay_alu instid0(VALU_DEP_1) | instskip(NEXT) | instid1(VALU_DEP_1)
	v_dual_sub_f32 v28, v28, v30 :: v_dual_add_f32 v25, v25, v32
	v_add_f32_e32 v25, v28, v25
	s_delay_alu instid0(VALU_DEP_1) | instskip(NEXT) | instid1(VALU_DEP_1)
	v_add_f32_e32 v28, v36, v25
	v_mul_f32_e32 v30, v27, v28
	s_delay_alu instid0(VALU_DEP_1) | instskip(NEXT) | instid1(VALU_DEP_1)
	v_dual_sub_f32 v35, v36, v28 :: v_dual_mul_f32 v32, v31, v30
	v_add_f32_e32 v25, v25, v35
	s_delay_alu instid0(VALU_DEP_2) | instskip(NEXT) | instid1(VALU_DEP_1)
	v_fma_f32 v31, v30, v31, -v32
	v_fmac_f32_e32 v31, v30, v29
	s_delay_alu instid0(VALU_DEP_1) | instskip(NEXT) | instid1(VALU_DEP_1)
	v_add_f32_e32 v29, v32, v31
	v_sub_f32_e32 v34, v28, v29
	s_delay_alu instid0(VALU_DEP_1) | instskip(NEXT) | instid1(VALU_DEP_1)
	v_sub_f32_e32 v28, v28, v34
	v_sub_f32_e32 v28, v28, v29
	s_delay_alu instid0(VALU_DEP_1) | instskip(SKIP_2) | instid1(VALU_DEP_1)
	v_add_f32_e32 v25, v25, v28
	v_add_f32_e32 v28, v33, v30
	v_sub_f32_e32 v32, v29, v32
	v_sub_f32_e32 v29, v32, v31
	s_delay_alu instid0(VALU_DEP_1) | instskip(NEXT) | instid1(VALU_DEP_4)
	v_add_f32_e32 v25, v29, v25
	v_sub_f32_e32 v29, v28, v33
	s_delay_alu instid0(VALU_DEP_2) | instskip(NEXT) | instid1(VALU_DEP_2)
	v_add_f32_e32 v25, v34, v25
	v_sub_f32_e32 v29, v30, v29
	s_delay_alu instid0(VALU_DEP_2) | instskip(NEXT) | instid1(VALU_DEP_1)
	v_mul_f32_e32 v25, v27, v25
	v_add_f32_e32 v25, v29, v25
	s_delay_alu instid0(VALU_DEP_1) | instskip(NEXT) | instid1(VALU_DEP_1)
	v_add_f32_e32 v27, v28, v25
	v_mul_f32_e32 v29, v27, v27
	s_delay_alu instid0(VALU_DEP_1) | instskip(SKIP_1) | instid1(VALU_DEP_2)
	v_fmaak_f32 v30, s54, v29, 0x3ecc95a3
	v_mul_f32_e32 v31, v27, v29
	v_fmaak_f32 v29, v29, v30, 0x3f2aaada
	v_ldexp_f32 v30, v27, 1
	s_delay_alu instid0(VALU_DEP_2) | instskip(SKIP_1) | instid1(VALU_DEP_2)
	v_mul_f32_e32 v29, v31, v29
	v_sub_f32_e32 v27, v27, v28
	v_dual_mul_f32 v31, 0x3f317218, v24 :: v_dual_add_f32 v28, v30, v29
	s_delay_alu instid0(VALU_DEP_2) | instskip(NEXT) | instid1(VALU_DEP_2)
	v_sub_f32_e32 v25, v25, v27
	v_sub_f32_e32 v27, v28, v30
	s_delay_alu instid0(VALU_DEP_3) | instskip(NEXT) | instid1(VALU_DEP_3)
	v_fma_f32 v30, 0x3f317218, v24, -v31
	v_ldexp_f32 v25, v25, 1
	s_delay_alu instid0(VALU_DEP_2) | instskip(NEXT) | instid1(VALU_DEP_1)
	v_dual_sub_f32 v27, v29, v27 :: v_dual_fmac_f32 v30, 0xb102e308, v24
	v_dual_add_f32 v24, v25, v27 :: v_dual_add_f32 v25, v31, v30
	s_delay_alu instid0(VALU_DEP_1) | instskip(NEXT) | instid1(VALU_DEP_1)
	v_add_f32_e32 v27, v28, v24
	v_dual_add_f32 v29, v25, v27 :: v_dual_sub_f32 v28, v27, v28
	s_delay_alu instid0(VALU_DEP_1) | instskip(NEXT) | instid1(VALU_DEP_2)
	v_sub_f32_e32 v32, v29, v25
	v_dual_sub_f32 v31, v25, v31 :: v_dual_sub_f32 v24, v24, v28
	s_delay_alu instid0(VALU_DEP_1) | instskip(SKIP_1) | instid1(VALU_DEP_2)
	v_dual_sub_f32 v33, v29, v32 :: v_dual_sub_f32 v30, v30, v31
	v_sub_f32_e32 v27, v27, v32
	v_dual_sub_f32 v25, v25, v33 :: v_dual_add_f32 v28, v30, v24
	s_delay_alu instid0(VALU_DEP_1) | instskip(NEXT) | instid1(VALU_DEP_2)
	v_add_f32_e32 v25, v27, v25
	v_sub_f32_e32 v27, v28, v30
	s_delay_alu instid0(VALU_DEP_2) | instskip(NEXT) | instid1(VALU_DEP_2)
	v_add_f32_e32 v25, v28, v25
	v_sub_f32_e32 v28, v28, v27
	s_delay_alu instid0(VALU_DEP_2) | instskip(NEXT) | instid1(VALU_DEP_1)
	v_dual_sub_f32 v24, v24, v27 :: v_dual_add_f32 v31, v29, v25
	v_dual_sub_f32 v28, v30, v28 :: v_dual_sub_f32 v27, v31, v29
	s_delay_alu instid0(VALU_DEP_1) | instskip(NEXT) | instid1(VALU_DEP_1)
	v_dual_add_f32 v24, v24, v28 :: v_dual_sub_f32 v25, v25, v27
	v_add_f32_e32 v24, v24, v25
	s_delay_alu instid0(VALU_DEP_1) | instskip(NEXT) | instid1(VALU_DEP_1)
	v_add_f32_e32 v24, v31, v24
	v_cndmask_b32_e32 v105, v24, v26, vcc_lo
.LBB25_50:                              ;   in Loop: Header=BB25_12 Depth=1
	s_or_b32 exec_lo, exec_lo, s16
	v_and_b32_e32 v24, 0xffff0000, v11
	s_delay_alu instid0(VALU_DEP_1) | instskip(NEXT) | instid1(VALU_DEP_1)
	v_add_f32_e32 v106, s57, v24
	v_cmp_ge_f32_e32 vcc_lo, 0x41a00000, v106
	s_and_b32 s14, s67, vcc_lo
	s_delay_alu instid0(SALU_CYCLE_1)
	s_and_saveexec_b32 s16, s14
	s_cbranch_execz .LBB25_52
; %bb.51:                               ;   in Loop: Header=BB25_12 Depth=1
	v_mul_f32_e32 v24, 0x3fb8aa3b, v106
	v_cmp_ngt_f32_e32 vcc_lo, 0xc2ce8ed0, v106
	s_delay_alu instid0(VALU_DEP_2) | instskip(SKIP_1) | instid1(VALU_DEP_2)
	v_rndne_f32_e32 v25, v24
	v_fma_f32 v26, 0x3fb8aa3b, v106, -v24
	v_sub_f32_e32 v24, v24, v25
	s_delay_alu instid0(VALU_DEP_2) | instskip(SKIP_1) | instid1(VALU_DEP_2)
	v_fmac_f32_e32 v26, 0x32a5705f, v106
	v_cvt_i32_f32_e32 v25, v25
	v_add_f32_e32 v24, v24, v26
	s_delay_alu instid0(VALU_DEP_1) | instskip(SKIP_2) | instid1(VALU_DEP_1)
	v_exp_f32_e32 v24, v24
	s_waitcnt_depctr 0xfff
	v_ldexp_f32 v24, v24, v25
	v_cndmask_b32_e32 v24, 0, v24, vcc_lo
	v_cmp_nlt_f32_e32 vcc_lo, 0x42b17218, v106
	s_delay_alu instid0(VALU_DEP_2) | instskip(NEXT) | instid1(VALU_DEP_1)
	v_cndmask_b32_e32 v26, 0x7f800000, v24, vcc_lo
	v_add_f32_e32 v27, 1.0, v26
	s_delay_alu instid0(VALU_DEP_1) | instskip(NEXT) | instid1(VALU_DEP_1)
	v_cvt_f64_f32_e32 v[24:25], v27
	v_frexp_exp_i32_f64_e32 v24, v[24:25]
	v_frexp_mant_f32_e32 v25, v27
	s_delay_alu instid0(VALU_DEP_1) | instskip(SKIP_1) | instid1(VALU_DEP_1)
	v_cmp_gt_f32_e32 vcc_lo, 0x3f2aaaab, v25
	v_add_f32_e32 v25, -1.0, v27
	v_sub_f32_e32 v29, v25, v27
	v_sub_f32_e32 v25, v26, v25
	s_delay_alu instid0(VALU_DEP_2) | instskip(NEXT) | instid1(VALU_DEP_1)
	v_add_f32_e32 v29, 1.0, v29
	v_add_f32_e32 v25, v25, v29
	v_cmp_gt_f32_e64 s14, 0x33800000, v26
	v_subrev_co_ci_u32_e32 v24, vcc_lo, 0, v24, vcc_lo
	v_cmp_eq_f32_e32 vcc_lo, 0x7f800000, v26
	s_delay_alu instid0(VALU_DEP_2) | instskip(SKIP_2) | instid1(VALU_DEP_2)
	v_sub_nc_u32_e32 v28, 0, v24
	v_cvt_f32_i32_e32 v24, v24
	s_or_b32 vcc_lo, s14, vcc_lo
	v_ldexp_f32 v27, v27, v28
	v_ldexp_f32 v25, v25, v28
	s_delay_alu instid0(VALU_DEP_2) | instskip(NEXT) | instid1(VALU_DEP_1)
	v_add_f32_e32 v30, 1.0, v27
	v_dual_add_f32 v28, -1.0, v27 :: v_dual_add_f32 v29, -1.0, v30
	s_delay_alu instid0(VALU_DEP_1) | instskip(NEXT) | instid1(VALU_DEP_2)
	v_add_f32_e32 v31, 1.0, v28
	v_sub_f32_e32 v29, v27, v29
	s_delay_alu instid0(VALU_DEP_2) | instskip(NEXT) | instid1(VALU_DEP_2)
	v_sub_f32_e32 v27, v27, v31
	v_add_f32_e32 v29, v25, v29
	s_delay_alu instid0(VALU_DEP_2) | instskip(NEXT) | instid1(VALU_DEP_1)
	v_add_f32_e32 v25, v25, v27
	v_add_f32_e32 v32, v28, v25
	s_delay_alu instid0(VALU_DEP_1) | instskip(NEXT) | instid1(VALU_DEP_1)
	v_dual_add_f32 v31, v30, v29 :: v_dual_sub_f32 v28, v28, v32
	v_rcp_f32_e32 v27, v31
	v_sub_f32_e32 v30, v30, v31
	s_delay_alu instid0(VALU_DEP_1) | instskip(SKIP_2) | instid1(VALU_DEP_1)
	v_add_f32_e32 v29, v29, v30
	s_waitcnt_depctr 0xfff
	v_mul_f32_e32 v33, v32, v27
	v_mul_f32_e32 v34, v31, v33
	s_delay_alu instid0(VALU_DEP_1) | instskip(NEXT) | instid1(VALU_DEP_1)
	v_fma_f32 v30, v33, v31, -v34
	v_fmac_f32_e32 v30, v33, v29
	s_delay_alu instid0(VALU_DEP_1) | instskip(NEXT) | instid1(VALU_DEP_1)
	v_add_f32_e32 v35, v34, v30
	v_sub_f32_e32 v36, v32, v35
	s_delay_alu instid0(VALU_DEP_1) | instskip(SKIP_1) | instid1(VALU_DEP_2)
	v_sub_f32_e32 v32, v32, v36
	v_dual_add_f32 v25, v25, v28 :: v_dual_sub_f32 v28, v35, v34
	v_sub_f32_e32 v32, v32, v35
	s_delay_alu instid0(VALU_DEP_1) | instskip(NEXT) | instid1(VALU_DEP_1)
	v_dual_sub_f32 v28, v28, v30 :: v_dual_add_f32 v25, v25, v32
	v_add_f32_e32 v25, v28, v25
	s_delay_alu instid0(VALU_DEP_1) | instskip(NEXT) | instid1(VALU_DEP_1)
	v_add_f32_e32 v28, v36, v25
	v_mul_f32_e32 v30, v27, v28
	s_delay_alu instid0(VALU_DEP_1) | instskip(NEXT) | instid1(VALU_DEP_1)
	v_dual_sub_f32 v35, v36, v28 :: v_dual_mul_f32 v32, v31, v30
	v_add_f32_e32 v25, v25, v35
	s_delay_alu instid0(VALU_DEP_2) | instskip(NEXT) | instid1(VALU_DEP_1)
	v_fma_f32 v31, v30, v31, -v32
	v_fmac_f32_e32 v31, v30, v29
	s_delay_alu instid0(VALU_DEP_1) | instskip(NEXT) | instid1(VALU_DEP_1)
	v_add_f32_e32 v29, v32, v31
	v_sub_f32_e32 v34, v28, v29
	s_delay_alu instid0(VALU_DEP_1) | instskip(NEXT) | instid1(VALU_DEP_1)
	v_sub_f32_e32 v28, v28, v34
	v_sub_f32_e32 v28, v28, v29
	s_delay_alu instid0(VALU_DEP_1) | instskip(SKIP_2) | instid1(VALU_DEP_1)
	v_add_f32_e32 v25, v25, v28
	v_add_f32_e32 v28, v33, v30
	v_sub_f32_e32 v32, v29, v32
	v_sub_f32_e32 v29, v32, v31
	s_delay_alu instid0(VALU_DEP_1) | instskip(NEXT) | instid1(VALU_DEP_4)
	v_add_f32_e32 v25, v29, v25
	v_sub_f32_e32 v29, v28, v33
	s_delay_alu instid0(VALU_DEP_2) | instskip(NEXT) | instid1(VALU_DEP_2)
	v_add_f32_e32 v25, v34, v25
	v_sub_f32_e32 v29, v30, v29
	s_delay_alu instid0(VALU_DEP_2) | instskip(NEXT) | instid1(VALU_DEP_1)
	v_mul_f32_e32 v25, v27, v25
	v_add_f32_e32 v25, v29, v25
	s_delay_alu instid0(VALU_DEP_1) | instskip(NEXT) | instid1(VALU_DEP_1)
	v_add_f32_e32 v27, v28, v25
	v_mul_f32_e32 v29, v27, v27
	s_delay_alu instid0(VALU_DEP_1) | instskip(SKIP_1) | instid1(VALU_DEP_2)
	v_fmaak_f32 v30, s54, v29, 0x3ecc95a3
	v_mul_f32_e32 v31, v27, v29
	v_fmaak_f32 v29, v29, v30, 0x3f2aaada
	v_ldexp_f32 v30, v27, 1
	s_delay_alu instid0(VALU_DEP_2) | instskip(SKIP_1) | instid1(VALU_DEP_2)
	v_mul_f32_e32 v29, v31, v29
	v_sub_f32_e32 v27, v27, v28
	v_dual_mul_f32 v31, 0x3f317218, v24 :: v_dual_add_f32 v28, v30, v29
	s_delay_alu instid0(VALU_DEP_2) | instskip(NEXT) | instid1(VALU_DEP_2)
	v_sub_f32_e32 v25, v25, v27
	v_sub_f32_e32 v27, v28, v30
	s_delay_alu instid0(VALU_DEP_3) | instskip(NEXT) | instid1(VALU_DEP_3)
	v_fma_f32 v30, 0x3f317218, v24, -v31
	v_ldexp_f32 v25, v25, 1
	s_delay_alu instid0(VALU_DEP_2) | instskip(NEXT) | instid1(VALU_DEP_1)
	v_dual_sub_f32 v27, v29, v27 :: v_dual_fmac_f32 v30, 0xb102e308, v24
	v_dual_add_f32 v24, v25, v27 :: v_dual_add_f32 v25, v31, v30
	s_delay_alu instid0(VALU_DEP_1) | instskip(NEXT) | instid1(VALU_DEP_1)
	v_add_f32_e32 v27, v28, v24
	v_dual_add_f32 v29, v25, v27 :: v_dual_sub_f32 v28, v27, v28
	s_delay_alu instid0(VALU_DEP_1) | instskip(NEXT) | instid1(VALU_DEP_2)
	v_sub_f32_e32 v32, v29, v25
	v_dual_sub_f32 v31, v25, v31 :: v_dual_sub_f32 v24, v24, v28
	s_delay_alu instid0(VALU_DEP_1) | instskip(SKIP_1) | instid1(VALU_DEP_2)
	v_dual_sub_f32 v33, v29, v32 :: v_dual_sub_f32 v30, v30, v31
	v_sub_f32_e32 v27, v27, v32
	v_dual_sub_f32 v25, v25, v33 :: v_dual_add_f32 v28, v30, v24
	s_delay_alu instid0(VALU_DEP_1) | instskip(NEXT) | instid1(VALU_DEP_2)
	v_add_f32_e32 v25, v27, v25
	v_sub_f32_e32 v27, v28, v30
	s_delay_alu instid0(VALU_DEP_2) | instskip(NEXT) | instid1(VALU_DEP_2)
	v_add_f32_e32 v25, v28, v25
	v_sub_f32_e32 v28, v28, v27
	s_delay_alu instid0(VALU_DEP_2) | instskip(NEXT) | instid1(VALU_DEP_1)
	v_dual_sub_f32 v24, v24, v27 :: v_dual_add_f32 v31, v29, v25
	v_dual_sub_f32 v28, v30, v28 :: v_dual_sub_f32 v27, v31, v29
	s_delay_alu instid0(VALU_DEP_1) | instskip(NEXT) | instid1(VALU_DEP_1)
	v_dual_add_f32 v24, v24, v28 :: v_dual_sub_f32 v25, v25, v27
	v_add_f32_e32 v24, v24, v25
	s_delay_alu instid0(VALU_DEP_1) | instskip(NEXT) | instid1(VALU_DEP_1)
	v_add_f32_e32 v24, v31, v24
	v_cndmask_b32_e32 v106, v24, v26, vcc_lo
.LBB25_52:                              ;   in Loop: Header=BB25_12 Depth=1
	s_or_b32 exec_lo, exec_lo, s16
	v_and_b32_e32 v31, 0xffff0000, v23
	v_lshlrev_b32_e32 v30, 16, v16
	v_and_b32_e32 v38, 0xffff0000, v20
	v_and_b32_e32 v36, 0xffff0000, v21
	v_lshlrev_b32_e32 v39, 16, v20
	v_dual_mul_f32 v95, s58, v31 :: v_dual_lshlrev_b32 v28, 16, v17
	v_mul_f32_e32 v91, s58, v30
	v_and_b32_e32 v27, 0xffff0000, v17
	v_mul_f32_e32 v103, s58, v38
	v_dual_mul_f32 v100, s58, v36 :: v_dual_lshlrev_b32 v35, 16, v22
	v_mul_f32_e32 v88, s58, v28
	s_delay_alu instid0(VALU_DEP_4) | instskip(SKIP_1) | instid1(VALU_DEP_4)
	v_dual_mul_f32 v89, s58, v27 :: v_dual_lshlrev_b32 v26, 16, v18
	v_lshlrev_b32_e32 v24, 16, v19
	v_dual_mul_f32 v98, s58, v35 :: v_dual_lshlrev_b32 v37, 16, v21
	s_delay_alu instid0(VALU_DEP_3) | instskip(NEXT) | instid1(VALU_DEP_3)
	v_mul_f32_e32 v85, s58, v26
	v_dual_mul_f32 v84, s58, v24 :: v_dual_and_b32 v25, 0xffff0000, v18
	s_delay_alu instid0(VALU_DEP_3) | instskip(NEXT) | instid1(VALU_DEP_2)
	v_dual_mul_f32 v99, s58, v37 :: v_dual_lshlrev_b32 v32, 16, v23
	v_dual_mul_f32 v86, s58, v25 :: v_dual_and_b32 v29, 0xffff0000, v16
	s_delay_alu instid0(VALU_DEP_2) | instskip(SKIP_1) | instid1(VALU_DEP_3)
	v_dual_mul_f32 v94, s58, v32 :: v_dual_and_b32 v33, 0xffff0000, v22
	v_and_b32_e32 v34, 0xffff0000, v19
	v_mul_f32_e32 v92, s58, v29
	s_delay_alu instid0(VALU_DEP_3) | instskip(SKIP_1) | instid1(VALU_DEP_3)
	v_dual_mul_f32 v102, s58, v39 :: v_dual_mul_f32 v97, s58, v33
	s_lshl_b32 s38, s72, 11
	v_mul_f32_e32 v87, s58, v34
	s_and_b32 vcc_lo, exec_lo, s68
	s_barrier
	buffer_gl0_inv
	s_cbranch_vccz .LBB25_86
; %bb.53:                               ;   in Loop: Header=BB25_12 Depth=1
	v_dual_mul_f32 v107, v106, v34 :: v_dual_mul_f32 v112, v105, v24
	v_add_co_u32 v34, s14, s49, v73
	s_delay_alu instid0(VALU_DEP_1) | instskip(SKIP_1) | instid1(VALU_DEP_1)
	v_add_co_ci_u32_e64 v40, null, s50, 0, s14
	v_add_co_u32 v41, s14, s37, v73
	v_add_co_ci_u32_e64 v111, null, s62, 0, s14
	s_delay_alu instid0(VALU_DEP_4) | instskip(NEXT) | instid1(VALU_DEP_4)
	v_add_co_u32 v108, vcc_lo, v34, v74
	v_add_co_ci_u32_e32 v109, vcc_lo, 0, v40, vcc_lo
	s_delay_alu instid0(VALU_DEP_4)
	v_add_co_u32 v110, vcc_lo, v41, v74
	s_sub_i32 s26, s34, s38
	v_add_co_ci_u32_e32 v111, vcc_lo, 0, v111, vcc_lo
	v_cmp_gt_u32_e32 vcc_lo, s26, v48
	s_cmp_lg_u32 s72, 0
	v_cmp_gt_u32_e64 s17, s26, v59
	s_cselect_b32 s39, -1, 0
	s_cmp_eq_u32 s72, s70
	v_cmp_gt_u32_e64 s18, s26, v60
	s_cselect_b32 s73, -1, 0
	s_or_b32 s14, s69, vcc_lo
	v_cmp_gt_u32_e32 vcc_lo, s26, v58
	v_cmp_gt_u32_e64 s19, s26, v61
	v_cmp_gt_u32_e64 s20, s26, v62
	;; [unrolled: 1-line block ×4, first 2 shown]
	s_or_b32 s16, s69, vcc_lo
	v_cmp_gt_u32_e32 vcc_lo, s26, v63
	v_cmp_gt_u32_e64 s24, s26, v66
	v_cmp_gt_u32_e64 s25, s26, v67
	;; [unrolled: 1-line block ×4, first 2 shown]
	s_or_b32 s21, s69, vcc_lo
	v_cmp_gt_u32_e32 vcc_lo, s26, v68
	v_cmp_gt_u32_e64 s29, s26, v71
	v_cmp_gt_u32_e64 s30, s26, v72
	v_dual_mul_f32 v113, v104, v25 :: v_dual_mul_f32 v114, v101, v26
	v_dual_mul_f32 v115, v96, v27 :: v_dual_mul_f32 v116, v93, v28
	;; [unrolled: 1-line block ×7, first 2 shown]
	s_mov_b32 s52, 0
	s_or_b32 s17, s69, s17
	s_or_b32 s18, s69, s18
	;; [unrolled: 1-line block ×8, first 2 shown]
	s_or_b32 s26, s69, vcc_lo
	s_or_b32 s27, s69, s27
	s_or_b32 s28, s69, s28
	s_or_b32 s29, s69, s29
	s_or_b32 s30, s69, s30
	s_mov_b32 s40, s52
	s_mov_b32 s42, s52
	;; [unrolled: 1-line block ×5, first 2 shown]
	s_branch .LBB25_55
.LBB25_54:                              ;   in Loop: Header=BB25_55 Depth=2
	s_or_b32 exec_lo, exec_lo, s31
	v_cndmask_b32_e64 v33, v156, v35, s15
	v_cndmask_b32_e64 v34, v155, v34, s15
	s_add_i32 s74, s74, -1
	s_add_i32 s75, s75, 8
	s_add_i32 s46, s46, s63
	v_fma_f32 v33, v33, v130, v129
	v_mul_f32_e32 v34, v34, v130
	s_add_i32 s42, s42, s36
	s_add_i32 s40, s40, s48
	;; [unrolled: 1-line block ×3, first 2 shown]
	v_cndmask_b32_e64 v33, v33, v129, s13
	v_cndmask_b32_e64 v34, v34, v130, s13
	s_cmp_eq_u32 s74, 0
	v_and_b32_e32 v35, 0xffff0000, v30
	s_waitcnt lgkmcnt(0)
	s_delay_alu instid0(VALU_DEP_2) | instskip(SKIP_1) | instid1(VALU_DEP_2)
	v_dual_fmac_f32 v33, v32, v34 :: v_dual_and_b32 v32, 0xffff0000, v28
	v_lshlrev_b32_e32 v28, 16, v28
	v_fmac_f32_e32 v36, v33, v132
	s_delay_alu instid0(VALU_DEP_1) | instskip(NEXT) | instid1(VALU_DEP_1)
	v_fmac_f32_e32 v37, v36, v133
	v_fmac_f32_e32 v38, v37, v135
	s_delay_alu instid0(VALU_DEP_1) | instskip(SKIP_3) | instid1(VALU_DEP_4)
	v_dual_fmac_f32 v102, v33, v28 :: v_dual_fmac_f32 v39, v38, v138
	v_dual_fmac_f32 v103, v36, v32 :: v_dual_and_b32 v34, 0xffff0000, v29
	v_lshlrev_b32_e32 v29, 16, v29
	v_and_b32_e32 v40, 0xffff0000, v31
	v_fmac_f32_e32 v127, v39, v139
	v_lshlrev_b32_e32 v31, 16, v31
	s_delay_alu instid0(VALU_DEP_4) | instskip(NEXT) | instid1(VALU_DEP_3)
	v_dual_fmac_f32 v99, v37, v29 :: v_dual_and_b32 v130, 0xffff0000, v26
	v_dual_fmac_f32 v100, v38, v34 :: v_dual_fmac_f32 v97, v127, v35
	v_fmac_f32_e32 v128, v127, v140
	s_delay_alu instid0(VALU_DEP_1) | instskip(SKIP_1) | instid1(VALU_DEP_2)
	v_dual_fmac_f32 v131, v128, v141 :: v_dual_and_b32 v132, 0xffff0000, v27
	v_lshlrev_b32_e32 v27, 16, v27
	v_fmac_f32_e32 v134, v131, v143
	v_fmac_f32_e32 v95, v131, v40
	s_delay_alu instid0(VALU_DEP_2) | instskip(NEXT) | instid1(VALU_DEP_1)
	v_fmac_f32_e32 v136, v134, v144
	v_dual_fmac_f32 v137, v136, v145 :: v_dual_lshlrev_b32 v30, 16, v30
	s_delay_alu instid0(VALU_DEP_1) | instskip(SKIP_1) | instid1(VALU_DEP_2)
	v_dual_fmac_f32 v142, v137, v153 :: v_dual_and_b32 v41, 0xffff0000, v24
	v_and_b32_e32 v129, 0xffff0000, v25
	v_dual_fmac_f32 v146, v142, v148 :: v_dual_lshlrev_b32 v25, 16, v25
	s_delay_alu instid0(VALU_DEP_1) | instskip(SKIP_1) | instid1(VALU_DEP_2)
	v_dual_fmac_f32 v147, v146, v150 :: v_dual_lshlrev_b32 v24, 16, v24
	v_lshlrev_b32_e32 v26, 16, v26
	v_dual_fmac_f32 v98, v39, v30 :: v_dual_fmac_f32 v91, v134, v24
	s_delay_alu instid0(VALU_DEP_3) | instskip(SKIP_1) | instid1(VALU_DEP_4)
	v_dual_fmac_f32 v89, v142, v129 :: v_dual_fmac_f32 v86, v147, v130
	v_dual_fmac_f32 v149, v147, v152 :: v_dual_fmac_f32 v94, v128, v31
	;; [unrolled: 1-line block ×3, first 2 shown]
	s_delay_alu instid0(VALU_DEP_2) | instskip(SKIP_1) | instid1(VALU_DEP_2)
	v_fmac_f32_e32 v151, v149, v154
	v_fmac_f32_e32 v88, v137, v25
	v_dual_fmac_f32 v84, v149, v27 :: v_dual_fmac_f32 v87, v151, v132
	s_cbranch_scc1 .LBB25_86
.LBB25_55:                              ;   Parent Loop BB25_12 Depth=1
                                        ; =>  This Inner Loop Header: Depth=2
	s_lshl_b64 s[76:77], s[52:53], 2
	s_mov_b32 s41, s53
	s_add_u32 s76, s60, s76
	s_addc_u32 s77, s61, s77
	s_lshl_b64 s[78:79], s[40:41], 1
	s_mov_b32 s43, s53
	v_add_co_u32 v28, vcc_lo, v108, s78
	v_add_co_ci_u32_e32 v29, vcc_lo, s79, v109, vcc_lo
	s_lshl_b64 s[78:79], s[42:43], 1
	s_clause 0x1
	global_load_b128 v[24:27], v[28:29], off
	global_load_b128 v[28:31], v[28:29], off offset:512
	v_add_co_u32 v32, vcc_lo, v110, s78
	v_add_co_ci_u32_e32 v33, vcc_lo, s79, v111, vcc_lo
	global_load_b32 v127, v42, s[76:77]
	s_and_not1_b32 vcc_lo, exec_lo, s39
	s_waitcnt vmcnt(2)
	ds_store_b128 v43, v[24:27]
	s_waitcnt vmcnt(1)
	ds_store_b128 v44, v[28:31] offset:512
	; wave barrier
	s_clause 0x1
	global_load_b128 v[24:27], v[32:33], off
	global_load_b128 v[28:31], v[32:33], off offset:512
	ds_load_b128 v[36:39], v45
	ds_load_b128 v[32:35], v45 offset:16
	s_waitcnt vmcnt(1)
	ds_store_b128 v43, v[24:27] offset:4224
	s_waitcnt vmcnt(0)
	ds_store_b128 v46, v[28:31] offset:512
	; wave barrier
	ds_load_b128 v[28:31], v45 offset:4224
	ds_load_b128 v[24:27], v47 offset:16
	s_cbranch_vccnz .LBB25_57
; %bb.56:                               ;   in Loop: Header=BB25_55 Depth=2
	v_mov_b32_e32 v40, s75
	ds_load_b64 v[40:41], v40
	s_cbranch_execz .LBB25_58
	s_branch .LBB25_61
.LBB25_57:                              ;   in Loop: Header=BB25_55 Depth=2
                                        ; implicit-def: $vgpr40
.LBB25_58:                              ;   in Loop: Header=BB25_55 Depth=2
	s_waitcnt lgkmcnt(0)
	v_mov_b32_e32 v41, 0
	s_and_not1_b32 vcc_lo, exec_lo, s56
	s_cbranch_vccnz .LBB25_60
; %bb.59:                               ;   in Loop: Header=BB25_55 Depth=2
	s_mov_b32 s47, s53
	s_delay_alu instid0(SALU_CYCLE_1) | instskip(NEXT) | instid1(SALU_CYCLE_1)
	s_lshl_b64 s[76:77], s[46:47], 1
	s_add_u32 s76, s64, s76
	s_addc_u32 s77, s65, s77
	global_load_u16 v40, v42, s[76:77]
	s_waitcnt vmcnt(0)
	v_lshlrev_b32_e32 v41, 16, v40
.LBB25_60:                              ;   in Loop: Header=BB25_55 Depth=2
	v_mov_b32_e32 v40, 1.0
.LBB25_61:                              ;   in Loop: Header=BB25_55 Depth=2
	s_waitcnt lgkmcnt(5)
	v_dual_mul_f32 v149, 0x3fb8aa3b, v127 :: v_dual_lshlrev_b32 v128, 16, v37
	v_lshlrev_b32_e32 v127, 16, v36
	v_and_b32_e32 v36, 0xffff0000, v36
	v_and_b32_e32 v131, 0xffff0000, v37
	s_delay_alu instid0(VALU_DEP_4) | instskip(SKIP_3) | instid1(VALU_DEP_3)
	v_dual_mul_f32 v37, v149, v75 :: v_dual_and_b32 v136, 0xffff0000, v38
	v_mul_f32_e32 v130, v149, v78
	s_waitcnt lgkmcnt(4)
	v_dual_mul_f32 v127, v126, v127 :: v_dual_lshlrev_b32 v142, 16, v32
	v_cmp_gt_f32_e32 vcc_lo, 0xc2fc0000, v37
	v_dual_mul_f32 v143, v149, v93 :: v_dual_lshlrev_b32 v146, 16, v34
	s_delay_alu instid0(VALU_DEP_3)
	v_mul_f32_e32 v142, v118, v142
	v_mul_f32_e32 v152, v149, v104
	v_cndmask_b32_e64 v37, 0, 0x42800000, vcc_lo
	v_lshlrev_b32_e32 v134, 16, v38
	v_mul_f32_e32 v38, v149, v76
	v_cndmask_b32_e64 v129, 1.0, 0x1f800000, vcc_lo
	v_mul_f32_e32 v154, v149, v106
	v_fmac_f32_e32 v37, v149, v75
	v_mul_f32_e32 v36, v125, v36
	v_cmp_gt_f32_e64 s31, 0xc2fc0000, v38
	v_mul_f32_e32 v128, v124, v128
	s_delay_alu instid0(VALU_DEP_4) | instskip(SKIP_1) | instid1(VALU_DEP_3)
	v_exp_f32_e32 v37, v37
	v_and_b32_e32 v140, 0xffff0000, v39
	v_cndmask_b32_e64 v38, 0, 0x42800000, s31
	v_lshlrev_b32_e32 v137, 16, v39
	v_mul_f32_e32 v39, v149, v77
	v_mul_f32_e32 v136, v121, v136
	v_cndmask_b32_e64 v36, 0, v36, s16
	v_fmac_f32_e32 v38, v149, v76
	v_mul_f32_e32 v141, v149, v83
	v_cmp_gt_f32_e32 vcc_lo, 0xc2fc0000, v39
	v_mul_f32_e32 v37, v37, v129
	v_cndmask_b32_e64 v129, 0, v127, s14
	v_exp_f32_e32 v38, v38
	v_cndmask_b32_e64 v127, 1.0, 0x1f800000, s31
	v_cndmask_b32_e64 v39, 0, 0x42800000, vcc_lo
	v_cmp_gt_f32_e64 s31, 0xc2fc0000, v130
	v_and_b32_e32 v32, 0xffff0000, v32
	v_lshlrev_b32_e32 v144, 16, v33
	v_cndmask_b32_e64 v130, 1.0, v37, s14
	v_fmac_f32_e32 v39, v149, v77
	v_cndmask_b32_e64 v132, 0, 0x42800000, s31
	v_lshlrev_b32_e32 v151, 16, v35
	v_mul_f32_e32 v37, v38, v127
	v_and_b32_e32 v35, 0xffff0000, v35
	v_exp_f32_e32 v38, v39
	v_fmac_f32_e32 v132, v149, v78
	v_mul_f32_e32 v39, v149, v79
	v_cndmask_b32_e64 v127, 1.0, 0x1f800000, vcc_lo
	v_dual_mul_f32 v32, v117, v32 :: v_dual_and_b32 v33, 0xffff0000, v33
	v_mul_f32_e32 v151, v112, v151
	v_exp_f32_e32 v135, v132
	v_cmp_gt_f32_e32 vcc_lo, 0xc2fc0000, v39
	v_cndmask_b32_e64 v132, 1.0, v37, s16
	s_delay_alu instid0(TRANS32_DEP_2)
	v_mul_f32_e32 v38, v38, v127
	v_cndmask_b32_e64 v127, 1.0, 0x1f800000, s31
	v_cndmask_b32_e64 v37, 0, v128, s17
	v_cndmask_b32_e64 v39, 0, 0x42800000, vcc_lo
	v_mul_f32_e32 v128, v149, v80
	v_and_b32_e32 v34, 0xffff0000, v34
	v_cndmask_b32_e64 v133, 1.0, v38, s17
	v_mul_f32_e32 v127, v135, v127
	v_fmac_f32_e32 v39, v149, v79
	v_cmp_gt_f32_e64 s31, 0xc2fc0000, v128
	v_dual_mul_f32 v38, v123, v131 :: v_dual_mul_f32 v131, v149, v81
	s_delay_alu instid0(VALU_DEP_4) | instskip(NEXT) | instid1(VALU_DEP_4)
	v_cndmask_b32_e64 v135, 1.0, v127, s18
	v_exp_f32_e32 v39, v39
	s_delay_alu instid0(VALU_DEP_3)
	v_cndmask_b32_e64 v128, 0, 0x42800000, s31
	v_cndmask_b32_e64 v127, 1.0, 0x1f800000, vcc_lo
	v_cmp_gt_f32_e32 vcc_lo, 0xc2fc0000, v131
	v_cndmask_b32_e64 v139, 1.0, 0x1f800000, s31
	v_fma_f32 v150, v132, v129, v36
	v_fmac_f32_e32 v128, v149, v80
	v_mul_f32_e32 v34, v113, v34
	v_cndmask_b32_e64 v131, 0, 0x42800000, vcc_lo
	v_mul_f32_e32 v33, v115, v33
	v_mul_f32_e32 v127, v39, v127
	v_exp_f32_e32 v128, v128
	v_mul_f32_e32 v39, v122, v134
	v_fmac_f32_e32 v131, v149, v81
	v_cndmask_b32_e64 v38, 0, v38, s18
	v_dual_mul_f32 v35, v107, v35 :: v_dual_mul_f32 v146, v114, v146
	s_delay_alu instid0(VALU_DEP_4)
	v_cndmask_b32_e64 v39, 0, v39, s19
	s_waitcnt_depctr 0xfff
	v_mul_f32_e32 v128, v128, v139
	v_exp_f32_e32 v131, v131
	v_mul_f32_e32 v138, v149, v82
	v_cndmask_b32_e64 v146, 0, v146, s27
	s_delay_alu instid0(VALU_DEP_3) | instskip(SKIP_1) | instid1(VALU_DEP_4)
	v_cndmask_b32_e64 v139, 1.0, v128, s20
	v_mul_f32_e32 v128, v120, v137
	v_cmp_gt_f32_e64 s33, 0xc2fc0000, v138
	v_cndmask_b32_e64 v138, 1.0, v127, s19
	v_cndmask_b32_e64 v127, 0, v136, s20
	v_cndmask_b32_e64 v136, 1.0, 0x1f800000, vcc_lo
	v_cmp_gt_f32_e32 vcc_lo, 0xc2fc0000, v141
	v_cndmask_b32_e64 v134, 0, 0x42800000, s33
	v_mul_f32_e32 v141, v119, v140
	v_cndmask_b32_e64 v128, 0, v128, s21
	v_mul_f32_e32 v131, v131, v136
	v_cndmask_b32_e64 v136, 1.0, 0x1f800000, s33
	v_fmac_f32_e32 v134, v149, v82
	v_cndmask_b32_e64 v137, 0, 0x42800000, vcc_lo
	v_cmp_gt_f32_e64 s33, 0xc2fc0000, v143
	v_cndmask_b32_e64 v140, 1.0, v131, s21
	v_cndmask_b32_e64 v131, 0, v141, s22
	v_exp_f32_e32 v134, v134
	v_fmac_f32_e32 v137, v149, v83
	v_cndmask_b32_e64 v145, 1.0, 0x1f800000, vcc_lo
	s_waitcnt_depctr 0xfff
	v_mul_f32_e32 v134, v134, v136
	v_mul_f32_e32 v136, v149, v90
	s_delay_alu instid0(VALU_DEP_2) | instskip(NEXT) | instid1(VALU_DEP_2)
	v_cndmask_b32_e64 v141, 1.0, v134, s22
	v_cmp_gt_f32_e64 s31, 0xc2fc0000, v136
	v_exp_f32_e32 v134, v137
	v_cndmask_b32_e64 v137, 0, 0x42800000, s33
	s_delay_alu instid0(VALU_DEP_2) | instskip(NEXT) | instid1(VALU_DEP_2)
	v_cndmask_b32_e64 v136, 0, 0x42800000, s31
	v_fmac_f32_e32 v137, v149, v93
	s_delay_alu instid0(VALU_DEP_2) | instskip(NEXT) | instid1(VALU_DEP_1)
	v_fmac_f32_e32 v136, v149, v90
	v_exp_f32_e32 v136, v136
	v_mul_f32_e32 v143, v149, v96
	s_delay_alu instid0(VALU_DEP_1) | instskip(NEXT) | instid1(TRANS32_DEP_2)
	v_cmp_gt_f32_e32 vcc_lo, 0xc2fc0000, v143
	v_mul_f32_e32 v143, v134, v145
	v_cndmask_b32_e64 v134, 0, v142, s23
	v_cndmask_b32_e64 v142, 1.0, 0x1f800000, s31
	v_cndmask_b32_e64 v145, 1.0, 0x1f800000, s33
	v_cndmask_b32_e64 v147, 0, 0x42800000, vcc_lo
	v_cndmask_b32_e64 v148, 1.0, 0x1f800000, vcc_lo
	v_cmp_gt_f32_e64 s31, 0xc2fc0000, v152
	v_mul_f32_e32 v142, v136, v142
	v_cndmask_b32_e64 v136, 0, v32, s24
	v_fmac_f32_e32 v147, v149, v96
	v_mul_f32_e32 v32, v116, v144
	v_exp_f32_e32 v137, v137
	v_cndmask_b32_e64 v144, 1.0, v142, s24
	v_mul_f32_e32 v142, v149, v101
	v_exp_f32_e32 v147, v147
	v_cndmask_b32_e64 v152, 1.0, 0x1f800000, s31
	v_cndmask_b32_e64 v143, 1.0, v143, s23
	s_delay_alu instid0(VALU_DEP_3) | instskip(SKIP_1) | instid1(TRANS32_DEP_2)
	v_cmp_gt_f32_e32 vcc_lo, 0xc2fc0000, v142
	v_cndmask_b32_e64 v142, 0, v33, s26
	v_mul_f32_e32 v145, v137, v145
	v_cndmask_b32_e64 v137, 0, v32, s25
	s_delay_alu instid0(TRANS32_DEP_1) | instskip(SKIP_3) | instid1(VALU_DEP_4)
	v_mul_f32_e32 v32, v147, v148
	v_cndmask_b32_e64 v147, 0, 0x42800000, vcc_lo
	v_mul_f32_e32 v148, v132, v130
	v_cndmask_b32_e64 v145, 1.0, v145, s25
	v_cndmask_b32_e64 v153, 1.0, v32, s26
	s_delay_alu instid0(VALU_DEP_4) | instskip(NEXT) | instid1(VALU_DEP_4)
	v_fmac_f32_e32 v147, v149, v101
	v_mul_f32_e32 v33, v148, v133
	v_fma_f32 v148, v150, v133, v37
	v_cndmask_b32_e64 v150, 0, 0x42800000, s31
	v_cndmask_b32_e64 v32, 1.0, 0x1f800000, vcc_lo
	v_exp_f32_e32 v147, v147
	v_mul_f32_e32 v33, v33, v135
	v_fma_f32 v148, v148, v135, v38
	v_fmac_f32_e32 v150, v149, v104
	v_cmp_gt_f32_e64 s31, 0xc2fc0000, v154
	s_delay_alu instid0(VALU_DEP_3) | instskip(NEXT) | instid1(VALU_DEP_3)
	v_fma_f32 v148, v148, v138, v39
	v_exp_f32_e32 v150, v150
	s_delay_alu instid0(TRANS32_DEP_2) | instskip(NEXT) | instid1(VALU_DEP_2)
	v_dual_mul_f32 v32, v147, v32 :: v_dual_mul_f32 v33, v33, v138
	v_fma_f32 v147, v148, v139, v127
	s_delay_alu instid0(VALU_DEP_2) | instskip(SKIP_2) | instid1(VALU_DEP_1)
	v_cndmask_b32_e64 v148, 1.0, v32, s27
	s_waitcnt_depctr 0xfff
	v_dual_mul_f32 v150, v150, v152 :: v_dual_mul_f32 v33, v33, v139
	v_cndmask_b32_e64 v150, 1.0, v150, s28
	s_delay_alu instid0(VALU_DEP_2) | instskip(SKIP_1) | instid1(VALU_DEP_2)
	v_mul_f32_e32 v32, v33, v140
	v_fma_f32 v33, v147, v140, v128
	v_mul_f32_e32 v32, v32, v141
	v_mul_f32_e32 v147, v149, v105
	s_delay_alu instid0(VALU_DEP_3) | instskip(NEXT) | instid1(VALU_DEP_3)
	v_fma_f32 v33, v33, v141, v131
	v_mul_f32_e32 v32, v32, v143
	s_delay_alu instid0(VALU_DEP_3) | instskip(NEXT) | instid1(VALU_DEP_3)
	v_cmp_gt_f32_e32 vcc_lo, 0xc2fc0000, v147
	v_fma_f32 v33, v33, v143, v134
	v_cndmask_b32_e64 v147, 0, v34, s28
	v_cndmask_b32_e64 v34, 0, 0x42800000, s31
	v_mul_f32_e32 v32, v32, v144
	v_cndmask_b32_e64 v152, 0, 0x42800000, vcc_lo
	v_fma_f32 v33, v33, v144, v136
	s_delay_alu instid0(VALU_DEP_4) | instskip(NEXT) | instid1(VALU_DEP_4)
	v_fmac_f32_e32 v34, v149, v106
	v_mul_f32_e32 v32, v32, v145
	s_delay_alu instid0(VALU_DEP_4) | instskip(NEXT) | instid1(VALU_DEP_4)
	v_fmac_f32_e32 v152, v149, v105
	v_fma_f32 v33, v33, v145, v137
	v_cndmask_b32_e64 v149, 1.0, 0x1f800000, vcc_lo
	v_exp_f32_e32 v34, v34
	v_mul_f32_e32 v32, v32, v153
	v_exp_f32_e32 v152, v152
	v_fma_f32 v33, v33, v153, v142
	s_delay_alu instid0(VALU_DEP_2) | instskip(NEXT) | instid1(VALU_DEP_2)
	v_mul_f32_e32 v32, v32, v148
	v_fma_f32 v33, v33, v148, v146
	s_delay_alu instid0(VALU_DEP_2)
	v_mul_f32_e32 v32, v32, v150
	s_waitcnt_depctr 0xfff
	v_mul_f32_e32 v152, v152, v149
	v_cndmask_b32_e64 v149, 0, v151, s29
	v_cndmask_b32_e64 v151, 1.0, 0x1f800000, s31
	v_fma_f32 v33, v33, v150, v147
	s_delay_alu instid0(VALU_DEP_4) | instskip(NEXT) | instid1(VALU_DEP_3)
	v_cndmask_b32_e64 v152, 1.0, v152, s29
	v_mul_f32_e32 v34, v34, v151
	v_cndmask_b32_e64 v151, 0, v35, s30
	s_delay_alu instid0(VALU_DEP_3) | instskip(SKIP_1) | instid1(VALU_DEP_4)
	v_mul_f32_e32 v32, v32, v152
	v_fma_f32 v33, v33, v152, v149
	v_cndmask_b32_e64 v154, 1.0, v34, s30
	s_delay_alu instid0(VALU_DEP_1) | instskip(NEXT) | instid1(VALU_DEP_3)
	v_mul_f32_e32 v32, v32, v154
	v_fma_f32 v33, v33, v154, v151
	s_delay_alu instid0(VALU_DEP_2) | instskip(NEXT) | instid1(VALU_DEP_2)
	v_mov_b32_dpp v35, v32 row_shr:1 row_mask:0xf bank_mask:0xf
	v_mov_b32_dpp v34, v33 row_shr:1 row_mask:0xf bank_mask:0xf
	s_and_saveexec_b32 s31, s2
; %bb.62:                               ;   in Loop: Header=BB25_55 Depth=2
	s_delay_alu instid0(VALU_DEP_2) | instskip(NEXT) | instid1(VALU_DEP_1)
	v_mul_f32_e32 v35, v32, v35
	v_dual_fmac_f32 v33, v32, v34 :: v_dual_mov_b32 v32, v35
; %bb.63:                               ;   in Loop: Header=BB25_55 Depth=2
	s_or_b32 exec_lo, exec_lo, s31
	s_delay_alu instid0(VALU_DEP_1) | instskip(NEXT) | instid1(VALU_DEP_2)
	v_mov_b32_dpp v34, v32 row_shr:2 row_mask:0xf bank_mask:0xf
	v_mov_b32_dpp v35, v33 row_shr:2 row_mask:0xf bank_mask:0xf
	s_and_saveexec_b32 s31, s3
; %bb.64:                               ;   in Loop: Header=BB25_55 Depth=2
	s_delay_alu instid0(VALU_DEP_1) | instskip(NEXT) | instid1(VALU_DEP_3)
	v_fmac_f32_e32 v33, v32, v35
	v_mul_f32_e32 v32, v32, v34
; %bb.65:                               ;   in Loop: Header=BB25_55 Depth=2
	s_or_b32 exec_lo, exec_lo, s31
	s_delay_alu instid0(VALU_DEP_1) | instskip(NEXT) | instid1(VALU_DEP_3)
	v_mov_b32_dpp v34, v32 row_shr:4 row_mask:0xf bank_mask:0xf
	v_mov_b32_dpp v35, v33 row_shr:4 row_mask:0xf bank_mask:0xf
	s_and_saveexec_b32 s31, s4
; %bb.66:                               ;   in Loop: Header=BB25_55 Depth=2
	s_delay_alu instid0(VALU_DEP_1) | instskip(NEXT) | instid1(VALU_DEP_3)
	v_fmac_f32_e32 v33, v32, v35
	v_mul_f32_e32 v32, v32, v34
; %bb.67:                               ;   in Loop: Header=BB25_55 Depth=2
	s_or_b32 exec_lo, exec_lo, s31
	s_delay_alu instid0(VALU_DEP_1) | instskip(NEXT) | instid1(VALU_DEP_3)
	v_mov_b32_dpp v34, v32 row_shr:8 row_mask:0xf bank_mask:0xf
	v_mov_b32_dpp v35, v33 row_shr:8 row_mask:0xf bank_mask:0xf
	s_and_saveexec_b32 s31, s5
; %bb.68:                               ;   in Loop: Header=BB25_55 Depth=2
	s_delay_alu instid0(VALU_DEP_1) | instskip(NEXT) | instid1(VALU_DEP_3)
	v_fmac_f32_e32 v33, v32, v35
	v_mul_f32_e32 v32, v32, v34
; %bb.69:                               ;   in Loop: Header=BB25_55 Depth=2
	s_or_b32 exec_lo, exec_lo, s31
	ds_swizzle_b32 v35, v32 offset:swizzle(BROADCAST,32,15)
	ds_swizzle_b32 v34, v33 offset:swizzle(BROADCAST,32,15)
	s_and_saveexec_b32 s31, s6
	s_cbranch_execz .LBB25_71
; %bb.70:                               ;   in Loop: Header=BB25_55 Depth=2
	s_waitcnt lgkmcnt(1)
	v_mul_f32_e32 v35, v32, v35
	s_waitcnt lgkmcnt(0)
	s_delay_alu instid0(VALU_DEP_1)
	v_dual_fmac_f32 v33, v32, v34 :: v_dual_mov_b32 v32, v35
.LBB25_71:                              ;   in Loop: Header=BB25_55 Depth=2
	s_or_b32 exec_lo, exec_lo, s31
	s_and_saveexec_b32 s31, s7
	s_cbranch_execz .LBB25_73
; %bb.72:                               ;   in Loop: Header=BB25_55 Depth=2
	ds_store_b64 v49, v[32:33] offset:8448
.LBB25_73:                              ;   in Loop: Header=BB25_55 Depth=2
	s_or_b32 exec_lo, exec_lo, s31
	s_waitcnt lgkmcnt(0)
	s_waitcnt_vscnt null, 0x0
	s_barrier
	buffer_gl0_inv
	s_and_saveexec_b32 s31, s8
	s_cbranch_execz .LBB25_77
; %bb.74:                               ;   in Loop: Header=BB25_55 Depth=2
	ds_load_b64 v[34:35], v50 offset:8448
	s_waitcnt lgkmcnt(0)
	v_mov_b32_dpp v157, v34 row_shr:1 row_mask:0xf bank_mask:0xf
	v_mov_b32_dpp v156, v35 row_shr:1 row_mask:0xf bank_mask:0xf
	v_mov_b32_e32 v155, v34
	s_and_saveexec_b32 s33, s9
; %bb.75:                               ;   in Loop: Header=BB25_55 Depth=2
	s_delay_alu instid0(VALU_DEP_3) | instskip(NEXT) | instid1(VALU_DEP_1)
	v_mul_f32_e32 v155, v34, v157
	v_dual_fmac_f32 v35, v34, v156 :: v_dual_mov_b32 v34, v155
; %bb.76:                               ;   in Loop: Header=BB25_55 Depth=2
	s_or_b32 exec_lo, exec_lo, s33
	v_mov_b32_dpp v155, v155 row_shr:2 row_mask:0xf bank_mask:0xf
	s_delay_alu instid0(VALU_DEP_2) | instskip(NEXT) | instid1(VALU_DEP_2)
	v_mov_b32_dpp v156, v35 row_shr:2 row_mask:0xf bank_mask:0xf
	v_mul_f32_e32 v155, v34, v155
	s_delay_alu instid0(VALU_DEP_2) | instskip(NEXT) | instid1(VALU_DEP_2)
	v_fma_f32 v156, v34, v156, v35
	v_cndmask_b32_e64 v34, v34, v155, s10
	s_delay_alu instid0(VALU_DEP_2)
	v_cndmask_b32_e64 v35, v35, v156, s10
	ds_store_b64 v50, v[34:35] offset:8448
.LBB25_77:                              ;   in Loop: Header=BB25_55 Depth=2
	s_or_b32 exec_lo, exec_lo, s31
	s_waitcnt lgkmcnt(0)
	s_barrier
	buffer_gl0_inv
                                        ; implicit-def: $vgpr35
	s_and_saveexec_b32 s31, s12
	s_cbranch_execz .LBB25_79
; %bb.78:                               ;   in Loop: Header=BB25_55 Depth=2
	ds_load_b64 v[34:35], v49 offset:8440
	s_waitcnt lgkmcnt(0)
	v_mul_f32_e32 v155, v32, v34
	s_delay_alu instid0(VALU_DEP_1)
	v_dual_fmac_f32 v33, v32, v35 :: v_dual_mov_b32 v32, v155
.LBB25_79:                              ;   in Loop: Header=BB25_55 Depth=2
	s_or_b32 exec_lo, exec_lo, s31
	ds_bpermute_b32 v155, v51, v32
	ds_bpermute_b32 v156, v51, v33
	s_and_saveexec_b32 s31, s11
	s_cbranch_execz .LBB25_83
; %bb.80:                               ;   in Loop: Header=BB25_55 Depth=2
	ds_load_b64 v[32:33], v42 offset:8472
	s_and_saveexec_b32 s33, s13
	s_cbranch_execz .LBB25_82
; %bb.81:                               ;   in Loop: Header=BB25_55 Depth=2
	ds_store_b64 v42, v[40:41] offset:8472
.LBB25_82:                              ;   in Loop: Header=BB25_55 Depth=2
	s_or_b32 exec_lo, exec_lo, s33
	s_waitcnt lgkmcnt(0)
	v_fmac_f32_e32 v33, v32, v41
	s_delay_alu instid0(VALU_DEP_1)
	v_dual_mul_f32 v40, v40, v32 :: v_dual_mov_b32 v41, v33
.LBB25_83:                              ;   in Loop: Header=BB25_55 Depth=2
	s_or_b32 exec_lo, exec_lo, s31
	s_waitcnt lgkmcnt(0)
	s_barrier
	buffer_gl0_inv
	ds_load_b32 v32, v42 offset:8476
	s_and_saveexec_b32 s31, s13
	s_cbranch_execz .LBB25_54
; %bb.84:                               ;   in Loop: Header=BB25_55 Depth=2
	v_mov_b32_e32 v33, s75
	s_and_not1_b32 vcc_lo, exec_lo, s73
	ds_store_b64 v33, v[40:41]
	s_cbranch_vccnz .LBB25_54
; %bb.85:                               ;   in Loop: Header=BB25_55 Depth=2
	v_bfe_u32 v33, v41, 16, 1
	v_cmp_o_f32_e32 vcc_lo, v41, v41
	s_mov_b32 s47, s53
	s_delay_alu instid0(SALU_CYCLE_1) | instskip(NEXT) | instid1(VALU_DEP_2)
	s_lshl_b64 s[76:77], s[46:47], 1
	v_add3_u32 v33, v41, v33, 0x7fff
	s_add_u32 s76, s64, s76
	s_addc_u32 s77, s65, s77
	s_delay_alu instid0(VALU_DEP_1) | instskip(NEXT) | instid1(VALU_DEP_1)
	v_lshrrev_b32_e32 v33, 16, v33
	v_cndmask_b32_e32 v33, 0x7fc0, v33, vcc_lo
	global_store_b16 v42, v33, s[76:77]
	s_branch .LBB25_54
.LBB25_86:                              ;   in Loop: Header=BB25_12 Depth=1
	v_bfe_u32 v24, v102, 16, 1
	v_bfe_u32 v25, v103, 16, 1
	v_cmp_o_f32_e32 vcc_lo, v102, v102
	v_bfe_u32 v26, v99, 16, 1
	v_bfe_u32 v28, v97, 16, 1
	v_add3_u32 v24, v102, v24, 0x7fff
	v_add3_u32 v25, v103, v25, 0x7fff
	v_bfe_u32 v31, v94, 16, 1
	v_add3_u32 v26, v99, v26, 0x7fff
	v_bfe_u32 v30, v95, 16, 1
	v_lshrrev_b32_e32 v24, 16, v24
	v_lshrrev_b32_e32 v25, 16, v25
	v_add3_u32 v28, v97, v28, 0x7fff
	v_lshrrev_b32_e32 v26, 16, v26
	v_add3_u32 v31, v94, v31, 0x7fff
	v_cndmask_b32_e32 v24, 0x7fc0, v24, vcc_lo
	v_cmp_o_f32_e32 vcc_lo, v103, v103
	v_add3_u32 v30, v95, v30, 0x7fff
	v_bfe_u32 v27, v100, 16, 1
	v_bfe_u32 v34, v89, 16, 1
	;; [unrolled: 1-line block ×3, first 2 shown]
	v_cndmask_b32_e32 v29, 0x7fc0, v25, vcc_lo
	v_bfe_u32 v25, v98, 16, 1
	v_cmp_o_f32_e32 vcc_lo, v99, v99
	v_lshrrev_b32_e32 v30, 16, v30
	v_add3_u32 v27, v100, v27, 0x7fff
	v_bfe_u32 v36, v87, 16, 1
	v_add3_u32 v25, v98, v25, 0x7fff
	v_cndmask_b32_e32 v32, 0x7fc0, v26, vcc_lo
	v_cmp_o_f32_e32 vcc_lo, v98, v98
	v_lshrrev_b32_e32 v26, 16, v28
	v_lshrrev_b32_e32 v28, 16, v31
	;; [unrolled: 1-line block ×4, first 2 shown]
	v_bfe_u32 v31, v91, 16, 1
	v_add3_u32 v35, v84, v35, 0x7fff
	v_perm_b32 v24, v29, v24, 0x5040100
	v_cndmask_b32_e32 v25, 0x7fc0, v25, vcc_lo
	v_cmp_o_f32_e32 vcc_lo, v94, v94
	s_waitcnt_vscnt null, 0x0
	s_barrier
	buffer_gl0_inv
	s_mov_b32 s39, s53
	v_cndmask_b32_e32 v28, 0x7fc0, v28, vcc_lo
	v_cmp_o_f32_e32 vcc_lo, v95, v95
	s_lshl_b64 s[18:19], s[38:39], 1
	v_cndmask_b32_e32 v30, 0x7fc0, v30, vcc_lo
	v_cmp_o_f32_e32 vcc_lo, v97, v97
	v_cndmask_b32_e32 v26, 0x7fc0, v26, vcc_lo
	v_cmp_o_f32_e32 vcc_lo, v100, v100
	s_delay_alu instid0(VALU_DEP_2)
	v_perm_b32 v26, v26, v25, 0x5040100
	v_cndmask_b32_e32 v33, 0x7fc0, v27, vcc_lo
	v_perm_b32 v27, v30, v28, 0x5040100
	v_add3_u32 v30, v91, v31, 0x7fff
	v_bfe_u32 v31, v88, 16, 1
	v_cmp_o_f32_e32 vcc_lo, v91, v91
	v_perm_b32 v25, v33, v32, 0x5040100
	v_add3_u32 v32, v89, v34, 0x7fff
	v_lshrrev_b32_e32 v30, 16, v30
	v_add3_u32 v31, v88, v31, 0x7fff
	v_bfe_u32 v34, v86, 16, 1
	v_bfe_u32 v28, v92, 16, 1
	s_delay_alu instid0(VALU_DEP_4) | instskip(NEXT) | instid1(VALU_DEP_4)
	v_cndmask_b32_e32 v33, 0x7fc0, v30, vcc_lo
	v_lshrrev_b32_e32 v30, 16, v31
	v_lshrrev_b32_e32 v31, 16, v32
	v_bfe_u32 v32, v85, 16, 1
	v_cmp_o_f32_e32 vcc_lo, v88, v88
	v_add3_u32 v28, v92, v28, 0x7fff
	s_delay_alu instid0(VALU_DEP_3)
	v_add3_u32 v32, v85, v32, 0x7fff
	v_cndmask_b32_e32 v37, 0x7fc0, v30, vcc_lo
	v_cmp_o_f32_e32 vcc_lo, v89, v89
	v_add3_u32 v30, v86, v34, 0x7fff
	v_add3_u32 v34, v87, v36, 0x7fff
	v_lshrrev_b32_e32 v28, 16, v28
	v_cndmask_b32_e32 v36, 0x7fc0, v31, vcc_lo
	v_lshrrev_b32_e32 v31, 16, v32
	v_cmp_o_f32_e32 vcc_lo, v85, v85
	v_lshrrev_b32_e32 v32, 16, v35
	v_lshrrev_b32_e32 v34, 16, v34
	;; [unrolled: 1-line block ×3, first 2 shown]
	v_perm_b32 v29, v36, v37, 0x5040100
	v_cndmask_b32_e32 v35, 0x7fc0, v31, vcc_lo
	v_cmp_o_f32_e32 vcc_lo, v84, v84
	v_cndmask_b32_e32 v31, 0x7fc0, v32, vcc_lo
	v_cmp_o_f32_e32 vcc_lo, v87, v87
	;; [unrolled: 2-line block ×3, first 2 shown]
	s_delay_alu instid0(VALU_DEP_2) | instskip(SKIP_2) | instid1(VALU_DEP_2)
	v_perm_b32 v31, v32, v31, 0x5040100
	v_cndmask_b32_e32 v30, 0x7fc0, v30, vcc_lo
	v_cmp_o_f32_e32 vcc_lo, v92, v92
	v_perm_b32 v30, v30, v35, 0x5040100
	v_cndmask_b32_e32 v28, 0x7fc0, v28, vcc_lo
	v_add_co_u32 v32, vcc_lo, v52, s18
	s_delay_alu instid0(VALU_DEP_2)
	v_perm_b32 v28, v28, v33, 0x5040100
	ds_store_b128 v45, v[24:27]
	ds_store_b128 v45, v[28:31] offset:16
	; wave barrier
	ds_load_b128 v[24:27], v43
	ds_load_b128 v[28:31], v44 offset:512
	v_add_co_ci_u32_e32 v33, vcc_lo, s19, v53, vcc_lo
	s_waitcnt lgkmcnt(1)
	v_alignbit_b32 v35, v26, v25, 16
	v_alignbit_b32 v26, v27, v26, 16
	;; [unrolled: 1-line block ×3, first 2 shown]
	s_clause 0x3
	global_store_b16 v[32:33], v24, off
	global_store_d16_hi_b16 v[32:33], v27, off offset:14
	global_store_b32 v[32:33], v26, off offset:10
	global_store_b64 v[32:33], v[34:35], off offset:2
	v_add_co_u32 v24, vcc_lo, v54, s18
	v_add_co_ci_u32_e32 v25, vcc_lo, s19, v55, vcc_lo
	s_waitcnt lgkmcnt(0)
	global_store_b128 v[32:33], v[28:31], off offset:512
	s_waitcnt_vscnt null, 0x0
	s_barrier
	buffer_gl0_inv
	s_and_saveexec_b32 s14, s0
	s_cbranch_execz .LBB25_88
; %bb.87:                               ;   in Loop: Header=BB25_12 Depth=1
	global_load_b128 v[4:7], v[24:25], off
.LBB25_88:                              ;   in Loop: Header=BB25_12 Depth=1
	s_or_b32 exec_lo, exec_lo, s14
	s_and_saveexec_b32 s14, s1
	s_cbranch_execz .LBB25_11
; %bb.89:                               ;   in Loop: Header=BB25_12 Depth=1
	global_load_b128 v[0:3], v[24:25], off offset:512
	s_branch .LBB25_11
.LBB25_90:
	s_nop 0
	s_sendmsg sendmsg(MSG_DEALLOC_VGPRS)
	s_endpgm
	.section	.rodata,"a",@progbits
	.p2align	6, 0x0
	.amdhsa_kernel _Z25selective_scan_fwd_kernelI32Selective_Scan_fwd_kernel_traitsILi128ELi16ELi1ELb1ELb1ELb1ELb1ELb0EN3c108BFloat16EfS2_EEv13SSMParamsBase
		.amdhsa_group_segment_fixed_size 0
		.amdhsa_private_segment_fixed_size 0
		.amdhsa_kernarg_size 248
		.amdhsa_user_sgpr_count 14
		.amdhsa_user_sgpr_dispatch_ptr 0
		.amdhsa_user_sgpr_queue_ptr 0
		.amdhsa_user_sgpr_kernarg_segment_ptr 1
		.amdhsa_user_sgpr_dispatch_id 0
		.amdhsa_user_sgpr_private_segment_size 0
		.amdhsa_wavefront_size32 1
		.amdhsa_uses_dynamic_stack 0
		.amdhsa_enable_private_segment 0
		.amdhsa_system_sgpr_workgroup_id_x 1
		.amdhsa_system_sgpr_workgroup_id_y 1
		.amdhsa_system_sgpr_workgroup_id_z 0
		.amdhsa_system_sgpr_workgroup_info 0
		.amdhsa_system_vgpr_workitem_id 0
		.amdhsa_next_free_vgpr 158
		.amdhsa_next_free_sgpr 80
		.amdhsa_reserve_vcc 1
		.amdhsa_float_round_mode_32 0
		.amdhsa_float_round_mode_16_64 0
		.amdhsa_float_denorm_mode_32 3
		.amdhsa_float_denorm_mode_16_64 3
		.amdhsa_dx10_clamp 1
		.amdhsa_ieee_mode 1
		.amdhsa_fp16_overflow 0
		.amdhsa_workgroup_processor_mode 1
		.amdhsa_memory_ordered 1
		.amdhsa_forward_progress 0
		.amdhsa_shared_vgpr_count 0
		.amdhsa_exception_fp_ieee_invalid_op 0
		.amdhsa_exception_fp_denorm_src 0
		.amdhsa_exception_fp_ieee_div_zero 0
		.amdhsa_exception_fp_ieee_overflow 0
		.amdhsa_exception_fp_ieee_underflow 0
		.amdhsa_exception_fp_ieee_inexact 0
		.amdhsa_exception_int_div_zero 0
	.end_amdhsa_kernel
	.section	.text._Z25selective_scan_fwd_kernelI32Selective_Scan_fwd_kernel_traitsILi128ELi16ELi1ELb1ELb1ELb1ELb1ELb0EN3c108BFloat16EfS2_EEv13SSMParamsBase,"axG",@progbits,_Z25selective_scan_fwd_kernelI32Selective_Scan_fwd_kernel_traitsILi128ELi16ELi1ELb1ELb1ELb1ELb1ELb0EN3c108BFloat16EfS2_EEv13SSMParamsBase,comdat
.Lfunc_end25:
	.size	_Z25selective_scan_fwd_kernelI32Selective_Scan_fwd_kernel_traitsILi128ELi16ELi1ELb1ELb1ELb1ELb1ELb0EN3c108BFloat16EfS2_EEv13SSMParamsBase, .Lfunc_end25-_Z25selective_scan_fwd_kernelI32Selective_Scan_fwd_kernel_traitsILi128ELi16ELi1ELb1ELb1ELb1ELb1ELb0EN3c108BFloat16EfS2_EEv13SSMParamsBase
                                        ; -- End function
	.section	.AMDGPU.csdata,"",@progbits
; Kernel info:
; codeLenInByte = 22748
; NumSgprs: 82
; NumVgprs: 158
; ScratchSize: 0
; MemoryBound: 1
; FloatMode: 240
; IeeeMode: 1
; LDSByteSize: 0 bytes/workgroup (compile time only)
; SGPRBlocks: 10
; VGPRBlocks: 19
; NumSGPRsForWavesPerEU: 82
; NumVGPRsForWavesPerEU: 158
; Occupancy: 9
; WaveLimiterHint : 1
; COMPUTE_PGM_RSRC2:SCRATCH_EN: 0
; COMPUTE_PGM_RSRC2:USER_SGPR: 14
; COMPUTE_PGM_RSRC2:TRAP_HANDLER: 0
; COMPUTE_PGM_RSRC2:TGID_X_EN: 1
; COMPUTE_PGM_RSRC2:TGID_Y_EN: 1
; COMPUTE_PGM_RSRC2:TGID_Z_EN: 0
; COMPUTE_PGM_RSRC2:TIDIG_COMP_CNT: 0
	.section	.text._Z25selective_scan_fwd_kernelI32Selective_Scan_fwd_kernel_traitsILi128ELi16ELi1ELb1ELb1ELb1ELb0ELb1EN3c108BFloat16EfS2_EEv13SSMParamsBase,"axG",@progbits,_Z25selective_scan_fwd_kernelI32Selective_Scan_fwd_kernel_traitsILi128ELi16ELi1ELb1ELb1ELb1ELb0ELb1EN3c108BFloat16EfS2_EEv13SSMParamsBase,comdat
	.protected	_Z25selective_scan_fwd_kernelI32Selective_Scan_fwd_kernel_traitsILi128ELi16ELi1ELb1ELb1ELb1ELb0ELb1EN3c108BFloat16EfS2_EEv13SSMParamsBase ; -- Begin function _Z25selective_scan_fwd_kernelI32Selective_Scan_fwd_kernel_traitsILi128ELi16ELi1ELb1ELb1ELb1ELb0ELb1EN3c108BFloat16EfS2_EEv13SSMParamsBase
	.globl	_Z25selective_scan_fwd_kernelI32Selective_Scan_fwd_kernel_traitsILi128ELi16ELi1ELb1ELb1ELb1ELb0ELb1EN3c108BFloat16EfS2_EEv13SSMParamsBase
	.p2align	8
	.type	_Z25selective_scan_fwd_kernelI32Selective_Scan_fwd_kernel_traitsILi128ELi16ELi1ELb1ELb1ELb1ELb0ELb1EN3c108BFloat16EfS2_EEv13SSMParamsBase,@function
_Z25selective_scan_fwd_kernelI32Selective_Scan_fwd_kernel_traitsILi128ELi16ELi1ELb1ELb1ELb1ELb0ELb1EN3c108BFloat16EfS2_EEv13SSMParamsBase: ; @_Z25selective_scan_fwd_kernelI32Selective_Scan_fwd_kernel_traitsILi128ELi16ELi1ELb1ELb1ELb1ELb0ELb1EN3c108BFloat16EfS2_EEv13SSMParamsBase
; %bb.0:
	s_clause 0x2
	s_load_b32 s36, s[0:1], 0x18
	s_load_b128 s[4:7], s[0:1], 0xe0
	s_load_b64 s[10:11], s[0:1], 0xf0
	s_mov_b32 s12, s15
	s_ashr_i32 s15, s14, 31
	s_mov_b32 s66, 0
	s_lshl_b64 s[8:9], s[14:15], 2
	s_waitcnt lgkmcnt(0)
	s_abs_i32 s33, s36
	s_add_u32 s2, s4, s8
	v_cvt_f32_u32_e32 v1, s33
	s_addc_u32 s3, s5, s9
	s_cmp_eq_u64 s[10:11], 0
	s_delay_alu instid0(VALU_DEP_1) | instskip(SKIP_2) | instid1(VALU_DEP_1)
	v_rcp_iflag_f32_e32 v1, v1
	s_waitcnt_depctr 0xfff
	v_mul_f32_e32 v1, 0x4f7ffffe, v1
	v_cvt_u32_f32_e32 v1, v1
	s_delay_alu instid0(VALU_DEP_1)
	v_readfirstlane_b32 s37, v1
	s_cbranch_scc1 .LBB26_2
; %bb.1:
	v_mov_b32_e32 v1, 0
	s_add_u32 s4, s10, s14
	s_addc_u32 s5, s11, s15
	global_load_u8 v1, v1, s[4:5]
	s_waitcnt vmcnt(0)
	v_and_b32_e32 v1, 1, v1
	s_delay_alu instid0(VALU_DEP_1)
	v_cmp_eq_u32_e64 s66, 1, v1
.LBB26_2:
	s_load_b64 s[4:5], s[0:1], 0x20
	s_cmp_eq_u64 s[6:7], 0
	s_cbranch_scc1 .LBB26_4
; %bb.3:
	s_add_u32 s6, s6, s8
	s_addc_u32 s7, s7, s9
	s_load_b32 s14, s[6:7], 0x0
	s_waitcnt lgkmcnt(0)
	s_ashr_i32 s15, s14, 31
.LBB26_4:
	s_waitcnt lgkmcnt(0)
	s_cmp_eq_u64 s[4:5], s[14:15]
	s_cbranch_scc1 .LBB26_238
; %bb.5:
	s_load_b512 s[16:31], s[0:1], 0x88
	s_load_b64 s[34:35], s[2:3], 0x0
	s_mov_b32 s67, 0
	s_mov_b32 s68, 0
	s_waitcnt lgkmcnt(0)
	s_cmp_eq_u64 s[22:23], 0
	s_cbranch_scc1 .LBB26_7
; %bb.6:
	s_ashr_i32 s13, s12, 31
	s_delay_alu instid0(SALU_CYCLE_1) | instskip(NEXT) | instid1(SALU_CYCLE_1)
	s_lshl_b64 s[2:3], s[12:13], 2
	s_add_u32 s2, s22, s2
	s_addc_u32 s3, s23, s3
	s_load_b32 s68, s[2:3], 0x0
.LBB26_7:
	s_cmp_eq_u64 s[28:29], 0
	s_cbranch_scc1 .LBB26_9
; %bb.8:
	s_ashr_i32 s13, s12, 31
	s_delay_alu instid0(SALU_CYCLE_1) | instskip(NEXT) | instid1(SALU_CYCLE_1)
	s_lshl_b64 s[2:3], s[12:13], 2
	s_add_u32 s2, s28, s2
	s_addc_u32 s3, s29, s3
	s_load_b32 s67, s[2:3], 0x0
.LBB26_9:
	s_sub_i32 s69, s35, s34
	s_delay_alu instid0(SALU_CYCLE_1)
	s_cmp_lt_i32 s69, 1
	s_cbranch_scc1 .LBB26_238
; %bb.10:
	s_sub_i32 s2, 0, s33
	s_abs_i32 s5, s12
	s_mul_i32 s4, s2, s37
	s_clause 0x1
	s_load_b64 s[2:3], s[0:1], 0x5c
	s_load_b128 s[56:59], s[0:1], 0x4c
	s_mul_hi_u32 s4, s37, s4
	s_ashr_i32 s7, s36, 31
	s_add_i32 s37, s37, s4
	s_ashr_i32 s4, s12, 31
	s_mul_hi_u32 s6, s5, s37
	s_xor_b32 s7, s4, s7
	s_mul_i32 s8, s6, s33
	s_load_b256 s[48:55], s[0:1], 0x2c
	s_sub_i32 s4, s5, s8
	s_add_i32 s5, s6, 1
	s_sub_i32 s8, s4, s33
	s_cmp_ge_u32 s4, s33
	s_mov_b32 s65, 0
	s_cselect_b32 s5, s5, s6
	s_cselect_b32 s4, s8, s4
	s_add_i32 s6, s5, 1
	s_cmp_ge_u32 s4, s33
	s_load_b128 s[60:63], s[0:1], 0x7c
	s_cselect_b32 s4, s6, s5
	s_waitcnt lgkmcnt(0)
	s_mul_i32 s64, s34, s58
	s_xor_b32 s6, s4, s7
	s_lshl_b64 s[4:5], s[64:65], 1
	s_sub_i32 s6, s6, s7
	s_mul_i32 s64, s59, s12
	s_add_u32 s7, s24, s4
	s_addc_u32 s8, s25, s5
	s_lshl_b64 s[4:5], s[64:65], 1
	s_mul_i32 s64, s34, s2
	s_add_u32 s70, s7, s4
	s_addc_u32 s71, s8, s5
	s_lshl_b64 s[4:5], s[64:65], 1
	;; [unrolled: 4-line block ×3, first 2 shown]
	v_dual_mov_b32 v21, 0 :: v_dual_lshlrev_b32 v18, 4, v0
	s_add_u32 s72, s4, s2
	s_mul_i32 s64, s48, s12
	s_addc_u32 s48, s5, s3
	s_load_b64 s[4:5], s[0:1], 0xc8
	s_lshl_b64 s[2:3], s[64:65], 2
	v_mbcnt_lo_u32_b32 v19, -1, 0
	v_and_b32_e32 v1, 0x600, v18
	s_mul_i32 s64, s34, s50
	s_add_u32 s73, s16, s2
	s_addc_u32 s63, s17, s3
	s_lshl_b64 s[2:3], s[64:65], 1
	s_mul_i32 s64, s6, s53
	s_clause 0x2
	s_load_b64 s[16:17], s[0:1], 0x6c
	s_load_b32 s78, s[0:1], 0xc
	s_load_b32 s0, s[0:1], 0x28
	s_add_u32 s7, s18, s2
	v_or_b32_e32 v20, v19, v1
	s_addc_u32 s8, s19, s3
	s_lshl_b64 s[2:3], s[64:65], 1
	s_mul_i32 s64, s34, s54
	s_add_u32 s53, s7, s2
	s_addc_u32 s74, s8, s3
	s_lshl_b64 s[2:3], s[64:65], 1
	s_mul_i32 s64, s6, s57
	v_or_b32_e32 v24, 0x60, v20
	v_and_b32_e32 v14, 0x60, v0
	s_add_u32 s7, s20, s2
	s_addc_u32 s6, s21, s3
	s_lshl_b64 s[2:3], s[64:65], 1
	s_mul_i32 s64, s14, s60
	s_add_u32 s57, s7, s2
	s_addc_u32 s75, s6, s3
	s_lshl_b64 s[2:3], s[64:65], 1
	v_or_b32_e32 v26, 0xa0, v20
	v_or_b32_e32 v28, 0xe0, v20
	;; [unrolled: 1-line block ×5, first 2 shown]
	v_lshrrev_b32_e32 v2, 5, v24
	v_or_b32_e32 v36, 0x1e0, v20
	v_or_b32_e32 v16, v19, v14
	s_mul_i32 s64, s61, s12
	s_waitcnt lgkmcnt(0)
	s_add_u32 s4, s4, s2
	s_addc_u32 s5, s5, s3
	s_lshl_b64 s[2:3], s[64:65], 1
	v_or_b32_e32 v23, 64, v20
	s_add_u32 s76, s4, s2
	v_or_b32_e32 v25, 0x80, v20
	v_or_b32_e32 v27, 0xc0, v20
	;; [unrolled: 1-line block ×6, first 2 shown]
	v_and_b32_e32 v2, 50, v2
	v_lshrrev_b32_e32 v5, 5, v26
	v_lshrrev_b32_e32 v8, 5, v28
	;; [unrolled: 1-line block ×6, first 2 shown]
	v_lshrrev_b16 v50, 1, v16
	s_addc_u32 s77, s5, s3
	s_add_i32 s2, s69, 0x7ff
	v_lshrrev_b32_e32 v3, 5, v1
	s_lshr_b32 s79, s2, 11
	s_bitcmp1_b32 s0, 0
	v_lshrrev_b32_e32 v4, 5, v23
	v_lshrrev_b32_e32 v6, 5, v25
	v_add_lshl_u32 v2, v2, v20, 1
	v_and_b32_e32 v5, 52, v5
	v_lshrrev_b32_e32 v7, 5, v27
	v_and_b32_e32 v8, 54, v8
	v_lshrrev_b32_e32 v10, 5, v29
	;; [unrolled: 2-line block ×5, first 2 shown]
	v_and_b32_e32 v51, 62, v49
	v_lshlrev_b32_e32 v16, 4, v16
	v_and_b32_e32 v52, 62, v50
	s_cselect_b32 s80, -1, 0
	s_cmp_gt_i32 s78, 0
	v_add_lshl_u32 v3, v3, v20, 1
	s_cselect_b32 s81, -1, 0
	s_add_i32 s0, 0, 0x1080
	v_add_lshl_u32 v4, v4, v20, 1
	v_add_lshl_u32 v6, v6, v20, 1
	v_add_nc_u32_e32 v39, 0, v2
	v_add_lshl_u32 v5, v5, v20, 1
	v_add_lshl_u32 v7, v7, v20, 1
	;; [unrolled: 1-line block ×12, first 2 shown]
	v_add_nc_u32_e32 v55, s0, v2
	v_and_b32_e32 v2, 15, v19
	s_and_b32 s1, s69, 0x7ff
	v_add_nc_u32_e32 v51, 0, v67
	v_add_nc_u32_e32 v53, s0, v3
	;; [unrolled: 1-line block ×15, first 2 shown]
	s_cmp_eq_u32 s1, 0
	v_add_nc_u32_e32 v68, s0, v16
	v_cmp_ne_u32_e64 s0, 0, v2
	v_cmp_lt_u32_e64 s1, 1, v2
	v_cmp_lt_u32_e64 s2, 3, v2
	;; [unrolled: 1-line block ×3, first 2 shown]
	v_add_nc_u32_e32 v2, -1, v19
	v_add_nc_u32_e32 v37, 0, v3
	v_lshrrev_b32_e32 v3, 2, v0
	v_add_nc_u32_e32 v41, 0, v5
	v_or_b32_e32 v5, 31, v14
	v_cmp_gt_i32_e32 vcc_lo, 0, v2
	s_mul_i32 s64, s34, s16
	v_and_b32_e32 v3, 24, v3
	s_cselect_b32 s82, -1, 0
	s_lshl_b64 s[14:15], s[64:65], 1
	v_cndmask_b32_e32 v2, v2, v19, vcc_lo
	s_add_i32 s83, s79, -1
	s_mul_i32 s64, s17, s12
	v_cmp_eq_u32_e64 s5, v5, v0
	v_cmp_gt_u32_e64 s6, 4, v0
	v_lshl_add_u32 v70, v0, 3, 0
	v_cmp_gt_u32_e64 s9, 32, v0
	v_cmp_lt_u32_e64 s10, 31, v0
	v_cmp_eq_u32_e64 s11, 0, v0
	s_add_u32 s14, s30, s14
	v_lshlrev_b32_e32 v0, 1, v19
	s_addc_u32 s15, s31, s15
	s_lshl_b64 s[12:13], s[64:65], 1
	v_add_nc_u32_e32 v69, 0, v3
	v_and_b32_e32 v3, 3, v19
	s_add_u32 s12, s14, s12
	v_lshlrev_b32_e32 v71, 2, v2
	s_addc_u32 s13, s15, s13
	v_lshlrev_b32_e32 v2, 1, v1
	v_add_co_u32 v0, s12, s12, v0
	v_add_nc_u32_e32 v38, 0, v4
	v_and_b32_e32 v4, 16, v19
	v_cmp_ne_u32_e64 s7, 0, v3
	v_cmp_lt_u32_e64 s8, 1, v3
	v_add_co_ci_u32_e64 v3, null, s13, 0, s12
	v_add_co_u32 v72, vcc_lo, v0, v2
	v_or_b32_e32 v22, 32, v20
	v_add_nc_u32_e32 v40, 0, v6
	v_add_nc_u32_e32 v42, 0, v7
	;; [unrolled: 1-line block ×11, first 2 shown]
	v_cmp_ne_u32_e64 s4, 0, v4
	v_cmp_eq_u32_e64 s12, 0, v19
	v_add_co_ci_u32_e32 v73, vcc_lo, 0, v3, vcc_lo
	v_or_b32_e32 v74, 1, v18
	v_or_b32_e32 v75, 2, v18
	;; [unrolled: 1-line block ×15, first 2 shown]
	v_lshlrev_b32_e32 v89, 1, v1
	s_mov_b32 s84, 0x3e9b6dac
	s_add_i32 s85, 0, 0x2120
	s_mov_b32 s86, 0
	s_branch .LBB26_12
.LBB26_11:                              ;   in Loop: Header=BB26_12 Depth=1
	s_or_b32 exec_lo, exec_lo, s13
	s_add_u32 s72, s72, 0x1000
	s_addc_u32 s48, s48, 0
	s_add_u32 s70, s70, 0x1000
	s_addc_u32 s71, s71, 0
	;; [unrolled: 2-line block ×4, first 2 shown]
	s_add_i32 s86, s86, 1
	s_delay_alu instid0(SALU_CYCLE_1)
	s_cmp_eq_u32 s86, s79
	s_cbranch_scc1 .LBB26_238
.LBB26_12:                              ; =>This Loop Header: Depth=1
                                        ;     Child Loop BB26_109 Depth 2
	s_waitcnt lgkmcnt(14)
	v_lshlrev_b32_e32 v16, 1, v19
	s_lshl_b32 s50, s86, 11
	s_waitcnt lgkmcnt(0)
	v_mov_b32_e32 v2, 0
	s_sub_i32 s41, s69, s50
	v_add_co_u32 v0, s13, s70, v16
	s_delay_alu instid0(VALU_DEP_1) | instskip(SKIP_1) | instid1(VALU_DEP_3)
	v_add_co_ci_u32_e64 v1, null, s71, 0, s13
	v_cmp_gt_u32_e64 s13, s41, v20
	v_add_co_u32 v0, vcc_lo, v0, v89
	s_delay_alu instid0(VALU_DEP_3)
	v_add_co_ci_u32_e32 v1, vcc_lo, 0, v1, vcc_lo
	s_waitcnt_vscnt null, 0x0
	s_barrier
	buffer_gl0_inv
	s_and_saveexec_b32 s14, s13
	s_cbranch_execz .LBB26_14
; %bb.13:                               ;   in Loop: Header=BB26_12 Depth=1
	global_load_u16 v2, v[0:1], off
.LBB26_14:                              ;   in Loop: Header=BB26_12 Depth=1
	s_or_b32 exec_lo, exec_lo, s14
	v_cmp_gt_u32_e64 s14, s41, v22
	v_dual_mov_b32 v3, 0 :: v_dual_mov_b32 v4, 0
	s_delay_alu instid0(VALU_DEP_2)
	s_and_saveexec_b32 s15, s14
	s_cbranch_execz .LBB26_16
; %bb.15:                               ;   in Loop: Header=BB26_12 Depth=1
	global_load_u16 v4, v[0:1], off offset:64
.LBB26_16:                              ;   in Loop: Header=BB26_12 Depth=1
	s_or_b32 exec_lo, exec_lo, s15
	v_cmp_gt_u32_e64 s15, s41, v23
	s_delay_alu instid0(VALU_DEP_1)
	s_and_saveexec_b32 s16, s15
	s_cbranch_execz .LBB26_18
; %bb.17:                               ;   in Loop: Header=BB26_12 Depth=1
	global_load_u16 v3, v[0:1], off offset:128
.LBB26_18:                              ;   in Loop: Header=BB26_12 Depth=1
	s_or_b32 exec_lo, exec_lo, s16
	v_cmp_gt_u32_e64 s16, s41, v24
	v_dual_mov_b32 v5, 0 :: v_dual_mov_b32 v6, 0
	s_delay_alu instid0(VALU_DEP_2)
	s_and_saveexec_b32 s17, s16
	s_cbranch_execz .LBB26_20
; %bb.19:                               ;   in Loop: Header=BB26_12 Depth=1
	global_load_u16 v6, v[0:1], off offset:192
.LBB26_20:                              ;   in Loop: Header=BB26_12 Depth=1
	s_or_b32 exec_lo, exec_lo, s17
	v_cmp_gt_u32_e64 s17, s41, v25
	s_delay_alu instid0(VALU_DEP_1)
	s_and_saveexec_b32 s18, s17
	s_cbranch_execz .LBB26_22
; %bb.21:                               ;   in Loop: Header=BB26_12 Depth=1
	global_load_u16 v5, v[0:1], off offset:256
.LBB26_22:                              ;   in Loop: Header=BB26_12 Depth=1
	;; [unrolled: 17-line block ×3, first 2 shown]
	s_or_b32 exec_lo, exec_lo, s20
	v_cmp_gt_u32_e64 s20, s41, v28
	v_mov_b32_e32 v9, 0
	v_mov_b32_e32 v11, 0
	s_delay_alu instid0(VALU_DEP_3)
	s_and_saveexec_b32 s21, s20
	s_cbranch_execz .LBB26_28
; %bb.27:                               ;   in Loop: Header=BB26_12 Depth=1
	global_load_u16 v11, v[0:1], off offset:448
.LBB26_28:                              ;   in Loop: Header=BB26_12 Depth=1
	s_or_b32 exec_lo, exec_lo, s21
	v_cmp_gt_u32_e64 s21, s41, v29
	s_delay_alu instid0(VALU_DEP_1)
	s_and_saveexec_b32 s22, s21
	s_cbranch_execz .LBB26_30
; %bb.29:                               ;   in Loop: Header=BB26_12 Depth=1
	global_load_u16 v9, v[0:1], off offset:512
.LBB26_30:                              ;   in Loop: Header=BB26_12 Depth=1
	s_or_b32 exec_lo, exec_lo, s22
	v_cmp_gt_u32_e64 s22, s41, v30
	v_dual_mov_b32 v12, 0 :: v_dual_mov_b32 v13, 0
	s_delay_alu instid0(VALU_DEP_2)
	s_and_saveexec_b32 s23, s22
	s_cbranch_execz .LBB26_32
; %bb.31:                               ;   in Loop: Header=BB26_12 Depth=1
	global_load_u16 v13, v[0:1], off offset:576
.LBB26_32:                              ;   in Loop: Header=BB26_12 Depth=1
	s_or_b32 exec_lo, exec_lo, s23
	v_cmp_gt_u32_e64 s23, s41, v31
	s_delay_alu instid0(VALU_DEP_1)
	s_and_saveexec_b32 s24, s23
	s_cbranch_execz .LBB26_34
; %bb.33:                               ;   in Loop: Header=BB26_12 Depth=1
	global_load_u16 v12, v[0:1], off offset:640
.LBB26_34:                              ;   in Loop: Header=BB26_12 Depth=1
	s_or_b32 exec_lo, exec_lo, s24
	v_cmp_gt_u32_e64 s24, s41, v32
	v_dual_mov_b32 v14, 0 :: v_dual_mov_b32 v15, 0
	s_delay_alu instid0(VALU_DEP_2)
	;; [unrolled: 17-line block ×4, first 2 shown]
	s_and_saveexec_b32 s29, s28
	s_cbranch_execz .LBB26_44
; %bb.43:                               ;   in Loop: Header=BB26_12 Depth=1
	global_load_u16 v91, v[0:1], off offset:960
.LBB26_44:                              ;   in Loop: Header=BB26_12 Depth=1
	s_or_b32 exec_lo, exec_lo, s29
	s_waitcnt vmcnt(0)
	ds_store_b16 v37, v2
	ds_store_b16 v37, v4 offset:64
	ds_store_b16 v38, v3 offset:128
	ds_store_b16 v39, v6 offset:192
	ds_store_b16 v40, v5 offset:256
	ds_store_b16 v41, v8 offset:320
	ds_store_b16 v42, v7 offset:384
	ds_store_b16 v43, v11 offset:448
	ds_store_b16 v44, v9 offset:512
	ds_store_b16 v45, v13 offset:576
	ds_store_b16 v46, v12 offset:640
	ds_store_b16 v47, v15 offset:704
	ds_store_b16 v48, v14 offset:768
	ds_store_b16 v49, v90 offset:832
	ds_store_b16 v50, v17 offset:896
	ds_store_b16 v51, v91 offset:960
	; wave barrier
	ds_load_b128 v[0:3], v52
	ds_load_b128 v[4:7], v52 offset:16
	v_add_co_u32 v8, s29, s72, v16
	s_delay_alu instid0(VALU_DEP_1) | instskip(SKIP_1) | instid1(VALU_DEP_2)
	v_add_co_ci_u32_e64 v9, null, s48, 0, s29
	s_waitcnt lgkmcnt(0)
	v_add_co_u32 v8, vcc_lo, v8, v89
	s_delay_alu instid0(VALU_DEP_2)
	v_add_co_ci_u32_e32 v9, vcc_lo, 0, v9, vcc_lo
	s_barrier
	buffer_gl0_inv
	s_and_saveexec_b32 s29, s13
	s_cbranch_execz .LBB26_46
; %bb.45:                               ;   in Loop: Header=BB26_12 Depth=1
	global_load_u16 v10, v[8:9], off
.LBB26_46:                              ;   in Loop: Header=BB26_12 Depth=1
	s_or_b32 exec_lo, exec_lo, s29
	v_dual_mov_b32 v11, 0 :: v_dual_mov_b32 v12, 0
	s_and_saveexec_b32 s29, s14
	s_cbranch_execz .LBB26_48
; %bb.47:                               ;   in Loop: Header=BB26_12 Depth=1
	global_load_u16 v12, v[8:9], off offset:64
.LBB26_48:                              ;   in Loop: Header=BB26_12 Depth=1
	s_or_b32 exec_lo, exec_lo, s29
	s_and_saveexec_b32 s29, s15
	s_cbranch_execz .LBB26_50
; %bb.49:                               ;   in Loop: Header=BB26_12 Depth=1
	global_load_u16 v11, v[8:9], off offset:128
.LBB26_50:                              ;   in Loop: Header=BB26_12 Depth=1
	s_or_b32 exec_lo, exec_lo, s29
	v_dual_mov_b32 v13, 0 :: v_dual_mov_b32 v14, 0
	s_and_saveexec_b32 s29, s16
	s_cbranch_execz .LBB26_52
; %bb.51:                               ;   in Loop: Header=BB26_12 Depth=1
	global_load_u16 v14, v[8:9], off offset:192
.LBB26_52:                              ;   in Loop: Header=BB26_12 Depth=1
	s_or_b32 exec_lo, exec_lo, s29
	s_and_saveexec_b32 s29, s17
	s_cbranch_execz .LBB26_54
; %bb.53:                               ;   in Loop: Header=BB26_12 Depth=1
	global_load_u16 v13, v[8:9], off offset:256
.LBB26_54:                              ;   in Loop: Header=BB26_12 Depth=1
	s_or_b32 exec_lo, exec_lo, s29
	v_mov_b32_e32 v15, 0
	v_mov_b32_e32 v17, 0
	s_and_saveexec_b32 s29, s18
	s_cbranch_execz .LBB26_56
; %bb.55:                               ;   in Loop: Header=BB26_12 Depth=1
	global_load_u16 v17, v[8:9], off offset:320
.LBB26_56:                              ;   in Loop: Header=BB26_12 Depth=1
	s_or_b32 exec_lo, exec_lo, s29
	s_and_saveexec_b32 s29, s19
	s_cbranch_execz .LBB26_58
; %bb.57:                               ;   in Loop: Header=BB26_12 Depth=1
	global_load_u16 v15, v[8:9], off offset:384
.LBB26_58:                              ;   in Loop: Header=BB26_12 Depth=1
	s_or_b32 exec_lo, exec_lo, s29
	v_dual_mov_b32 v90, 0 :: v_dual_mov_b32 v91, 0
	s_and_saveexec_b32 s29, s20
	s_cbranch_execz .LBB26_60
; %bb.59:                               ;   in Loop: Header=BB26_12 Depth=1
	global_load_u16 v91, v[8:9], off offset:448
.LBB26_60:                              ;   in Loop: Header=BB26_12 Depth=1
	s_or_b32 exec_lo, exec_lo, s29
	s_and_saveexec_b32 s29, s21
	s_cbranch_execz .LBB26_62
; %bb.61:                               ;   in Loop: Header=BB26_12 Depth=1
	global_load_u16 v90, v[8:9], off offset:512
.LBB26_62:                              ;   in Loop: Header=BB26_12 Depth=1
	s_or_b32 exec_lo, exec_lo, s29
	v_dual_mov_b32 v92, 0 :: v_dual_mov_b32 v93, 0
	;; [unrolled: 13-line block ×4, first 2 shown]
	s_and_saveexec_b32 s29, s26
	s_cbranch_execnz .LBB26_220
; %bb.71:                               ;   in Loop: Header=BB26_12 Depth=1
	s_or_b32 exec_lo, exec_lo, s29
	s_and_saveexec_b32 s29, s27
	s_cbranch_execnz .LBB26_221
.LBB26_72:                              ;   in Loop: Header=BB26_12 Depth=1
	s_or_b32 exec_lo, exec_lo, s29
	v_mov_b32_e32 v98, 0
	s_and_saveexec_b32 s29, s28
	s_cbranch_execz .LBB26_74
.LBB26_73:                              ;   in Loop: Header=BB26_12 Depth=1
	global_load_u16 v98, v[8:9], off offset:960
.LBB26_74:                              ;   in Loop: Header=BB26_12 Depth=1
	s_or_b32 exec_lo, exec_lo, s29
	s_waitcnt vmcnt(0)
	ds_store_b16 v37, v10
	ds_store_b16 v37, v12 offset:64
	ds_store_b16 v38, v11 offset:128
	;; [unrolled: 1-line block ×15, first 2 shown]
	; wave barrier
	ds_load_b128 v[12:15], v52
	ds_load_b128 v[8:11], v52 offset:16
	s_waitcnt lgkmcnt(1)
	v_lshlrev_b32_e32 v17, 16, v12
	s_delay_alu instid0(VALU_DEP_1) | instskip(NEXT) | instid1(VALU_DEP_1)
	v_add_f32_e32 v90, s67, v17
	v_cmp_ge_f32_e32 vcc_lo, 0x41a00000, v90
	s_and_b32 s29, s80, vcc_lo
	s_delay_alu instid0(SALU_CYCLE_1)
	s_and_saveexec_b32 s30, s29
	s_cbranch_execz .LBB26_76
; %bb.75:                               ;   in Loop: Header=BB26_12 Depth=1
	v_mul_f32_e32 v17, 0x3fb8aa3b, v90
	v_cmp_ngt_f32_e32 vcc_lo, 0xc2ce8ed0, v90
	s_delay_alu instid0(VALU_DEP_2) | instskip(SKIP_1) | instid1(VALU_DEP_1)
	v_rndne_f32_e32 v91, v17
	v_fma_f32 v92, 0x3fb8aa3b, v90, -v17
	v_dual_sub_f32 v17, v17, v91 :: v_dual_fmac_f32 v92, 0x32a5705f, v90
	v_cvt_i32_f32_e32 v91, v91
	s_delay_alu instid0(VALU_DEP_2) | instskip(NEXT) | instid1(VALU_DEP_1)
	v_add_f32_e32 v17, v17, v92
	v_exp_f32_e32 v17, v17
	s_waitcnt_depctr 0xfff
	v_ldexp_f32 v17, v17, v91
	s_delay_alu instid0(VALU_DEP_1) | instskip(SKIP_1) | instid1(VALU_DEP_2)
	v_cndmask_b32_e32 v17, 0, v17, vcc_lo
	v_cmp_nlt_f32_e32 vcc_lo, 0x42b17218, v90
	v_cndmask_b32_e32 v17, 0x7f800000, v17, vcc_lo
	s_delay_alu instid0(VALU_DEP_1) | instskip(NEXT) | instid1(VALU_DEP_1)
	v_add_f32_e32 v92, 1.0, v17
	v_cvt_f64_f32_e32 v[90:91], v92
	s_delay_alu instid0(VALU_DEP_1) | instskip(SKIP_1) | instid1(VALU_DEP_1)
	v_frexp_exp_i32_f64_e32 v90, v[90:91]
	v_frexp_mant_f32_e32 v91, v92
	v_cmp_gt_f32_e32 vcc_lo, 0x3f2aaaab, v91
	v_add_f32_e32 v91, -1.0, v92
	s_delay_alu instid0(VALU_DEP_1) | instskip(NEXT) | instid1(VALU_DEP_1)
	v_dual_sub_f32 v94, v91, v92 :: v_dual_sub_f32 v91, v17, v91
	v_add_f32_e32 v94, 1.0, v94
	v_subrev_co_ci_u32_e32 v90, vcc_lo, 0, v90, vcc_lo
	s_delay_alu instid0(VALU_DEP_1) | instskip(SKIP_1) | instid1(VALU_DEP_2)
	v_sub_nc_u32_e32 v93, 0, v90
	v_cvt_f32_i32_e32 v90, v90
	v_ldexp_f32 v92, v92, v93
	v_add_f32_e32 v91, v91, v94
	s_delay_alu instid0(VALU_DEP_1) | instskip(NEXT) | instid1(VALU_DEP_3)
	v_ldexp_f32 v91, v91, v93
	v_add_f32_e32 v95, 1.0, v92
	s_delay_alu instid0(VALU_DEP_1) | instskip(NEXT) | instid1(VALU_DEP_1)
	v_add_f32_e32 v94, -1.0, v95
	v_sub_f32_e32 v94, v92, v94
	v_cmp_eq_f32_e32 vcc_lo, 0x7f800000, v17
	v_cmp_gt_f32_e64 s29, 0x33800000, v17
	s_delay_alu instid0(VALU_DEP_3) | instskip(NEXT) | instid1(VALU_DEP_2)
	v_dual_add_f32 v94, v91, v94 :: v_dual_add_f32 v93, -1.0, v92
	s_or_b32 vcc_lo, s29, vcc_lo
	s_delay_alu instid0(VALU_DEP_1) | instskip(NEXT) | instid1(VALU_DEP_1)
	v_add_f32_e32 v96, 1.0, v93
	v_sub_f32_e32 v92, v92, v96
	s_delay_alu instid0(VALU_DEP_3) | instskip(NEXT) | instid1(VALU_DEP_1)
	v_add_f32_e32 v96, v95, v94
	v_sub_f32_e32 v95, v95, v96
	s_delay_alu instid0(VALU_DEP_3) | instskip(SKIP_1) | instid1(VALU_DEP_2)
	v_add_f32_e32 v91, v91, v92
	v_rcp_f32_e32 v92, v96
	v_add_f32_e32 v94, v94, v95
	s_delay_alu instid0(VALU_DEP_2) | instskip(NEXT) | instid1(VALU_DEP_1)
	v_add_f32_e32 v97, v93, v91
	v_sub_f32_e32 v93, v93, v97
	s_waitcnt_depctr 0xfff
	v_dual_mul_f32 v98, v97, v92 :: v_dual_add_f32 v91, v91, v93
	s_delay_alu instid0(VALU_DEP_1) | instskip(NEXT) | instid1(VALU_DEP_1)
	v_mul_f32_e32 v99, v96, v98
	v_fma_f32 v95, v98, v96, -v99
	s_delay_alu instid0(VALU_DEP_1) | instskip(NEXT) | instid1(VALU_DEP_1)
	v_fmac_f32_e32 v95, v98, v94
	v_add_f32_e32 v100, v99, v95
	s_delay_alu instid0(VALU_DEP_1) | instskip(NEXT) | instid1(VALU_DEP_1)
	v_sub_f32_e32 v101, v97, v100
	v_sub_f32_e32 v97, v97, v101
	;; [unrolled: 1-line block ×3, first 2 shown]
	s_delay_alu instid0(VALU_DEP_2) | instskip(NEXT) | instid1(VALU_DEP_2)
	v_sub_f32_e32 v97, v97, v100
	v_sub_f32_e32 v93, v93, v95
	s_delay_alu instid0(VALU_DEP_2) | instskip(NEXT) | instid1(VALU_DEP_1)
	v_add_f32_e32 v91, v91, v97
	v_add_f32_e32 v91, v93, v91
	s_delay_alu instid0(VALU_DEP_1) | instskip(NEXT) | instid1(VALU_DEP_1)
	v_add_f32_e32 v93, v101, v91
	v_mul_f32_e32 v95, v92, v93
	s_delay_alu instid0(VALU_DEP_1) | instskip(NEXT) | instid1(VALU_DEP_1)
	v_dual_sub_f32 v100, v101, v93 :: v_dual_mul_f32 v97, v96, v95
	v_add_f32_e32 v91, v91, v100
	s_delay_alu instid0(VALU_DEP_2) | instskip(NEXT) | instid1(VALU_DEP_1)
	v_fma_f32 v96, v95, v96, -v97
	v_fmac_f32_e32 v96, v95, v94
	s_delay_alu instid0(VALU_DEP_1) | instskip(NEXT) | instid1(VALU_DEP_1)
	v_add_f32_e32 v94, v97, v96
	v_sub_f32_e32 v99, v93, v94
	v_sub_f32_e32 v97, v94, v97
	s_delay_alu instid0(VALU_DEP_2) | instskip(NEXT) | instid1(VALU_DEP_1)
	v_sub_f32_e32 v93, v93, v99
	v_sub_f32_e32 v93, v93, v94
	s_delay_alu instid0(VALU_DEP_1) | instskip(SKIP_1) | instid1(VALU_DEP_1)
	v_dual_sub_f32 v94, v97, v96 :: v_dual_add_f32 v91, v91, v93
	v_add_f32_e32 v93, v98, v95
	v_dual_add_f32 v91, v94, v91 :: v_dual_sub_f32 v94, v93, v98
	s_delay_alu instid0(VALU_DEP_1) | instskip(NEXT) | instid1(VALU_DEP_1)
	v_add_f32_e32 v91, v99, v91
	v_dual_sub_f32 v94, v95, v94 :: v_dual_mul_f32 v91, v92, v91
	s_delay_alu instid0(VALU_DEP_1) | instskip(NEXT) | instid1(VALU_DEP_1)
	v_add_f32_e32 v91, v94, v91
	v_add_f32_e32 v92, v93, v91
	s_delay_alu instid0(VALU_DEP_1) | instskip(NEXT) | instid1(VALU_DEP_1)
	v_mul_f32_e32 v94, v92, v92
	v_fmaak_f32 v95, s84, v94, 0x3ecc95a3
	v_mul_f32_e32 v96, v92, v94
	s_delay_alu instid0(VALU_DEP_2) | instskip(SKIP_2) | instid1(VALU_DEP_3)
	v_fmaak_f32 v94, v94, v95, 0x3f2aaada
	v_ldexp_f32 v95, v92, 1
	v_sub_f32_e32 v92, v92, v93
	v_mul_f32_e32 v94, v96, v94
	s_delay_alu instid0(VALU_DEP_2) | instskip(NEXT) | instid1(VALU_DEP_2)
	v_dual_mul_f32 v96, 0x3f317218, v90 :: v_dual_sub_f32 v91, v91, v92
	v_add_f32_e32 v93, v95, v94
	s_delay_alu instid0(VALU_DEP_2) | instskip(NEXT) | instid1(VALU_DEP_2)
	v_ldexp_f32 v91, v91, 1
	v_sub_f32_e32 v92, v93, v95
	s_delay_alu instid0(VALU_DEP_4) | instskip(NEXT) | instid1(VALU_DEP_1)
	v_fma_f32 v95, 0x3f317218, v90, -v96
	v_dual_sub_f32 v92, v94, v92 :: v_dual_fmac_f32 v95, 0xb102e308, v90
	s_delay_alu instid0(VALU_DEP_1) | instskip(NEXT) | instid1(VALU_DEP_1)
	v_dual_add_f32 v90, v91, v92 :: v_dual_add_f32 v91, v96, v95
	v_add_f32_e32 v92, v93, v90
	s_delay_alu instid0(VALU_DEP_2) | instskip(NEXT) | instid1(VALU_DEP_2)
	v_sub_f32_e32 v96, v91, v96
	v_dual_add_f32 v94, v91, v92 :: v_dual_sub_f32 v93, v92, v93
	s_delay_alu instid0(VALU_DEP_2) | instskip(NEXT) | instid1(VALU_DEP_2)
	v_sub_f32_e32 v95, v95, v96
	v_sub_f32_e32 v97, v94, v91
	s_delay_alu instid0(VALU_DEP_3) | instskip(NEXT) | instid1(VALU_DEP_2)
	v_sub_f32_e32 v90, v90, v93
	v_sub_f32_e32 v98, v94, v97
	s_delay_alu instid0(VALU_DEP_2) | instskip(NEXT) | instid1(VALU_DEP_2)
	v_dual_sub_f32 v92, v92, v97 :: v_dual_add_f32 v93, v95, v90
	v_sub_f32_e32 v91, v91, v98
	s_delay_alu instid0(VALU_DEP_1) | instskip(NEXT) | instid1(VALU_DEP_3)
	v_add_f32_e32 v91, v92, v91
	v_sub_f32_e32 v92, v93, v95
	s_delay_alu instid0(VALU_DEP_2) | instskip(NEXT) | instid1(VALU_DEP_2)
	v_add_f32_e32 v91, v93, v91
	v_sub_f32_e32 v93, v93, v92
	v_sub_f32_e32 v90, v90, v92
	s_delay_alu instid0(VALU_DEP_2) | instskip(NEXT) | instid1(VALU_DEP_1)
	v_dual_add_f32 v96, v94, v91 :: v_dual_sub_f32 v93, v95, v93
	v_sub_f32_e32 v92, v96, v94
	s_delay_alu instid0(VALU_DEP_1) | instskip(NEXT) | instid1(VALU_DEP_1)
	v_dual_add_f32 v90, v90, v93 :: v_dual_sub_f32 v91, v91, v92
	v_add_f32_e32 v90, v90, v91
	s_delay_alu instid0(VALU_DEP_1) | instskip(NEXT) | instid1(VALU_DEP_1)
	v_add_f32_e32 v90, v96, v90
	v_cndmask_b32_e32 v90, v90, v17, vcc_lo
.LBB26_76:                              ;   in Loop: Header=BB26_12 Depth=1
	s_or_b32 exec_lo, exec_lo, s30
	v_and_b32_e32 v12, 0xffff0000, v12
	s_delay_alu instid0(VALU_DEP_1) | instskip(NEXT) | instid1(VALU_DEP_1)
	v_add_f32_e32 v91, s67, v12
	v_cmp_ge_f32_e32 vcc_lo, 0x41a00000, v91
	s_and_b32 s29, s80, vcc_lo
	s_delay_alu instid0(SALU_CYCLE_1)
	s_and_saveexec_b32 s30, s29
	s_cbranch_execz .LBB26_78
; %bb.77:                               ;   in Loop: Header=BB26_12 Depth=1
	v_mul_f32_e32 v12, 0x3fb8aa3b, v91
	v_cmp_ngt_f32_e32 vcc_lo, 0xc2ce8ed0, v91
	s_delay_alu instid0(VALU_DEP_2) | instskip(SKIP_1) | instid1(VALU_DEP_2)
	v_rndne_f32_e32 v17, v12
	v_fma_f32 v92, 0x3fb8aa3b, v91, -v12
	v_sub_f32_e32 v12, v12, v17
	s_delay_alu instid0(VALU_DEP_2) | instskip(SKIP_1) | instid1(VALU_DEP_2)
	v_fmac_f32_e32 v92, 0x32a5705f, v91
	v_cvt_i32_f32_e32 v17, v17
	v_add_f32_e32 v12, v12, v92
	s_delay_alu instid0(VALU_DEP_1) | instskip(SKIP_2) | instid1(VALU_DEP_1)
	v_exp_f32_e32 v12, v12
	s_waitcnt_depctr 0xfff
	v_ldexp_f32 v12, v12, v17
	v_cndmask_b32_e32 v12, 0, v12, vcc_lo
	v_cmp_nlt_f32_e32 vcc_lo, 0x42b17218, v91
	s_delay_alu instid0(VALU_DEP_2) | instskip(NEXT) | instid1(VALU_DEP_1)
	v_cndmask_b32_e32 v12, 0x7f800000, v12, vcc_lo
	v_add_f32_e32 v17, 1.0, v12
	s_delay_alu instid0(VALU_DEP_1) | instskip(NEXT) | instid1(VALU_DEP_1)
	v_cvt_f64_f32_e32 v[91:92], v17
	v_frexp_exp_i32_f64_e32 v91, v[91:92]
	v_frexp_mant_f32_e32 v92, v17
	s_delay_alu instid0(VALU_DEP_1) | instskip(SKIP_1) | instid1(VALU_DEP_1)
	v_cmp_gt_f32_e32 vcc_lo, 0x3f2aaaab, v92
	v_add_f32_e32 v92, -1.0, v17
	v_sub_f32_e32 v94, v92, v17
	v_sub_f32_e32 v92, v12, v92
	s_delay_alu instid0(VALU_DEP_2) | instskip(NEXT) | instid1(VALU_DEP_1)
	v_add_f32_e32 v94, 1.0, v94
	v_add_f32_e32 v92, v92, v94
	v_subrev_co_ci_u32_e32 v91, vcc_lo, 0, v91, vcc_lo
	s_delay_alu instid0(VALU_DEP_1) | instskip(SKIP_1) | instid1(VALU_DEP_2)
	v_sub_nc_u32_e32 v93, 0, v91
	v_cvt_f32_i32_e32 v91, v91
	v_ldexp_f32 v17, v17, v93
	v_ldexp_f32 v92, v92, v93
	s_delay_alu instid0(VALU_DEP_2) | instskip(NEXT) | instid1(VALU_DEP_1)
	v_add_f32_e32 v95, 1.0, v17
	v_dual_add_f32 v93, -1.0, v17 :: v_dual_add_f32 v94, -1.0, v95
	s_delay_alu instid0(VALU_DEP_1) | instskip(NEXT) | instid1(VALU_DEP_2)
	v_add_f32_e32 v96, 1.0, v93
	v_sub_f32_e32 v94, v17, v94
	s_delay_alu instid0(VALU_DEP_2) | instskip(NEXT) | instid1(VALU_DEP_1)
	v_sub_f32_e32 v17, v17, v96
	v_add_f32_e32 v17, v92, v17
	s_delay_alu instid0(VALU_DEP_1) | instskip(SKIP_2) | instid1(VALU_DEP_3)
	v_add_f32_e32 v97, v93, v17
	v_cmp_eq_f32_e32 vcc_lo, 0x7f800000, v12
	v_cmp_gt_f32_e64 s29, 0x33800000, v12
	v_dual_sub_f32 v93, v93, v97 :: v_dual_add_f32 v94, v92, v94
	s_delay_alu instid0(VALU_DEP_2) | instskip(NEXT) | instid1(VALU_DEP_1)
	s_or_b32 vcc_lo, s29, vcc_lo
	v_dual_add_f32 v17, v17, v93 :: v_dual_add_f32 v96, v95, v94
	s_delay_alu instid0(VALU_DEP_1) | instskip(SKIP_1) | instid1(VALU_DEP_1)
	v_rcp_f32_e32 v92, v96
	v_sub_f32_e32 v95, v95, v96
	v_add_f32_e32 v94, v94, v95
	s_waitcnt_depctr 0xfff
	v_mul_f32_e32 v98, v97, v92
	s_delay_alu instid0(VALU_DEP_1) | instskip(NEXT) | instid1(VALU_DEP_1)
	v_mul_f32_e32 v99, v96, v98
	v_fma_f32 v95, v98, v96, -v99
	s_delay_alu instid0(VALU_DEP_1) | instskip(NEXT) | instid1(VALU_DEP_1)
	v_fmac_f32_e32 v95, v98, v94
	v_add_f32_e32 v100, v99, v95
	s_delay_alu instid0(VALU_DEP_1) | instskip(SKIP_1) | instid1(VALU_DEP_2)
	v_sub_f32_e32 v101, v97, v100
	v_sub_f32_e32 v93, v100, v99
	;; [unrolled: 1-line block ×3, first 2 shown]
	s_delay_alu instid0(VALU_DEP_2) | instskip(NEXT) | instid1(VALU_DEP_2)
	v_sub_f32_e32 v93, v93, v95
	v_sub_f32_e32 v97, v97, v100
	s_delay_alu instid0(VALU_DEP_1) | instskip(NEXT) | instid1(VALU_DEP_1)
	v_add_f32_e32 v17, v17, v97
	v_add_f32_e32 v17, v93, v17
	s_delay_alu instid0(VALU_DEP_1) | instskip(NEXT) | instid1(VALU_DEP_1)
	v_add_f32_e32 v93, v101, v17
	v_mul_f32_e32 v95, v92, v93
	s_delay_alu instid0(VALU_DEP_1) | instskip(NEXT) | instid1(VALU_DEP_1)
	v_mul_f32_e32 v97, v96, v95
	v_fma_f32 v96, v95, v96, -v97
	s_delay_alu instid0(VALU_DEP_1) | instskip(SKIP_1) | instid1(VALU_DEP_2)
	v_fmac_f32_e32 v96, v95, v94
	v_sub_f32_e32 v100, v101, v93
	v_add_f32_e32 v94, v97, v96
	s_delay_alu instid0(VALU_DEP_2) | instskip(NEXT) | instid1(VALU_DEP_2)
	v_add_f32_e32 v17, v17, v100
	v_sub_f32_e32 v99, v93, v94
	s_delay_alu instid0(VALU_DEP_1) | instskip(NEXT) | instid1(VALU_DEP_1)
	v_sub_f32_e32 v93, v93, v99
	v_sub_f32_e32 v93, v93, v94
	s_delay_alu instid0(VALU_DEP_1) | instskip(SKIP_2) | instid1(VALU_DEP_1)
	v_add_f32_e32 v17, v17, v93
	v_add_f32_e32 v93, v98, v95
	v_sub_f32_e32 v97, v94, v97
	v_sub_f32_e32 v94, v97, v96
	s_delay_alu instid0(VALU_DEP_1) | instskip(NEXT) | instid1(VALU_DEP_1)
	v_dual_add_f32 v17, v94, v17 :: v_dual_sub_f32 v94, v93, v98
	v_add_f32_e32 v17, v99, v17
	s_delay_alu instid0(VALU_DEP_1) | instskip(NEXT) | instid1(VALU_DEP_1)
	v_dual_sub_f32 v94, v95, v94 :: v_dual_mul_f32 v17, v92, v17
	v_add_f32_e32 v17, v94, v17
	s_delay_alu instid0(VALU_DEP_1) | instskip(NEXT) | instid1(VALU_DEP_1)
	v_add_f32_e32 v92, v93, v17
	v_mul_f32_e32 v94, v92, v92
	s_delay_alu instid0(VALU_DEP_1) | instskip(SKIP_1) | instid1(VALU_DEP_2)
	v_fmaak_f32 v95, s84, v94, 0x3ecc95a3
	v_mul_f32_e32 v96, v92, v94
	v_fmaak_f32 v94, v94, v95, 0x3f2aaada
	v_ldexp_f32 v95, v92, 1
	s_delay_alu instid0(VALU_DEP_2) | instskip(SKIP_1) | instid1(VALU_DEP_2)
	v_mul_f32_e32 v94, v96, v94
	v_sub_f32_e32 v92, v92, v93
	v_dual_mul_f32 v96, 0x3f317218, v91 :: v_dual_add_f32 v93, v95, v94
	s_delay_alu instid0(VALU_DEP_2) | instskip(NEXT) | instid1(VALU_DEP_2)
	v_sub_f32_e32 v17, v17, v92
	v_sub_f32_e32 v92, v93, v95
	s_delay_alu instid0(VALU_DEP_3) | instskip(NEXT) | instid1(VALU_DEP_3)
	v_fma_f32 v95, 0x3f317218, v91, -v96
	v_ldexp_f32 v17, v17, 1
	s_delay_alu instid0(VALU_DEP_2) | instskip(NEXT) | instid1(VALU_DEP_1)
	v_dual_sub_f32 v92, v94, v92 :: v_dual_fmac_f32 v95, 0xb102e308, v91
	v_add_f32_e32 v17, v17, v92
	s_delay_alu instid0(VALU_DEP_1) | instskip(NEXT) | instid1(VALU_DEP_1)
	v_dual_add_f32 v91, v96, v95 :: v_dual_add_f32 v92, v93, v17
	v_sub_f32_e32 v96, v91, v96
	s_delay_alu instid0(VALU_DEP_2) | instskip(NEXT) | instid1(VALU_DEP_2)
	v_dual_add_f32 v94, v91, v92 :: v_dual_sub_f32 v93, v92, v93
	v_sub_f32_e32 v95, v95, v96
	s_delay_alu instid0(VALU_DEP_2) | instskip(NEXT) | instid1(VALU_DEP_1)
	v_sub_f32_e32 v97, v94, v91
	v_sub_f32_e32 v98, v94, v97
	;; [unrolled: 1-line block ×4, first 2 shown]
	s_delay_alu instid0(VALU_DEP_1) | instskip(NEXT) | instid1(VALU_DEP_4)
	v_add_f32_e32 v93, v95, v17
	v_sub_f32_e32 v91, v91, v98
	s_delay_alu instid0(VALU_DEP_1) | instskip(NEXT) | instid1(VALU_DEP_3)
	v_add_f32_e32 v91, v92, v91
	v_sub_f32_e32 v92, v93, v95
	s_delay_alu instid0(VALU_DEP_2) | instskip(NEXT) | instid1(VALU_DEP_2)
	v_add_f32_e32 v91, v93, v91
	v_sub_f32_e32 v93, v93, v92
	s_delay_alu instid0(VALU_DEP_2) | instskip(NEXT) | instid1(VALU_DEP_1)
	v_dual_sub_f32 v17, v17, v92 :: v_dual_add_f32 v96, v94, v91
	v_dual_sub_f32 v92, v96, v94 :: v_dual_sub_f32 v93, v95, v93
	s_delay_alu instid0(VALU_DEP_1) | instskip(NEXT) | instid1(VALU_DEP_2)
	v_sub_f32_e32 v91, v91, v92
	v_add_f32_e32 v17, v17, v93
	s_delay_alu instid0(VALU_DEP_1) | instskip(NEXT) | instid1(VALU_DEP_1)
	v_add_f32_e32 v17, v17, v91
	v_add_f32_e32 v17, v96, v17
	s_delay_alu instid0(VALU_DEP_1)
	v_cndmask_b32_e32 v91, v17, v12, vcc_lo
.LBB26_78:                              ;   in Loop: Header=BB26_12 Depth=1
	s_or_b32 exec_lo, exec_lo, s30
	v_lshlrev_b32_e32 v12, 16, v13
	s_delay_alu instid0(VALU_DEP_1) | instskip(NEXT) | instid1(VALU_DEP_1)
	v_add_f32_e32 v92, s67, v12
	v_cmp_ge_f32_e32 vcc_lo, 0x41a00000, v92
	s_and_b32 s29, s80, vcc_lo
	s_delay_alu instid0(SALU_CYCLE_1)
	s_and_saveexec_b32 s30, s29
	s_cbranch_execz .LBB26_80
; %bb.79:                               ;   in Loop: Header=BB26_12 Depth=1
	v_mul_f32_e32 v12, 0x3fb8aa3b, v92
	v_cmp_ngt_f32_e32 vcc_lo, 0xc2ce8ed0, v92
	s_delay_alu instid0(VALU_DEP_2) | instskip(SKIP_1) | instid1(VALU_DEP_1)
	v_rndne_f32_e32 v17, v12
	v_fma_f32 v93, 0x3fb8aa3b, v92, -v12
	v_dual_sub_f32 v12, v12, v17 :: v_dual_fmac_f32 v93, 0x32a5705f, v92
	v_cvt_i32_f32_e32 v17, v17
	s_delay_alu instid0(VALU_DEP_2) | instskip(NEXT) | instid1(VALU_DEP_1)
	v_add_f32_e32 v12, v12, v93
	v_exp_f32_e32 v12, v12
	s_waitcnt_depctr 0xfff
	v_ldexp_f32 v12, v12, v17
	s_delay_alu instid0(VALU_DEP_1) | instskip(SKIP_1) | instid1(VALU_DEP_2)
	v_cndmask_b32_e32 v12, 0, v12, vcc_lo
	v_cmp_nlt_f32_e32 vcc_lo, 0x42b17218, v92
	v_cndmask_b32_e32 v12, 0x7f800000, v12, vcc_lo
	s_delay_alu instid0(VALU_DEP_1) | instskip(NEXT) | instid1(VALU_DEP_1)
	v_add_f32_e32 v17, 1.0, v12
	v_cvt_f64_f32_e32 v[92:93], v17
	s_delay_alu instid0(VALU_DEP_1) | instskip(SKIP_1) | instid1(VALU_DEP_1)
	v_frexp_exp_i32_f64_e32 v92, v[92:93]
	v_frexp_mant_f32_e32 v93, v17
	v_cmp_gt_f32_e32 vcc_lo, 0x3f2aaaab, v93
	v_add_f32_e32 v93, -1.0, v17
	s_delay_alu instid0(VALU_DEP_1) | instskip(SKIP_1) | instid1(VALU_DEP_2)
	v_sub_f32_e32 v95, v93, v17
	v_sub_f32_e32 v93, v12, v93
	v_add_f32_e32 v95, 1.0, v95
	s_delay_alu instid0(VALU_DEP_1) | instskip(SKIP_3) | instid1(VALU_DEP_2)
	v_add_f32_e32 v93, v93, v95
	v_cmp_gt_f32_e64 s29, 0x33800000, v12
	v_subrev_co_ci_u32_e32 v92, vcc_lo, 0, v92, vcc_lo
	v_cmp_eq_f32_e32 vcc_lo, 0x7f800000, v12
	v_sub_nc_u32_e32 v94, 0, v92
	v_cvt_f32_i32_e32 v92, v92
	s_or_b32 vcc_lo, s29, vcc_lo
	s_delay_alu instid0(VALU_DEP_2) | instskip(SKIP_1) | instid1(VALU_DEP_2)
	v_ldexp_f32 v17, v17, v94
	v_ldexp_f32 v93, v93, v94
	v_add_f32_e32 v96, 1.0, v17
	s_delay_alu instid0(VALU_DEP_1) | instskip(NEXT) | instid1(VALU_DEP_1)
	v_dual_add_f32 v94, -1.0, v17 :: v_dual_add_f32 v95, -1.0, v96
	v_add_f32_e32 v97, 1.0, v94
	s_delay_alu instid0(VALU_DEP_2) | instskip(NEXT) | instid1(VALU_DEP_2)
	v_sub_f32_e32 v95, v17, v95
	v_sub_f32_e32 v17, v17, v97
	s_delay_alu instid0(VALU_DEP_1) | instskip(NEXT) | instid1(VALU_DEP_1)
	v_add_f32_e32 v17, v93, v17
	v_dual_add_f32 v98, v94, v17 :: v_dual_add_f32 v95, v93, v95
	s_delay_alu instid0(VALU_DEP_1) | instskip(NEXT) | instid1(VALU_DEP_1)
	v_dual_sub_f32 v94, v94, v98 :: v_dual_add_f32 v97, v96, v95
	v_rcp_f32_e32 v93, v97
	v_sub_f32_e32 v96, v96, v97
	s_delay_alu instid0(VALU_DEP_1) | instskip(SKIP_2) | instid1(VALU_DEP_1)
	v_add_f32_e32 v95, v95, v96
	s_waitcnt_depctr 0xfff
	v_mul_f32_e32 v99, v98, v93
	v_mul_f32_e32 v100, v97, v99
	s_delay_alu instid0(VALU_DEP_1) | instskip(NEXT) | instid1(VALU_DEP_1)
	v_fma_f32 v96, v99, v97, -v100
	v_fmac_f32_e32 v96, v99, v95
	s_delay_alu instid0(VALU_DEP_1) | instskip(NEXT) | instid1(VALU_DEP_1)
	v_add_f32_e32 v101, v100, v96
	v_sub_f32_e32 v102, v98, v101
	s_delay_alu instid0(VALU_DEP_1) | instskip(SKIP_2) | instid1(VALU_DEP_3)
	v_sub_f32_e32 v98, v98, v102
	v_add_f32_e32 v17, v17, v94
	v_sub_f32_e32 v94, v101, v100
	v_sub_f32_e32 v98, v98, v101
	s_delay_alu instid0(VALU_DEP_1) | instskip(NEXT) | instid1(VALU_DEP_1)
	v_dual_sub_f32 v94, v94, v96 :: v_dual_add_f32 v17, v17, v98
	v_add_f32_e32 v17, v94, v17
	s_delay_alu instid0(VALU_DEP_1) | instskip(NEXT) | instid1(VALU_DEP_1)
	v_add_f32_e32 v94, v102, v17
	v_mul_f32_e32 v96, v93, v94
	s_delay_alu instid0(VALU_DEP_1) | instskip(NEXT) | instid1(VALU_DEP_1)
	v_dual_sub_f32 v101, v102, v94 :: v_dual_mul_f32 v98, v97, v96
	v_add_f32_e32 v17, v17, v101
	s_delay_alu instid0(VALU_DEP_2) | instskip(NEXT) | instid1(VALU_DEP_1)
	v_fma_f32 v97, v96, v97, -v98
	v_fmac_f32_e32 v97, v96, v95
	s_delay_alu instid0(VALU_DEP_1) | instskip(NEXT) | instid1(VALU_DEP_1)
	v_add_f32_e32 v95, v98, v97
	v_sub_f32_e32 v100, v94, v95
	s_delay_alu instid0(VALU_DEP_1) | instskip(NEXT) | instid1(VALU_DEP_1)
	v_sub_f32_e32 v94, v94, v100
	v_sub_f32_e32 v94, v94, v95
	s_delay_alu instid0(VALU_DEP_1) | instskip(SKIP_1) | instid1(VALU_DEP_1)
	v_dual_add_f32 v17, v17, v94 :: v_dual_add_f32 v94, v99, v96
	v_sub_f32_e32 v98, v95, v98
	v_sub_f32_e32 v95, v98, v97
	s_delay_alu instid0(VALU_DEP_1) | instskip(NEXT) | instid1(VALU_DEP_4)
	v_add_f32_e32 v17, v95, v17
	v_sub_f32_e32 v95, v94, v99
	s_delay_alu instid0(VALU_DEP_2) | instskip(NEXT) | instid1(VALU_DEP_2)
	v_add_f32_e32 v17, v100, v17
	v_sub_f32_e32 v95, v96, v95
	s_delay_alu instid0(VALU_DEP_2) | instskip(NEXT) | instid1(VALU_DEP_1)
	v_mul_f32_e32 v17, v93, v17
	v_add_f32_e32 v17, v95, v17
	s_delay_alu instid0(VALU_DEP_1) | instskip(NEXT) | instid1(VALU_DEP_1)
	v_add_f32_e32 v93, v94, v17
	v_mul_f32_e32 v95, v93, v93
	s_delay_alu instid0(VALU_DEP_1) | instskip(SKIP_1) | instid1(VALU_DEP_2)
	v_fmaak_f32 v96, s84, v95, 0x3ecc95a3
	v_mul_f32_e32 v97, v93, v95
	v_fmaak_f32 v95, v95, v96, 0x3f2aaada
	v_ldexp_f32 v96, v93, 1
	v_sub_f32_e32 v93, v93, v94
	s_delay_alu instid0(VALU_DEP_3) | instskip(SKIP_1) | instid1(VALU_DEP_2)
	v_mul_f32_e32 v95, v97, v95
	v_mul_f32_e32 v97, 0x3f317218, v92
	v_dual_sub_f32 v17, v17, v93 :: v_dual_add_f32 v94, v96, v95
	s_delay_alu instid0(VALU_DEP_1) | instskip(NEXT) | instid1(VALU_DEP_2)
	v_ldexp_f32 v17, v17, 1
	v_sub_f32_e32 v93, v94, v96
	s_delay_alu instid0(VALU_DEP_4) | instskip(NEXT) | instid1(VALU_DEP_1)
	v_fma_f32 v96, 0x3f317218, v92, -v97
	v_dual_sub_f32 v93, v95, v93 :: v_dual_fmac_f32 v96, 0xb102e308, v92
	s_delay_alu instid0(VALU_DEP_1) | instskip(NEXT) | instid1(VALU_DEP_1)
	v_add_f32_e32 v17, v17, v93
	v_dual_add_f32 v92, v97, v96 :: v_dual_add_f32 v93, v94, v17
	s_delay_alu instid0(VALU_DEP_1) | instskip(NEXT) | instid1(VALU_DEP_2)
	v_sub_f32_e32 v97, v92, v97
	v_dual_add_f32 v95, v92, v93 :: v_dual_sub_f32 v94, v93, v94
	s_delay_alu instid0(VALU_DEP_2) | instskip(NEXT) | instid1(VALU_DEP_2)
	v_sub_f32_e32 v96, v96, v97
	v_dual_sub_f32 v98, v95, v92 :: v_dual_sub_f32 v17, v17, v94
	s_delay_alu instid0(VALU_DEP_1) | instskip(NEXT) | instid1(VALU_DEP_2)
	v_sub_f32_e32 v99, v95, v98
	v_dual_sub_f32 v93, v93, v98 :: v_dual_add_f32 v94, v96, v17
	s_delay_alu instid0(VALU_DEP_2) | instskip(NEXT) | instid1(VALU_DEP_1)
	v_sub_f32_e32 v92, v92, v99
	v_add_f32_e32 v92, v93, v92
	s_delay_alu instid0(VALU_DEP_3) | instskip(NEXT) | instid1(VALU_DEP_2)
	v_sub_f32_e32 v93, v94, v96
	v_add_f32_e32 v92, v94, v92
	s_delay_alu instid0(VALU_DEP_2) | instskip(SKIP_1) | instid1(VALU_DEP_2)
	v_sub_f32_e32 v94, v94, v93
	v_sub_f32_e32 v17, v17, v93
	v_dual_add_f32 v97, v95, v92 :: v_dual_sub_f32 v94, v96, v94
	s_delay_alu instid0(VALU_DEP_1) | instskip(NEXT) | instid1(VALU_DEP_1)
	v_sub_f32_e32 v93, v97, v95
	v_dual_add_f32 v17, v17, v94 :: v_dual_sub_f32 v92, v92, v93
	s_delay_alu instid0(VALU_DEP_1) | instskip(NEXT) | instid1(VALU_DEP_1)
	v_add_f32_e32 v17, v17, v92
	v_add_f32_e32 v17, v97, v17
	s_delay_alu instid0(VALU_DEP_1)
	v_cndmask_b32_e32 v92, v17, v12, vcc_lo
.LBB26_80:                              ;   in Loop: Header=BB26_12 Depth=1
	s_or_b32 exec_lo, exec_lo, s30
	v_and_b32_e32 v12, 0xffff0000, v13
	s_delay_alu instid0(VALU_DEP_1) | instskip(NEXT) | instid1(VALU_DEP_1)
	v_add_f32_e32 v93, s67, v12
	v_cmp_ge_f32_e32 vcc_lo, 0x41a00000, v93
	s_and_b32 s29, s80, vcc_lo
	s_delay_alu instid0(SALU_CYCLE_1)
	s_and_saveexec_b32 s30, s29
	s_cbranch_execz .LBB26_82
; %bb.81:                               ;   in Loop: Header=BB26_12 Depth=1
	v_mul_f32_e32 v12, 0x3fb8aa3b, v93
	v_cmp_ngt_f32_e32 vcc_lo, 0xc2ce8ed0, v93
	s_delay_alu instid0(VALU_DEP_2) | instskip(SKIP_1) | instid1(VALU_DEP_2)
	v_rndne_f32_e32 v13, v12
	v_fma_f32 v17, 0x3fb8aa3b, v93, -v12
	v_sub_f32_e32 v12, v12, v13
	s_delay_alu instid0(VALU_DEP_2) | instskip(SKIP_1) | instid1(VALU_DEP_2)
	v_fmac_f32_e32 v17, 0x32a5705f, v93
	v_cvt_i32_f32_e32 v13, v13
	v_add_f32_e32 v12, v12, v17
	s_delay_alu instid0(VALU_DEP_1) | instskip(SKIP_2) | instid1(VALU_DEP_1)
	v_exp_f32_e32 v12, v12
	s_waitcnt_depctr 0xfff
	v_ldexp_f32 v12, v12, v13
	v_cndmask_b32_e32 v12, 0, v12, vcc_lo
	v_cmp_nlt_f32_e32 vcc_lo, 0x42b17218, v93
	s_delay_alu instid0(VALU_DEP_2) | instskip(NEXT) | instid1(VALU_DEP_1)
	v_cndmask_b32_e32 v17, 0x7f800000, v12, vcc_lo
	v_add_f32_e32 v93, 1.0, v17
	s_delay_alu instid0(VALU_DEP_1) | instskip(NEXT) | instid1(VALU_DEP_1)
	v_cvt_f64_f32_e32 v[12:13], v93
	v_frexp_exp_i32_f64_e32 v12, v[12:13]
	v_frexp_mant_f32_e32 v13, v93
	s_delay_alu instid0(VALU_DEP_1) | instskip(SKIP_1) | instid1(VALU_DEP_1)
	v_cmp_gt_f32_e32 vcc_lo, 0x3f2aaaab, v13
	v_add_f32_e32 v13, -1.0, v93
	v_sub_f32_e32 v95, v13, v93
	s_delay_alu instid0(VALU_DEP_1) | instskip(SKIP_1) | instid1(VALU_DEP_1)
	v_add_f32_e32 v95, 1.0, v95
	v_subrev_co_ci_u32_e32 v12, vcc_lo, 0, v12, vcc_lo
	v_sub_nc_u32_e32 v94, 0, v12
	v_cvt_f32_i32_e32 v12, v12
	s_delay_alu instid0(VALU_DEP_2) | instskip(NEXT) | instid1(VALU_DEP_1)
	v_ldexp_f32 v93, v93, v94
	v_add_f32_e32 v96, 1.0, v93
	v_sub_f32_e32 v13, v17, v13
	v_cmp_eq_f32_e32 vcc_lo, 0x7f800000, v17
	v_cmp_gt_f32_e64 s29, 0x33800000, v17
	s_delay_alu instid0(VALU_DEP_3) | instskip(SKIP_1) | instid1(VALU_DEP_3)
	v_add_f32_e32 v13, v13, v95
	v_add_f32_e32 v95, -1.0, v96
	s_or_b32 vcc_lo, s29, vcc_lo
	s_delay_alu instid0(VALU_DEP_2) | instskip(NEXT) | instid1(VALU_DEP_2)
	v_ldexp_f32 v13, v13, v94
	v_dual_add_f32 v94, -1.0, v93 :: v_dual_sub_f32 v95, v93, v95
	s_delay_alu instid0(VALU_DEP_1) | instskip(NEXT) | instid1(VALU_DEP_2)
	v_add_f32_e32 v97, 1.0, v94
	v_add_f32_e32 v95, v13, v95
	s_delay_alu instid0(VALU_DEP_2) | instskip(NEXT) | instid1(VALU_DEP_1)
	v_sub_f32_e32 v93, v93, v97
	v_add_f32_e32 v13, v13, v93
	s_delay_alu instid0(VALU_DEP_1) | instskip(NEXT) | instid1(VALU_DEP_1)
	v_dual_add_f32 v98, v94, v13 :: v_dual_add_f32 v97, v96, v95
	v_sub_f32_e32 v94, v94, v98
	s_delay_alu instid0(VALU_DEP_2) | instskip(NEXT) | instid1(VALU_DEP_1)
	v_rcp_f32_e32 v93, v97
	v_dual_sub_f32 v96, v96, v97 :: v_dual_add_f32 v13, v13, v94
	s_delay_alu instid0(VALU_DEP_1) | instskip(SKIP_2) | instid1(VALU_DEP_1)
	v_add_f32_e32 v95, v95, v96
	s_waitcnt_depctr 0xfff
	v_mul_f32_e32 v99, v98, v93
	v_mul_f32_e32 v100, v97, v99
	s_delay_alu instid0(VALU_DEP_1) | instskip(NEXT) | instid1(VALU_DEP_1)
	v_fma_f32 v96, v99, v97, -v100
	v_fmac_f32_e32 v96, v99, v95
	s_delay_alu instid0(VALU_DEP_1) | instskip(NEXT) | instid1(VALU_DEP_1)
	v_add_f32_e32 v101, v100, v96
	v_sub_f32_e32 v102, v98, v101
	v_sub_f32_e32 v94, v101, v100
	s_delay_alu instid0(VALU_DEP_2) | instskip(NEXT) | instid1(VALU_DEP_2)
	v_sub_f32_e32 v98, v98, v102
	v_sub_f32_e32 v94, v94, v96
	s_delay_alu instid0(VALU_DEP_2) | instskip(NEXT) | instid1(VALU_DEP_1)
	v_sub_f32_e32 v98, v98, v101
	v_add_f32_e32 v13, v13, v98
	s_delay_alu instid0(VALU_DEP_1) | instskip(NEXT) | instid1(VALU_DEP_1)
	v_add_f32_e32 v13, v94, v13
	v_add_f32_e32 v94, v102, v13
	s_delay_alu instid0(VALU_DEP_1) | instskip(NEXT) | instid1(VALU_DEP_1)
	v_mul_f32_e32 v96, v93, v94
	v_dual_sub_f32 v101, v102, v94 :: v_dual_mul_f32 v98, v97, v96
	s_delay_alu instid0(VALU_DEP_1) | instskip(NEXT) | instid1(VALU_DEP_1)
	v_fma_f32 v97, v96, v97, -v98
	v_fmac_f32_e32 v97, v96, v95
	s_delay_alu instid0(VALU_DEP_1) | instskip(NEXT) | instid1(VALU_DEP_1)
	v_add_f32_e32 v95, v98, v97
	v_dual_add_f32 v13, v13, v101 :: v_dual_sub_f32 v100, v94, v95
	s_delay_alu instid0(VALU_DEP_1) | instskip(NEXT) | instid1(VALU_DEP_1)
	v_sub_f32_e32 v94, v94, v100
	v_sub_f32_e32 v94, v94, v95
	s_delay_alu instid0(VALU_DEP_1) | instskip(SKIP_1) | instid1(VALU_DEP_1)
	v_dual_add_f32 v13, v13, v94 :: v_dual_add_f32 v94, v99, v96
	v_sub_f32_e32 v98, v95, v98
	v_sub_f32_e32 v95, v98, v97
	s_delay_alu instid0(VALU_DEP_1) | instskip(NEXT) | instid1(VALU_DEP_4)
	v_add_f32_e32 v13, v95, v13
	v_sub_f32_e32 v95, v94, v99
	s_delay_alu instid0(VALU_DEP_2) | instskip(NEXT) | instid1(VALU_DEP_2)
	v_add_f32_e32 v13, v100, v13
	v_sub_f32_e32 v95, v96, v95
	s_delay_alu instid0(VALU_DEP_2) | instskip(NEXT) | instid1(VALU_DEP_1)
	v_mul_f32_e32 v13, v93, v13
	v_add_f32_e32 v13, v95, v13
	s_delay_alu instid0(VALU_DEP_1) | instskip(NEXT) | instid1(VALU_DEP_1)
	v_add_f32_e32 v93, v94, v13
	v_mul_f32_e32 v95, v93, v93
	s_delay_alu instid0(VALU_DEP_1) | instskip(SKIP_1) | instid1(VALU_DEP_2)
	v_fmaak_f32 v96, s84, v95, 0x3ecc95a3
	v_mul_f32_e32 v97, v93, v95
	v_fmaak_f32 v95, v95, v96, 0x3f2aaada
	v_ldexp_f32 v96, v93, 1
	v_sub_f32_e32 v93, v93, v94
	s_delay_alu instid0(VALU_DEP_3) | instskip(SKIP_1) | instid1(VALU_DEP_2)
	v_mul_f32_e32 v95, v97, v95
	v_mul_f32_e32 v97, 0x3f317218, v12
	v_dual_sub_f32 v13, v13, v93 :: v_dual_add_f32 v94, v96, v95
	s_delay_alu instid0(VALU_DEP_1) | instskip(NEXT) | instid1(VALU_DEP_2)
	v_ldexp_f32 v13, v13, 1
	v_sub_f32_e32 v93, v94, v96
	s_delay_alu instid0(VALU_DEP_4) | instskip(NEXT) | instid1(VALU_DEP_1)
	v_fma_f32 v96, 0x3f317218, v12, -v97
	v_dual_sub_f32 v93, v95, v93 :: v_dual_fmac_f32 v96, 0xb102e308, v12
	s_delay_alu instid0(VALU_DEP_1) | instskip(NEXT) | instid1(VALU_DEP_2)
	v_add_f32_e32 v12, v13, v93
	v_add_f32_e32 v13, v97, v96
	s_delay_alu instid0(VALU_DEP_2) | instskip(NEXT) | instid1(VALU_DEP_2)
	v_add_f32_e32 v93, v94, v12
	v_sub_f32_e32 v97, v13, v97
	s_delay_alu instid0(VALU_DEP_2) | instskip(SKIP_1) | instid1(VALU_DEP_3)
	v_add_f32_e32 v95, v13, v93
	v_sub_f32_e32 v94, v93, v94
	v_sub_f32_e32 v96, v96, v97
	s_delay_alu instid0(VALU_DEP_3) | instskip(NEXT) | instid1(VALU_DEP_3)
	v_sub_f32_e32 v98, v95, v13
	v_sub_f32_e32 v12, v12, v94
	s_delay_alu instid0(VALU_DEP_2) | instskip(NEXT) | instid1(VALU_DEP_2)
	v_sub_f32_e32 v99, v95, v98
	v_dual_sub_f32 v93, v93, v98 :: v_dual_add_f32 v94, v96, v12
	s_delay_alu instid0(VALU_DEP_2) | instskip(NEXT) | instid1(VALU_DEP_1)
	v_sub_f32_e32 v13, v13, v99
	v_add_f32_e32 v13, v93, v13
	s_delay_alu instid0(VALU_DEP_3) | instskip(NEXT) | instid1(VALU_DEP_2)
	v_sub_f32_e32 v93, v94, v96
	v_add_f32_e32 v13, v94, v13
	s_delay_alu instid0(VALU_DEP_2) | instskip(SKIP_1) | instid1(VALU_DEP_1)
	v_sub_f32_e32 v12, v12, v93
	v_sub_f32_e32 v94, v94, v93
	v_dual_add_f32 v97, v95, v13 :: v_dual_sub_f32 v94, v96, v94
	s_delay_alu instid0(VALU_DEP_1) | instskip(NEXT) | instid1(VALU_DEP_1)
	v_dual_sub_f32 v93, v97, v95 :: v_dual_add_f32 v12, v12, v94
	v_sub_f32_e32 v13, v13, v93
	s_delay_alu instid0(VALU_DEP_1) | instskip(NEXT) | instid1(VALU_DEP_1)
	v_add_f32_e32 v12, v12, v13
	v_add_f32_e32 v12, v97, v12
	s_delay_alu instid0(VALU_DEP_1)
	v_cndmask_b32_e32 v93, v12, v17, vcc_lo
.LBB26_82:                              ;   in Loop: Header=BB26_12 Depth=1
	s_or_b32 exec_lo, exec_lo, s30
	v_lshlrev_b32_e32 v12, 16, v14
	s_delay_alu instid0(VALU_DEP_1) | instskip(NEXT) | instid1(VALU_DEP_1)
	v_add_f32_e32 v94, s67, v12
	v_cmp_ge_f32_e32 vcc_lo, 0x41a00000, v94
	s_and_b32 s29, s80, vcc_lo
	s_delay_alu instid0(SALU_CYCLE_1)
	s_and_saveexec_b32 s30, s29
	s_cbranch_execz .LBB26_84
; %bb.83:                               ;   in Loop: Header=BB26_12 Depth=1
	v_mul_f32_e32 v12, 0x3fb8aa3b, v94
	v_cmp_ngt_f32_e32 vcc_lo, 0xc2ce8ed0, v94
	s_delay_alu instid0(VALU_DEP_2) | instskip(SKIP_1) | instid1(VALU_DEP_1)
	v_rndne_f32_e32 v13, v12
	v_fma_f32 v17, 0x3fb8aa3b, v94, -v12
	v_dual_sub_f32 v12, v12, v13 :: v_dual_fmac_f32 v17, 0x32a5705f, v94
	v_cvt_i32_f32_e32 v13, v13
	s_delay_alu instid0(VALU_DEP_2) | instskip(NEXT) | instid1(VALU_DEP_1)
	v_add_f32_e32 v12, v12, v17
	v_exp_f32_e32 v12, v12
	s_waitcnt_depctr 0xfff
	v_ldexp_f32 v12, v12, v13
	s_delay_alu instid0(VALU_DEP_1) | instskip(SKIP_1) | instid1(VALU_DEP_2)
	v_cndmask_b32_e32 v12, 0, v12, vcc_lo
	v_cmp_nlt_f32_e32 vcc_lo, 0x42b17218, v94
	v_cndmask_b32_e32 v17, 0x7f800000, v12, vcc_lo
	s_delay_alu instid0(VALU_DEP_1) | instskip(NEXT) | instid1(VALU_DEP_1)
	v_add_f32_e32 v94, 1.0, v17
	v_cvt_f64_f32_e32 v[12:13], v94
	s_delay_alu instid0(VALU_DEP_1) | instskip(SKIP_1) | instid1(VALU_DEP_1)
	v_frexp_exp_i32_f64_e32 v12, v[12:13]
	v_frexp_mant_f32_e32 v13, v94
	v_cmp_gt_f32_e32 vcc_lo, 0x3f2aaaab, v13
	v_add_f32_e32 v13, -1.0, v94
	s_delay_alu instid0(VALU_DEP_1) | instskip(SKIP_2) | instid1(VALU_DEP_3)
	v_sub_f32_e32 v96, v13, v94
	v_sub_f32_e32 v13, v17, v13
	v_cmp_gt_f32_e64 s29, 0x33800000, v17
	v_add_f32_e32 v96, 1.0, v96
	s_delay_alu instid0(VALU_DEP_1) | instskip(SKIP_2) | instid1(VALU_DEP_2)
	v_add_f32_e32 v13, v13, v96
	v_subrev_co_ci_u32_e32 v12, vcc_lo, 0, v12, vcc_lo
	v_cmp_eq_f32_e32 vcc_lo, 0x7f800000, v17
	v_sub_nc_u32_e32 v95, 0, v12
	v_cvt_f32_i32_e32 v12, v12
	s_or_b32 vcc_lo, s29, vcc_lo
	s_delay_alu instid0(VALU_DEP_2) | instskip(SKIP_1) | instid1(VALU_DEP_2)
	v_ldexp_f32 v94, v94, v95
	v_ldexp_f32 v13, v13, v95
	v_add_f32_e32 v95, -1.0, v94
	s_delay_alu instid0(VALU_DEP_1) | instskip(NEXT) | instid1(VALU_DEP_1)
	v_dual_add_f32 v97, 1.0, v94 :: v_dual_add_f32 v98, 1.0, v95
	v_add_f32_e32 v96, -1.0, v97
	s_delay_alu instid0(VALU_DEP_1) | instskip(NEXT) | instid1(VALU_DEP_3)
	v_sub_f32_e32 v96, v94, v96
	v_sub_f32_e32 v94, v94, v98
	s_delay_alu instid0(VALU_DEP_2) | instskip(NEXT) | instid1(VALU_DEP_2)
	v_add_f32_e32 v96, v13, v96
	v_add_f32_e32 v13, v13, v94
	s_delay_alu instid0(VALU_DEP_1) | instskip(NEXT) | instid1(VALU_DEP_1)
	v_dual_add_f32 v99, v95, v13 :: v_dual_add_f32 v98, v97, v96
	v_sub_f32_e32 v95, v95, v99
	s_delay_alu instid0(VALU_DEP_2) | instskip(SKIP_1) | instid1(VALU_DEP_1)
	v_rcp_f32_e32 v94, v98
	v_sub_f32_e32 v97, v97, v98
	v_dual_add_f32 v13, v13, v95 :: v_dual_add_f32 v96, v96, v97
	s_waitcnt_depctr 0xfff
	v_mul_f32_e32 v100, v99, v94
	s_delay_alu instid0(VALU_DEP_1) | instskip(NEXT) | instid1(VALU_DEP_1)
	v_mul_f32_e32 v101, v98, v100
	v_fma_f32 v97, v100, v98, -v101
	s_delay_alu instid0(VALU_DEP_1) | instskip(NEXT) | instid1(VALU_DEP_1)
	v_fmac_f32_e32 v97, v100, v96
	v_add_f32_e32 v102, v101, v97
	s_delay_alu instid0(VALU_DEP_1) | instskip(SKIP_1) | instid1(VALU_DEP_2)
	v_sub_f32_e32 v103, v99, v102
	v_sub_f32_e32 v95, v102, v101
	;; [unrolled: 1-line block ×3, first 2 shown]
	s_delay_alu instid0(VALU_DEP_2) | instskip(NEXT) | instid1(VALU_DEP_2)
	v_sub_f32_e32 v95, v95, v97
	v_sub_f32_e32 v99, v99, v102
	s_delay_alu instid0(VALU_DEP_1) | instskip(NEXT) | instid1(VALU_DEP_1)
	v_add_f32_e32 v13, v13, v99
	v_add_f32_e32 v13, v95, v13
	s_delay_alu instid0(VALU_DEP_1) | instskip(NEXT) | instid1(VALU_DEP_1)
	v_add_f32_e32 v95, v103, v13
	v_mul_f32_e32 v97, v94, v95
	s_delay_alu instid0(VALU_DEP_1) | instskip(NEXT) | instid1(VALU_DEP_1)
	v_dual_sub_f32 v102, v103, v95 :: v_dual_mul_f32 v99, v98, v97
	v_add_f32_e32 v13, v13, v102
	s_delay_alu instid0(VALU_DEP_2) | instskip(NEXT) | instid1(VALU_DEP_1)
	v_fma_f32 v98, v97, v98, -v99
	v_fmac_f32_e32 v98, v97, v96
	s_delay_alu instid0(VALU_DEP_1) | instskip(NEXT) | instid1(VALU_DEP_1)
	v_add_f32_e32 v96, v99, v98
	v_sub_f32_e32 v101, v95, v96
	s_delay_alu instid0(VALU_DEP_1) | instskip(NEXT) | instid1(VALU_DEP_1)
	v_sub_f32_e32 v95, v95, v101
	v_sub_f32_e32 v95, v95, v96
	s_delay_alu instid0(VALU_DEP_1) | instskip(SKIP_2) | instid1(VALU_DEP_1)
	v_add_f32_e32 v13, v13, v95
	v_add_f32_e32 v95, v100, v97
	v_sub_f32_e32 v99, v96, v99
	v_sub_f32_e32 v96, v99, v98
	s_delay_alu instid0(VALU_DEP_1) | instskip(NEXT) | instid1(VALU_DEP_1)
	v_dual_add_f32 v13, v96, v13 :: v_dual_sub_f32 v96, v95, v100
	v_add_f32_e32 v13, v101, v13
	s_delay_alu instid0(VALU_DEP_1) | instskip(NEXT) | instid1(VALU_DEP_1)
	v_dual_sub_f32 v96, v97, v96 :: v_dual_mul_f32 v13, v94, v13
	v_add_f32_e32 v13, v96, v13
	s_delay_alu instid0(VALU_DEP_1) | instskip(NEXT) | instid1(VALU_DEP_1)
	v_add_f32_e32 v94, v95, v13
	v_mul_f32_e32 v96, v94, v94
	s_delay_alu instid0(VALU_DEP_1) | instskip(SKIP_1) | instid1(VALU_DEP_2)
	v_fmaak_f32 v97, s84, v96, 0x3ecc95a3
	v_mul_f32_e32 v98, v94, v96
	v_fmaak_f32 v96, v96, v97, 0x3f2aaada
	v_ldexp_f32 v97, v94, 1
	v_sub_f32_e32 v94, v94, v95
	s_delay_alu instid0(VALU_DEP_3) | instskip(NEXT) | instid1(VALU_DEP_2)
	v_mul_f32_e32 v96, v98, v96
	v_dual_mul_f32 v98, 0x3f317218, v12 :: v_dual_sub_f32 v13, v13, v94
	s_delay_alu instid0(VALU_DEP_2) | instskip(NEXT) | instid1(VALU_DEP_2)
	v_add_f32_e32 v95, v97, v96
	v_ldexp_f32 v13, v13, 1
	s_delay_alu instid0(VALU_DEP_2) | instskip(NEXT) | instid1(VALU_DEP_4)
	v_sub_f32_e32 v94, v95, v97
	v_fma_f32 v97, 0x3f317218, v12, -v98
	s_delay_alu instid0(VALU_DEP_1) | instskip(NEXT) | instid1(VALU_DEP_1)
	v_dual_sub_f32 v94, v96, v94 :: v_dual_fmac_f32 v97, 0xb102e308, v12
	v_add_f32_e32 v12, v13, v94
	s_delay_alu instid0(VALU_DEP_1) | instskip(NEXT) | instid1(VALU_DEP_1)
	v_add_f32_e32 v94, v95, v12
	v_sub_f32_e32 v95, v94, v95
	s_delay_alu instid0(VALU_DEP_1) | instskip(NEXT) | instid1(VALU_DEP_1)
	v_dual_sub_f32 v12, v12, v95 :: v_dual_add_f32 v13, v98, v97
	v_add_f32_e32 v96, v13, v94
	s_delay_alu instid0(VALU_DEP_1) | instskip(NEXT) | instid1(VALU_DEP_1)
	v_dual_sub_f32 v98, v13, v98 :: v_dual_sub_f32 v99, v96, v13
	v_dual_sub_f32 v97, v97, v98 :: v_dual_sub_f32 v100, v96, v99
	s_delay_alu instid0(VALU_DEP_1) | instskip(NEXT) | instid1(VALU_DEP_2)
	v_dual_sub_f32 v94, v94, v99 :: v_dual_add_f32 v95, v97, v12
	v_sub_f32_e32 v13, v13, v100
	s_delay_alu instid0(VALU_DEP_1) | instskip(NEXT) | instid1(VALU_DEP_3)
	v_add_f32_e32 v13, v94, v13
	v_sub_f32_e32 v94, v95, v97
	s_delay_alu instid0(VALU_DEP_2) | instskip(NEXT) | instid1(VALU_DEP_2)
	v_add_f32_e32 v13, v95, v13
	v_sub_f32_e32 v95, v95, v94
	v_sub_f32_e32 v12, v12, v94
	s_delay_alu instid0(VALU_DEP_2) | instskip(NEXT) | instid1(VALU_DEP_1)
	v_dual_add_f32 v98, v96, v13 :: v_dual_sub_f32 v95, v97, v95
	v_sub_f32_e32 v94, v98, v96
	s_delay_alu instid0(VALU_DEP_1) | instskip(NEXT) | instid1(VALU_DEP_1)
	v_dual_add_f32 v12, v12, v95 :: v_dual_sub_f32 v13, v13, v94
	v_add_f32_e32 v12, v12, v13
	s_delay_alu instid0(VALU_DEP_1) | instskip(NEXT) | instid1(VALU_DEP_1)
	v_add_f32_e32 v12, v98, v12
	v_cndmask_b32_e32 v94, v12, v17, vcc_lo
.LBB26_84:                              ;   in Loop: Header=BB26_12 Depth=1
	s_or_b32 exec_lo, exec_lo, s30
	v_and_b32_e32 v12, 0xffff0000, v14
	s_delay_alu instid0(VALU_DEP_1) | instskip(NEXT) | instid1(VALU_DEP_1)
	v_add_f32_e32 v95, s67, v12
	v_cmp_ge_f32_e32 vcc_lo, 0x41a00000, v95
	s_and_b32 s29, s80, vcc_lo
	s_delay_alu instid0(SALU_CYCLE_1)
	s_and_saveexec_b32 s30, s29
	s_cbranch_execz .LBB26_86
; %bb.85:                               ;   in Loop: Header=BB26_12 Depth=1
	v_mul_f32_e32 v12, 0x3fb8aa3b, v95
	v_cmp_ngt_f32_e32 vcc_lo, 0xc2ce8ed0, v95
	s_delay_alu instid0(VALU_DEP_2) | instskip(SKIP_1) | instid1(VALU_DEP_2)
	v_rndne_f32_e32 v13, v12
	v_fma_f32 v14, 0x3fb8aa3b, v95, -v12
	v_sub_f32_e32 v12, v12, v13
	s_delay_alu instid0(VALU_DEP_2) | instskip(SKIP_1) | instid1(VALU_DEP_2)
	v_fmac_f32_e32 v14, 0x32a5705f, v95
	v_cvt_i32_f32_e32 v13, v13
	v_add_f32_e32 v12, v12, v14
	s_delay_alu instid0(VALU_DEP_1) | instskip(SKIP_2) | instid1(VALU_DEP_1)
	v_exp_f32_e32 v12, v12
	s_waitcnt_depctr 0xfff
	v_ldexp_f32 v12, v12, v13
	v_cndmask_b32_e32 v12, 0, v12, vcc_lo
	v_cmp_nlt_f32_e32 vcc_lo, 0x42b17218, v95
	s_delay_alu instid0(VALU_DEP_2) | instskip(NEXT) | instid1(VALU_DEP_1)
	v_cndmask_b32_e32 v14, 0x7f800000, v12, vcc_lo
	v_add_f32_e32 v17, 1.0, v14
	s_delay_alu instid0(VALU_DEP_1) | instskip(NEXT) | instid1(VALU_DEP_1)
	v_cvt_f64_f32_e32 v[12:13], v17
	v_frexp_exp_i32_f64_e32 v12, v[12:13]
	v_frexp_mant_f32_e32 v13, v17
	s_delay_alu instid0(VALU_DEP_1) | instskip(SKIP_1) | instid1(VALU_DEP_1)
	v_cmp_gt_f32_e32 vcc_lo, 0x3f2aaaab, v13
	v_add_f32_e32 v13, -1.0, v17
	v_sub_f32_e32 v96, v13, v17
	v_sub_f32_e32 v13, v14, v13
	v_subrev_co_ci_u32_e32 v12, vcc_lo, 0, v12, vcc_lo
	s_delay_alu instid0(VALU_DEP_1) | instskip(SKIP_1) | instid1(VALU_DEP_2)
	v_sub_nc_u32_e32 v95, 0, v12
	v_cvt_f32_i32_e32 v12, v12
	v_ldexp_f32 v17, v17, v95
	s_delay_alu instid0(VALU_DEP_1) | instskip(NEXT) | instid1(VALU_DEP_1)
	v_dual_add_f32 v96, 1.0, v96 :: v_dual_add_f32 v97, 1.0, v17
	v_dual_add_f32 v13, v13, v96 :: v_dual_add_f32 v96, -1.0, v97
	s_delay_alu instid0(VALU_DEP_1) | instskip(SKIP_4) | instid1(VALU_DEP_4)
	v_ldexp_f32 v13, v13, v95
	v_add_f32_e32 v95, -1.0, v17
	v_cmp_eq_f32_e32 vcc_lo, 0x7f800000, v14
	v_cmp_gt_f32_e64 s29, 0x33800000, v14
	v_sub_f32_e32 v96, v17, v96
	v_add_f32_e32 v98, 1.0, v95
	s_delay_alu instid0(VALU_DEP_3) | instskip(NEXT) | instid1(VALU_DEP_2)
	s_or_b32 vcc_lo, s29, vcc_lo
	v_add_f32_e32 v96, v13, v96
	s_delay_alu instid0(VALU_DEP_2) | instskip(NEXT) | instid1(VALU_DEP_1)
	v_sub_f32_e32 v17, v17, v98
	v_add_f32_e32 v13, v13, v17
	s_delay_alu instid0(VALU_DEP_1) | instskip(NEXT) | instid1(VALU_DEP_1)
	v_dual_add_f32 v99, v95, v13 :: v_dual_add_f32 v98, v97, v96
	v_sub_f32_e32 v95, v95, v99
	s_delay_alu instid0(VALU_DEP_2) | instskip(SKIP_1) | instid1(VALU_DEP_1)
	v_rcp_f32_e32 v17, v98
	v_sub_f32_e32 v97, v97, v98
	v_dual_add_f32 v13, v13, v95 :: v_dual_add_f32 v96, v96, v97
	s_waitcnt_depctr 0xfff
	v_mul_f32_e32 v100, v99, v17
	s_delay_alu instid0(VALU_DEP_1) | instskip(NEXT) | instid1(VALU_DEP_1)
	v_mul_f32_e32 v101, v98, v100
	v_fma_f32 v97, v100, v98, -v101
	s_delay_alu instid0(VALU_DEP_1) | instskip(NEXT) | instid1(VALU_DEP_1)
	v_fmac_f32_e32 v97, v100, v96
	v_add_f32_e32 v102, v101, v97
	s_delay_alu instid0(VALU_DEP_1) | instskip(NEXT) | instid1(VALU_DEP_1)
	v_sub_f32_e32 v103, v99, v102
	v_sub_f32_e32 v99, v99, v103
	;; [unrolled: 1-line block ×3, first 2 shown]
	s_delay_alu instid0(VALU_DEP_2) | instskip(NEXT) | instid1(VALU_DEP_2)
	v_sub_f32_e32 v99, v99, v102
	v_sub_f32_e32 v95, v95, v97
	s_delay_alu instid0(VALU_DEP_2) | instskip(NEXT) | instid1(VALU_DEP_1)
	v_add_f32_e32 v13, v13, v99
	v_add_f32_e32 v13, v95, v13
	s_delay_alu instid0(VALU_DEP_1) | instskip(NEXT) | instid1(VALU_DEP_1)
	v_add_f32_e32 v95, v103, v13
	v_mul_f32_e32 v97, v17, v95
	s_delay_alu instid0(VALU_DEP_1) | instskip(NEXT) | instid1(VALU_DEP_1)
	v_dual_sub_f32 v102, v103, v95 :: v_dual_mul_f32 v99, v98, v97
	v_add_f32_e32 v13, v13, v102
	s_delay_alu instid0(VALU_DEP_2) | instskip(NEXT) | instid1(VALU_DEP_1)
	v_fma_f32 v98, v97, v98, -v99
	v_fmac_f32_e32 v98, v97, v96
	s_delay_alu instid0(VALU_DEP_1) | instskip(NEXT) | instid1(VALU_DEP_1)
	v_add_f32_e32 v96, v99, v98
	v_sub_f32_e32 v101, v95, v96
	v_sub_f32_e32 v99, v96, v99
	s_delay_alu instid0(VALU_DEP_2) | instskip(NEXT) | instid1(VALU_DEP_1)
	v_sub_f32_e32 v95, v95, v101
	v_sub_f32_e32 v95, v95, v96
	s_delay_alu instid0(VALU_DEP_1) | instskip(SKIP_1) | instid1(VALU_DEP_1)
	v_dual_sub_f32 v96, v99, v98 :: v_dual_add_f32 v13, v13, v95
	v_add_f32_e32 v95, v100, v97
	v_dual_add_f32 v13, v96, v13 :: v_dual_sub_f32 v96, v95, v100
	s_delay_alu instid0(VALU_DEP_1) | instskip(NEXT) | instid1(VALU_DEP_2)
	v_add_f32_e32 v13, v101, v13
	v_sub_f32_e32 v96, v97, v96
	s_delay_alu instid0(VALU_DEP_2) | instskip(NEXT) | instid1(VALU_DEP_1)
	v_mul_f32_e32 v13, v17, v13
	v_add_f32_e32 v13, v96, v13
	s_delay_alu instid0(VALU_DEP_1) | instskip(NEXT) | instid1(VALU_DEP_1)
	v_add_f32_e32 v17, v95, v13
	v_mul_f32_e32 v96, v17, v17
	s_delay_alu instid0(VALU_DEP_1) | instskip(SKIP_1) | instid1(VALU_DEP_2)
	v_fmaak_f32 v97, s84, v96, 0x3ecc95a3
	v_mul_f32_e32 v98, v17, v96
	v_fmaak_f32 v96, v96, v97, 0x3f2aaada
	v_ldexp_f32 v97, v17, 1
	s_delay_alu instid0(VALU_DEP_2) | instskip(NEXT) | instid1(VALU_DEP_1)
	v_dual_sub_f32 v17, v17, v95 :: v_dual_mul_f32 v96, v98, v96
	v_dual_mul_f32 v98, 0x3f317218, v12 :: v_dual_sub_f32 v13, v13, v17
	s_delay_alu instid0(VALU_DEP_2) | instskip(NEXT) | instid1(VALU_DEP_2)
	v_add_f32_e32 v95, v97, v96
	v_ldexp_f32 v13, v13, 1
	s_delay_alu instid0(VALU_DEP_2) | instskip(NEXT) | instid1(VALU_DEP_4)
	v_sub_f32_e32 v17, v95, v97
	v_fma_f32 v97, 0x3f317218, v12, -v98
	s_delay_alu instid0(VALU_DEP_2) | instskip(NEXT) | instid1(VALU_DEP_1)
	v_sub_f32_e32 v17, v96, v17
	v_dual_fmac_f32 v97, 0xb102e308, v12 :: v_dual_add_f32 v12, v13, v17
	s_delay_alu instid0(VALU_DEP_1) | instskip(NEXT) | instid1(VALU_DEP_1)
	v_add_f32_e32 v13, v98, v97
	v_dual_add_f32 v17, v95, v12 :: v_dual_sub_f32 v98, v13, v98
	s_delay_alu instid0(VALU_DEP_1) | instskip(SKIP_1) | instid1(VALU_DEP_3)
	v_add_f32_e32 v96, v13, v17
	v_sub_f32_e32 v95, v17, v95
	v_sub_f32_e32 v97, v97, v98
	s_delay_alu instid0(VALU_DEP_3) | instskip(NEXT) | instid1(VALU_DEP_3)
	v_sub_f32_e32 v99, v96, v13
	v_sub_f32_e32 v12, v12, v95
	s_delay_alu instid0(VALU_DEP_2) | instskip(SKIP_1) | instid1(VALU_DEP_3)
	v_sub_f32_e32 v100, v96, v99
	v_sub_f32_e32 v17, v17, v99
	v_add_f32_e32 v95, v97, v12
	s_delay_alu instid0(VALU_DEP_3) | instskip(NEXT) | instid1(VALU_DEP_1)
	v_sub_f32_e32 v13, v13, v100
	v_add_f32_e32 v13, v17, v13
	s_delay_alu instid0(VALU_DEP_3) | instskip(NEXT) | instid1(VALU_DEP_2)
	v_sub_f32_e32 v17, v95, v97
	v_add_f32_e32 v13, v95, v13
	s_delay_alu instid0(VALU_DEP_2) | instskip(SKIP_1) | instid1(VALU_DEP_2)
	v_sub_f32_e32 v95, v95, v17
	v_sub_f32_e32 v12, v12, v17
	v_dual_add_f32 v98, v96, v13 :: v_dual_sub_f32 v95, v97, v95
	s_delay_alu instid0(VALU_DEP_1) | instskip(NEXT) | instid1(VALU_DEP_1)
	v_dual_sub_f32 v17, v98, v96 :: v_dual_add_f32 v12, v12, v95
	v_sub_f32_e32 v13, v13, v17
	s_delay_alu instid0(VALU_DEP_1) | instskip(NEXT) | instid1(VALU_DEP_1)
	v_add_f32_e32 v12, v12, v13
	v_add_f32_e32 v12, v98, v12
	s_delay_alu instid0(VALU_DEP_1)
	v_cndmask_b32_e32 v95, v12, v14, vcc_lo
.LBB26_86:                              ;   in Loop: Header=BB26_12 Depth=1
	s_or_b32 exec_lo, exec_lo, s30
	v_lshlrev_b32_e32 v12, 16, v15
	s_delay_alu instid0(VALU_DEP_1) | instskip(NEXT) | instid1(VALU_DEP_1)
	v_add_f32_e32 v96, s67, v12
	v_cmp_ge_f32_e32 vcc_lo, 0x41a00000, v96
	s_and_b32 s29, s80, vcc_lo
	s_delay_alu instid0(SALU_CYCLE_1)
	s_and_saveexec_b32 s30, s29
	s_cbranch_execz .LBB26_88
; %bb.87:                               ;   in Loop: Header=BB26_12 Depth=1
	v_mul_f32_e32 v12, 0x3fb8aa3b, v96
	v_cmp_ngt_f32_e32 vcc_lo, 0xc2ce8ed0, v96
	s_delay_alu instid0(VALU_DEP_2) | instskip(SKIP_1) | instid1(VALU_DEP_2)
	v_rndne_f32_e32 v13, v12
	v_fma_f32 v14, 0x3fb8aa3b, v96, -v12
	v_sub_f32_e32 v12, v12, v13
	s_delay_alu instid0(VALU_DEP_2) | instskip(SKIP_1) | instid1(VALU_DEP_2)
	v_fmac_f32_e32 v14, 0x32a5705f, v96
	v_cvt_i32_f32_e32 v13, v13
	v_add_f32_e32 v12, v12, v14
	s_delay_alu instid0(VALU_DEP_1) | instskip(SKIP_2) | instid1(VALU_DEP_1)
	v_exp_f32_e32 v12, v12
	s_waitcnt_depctr 0xfff
	v_ldexp_f32 v12, v12, v13
	v_cndmask_b32_e32 v12, 0, v12, vcc_lo
	v_cmp_nlt_f32_e32 vcc_lo, 0x42b17218, v96
	s_delay_alu instid0(VALU_DEP_2) | instskip(NEXT) | instid1(VALU_DEP_1)
	v_cndmask_b32_e32 v14, 0x7f800000, v12, vcc_lo
	v_add_f32_e32 v17, 1.0, v14
	s_delay_alu instid0(VALU_DEP_1) | instskip(NEXT) | instid1(VALU_DEP_1)
	v_cvt_f64_f32_e32 v[12:13], v17
	v_frexp_exp_i32_f64_e32 v12, v[12:13]
	v_frexp_mant_f32_e32 v13, v17
	s_delay_alu instid0(VALU_DEP_1) | instskip(SKIP_1) | instid1(VALU_DEP_1)
	v_cmp_gt_f32_e32 vcc_lo, 0x3f2aaaab, v13
	v_add_f32_e32 v13, -1.0, v17
	v_sub_f32_e32 v97, v13, v17
	s_delay_alu instid0(VALU_DEP_1) | instskip(SKIP_2) | instid1(VALU_DEP_2)
	v_add_f32_e32 v97, 1.0, v97
	v_sub_f32_e32 v13, v14, v13
	v_cmp_gt_f32_e64 s29, 0x33800000, v14
	v_add_f32_e32 v13, v13, v97
	v_subrev_co_ci_u32_e32 v12, vcc_lo, 0, v12, vcc_lo
	v_cmp_eq_f32_e32 vcc_lo, 0x7f800000, v14
	s_delay_alu instid0(VALU_DEP_2) | instskip(SKIP_2) | instid1(VALU_DEP_2)
	v_sub_nc_u32_e32 v96, 0, v12
	v_cvt_f32_i32_e32 v12, v12
	s_or_b32 vcc_lo, s29, vcc_lo
	v_ldexp_f32 v17, v17, v96
	v_ldexp_f32 v13, v13, v96
	s_delay_alu instid0(VALU_DEP_2) | instskip(NEXT) | instid1(VALU_DEP_1)
	v_add_f32_e32 v96, -1.0, v17
	v_dual_add_f32 v98, 1.0, v17 :: v_dual_add_f32 v99, 1.0, v96
	s_delay_alu instid0(VALU_DEP_1) | instskip(NEXT) | instid1(VALU_DEP_1)
	v_add_f32_e32 v97, -1.0, v98
	v_sub_f32_e32 v97, v17, v97
	s_delay_alu instid0(VALU_DEP_3) | instskip(NEXT) | instid1(VALU_DEP_2)
	v_sub_f32_e32 v17, v17, v99
	v_add_f32_e32 v97, v13, v97
	s_delay_alu instid0(VALU_DEP_2) | instskip(NEXT) | instid1(VALU_DEP_1)
	v_add_f32_e32 v13, v13, v17
	v_add_f32_e32 v100, v96, v13
	s_delay_alu instid0(VALU_DEP_1) | instskip(NEXT) | instid1(VALU_DEP_1)
	v_dual_sub_f32 v96, v96, v100 :: v_dual_add_f32 v99, v98, v97
	v_add_f32_e32 v13, v13, v96
	s_delay_alu instid0(VALU_DEP_2) | instskip(SKIP_1) | instid1(VALU_DEP_1)
	v_rcp_f32_e32 v17, v99
	v_sub_f32_e32 v98, v98, v99
	v_add_f32_e32 v97, v97, v98
	s_waitcnt_depctr 0xfff
	v_mul_f32_e32 v101, v100, v17
	s_delay_alu instid0(VALU_DEP_1) | instskip(NEXT) | instid1(VALU_DEP_1)
	v_mul_f32_e32 v102, v99, v101
	v_fma_f32 v98, v101, v99, -v102
	s_delay_alu instid0(VALU_DEP_1) | instskip(NEXT) | instid1(VALU_DEP_1)
	v_fmac_f32_e32 v98, v101, v97
	v_add_f32_e32 v103, v102, v98
	s_delay_alu instid0(VALU_DEP_1) | instskip(SKIP_1) | instid1(VALU_DEP_2)
	v_sub_f32_e32 v104, v100, v103
	v_sub_f32_e32 v96, v103, v102
	;; [unrolled: 1-line block ×3, first 2 shown]
	s_delay_alu instid0(VALU_DEP_1) | instskip(NEXT) | instid1(VALU_DEP_1)
	v_sub_f32_e32 v100, v100, v103
	v_dual_sub_f32 v96, v96, v98 :: v_dual_add_f32 v13, v13, v100
	s_delay_alu instid0(VALU_DEP_1) | instskip(NEXT) | instid1(VALU_DEP_1)
	v_add_f32_e32 v13, v96, v13
	v_add_f32_e32 v96, v104, v13
	s_delay_alu instid0(VALU_DEP_1) | instskip(NEXT) | instid1(VALU_DEP_1)
	v_mul_f32_e32 v98, v17, v96
	v_dual_sub_f32 v103, v104, v96 :: v_dual_mul_f32 v100, v99, v98
	s_delay_alu instid0(VALU_DEP_1) | instskip(NEXT) | instid1(VALU_DEP_2)
	v_add_f32_e32 v13, v13, v103
	v_fma_f32 v99, v98, v99, -v100
	s_delay_alu instid0(VALU_DEP_1) | instskip(NEXT) | instid1(VALU_DEP_1)
	v_fmac_f32_e32 v99, v98, v97
	v_add_f32_e32 v97, v100, v99
	s_delay_alu instid0(VALU_DEP_1) | instskip(NEXT) | instid1(VALU_DEP_1)
	v_sub_f32_e32 v102, v96, v97
	v_sub_f32_e32 v96, v96, v102
	s_delay_alu instid0(VALU_DEP_1) | instskip(NEXT) | instid1(VALU_DEP_1)
	v_sub_f32_e32 v96, v96, v97
	v_add_f32_e32 v13, v13, v96
	v_add_f32_e32 v96, v101, v98
	v_sub_f32_e32 v100, v97, v100
	s_delay_alu instid0(VALU_DEP_1) | instskip(NEXT) | instid1(VALU_DEP_1)
	v_sub_f32_e32 v97, v100, v99
	v_add_f32_e32 v13, v97, v13
	s_delay_alu instid0(VALU_DEP_4) | instskip(NEXT) | instid1(VALU_DEP_2)
	v_sub_f32_e32 v97, v96, v101
	v_add_f32_e32 v13, v102, v13
	s_delay_alu instid0(VALU_DEP_2) | instskip(NEXT) | instid1(VALU_DEP_2)
	v_sub_f32_e32 v97, v98, v97
	v_mul_f32_e32 v13, v17, v13
	s_delay_alu instid0(VALU_DEP_1) | instskip(NEXT) | instid1(VALU_DEP_1)
	v_add_f32_e32 v13, v97, v13
	v_add_f32_e32 v17, v96, v13
	s_delay_alu instid0(VALU_DEP_1) | instskip(NEXT) | instid1(VALU_DEP_1)
	v_mul_f32_e32 v97, v17, v17
	v_fmaak_f32 v98, s84, v97, 0x3ecc95a3
	v_mul_f32_e32 v99, v17, v97
	s_delay_alu instid0(VALU_DEP_2) | instskip(SKIP_1) | instid1(VALU_DEP_2)
	v_fmaak_f32 v97, v97, v98, 0x3f2aaada
	v_ldexp_f32 v98, v17, 1
	v_mul_f32_e32 v97, v99, v97
	s_delay_alu instid0(VALU_DEP_1) | instskip(NEXT) | instid1(VALU_DEP_1)
	v_dual_sub_f32 v17, v17, v96 :: v_dual_add_f32 v96, v98, v97
	v_sub_f32_e32 v13, v13, v17
	s_delay_alu instid0(VALU_DEP_2) | instskip(NEXT) | instid1(VALU_DEP_2)
	v_sub_f32_e32 v17, v96, v98
	v_ldexp_f32 v13, v13, 1
	s_delay_alu instid0(VALU_DEP_2) | instskip(SKIP_1) | instid1(VALU_DEP_1)
	v_sub_f32_e32 v17, v97, v17
	v_mul_f32_e32 v99, 0x3f317218, v12
	v_fma_f32 v98, 0x3f317218, v12, -v99
	s_delay_alu instid0(VALU_DEP_1) | instskip(NEXT) | instid1(VALU_DEP_1)
	v_fmac_f32_e32 v98, 0xb102e308, v12
	v_dual_add_f32 v12, v13, v17 :: v_dual_add_f32 v13, v99, v98
	s_delay_alu instid0(VALU_DEP_1) | instskip(NEXT) | instid1(VALU_DEP_1)
	v_add_f32_e32 v17, v96, v12
	v_add_f32_e32 v97, v13, v17
	v_sub_f32_e32 v96, v17, v96
	s_delay_alu instid0(VALU_DEP_2) | instskip(NEXT) | instid1(VALU_DEP_2)
	v_sub_f32_e32 v100, v97, v13
	v_dual_sub_f32 v12, v12, v96 :: v_dual_sub_f32 v99, v13, v99
	s_delay_alu instid0(VALU_DEP_2) | instskip(NEXT) | instid1(VALU_DEP_2)
	v_sub_f32_e32 v101, v97, v100
	v_dual_sub_f32 v17, v17, v100 :: v_dual_sub_f32 v98, v98, v99
	s_delay_alu instid0(VALU_DEP_1) | instskip(NEXT) | instid1(VALU_DEP_1)
	v_dual_sub_f32 v13, v13, v101 :: v_dual_add_f32 v96, v98, v12
	v_add_f32_e32 v13, v17, v13
	s_delay_alu instid0(VALU_DEP_2) | instskip(NEXT) | instid1(VALU_DEP_2)
	v_sub_f32_e32 v17, v96, v98
	v_add_f32_e32 v13, v96, v13
	s_delay_alu instid0(VALU_DEP_2) | instskip(SKIP_1) | instid1(VALU_DEP_2)
	v_sub_f32_e32 v96, v96, v17
	v_sub_f32_e32 v12, v12, v17
	v_dual_add_f32 v99, v97, v13 :: v_dual_sub_f32 v96, v98, v96
	s_delay_alu instid0(VALU_DEP_1) | instskip(NEXT) | instid1(VALU_DEP_1)
	v_dual_sub_f32 v17, v99, v97 :: v_dual_add_f32 v12, v12, v96
	v_sub_f32_e32 v13, v13, v17
	s_delay_alu instid0(VALU_DEP_1) | instskip(NEXT) | instid1(VALU_DEP_1)
	v_add_f32_e32 v12, v12, v13
	v_add_f32_e32 v12, v99, v12
	s_delay_alu instid0(VALU_DEP_1)
	v_cndmask_b32_e32 v96, v12, v14, vcc_lo
.LBB26_88:                              ;   in Loop: Header=BB26_12 Depth=1
	s_or_b32 exec_lo, exec_lo, s30
	v_and_b32_e32 v12, 0xffff0000, v15
	s_delay_alu instid0(VALU_DEP_1) | instskip(NEXT) | instid1(VALU_DEP_1)
	v_add_f32_e32 v97, s67, v12
	v_cmp_ge_f32_e32 vcc_lo, 0x41a00000, v97
	s_and_b32 s29, s80, vcc_lo
	s_delay_alu instid0(SALU_CYCLE_1)
	s_and_saveexec_b32 s30, s29
	s_cbranch_execz .LBB26_90
; %bb.89:                               ;   in Loop: Header=BB26_12 Depth=1
	v_mul_f32_e32 v12, 0x3fb8aa3b, v97
	v_cmp_ngt_f32_e32 vcc_lo, 0xc2ce8ed0, v97
	s_delay_alu instid0(VALU_DEP_2) | instskip(SKIP_1) | instid1(VALU_DEP_2)
	v_rndne_f32_e32 v13, v12
	v_fma_f32 v14, 0x3fb8aa3b, v97, -v12
	v_sub_f32_e32 v12, v12, v13
	s_delay_alu instid0(VALU_DEP_2) | instskip(SKIP_1) | instid1(VALU_DEP_2)
	v_fmac_f32_e32 v14, 0x32a5705f, v97
	v_cvt_i32_f32_e32 v13, v13
	v_add_f32_e32 v12, v12, v14
	s_delay_alu instid0(VALU_DEP_1) | instskip(SKIP_2) | instid1(VALU_DEP_1)
	v_exp_f32_e32 v12, v12
	s_waitcnt_depctr 0xfff
	v_ldexp_f32 v12, v12, v13
	v_cndmask_b32_e32 v12, 0, v12, vcc_lo
	v_cmp_nlt_f32_e32 vcc_lo, 0x42b17218, v97
	s_delay_alu instid0(VALU_DEP_2) | instskip(NEXT) | instid1(VALU_DEP_1)
	v_cndmask_b32_e32 v14, 0x7f800000, v12, vcc_lo
	v_add_f32_e32 v15, 1.0, v14
	s_delay_alu instid0(VALU_DEP_1) | instskip(NEXT) | instid1(VALU_DEP_1)
	v_cvt_f64_f32_e32 v[12:13], v15
	v_frexp_exp_i32_f64_e32 v12, v[12:13]
	v_frexp_mant_f32_e32 v13, v15
	s_delay_alu instid0(VALU_DEP_1) | instskip(SKIP_1) | instid1(VALU_DEP_1)
	v_cmp_gt_f32_e32 vcc_lo, 0x3f2aaaab, v13
	v_add_f32_e32 v13, -1.0, v15
	v_sub_f32_e32 v97, v13, v15
	v_sub_f32_e32 v13, v14, v13
	s_delay_alu instid0(VALU_DEP_2) | instskip(NEXT) | instid1(VALU_DEP_1)
	v_add_f32_e32 v97, 1.0, v97
	v_add_f32_e32 v13, v13, v97
	v_cmp_gt_f32_e64 s29, 0x33800000, v14
	v_subrev_co_ci_u32_e32 v12, vcc_lo, 0, v12, vcc_lo
	v_cmp_eq_f32_e32 vcc_lo, 0x7f800000, v14
	s_delay_alu instid0(VALU_DEP_2) | instskip(SKIP_2) | instid1(VALU_DEP_2)
	v_sub_nc_u32_e32 v17, 0, v12
	v_cvt_f32_i32_e32 v12, v12
	s_or_b32 vcc_lo, s29, vcc_lo
	v_ldexp_f32 v15, v15, v17
	v_ldexp_f32 v13, v13, v17
	s_delay_alu instid0(VALU_DEP_2) | instskip(SKIP_1) | instid1(VALU_DEP_2)
	v_add_f32_e32 v98, 1.0, v15
	v_add_f32_e32 v17, -1.0, v15
	v_add_f32_e32 v97, -1.0, v98
	s_delay_alu instid0(VALU_DEP_2) | instskip(NEXT) | instid1(VALU_DEP_2)
	v_add_f32_e32 v99, 1.0, v17
	v_sub_f32_e32 v97, v15, v97
	s_delay_alu instid0(VALU_DEP_2) | instskip(NEXT) | instid1(VALU_DEP_2)
	v_sub_f32_e32 v15, v15, v99
	v_add_f32_e32 v97, v13, v97
	s_delay_alu instid0(VALU_DEP_2) | instskip(NEXT) | instid1(VALU_DEP_1)
	v_add_f32_e32 v13, v13, v15
	v_add_f32_e32 v100, v17, v13
	s_delay_alu instid0(VALU_DEP_3) | instskip(NEXT) | instid1(VALU_DEP_1)
	v_add_f32_e32 v99, v98, v97
	v_rcp_f32_e32 v15, v99
	v_sub_f32_e32 v98, v98, v99
	s_delay_alu instid0(VALU_DEP_1) | instskip(SKIP_2) | instid1(VALU_DEP_1)
	v_add_f32_e32 v97, v97, v98
	s_waitcnt_depctr 0xfff
	v_mul_f32_e32 v101, v100, v15
	v_dual_mul_f32 v102, v99, v101 :: v_dual_sub_f32 v17, v17, v100
	s_delay_alu instid0(VALU_DEP_1) | instskip(NEXT) | instid1(VALU_DEP_2)
	v_fma_f32 v98, v101, v99, -v102
	v_add_f32_e32 v13, v13, v17
	s_delay_alu instid0(VALU_DEP_2) | instskip(NEXT) | instid1(VALU_DEP_1)
	v_fmac_f32_e32 v98, v101, v97
	v_add_f32_e32 v103, v102, v98
	s_delay_alu instid0(VALU_DEP_1) | instskip(NEXT) | instid1(VALU_DEP_1)
	v_dual_sub_f32 v104, v100, v103 :: v_dual_sub_f32 v17, v103, v102
	v_dual_sub_f32 v100, v100, v104 :: v_dual_sub_f32 v17, v17, v98
	s_delay_alu instid0(VALU_DEP_1) | instskip(NEXT) | instid1(VALU_DEP_1)
	v_sub_f32_e32 v100, v100, v103
	v_add_f32_e32 v13, v13, v100
	s_delay_alu instid0(VALU_DEP_1) | instskip(NEXT) | instid1(VALU_DEP_1)
	v_add_f32_e32 v13, v17, v13
	v_add_f32_e32 v17, v104, v13
	s_delay_alu instid0(VALU_DEP_1) | instskip(NEXT) | instid1(VALU_DEP_1)
	v_mul_f32_e32 v98, v15, v17
	v_dual_sub_f32 v103, v104, v17 :: v_dual_mul_f32 v100, v99, v98
	s_delay_alu instid0(VALU_DEP_1) | instskip(NEXT) | instid1(VALU_DEP_2)
	v_add_f32_e32 v13, v13, v103
	v_fma_f32 v99, v98, v99, -v100
	s_delay_alu instid0(VALU_DEP_1) | instskip(NEXT) | instid1(VALU_DEP_1)
	v_fmac_f32_e32 v99, v98, v97
	v_add_f32_e32 v97, v100, v99
	s_delay_alu instid0(VALU_DEP_1) | instskip(SKIP_1) | instid1(VALU_DEP_2)
	v_sub_f32_e32 v102, v17, v97
	v_sub_f32_e32 v100, v97, v100
	;; [unrolled: 1-line block ×3, first 2 shown]
	s_delay_alu instid0(VALU_DEP_1) | instskip(NEXT) | instid1(VALU_DEP_3)
	v_sub_f32_e32 v17, v17, v97
	v_sub_f32_e32 v97, v100, v99
	s_delay_alu instid0(VALU_DEP_2) | instskip(SKIP_1) | instid1(VALU_DEP_2)
	v_add_f32_e32 v13, v13, v17
	v_add_f32_e32 v17, v101, v98
	;; [unrolled: 1-line block ×3, first 2 shown]
	s_delay_alu instid0(VALU_DEP_2) | instskip(NEXT) | instid1(VALU_DEP_2)
	v_sub_f32_e32 v97, v17, v101
	v_add_f32_e32 v13, v102, v13
	s_delay_alu instid0(VALU_DEP_2) | instskip(NEXT) | instid1(VALU_DEP_2)
	v_sub_f32_e32 v97, v98, v97
	v_mul_f32_e32 v13, v15, v13
	s_delay_alu instid0(VALU_DEP_1) | instskip(NEXT) | instid1(VALU_DEP_1)
	v_add_f32_e32 v13, v97, v13
	v_add_f32_e32 v15, v17, v13
	s_delay_alu instid0(VALU_DEP_1) | instskip(NEXT) | instid1(VALU_DEP_1)
	v_mul_f32_e32 v97, v15, v15
	v_fmaak_f32 v98, s84, v97, 0x3ecc95a3
	v_mul_f32_e32 v99, v15, v97
	s_delay_alu instid0(VALU_DEP_2) | instskip(SKIP_2) | instid1(VALU_DEP_3)
	v_fmaak_f32 v97, v97, v98, 0x3f2aaada
	v_ldexp_f32 v98, v15, 1
	v_sub_f32_e32 v15, v15, v17
	v_mul_f32_e32 v97, v99, v97
	v_mul_f32_e32 v99, 0x3f317218, v12
	s_delay_alu instid0(VALU_DEP_3) | instskip(NEXT) | instid1(VALU_DEP_3)
	v_sub_f32_e32 v13, v13, v15
	v_add_f32_e32 v17, v98, v97
	s_delay_alu instid0(VALU_DEP_2) | instskip(NEXT) | instid1(VALU_DEP_2)
	v_ldexp_f32 v13, v13, 1
	v_sub_f32_e32 v15, v17, v98
	v_fma_f32 v98, 0x3f317218, v12, -v99
	s_delay_alu instid0(VALU_DEP_1) | instskip(NEXT) | instid1(VALU_DEP_1)
	v_dual_sub_f32 v15, v97, v15 :: v_dual_fmac_f32 v98, 0xb102e308, v12
	v_dual_add_f32 v12, v13, v15 :: v_dual_add_f32 v13, v99, v98
	s_delay_alu instid0(VALU_DEP_1) | instskip(NEXT) | instid1(VALU_DEP_1)
	v_add_f32_e32 v15, v17, v12
	v_add_f32_e32 v97, v13, v15
	v_sub_f32_e32 v17, v15, v17
	s_delay_alu instid0(VALU_DEP_2) | instskip(NEXT) | instid1(VALU_DEP_2)
	v_sub_f32_e32 v100, v97, v13
	v_dual_sub_f32 v99, v13, v99 :: v_dual_sub_f32 v12, v12, v17
	s_delay_alu instid0(VALU_DEP_1) | instskip(SKIP_1) | instid1(VALU_DEP_2)
	v_dual_sub_f32 v101, v97, v100 :: v_dual_sub_f32 v98, v98, v99
	v_sub_f32_e32 v15, v15, v100
	v_sub_f32_e32 v13, v13, v101
	s_delay_alu instid0(VALU_DEP_3) | instskip(NEXT) | instid1(VALU_DEP_2)
	v_add_f32_e32 v17, v98, v12
	v_add_f32_e32 v13, v15, v13
	s_delay_alu instid0(VALU_DEP_2) | instskip(NEXT) | instid1(VALU_DEP_2)
	v_sub_f32_e32 v15, v17, v98
	v_add_f32_e32 v13, v17, v13
	s_delay_alu instid0(VALU_DEP_2) | instskip(NEXT) | instid1(VALU_DEP_2)
	v_sub_f32_e32 v17, v17, v15
	v_dual_sub_f32 v12, v12, v15 :: v_dual_add_f32 v99, v97, v13
	s_delay_alu instid0(VALU_DEP_2) | instskip(NEXT) | instid1(VALU_DEP_2)
	v_sub_f32_e32 v17, v98, v17
	v_sub_f32_e32 v15, v99, v97
	s_delay_alu instid0(VALU_DEP_1) | instskip(NEXT) | instid1(VALU_DEP_1)
	v_dual_add_f32 v12, v12, v17 :: v_dual_sub_f32 v13, v13, v15
	v_add_f32_e32 v12, v12, v13
	s_delay_alu instid0(VALU_DEP_1) | instskip(NEXT) | instid1(VALU_DEP_1)
	v_add_f32_e32 v12, v99, v12
	v_cndmask_b32_e32 v97, v12, v14, vcc_lo
.LBB26_90:                              ;   in Loop: Header=BB26_12 Depth=1
	s_or_b32 exec_lo, exec_lo, s30
	s_waitcnt lgkmcnt(0)
	v_lshlrev_b32_e32 v12, 16, v8
	s_delay_alu instid0(VALU_DEP_1) | instskip(NEXT) | instid1(VALU_DEP_1)
	v_add_f32_e32 v98, s67, v12
	v_cmp_ge_f32_e32 vcc_lo, 0x41a00000, v98
	s_and_b32 s29, s80, vcc_lo
	s_delay_alu instid0(SALU_CYCLE_1)
	s_and_saveexec_b32 s30, s29
	s_cbranch_execz .LBB26_92
; %bb.91:                               ;   in Loop: Header=BB26_12 Depth=1
	v_mul_f32_e32 v12, 0x3fb8aa3b, v98
	v_cmp_ngt_f32_e32 vcc_lo, 0xc2ce8ed0, v98
	s_delay_alu instid0(VALU_DEP_2) | instskip(SKIP_1) | instid1(VALU_DEP_2)
	v_rndne_f32_e32 v13, v12
	v_fma_f32 v14, 0x3fb8aa3b, v98, -v12
	v_sub_f32_e32 v12, v12, v13
	s_delay_alu instid0(VALU_DEP_2) | instskip(SKIP_1) | instid1(VALU_DEP_2)
	v_fmac_f32_e32 v14, 0x32a5705f, v98
	v_cvt_i32_f32_e32 v13, v13
	v_add_f32_e32 v12, v12, v14
	s_delay_alu instid0(VALU_DEP_1) | instskip(SKIP_2) | instid1(VALU_DEP_1)
	v_exp_f32_e32 v12, v12
	s_waitcnt_depctr 0xfff
	v_ldexp_f32 v12, v12, v13
	v_cndmask_b32_e32 v12, 0, v12, vcc_lo
	v_cmp_nlt_f32_e32 vcc_lo, 0x42b17218, v98
	s_delay_alu instid0(VALU_DEP_2) | instskip(NEXT) | instid1(VALU_DEP_1)
	v_cndmask_b32_e32 v14, 0x7f800000, v12, vcc_lo
	v_add_f32_e32 v15, 1.0, v14
	s_delay_alu instid0(VALU_DEP_1) | instskip(NEXT) | instid1(VALU_DEP_1)
	v_cvt_f64_f32_e32 v[12:13], v15
	v_frexp_exp_i32_f64_e32 v12, v[12:13]
	v_frexp_mant_f32_e32 v13, v15
	s_delay_alu instid0(VALU_DEP_1) | instskip(SKIP_1) | instid1(VALU_DEP_1)
	v_cmp_gt_f32_e32 vcc_lo, 0x3f2aaaab, v13
	v_add_f32_e32 v13, -1.0, v15
	v_dual_sub_f32 v98, v13, v15 :: v_dual_sub_f32 v13, v14, v13
	s_delay_alu instid0(VALU_DEP_1) | instskip(NEXT) | instid1(VALU_DEP_1)
	v_add_f32_e32 v98, 1.0, v98
	v_add_f32_e32 v13, v13, v98
	v_subrev_co_ci_u32_e32 v12, vcc_lo, 0, v12, vcc_lo
	s_delay_alu instid0(VALU_DEP_1) | instskip(SKIP_1) | instid1(VALU_DEP_2)
	v_sub_nc_u32_e32 v17, 0, v12
	v_cvt_f32_i32_e32 v12, v12
	v_ldexp_f32 v15, v15, v17
	v_ldexp_f32 v13, v13, v17
	s_delay_alu instid0(VALU_DEP_2) | instskip(SKIP_3) | instid1(VALU_DEP_4)
	v_add_f32_e32 v99, 1.0, v15
	v_add_f32_e32 v17, -1.0, v15
	v_cmp_eq_f32_e32 vcc_lo, 0x7f800000, v14
	v_cmp_gt_f32_e64 s29, 0x33800000, v14
	v_add_f32_e32 v98, -1.0, v99
	s_delay_alu instid0(VALU_DEP_4) | instskip(NEXT) | instid1(VALU_DEP_3)
	v_add_f32_e32 v100, 1.0, v17
	s_or_b32 vcc_lo, s29, vcc_lo
	s_delay_alu instid0(VALU_DEP_2) | instskip(NEXT) | instid1(VALU_DEP_1)
	v_sub_f32_e32 v98, v15, v98
	v_dual_sub_f32 v15, v15, v100 :: v_dual_add_f32 v98, v13, v98
	s_delay_alu instid0(VALU_DEP_1) | instskip(NEXT) | instid1(VALU_DEP_1)
	v_add_f32_e32 v13, v13, v15
	v_dual_add_f32 v101, v17, v13 :: v_dual_add_f32 v100, v99, v98
	s_delay_alu instid0(VALU_DEP_1) | instskip(NEXT) | instid1(VALU_DEP_2)
	v_sub_f32_e32 v17, v17, v101
	v_rcp_f32_e32 v15, v100
	v_sub_f32_e32 v99, v99, v100
	s_delay_alu instid0(VALU_DEP_1) | instskip(SKIP_2) | instid1(VALU_DEP_1)
	v_dual_add_f32 v98, v98, v99 :: v_dual_add_f32 v13, v13, v17
	s_waitcnt_depctr 0xfff
	v_mul_f32_e32 v102, v101, v15
	v_mul_f32_e32 v103, v100, v102
	s_delay_alu instid0(VALU_DEP_1) | instskip(NEXT) | instid1(VALU_DEP_1)
	v_fma_f32 v99, v102, v100, -v103
	v_fmac_f32_e32 v99, v102, v98
	s_delay_alu instid0(VALU_DEP_1) | instskip(NEXT) | instid1(VALU_DEP_1)
	v_add_f32_e32 v104, v103, v99
	v_sub_f32_e32 v105, v101, v104
	s_delay_alu instid0(VALU_DEP_1) | instskip(SKIP_1) | instid1(VALU_DEP_2)
	v_sub_f32_e32 v101, v101, v105
	v_sub_f32_e32 v17, v104, v103
	;; [unrolled: 1-line block ×3, first 2 shown]
	s_delay_alu instid0(VALU_DEP_2) | instskip(NEXT) | instid1(VALU_DEP_2)
	v_sub_f32_e32 v17, v17, v99
	v_add_f32_e32 v13, v13, v101
	s_delay_alu instid0(VALU_DEP_1) | instskip(NEXT) | instid1(VALU_DEP_1)
	v_add_f32_e32 v13, v17, v13
	v_add_f32_e32 v17, v105, v13
	s_delay_alu instid0(VALU_DEP_1) | instskip(NEXT) | instid1(VALU_DEP_1)
	v_mul_f32_e32 v99, v15, v17
	v_dual_sub_f32 v104, v105, v17 :: v_dual_mul_f32 v101, v100, v99
	s_delay_alu instid0(VALU_DEP_1) | instskip(NEXT) | instid1(VALU_DEP_2)
	v_add_f32_e32 v13, v13, v104
	v_fma_f32 v100, v99, v100, -v101
	s_delay_alu instid0(VALU_DEP_1) | instskip(NEXT) | instid1(VALU_DEP_1)
	v_fmac_f32_e32 v100, v99, v98
	v_add_f32_e32 v98, v101, v100
	s_delay_alu instid0(VALU_DEP_1) | instskip(NEXT) | instid1(VALU_DEP_1)
	v_sub_f32_e32 v103, v17, v98
	v_sub_f32_e32 v17, v17, v103
	s_delay_alu instid0(VALU_DEP_1) | instskip(NEXT) | instid1(VALU_DEP_1)
	v_sub_f32_e32 v17, v17, v98
	v_add_f32_e32 v13, v13, v17
	v_add_f32_e32 v17, v102, v99
	v_sub_f32_e32 v101, v98, v101
	s_delay_alu instid0(VALU_DEP_1) | instskip(NEXT) | instid1(VALU_DEP_1)
	v_sub_f32_e32 v98, v101, v100
	v_dual_add_f32 v13, v98, v13 :: v_dual_sub_f32 v98, v17, v102
	s_delay_alu instid0(VALU_DEP_1) | instskip(NEXT) | instid1(VALU_DEP_2)
	v_add_f32_e32 v13, v103, v13
	v_sub_f32_e32 v98, v99, v98
	s_delay_alu instid0(VALU_DEP_2) | instskip(NEXT) | instid1(VALU_DEP_1)
	v_mul_f32_e32 v13, v15, v13
	v_add_f32_e32 v13, v98, v13
	s_delay_alu instid0(VALU_DEP_1) | instskip(NEXT) | instid1(VALU_DEP_1)
	v_add_f32_e32 v15, v17, v13
	v_mul_f32_e32 v98, v15, v15
	s_delay_alu instid0(VALU_DEP_1) | instskip(SKIP_1) | instid1(VALU_DEP_2)
	v_fmaak_f32 v99, s84, v98, 0x3ecc95a3
	v_mul_f32_e32 v100, v15, v98
	v_fmaak_f32 v98, v98, v99, 0x3f2aaada
	v_ldexp_f32 v99, v15, 1
	s_delay_alu instid0(VALU_DEP_2) | instskip(NEXT) | instid1(VALU_DEP_1)
	v_dual_sub_f32 v15, v15, v17 :: v_dual_mul_f32 v98, v100, v98
	v_dual_mul_f32 v100, 0x3f317218, v12 :: v_dual_sub_f32 v13, v13, v15
	s_delay_alu instid0(VALU_DEP_2) | instskip(NEXT) | instid1(VALU_DEP_2)
	v_add_f32_e32 v17, v99, v98
	v_ldexp_f32 v13, v13, 1
	s_delay_alu instid0(VALU_DEP_2) | instskip(NEXT) | instid1(VALU_DEP_4)
	v_sub_f32_e32 v15, v17, v99
	v_fma_f32 v99, 0x3f317218, v12, -v100
	s_delay_alu instid0(VALU_DEP_2) | instskip(NEXT) | instid1(VALU_DEP_1)
	v_sub_f32_e32 v15, v98, v15
	v_dual_fmac_f32 v99, 0xb102e308, v12 :: v_dual_add_f32 v12, v13, v15
	s_delay_alu instid0(VALU_DEP_1) | instskip(NEXT) | instid1(VALU_DEP_2)
	v_add_f32_e32 v13, v100, v99
	v_add_f32_e32 v15, v17, v12
	s_delay_alu instid0(VALU_DEP_2) | instskip(NEXT) | instid1(VALU_DEP_2)
	v_sub_f32_e32 v100, v13, v100
	v_dual_add_f32 v98, v13, v15 :: v_dual_sub_f32 v17, v15, v17
	s_delay_alu instid0(VALU_DEP_2) | instskip(NEXT) | instid1(VALU_DEP_2)
	v_sub_f32_e32 v99, v99, v100
	v_sub_f32_e32 v101, v98, v13
	s_delay_alu instid0(VALU_DEP_3) | instskip(NEXT) | instid1(VALU_DEP_2)
	v_sub_f32_e32 v12, v12, v17
	v_sub_f32_e32 v102, v98, v101
	;; [unrolled: 1-line block ×3, first 2 shown]
	s_delay_alu instid0(VALU_DEP_3) | instskip(NEXT) | instid1(VALU_DEP_3)
	v_add_f32_e32 v17, v99, v12
	v_sub_f32_e32 v13, v13, v102
	s_delay_alu instid0(VALU_DEP_1) | instskip(NEXT) | instid1(VALU_DEP_3)
	v_add_f32_e32 v13, v15, v13
	v_sub_f32_e32 v15, v17, v99
	s_delay_alu instid0(VALU_DEP_2) | instskip(NEXT) | instid1(VALU_DEP_2)
	v_add_f32_e32 v13, v17, v13
	v_sub_f32_e32 v17, v17, v15
	v_sub_f32_e32 v12, v12, v15
	s_delay_alu instid0(VALU_DEP_3) | instskip(NEXT) | instid1(VALU_DEP_3)
	v_add_f32_e32 v100, v98, v13
	v_sub_f32_e32 v17, v99, v17
	s_delay_alu instid0(VALU_DEP_2) | instskip(NEXT) | instid1(VALU_DEP_1)
	v_sub_f32_e32 v15, v100, v98
	v_dual_add_f32 v12, v12, v17 :: v_dual_sub_f32 v13, v13, v15
	s_delay_alu instid0(VALU_DEP_1) | instskip(NEXT) | instid1(VALU_DEP_1)
	v_add_f32_e32 v12, v12, v13
	v_add_f32_e32 v12, v100, v12
	s_delay_alu instid0(VALU_DEP_1)
	v_cndmask_b32_e32 v98, v12, v14, vcc_lo
.LBB26_92:                              ;   in Loop: Header=BB26_12 Depth=1
	s_or_b32 exec_lo, exec_lo, s30
	v_and_b32_e32 v8, 0xffff0000, v8
	s_delay_alu instid0(VALU_DEP_1) | instskip(NEXT) | instid1(VALU_DEP_1)
	v_add_f32_e32 v99, s67, v8
	v_cmp_ge_f32_e32 vcc_lo, 0x41a00000, v99
	s_and_b32 s29, s80, vcc_lo
	s_delay_alu instid0(SALU_CYCLE_1)
	s_and_saveexec_b32 s30, s29
	s_cbranch_execz .LBB26_94
; %bb.93:                               ;   in Loop: Header=BB26_12 Depth=1
	v_mul_f32_e32 v8, 0x3fb8aa3b, v99
	v_cmp_ngt_f32_e32 vcc_lo, 0xc2ce8ed0, v99
	s_delay_alu instid0(VALU_DEP_2) | instskip(SKIP_1) | instid1(VALU_DEP_1)
	v_rndne_f32_e32 v12, v8
	v_fma_f32 v13, 0x3fb8aa3b, v99, -v8
	v_dual_sub_f32 v8, v8, v12 :: v_dual_fmac_f32 v13, 0x32a5705f, v99
	v_cvt_i32_f32_e32 v12, v12
	s_delay_alu instid0(VALU_DEP_2) | instskip(NEXT) | instid1(VALU_DEP_1)
	v_add_f32_e32 v8, v8, v13
	v_exp_f32_e32 v8, v8
	s_waitcnt_depctr 0xfff
	v_ldexp_f32 v8, v8, v12
	s_delay_alu instid0(VALU_DEP_1) | instskip(SKIP_1) | instid1(VALU_DEP_2)
	v_cndmask_b32_e32 v8, 0, v8, vcc_lo
	v_cmp_nlt_f32_e32 vcc_lo, 0x42b17218, v99
	v_cndmask_b32_e32 v8, 0x7f800000, v8, vcc_lo
	s_delay_alu instid0(VALU_DEP_1) | instskip(NEXT) | instid1(VALU_DEP_1)
	v_add_f32_e32 v14, 1.0, v8
	v_cvt_f64_f32_e32 v[12:13], v14
	s_delay_alu instid0(VALU_DEP_1) | instskip(SKIP_1) | instid1(VALU_DEP_1)
	v_frexp_exp_i32_f64_e32 v12, v[12:13]
	v_frexp_mant_f32_e32 v13, v14
	v_cmp_gt_f32_e32 vcc_lo, 0x3f2aaaab, v13
	v_add_f32_e32 v13, -1.0, v14
	s_delay_alu instid0(VALU_DEP_1) | instskip(NEXT) | instid1(VALU_DEP_1)
	v_sub_f32_e32 v17, v13, v14
	v_add_f32_e32 v17, 1.0, v17
	v_subrev_co_ci_u32_e32 v12, vcc_lo, 0, v12, vcc_lo
	s_delay_alu instid0(VALU_DEP_1) | instskip(SKIP_1) | instid1(VALU_DEP_2)
	v_sub_nc_u32_e32 v15, 0, v12
	v_cvt_f32_i32_e32 v12, v12
	v_ldexp_f32 v14, v14, v15
	s_delay_alu instid0(VALU_DEP_1) | instskip(SKIP_3) | instid1(VALU_DEP_3)
	v_add_f32_e32 v99, 1.0, v14
	v_sub_f32_e32 v13, v8, v13
	v_cmp_eq_f32_e32 vcc_lo, 0x7f800000, v8
	v_cmp_gt_f32_e64 s29, 0x33800000, v8
	v_add_f32_e32 v13, v13, v17
	s_delay_alu instid0(VALU_DEP_2) | instskip(NEXT) | instid1(VALU_DEP_1)
	s_or_b32 vcc_lo, s29, vcc_lo
	v_ldexp_f32 v13, v13, v15
	v_add_f32_e32 v15, -1.0, v14
	s_delay_alu instid0(VALU_DEP_1) | instskip(SKIP_1) | instid1(VALU_DEP_1)
	v_add_f32_e32 v100, 1.0, v15
	v_add_f32_e32 v17, -1.0, v99
	v_sub_f32_e32 v17, v14, v17
	s_delay_alu instid0(VALU_DEP_1) | instskip(NEXT) | instid1(VALU_DEP_1)
	v_dual_sub_f32 v14, v14, v100 :: v_dual_add_f32 v17, v13, v17
	v_add_f32_e32 v100, v99, v17
	s_delay_alu instid0(VALU_DEP_1) | instskip(NEXT) | instid1(VALU_DEP_1)
	v_sub_f32_e32 v99, v99, v100
	v_add_f32_e32 v17, v17, v99
	s_delay_alu instid0(VALU_DEP_4) | instskip(SKIP_1) | instid1(VALU_DEP_1)
	v_add_f32_e32 v13, v13, v14
	v_rcp_f32_e32 v14, v100
	v_add_f32_e32 v101, v15, v13
	s_waitcnt_depctr 0xfff
	v_dual_sub_f32 v15, v15, v101 :: v_dual_mul_f32 v102, v101, v14
	s_delay_alu instid0(VALU_DEP_1) | instskip(NEXT) | instid1(VALU_DEP_2)
	v_add_f32_e32 v13, v13, v15
	v_mul_f32_e32 v103, v100, v102
	s_delay_alu instid0(VALU_DEP_1) | instskip(NEXT) | instid1(VALU_DEP_1)
	v_fma_f32 v99, v102, v100, -v103
	v_fmac_f32_e32 v99, v102, v17
	s_delay_alu instid0(VALU_DEP_1) | instskip(NEXT) | instid1(VALU_DEP_1)
	v_add_f32_e32 v104, v103, v99
	v_sub_f32_e32 v105, v101, v104
	v_sub_f32_e32 v15, v104, v103
	s_delay_alu instid0(VALU_DEP_2) | instskip(NEXT) | instid1(VALU_DEP_2)
	v_sub_f32_e32 v101, v101, v105
	v_sub_f32_e32 v15, v15, v99
	s_delay_alu instid0(VALU_DEP_2) | instskip(NEXT) | instid1(VALU_DEP_1)
	v_sub_f32_e32 v101, v101, v104
	v_add_f32_e32 v13, v13, v101
	s_delay_alu instid0(VALU_DEP_1) | instskip(NEXT) | instid1(VALU_DEP_1)
	v_add_f32_e32 v13, v15, v13
	v_add_f32_e32 v15, v105, v13
	s_delay_alu instid0(VALU_DEP_1) | instskip(SKIP_1) | instid1(VALU_DEP_2)
	v_mul_f32_e32 v99, v14, v15
	v_sub_f32_e32 v104, v105, v15
	v_mul_f32_e32 v101, v100, v99
	s_delay_alu instid0(VALU_DEP_2) | instskip(NEXT) | instid1(VALU_DEP_2)
	v_add_f32_e32 v13, v13, v104
	v_fma_f32 v100, v99, v100, -v101
	s_delay_alu instid0(VALU_DEP_1) | instskip(NEXT) | instid1(VALU_DEP_1)
	v_fmac_f32_e32 v100, v99, v17
	v_add_f32_e32 v17, v101, v100
	s_delay_alu instid0(VALU_DEP_1) | instskip(SKIP_1) | instid1(VALU_DEP_2)
	v_sub_f32_e32 v103, v15, v17
	v_sub_f32_e32 v101, v17, v101
	;; [unrolled: 1-line block ×3, first 2 shown]
	s_delay_alu instid0(VALU_DEP_1) | instskip(NEXT) | instid1(VALU_DEP_3)
	v_sub_f32_e32 v15, v15, v17
	v_sub_f32_e32 v17, v101, v100
	s_delay_alu instid0(VALU_DEP_2) | instskip(SKIP_1) | instid1(VALU_DEP_2)
	v_add_f32_e32 v13, v13, v15
	v_add_f32_e32 v15, v102, v99
	;; [unrolled: 1-line block ×3, first 2 shown]
	s_delay_alu instid0(VALU_DEP_2) | instskip(NEXT) | instid1(VALU_DEP_2)
	v_sub_f32_e32 v17, v15, v102
	v_add_f32_e32 v13, v103, v13
	s_delay_alu instid0(VALU_DEP_2) | instskip(NEXT) | instid1(VALU_DEP_2)
	v_sub_f32_e32 v17, v99, v17
	v_mul_f32_e32 v13, v14, v13
	s_delay_alu instid0(VALU_DEP_1) | instskip(NEXT) | instid1(VALU_DEP_1)
	v_add_f32_e32 v13, v17, v13
	v_add_f32_e32 v14, v15, v13
	s_delay_alu instid0(VALU_DEP_1) | instskip(NEXT) | instid1(VALU_DEP_1)
	v_mul_f32_e32 v17, v14, v14
	v_fmaak_f32 v99, s84, v17, 0x3ecc95a3
	s_delay_alu instid0(VALU_DEP_1) | instskip(SKIP_1) | instid1(VALU_DEP_2)
	v_dual_mul_f32 v100, v14, v17 :: v_dual_fmaak_f32 v17, v17, v99, 0x3f2aaada
	v_ldexp_f32 v99, v14, 1
	v_dual_sub_f32 v14, v14, v15 :: v_dual_mul_f32 v17, v100, v17
	s_delay_alu instid0(VALU_DEP_1) | instskip(NEXT) | instid1(VALU_DEP_2)
	v_dual_mul_f32 v100, 0x3f317218, v12 :: v_dual_sub_f32 v13, v13, v14
	v_add_f32_e32 v15, v99, v17
	s_delay_alu instid0(VALU_DEP_2) | instskip(NEXT) | instid1(VALU_DEP_2)
	v_ldexp_f32 v13, v13, 1
	v_sub_f32_e32 v14, v15, v99
	s_delay_alu instid0(VALU_DEP_4) | instskip(NEXT) | instid1(VALU_DEP_1)
	v_fma_f32 v99, 0x3f317218, v12, -v100
	v_dual_sub_f32 v14, v17, v14 :: v_dual_fmac_f32 v99, 0xb102e308, v12
	s_delay_alu instid0(VALU_DEP_1) | instskip(NEXT) | instid1(VALU_DEP_1)
	v_dual_add_f32 v12, v13, v14 :: v_dual_add_f32 v13, v100, v99
	v_add_f32_e32 v14, v15, v12
	s_delay_alu instid0(VALU_DEP_2) | instskip(NEXT) | instid1(VALU_DEP_2)
	v_sub_f32_e32 v100, v13, v100
	v_add_f32_e32 v17, v13, v14
	v_sub_f32_e32 v15, v14, v15
	s_delay_alu instid0(VALU_DEP_3) | instskip(NEXT) | instid1(VALU_DEP_2)
	v_sub_f32_e32 v99, v99, v100
	v_dual_sub_f32 v101, v17, v13 :: v_dual_sub_f32 v12, v12, v15
	s_delay_alu instid0(VALU_DEP_1) | instskip(NEXT) | instid1(VALU_DEP_2)
	v_sub_f32_e32 v102, v17, v101
	v_dual_sub_f32 v14, v14, v101 :: v_dual_add_f32 v15, v99, v12
	s_delay_alu instid0(VALU_DEP_2) | instskip(NEXT) | instid1(VALU_DEP_1)
	v_sub_f32_e32 v13, v13, v102
	v_dual_add_f32 v13, v14, v13 :: v_dual_sub_f32 v14, v15, v99
	s_delay_alu instid0(VALU_DEP_1) | instskip(NEXT) | instid1(VALU_DEP_2)
	v_add_f32_e32 v13, v15, v13
	v_sub_f32_e32 v15, v15, v14
	v_sub_f32_e32 v12, v12, v14
	s_delay_alu instid0(VALU_DEP_2) | instskip(NEXT) | instid1(VALU_DEP_1)
	v_dual_add_f32 v100, v17, v13 :: v_dual_sub_f32 v15, v99, v15
	v_sub_f32_e32 v14, v100, v17
	s_delay_alu instid0(VALU_DEP_1) | instskip(NEXT) | instid1(VALU_DEP_1)
	v_dual_add_f32 v12, v12, v15 :: v_dual_sub_f32 v13, v13, v14
	v_add_f32_e32 v12, v12, v13
	s_delay_alu instid0(VALU_DEP_1) | instskip(NEXT) | instid1(VALU_DEP_1)
	v_add_f32_e32 v12, v100, v12
	v_cndmask_b32_e32 v99, v12, v8, vcc_lo
.LBB26_94:                              ;   in Loop: Header=BB26_12 Depth=1
	s_or_b32 exec_lo, exec_lo, s30
	v_lshlrev_b32_e32 v8, 16, v9
	s_delay_alu instid0(VALU_DEP_1) | instskip(NEXT) | instid1(VALU_DEP_1)
	v_add_f32_e32 v100, s67, v8
	v_cmp_ge_f32_e32 vcc_lo, 0x41a00000, v100
	s_and_b32 s29, s80, vcc_lo
	s_delay_alu instid0(SALU_CYCLE_1)
	s_and_saveexec_b32 s30, s29
	s_cbranch_execz .LBB26_96
; %bb.95:                               ;   in Loop: Header=BB26_12 Depth=1
	v_mul_f32_e32 v8, 0x3fb8aa3b, v100
	v_cmp_ngt_f32_e32 vcc_lo, 0xc2ce8ed0, v100
	s_delay_alu instid0(VALU_DEP_2) | instskip(SKIP_1) | instid1(VALU_DEP_2)
	v_rndne_f32_e32 v12, v8
	v_fma_f32 v13, 0x3fb8aa3b, v100, -v8
	v_sub_f32_e32 v8, v8, v12
	s_delay_alu instid0(VALU_DEP_2) | instskip(SKIP_1) | instid1(VALU_DEP_2)
	v_fmac_f32_e32 v13, 0x32a5705f, v100
	v_cvt_i32_f32_e32 v12, v12
	v_add_f32_e32 v8, v8, v13
	s_delay_alu instid0(VALU_DEP_1) | instskip(SKIP_2) | instid1(VALU_DEP_1)
	v_exp_f32_e32 v8, v8
	s_waitcnt_depctr 0xfff
	v_ldexp_f32 v8, v8, v12
	v_cndmask_b32_e32 v8, 0, v8, vcc_lo
	v_cmp_nlt_f32_e32 vcc_lo, 0x42b17218, v100
	s_delay_alu instid0(VALU_DEP_2) | instskip(NEXT) | instid1(VALU_DEP_1)
	v_cndmask_b32_e32 v8, 0x7f800000, v8, vcc_lo
	v_add_f32_e32 v14, 1.0, v8
	s_delay_alu instid0(VALU_DEP_1) | instskip(NEXT) | instid1(VALU_DEP_1)
	v_cvt_f64_f32_e32 v[12:13], v14
	v_frexp_exp_i32_f64_e32 v12, v[12:13]
	v_frexp_mant_f32_e32 v13, v14
	s_delay_alu instid0(VALU_DEP_1) | instskip(SKIP_1) | instid1(VALU_DEP_1)
	v_cmp_gt_f32_e32 vcc_lo, 0x3f2aaaab, v13
	v_add_f32_e32 v13, -1.0, v14
	v_sub_f32_e32 v17, v13, v14
	v_sub_f32_e32 v13, v8, v13
	s_delay_alu instid0(VALU_DEP_2) | instskip(NEXT) | instid1(VALU_DEP_1)
	v_add_f32_e32 v17, 1.0, v17
	v_add_f32_e32 v13, v13, v17
	v_cmp_gt_f32_e64 s29, 0x33800000, v8
	v_subrev_co_ci_u32_e32 v12, vcc_lo, 0, v12, vcc_lo
	v_cmp_eq_f32_e32 vcc_lo, 0x7f800000, v8
	s_delay_alu instid0(VALU_DEP_2) | instskip(SKIP_2) | instid1(VALU_DEP_2)
	v_sub_nc_u32_e32 v15, 0, v12
	v_cvt_f32_i32_e32 v12, v12
	s_or_b32 vcc_lo, s29, vcc_lo
	v_ldexp_f32 v14, v14, v15
	v_ldexp_f32 v13, v13, v15
	s_delay_alu instid0(VALU_DEP_2) | instskip(SKIP_1) | instid1(VALU_DEP_2)
	v_add_f32_e32 v100, 1.0, v14
	v_add_f32_e32 v15, -1.0, v14
	v_add_f32_e32 v17, -1.0, v100
	s_delay_alu instid0(VALU_DEP_2) | instskip(NEXT) | instid1(VALU_DEP_2)
	v_add_f32_e32 v101, 1.0, v15
	v_sub_f32_e32 v17, v14, v17
	s_delay_alu instid0(VALU_DEP_2) | instskip(NEXT) | instid1(VALU_DEP_2)
	v_sub_f32_e32 v14, v14, v101
	v_add_f32_e32 v17, v13, v17
	s_delay_alu instid0(VALU_DEP_1) | instskip(NEXT) | instid1(VALU_DEP_1)
	v_add_f32_e32 v101, v100, v17
	v_dual_add_f32 v13, v13, v14 :: v_dual_sub_f32 v100, v100, v101
	v_rcp_f32_e32 v14, v101
	s_delay_alu instid0(VALU_DEP_1) | instskip(NEXT) | instid1(VALU_DEP_1)
	v_dual_add_f32 v102, v15, v13 :: v_dual_add_f32 v17, v17, v100
	v_sub_f32_e32 v15, v15, v102
	s_waitcnt_depctr 0xfff
	v_mul_f32_e32 v103, v102, v14
	v_add_f32_e32 v13, v13, v15
	s_delay_alu instid0(VALU_DEP_2) | instskip(NEXT) | instid1(VALU_DEP_1)
	v_mul_f32_e32 v104, v101, v103
	v_fma_f32 v100, v103, v101, -v104
	s_delay_alu instid0(VALU_DEP_1) | instskip(NEXT) | instid1(VALU_DEP_1)
	v_fmac_f32_e32 v100, v103, v17
	v_add_f32_e32 v105, v104, v100
	s_delay_alu instid0(VALU_DEP_1) | instskip(NEXT) | instid1(VALU_DEP_1)
	v_dual_sub_f32 v106, v102, v105 :: v_dual_sub_f32 v15, v105, v104
	v_dual_sub_f32 v102, v102, v106 :: v_dual_sub_f32 v15, v15, v100
	s_delay_alu instid0(VALU_DEP_1) | instskip(NEXT) | instid1(VALU_DEP_1)
	v_sub_f32_e32 v102, v102, v105
	v_add_f32_e32 v13, v13, v102
	s_delay_alu instid0(VALU_DEP_1) | instskip(NEXT) | instid1(VALU_DEP_1)
	v_add_f32_e32 v13, v15, v13
	v_add_f32_e32 v15, v106, v13
	s_delay_alu instid0(VALU_DEP_1) | instskip(NEXT) | instid1(VALU_DEP_1)
	v_mul_f32_e32 v100, v14, v15
	v_dual_sub_f32 v105, v106, v15 :: v_dual_mul_f32 v102, v101, v100
	s_delay_alu instid0(VALU_DEP_1) | instskip(NEXT) | instid1(VALU_DEP_2)
	v_add_f32_e32 v13, v13, v105
	v_fma_f32 v101, v100, v101, -v102
	s_delay_alu instid0(VALU_DEP_1) | instskip(NEXT) | instid1(VALU_DEP_1)
	v_fmac_f32_e32 v101, v100, v17
	v_add_f32_e32 v17, v102, v101
	s_delay_alu instid0(VALU_DEP_1) | instskip(NEXT) | instid1(VALU_DEP_1)
	v_sub_f32_e32 v104, v15, v17
	v_dual_sub_f32 v102, v17, v102 :: v_dual_sub_f32 v15, v15, v104
	s_delay_alu instid0(VALU_DEP_1) | instskip(NEXT) | instid1(VALU_DEP_2)
	v_sub_f32_e32 v15, v15, v17
	v_sub_f32_e32 v17, v102, v101
	s_delay_alu instid0(VALU_DEP_2) | instskip(SKIP_1) | instid1(VALU_DEP_2)
	v_add_f32_e32 v13, v13, v15
	v_add_f32_e32 v15, v103, v100
	;; [unrolled: 1-line block ×3, first 2 shown]
	s_delay_alu instid0(VALU_DEP_2) | instskip(NEXT) | instid1(VALU_DEP_2)
	v_sub_f32_e32 v17, v15, v103
	v_add_f32_e32 v13, v104, v13
	s_delay_alu instid0(VALU_DEP_2) | instskip(NEXT) | instid1(VALU_DEP_2)
	v_sub_f32_e32 v17, v100, v17
	v_mul_f32_e32 v13, v14, v13
	s_delay_alu instid0(VALU_DEP_1) | instskip(NEXT) | instid1(VALU_DEP_1)
	v_add_f32_e32 v13, v17, v13
	v_add_f32_e32 v14, v15, v13
	s_delay_alu instid0(VALU_DEP_1) | instskip(NEXT) | instid1(VALU_DEP_1)
	v_mul_f32_e32 v17, v14, v14
	v_fmaak_f32 v100, s84, v17, 0x3ecc95a3
	v_mul_f32_e32 v101, v14, v17
	s_delay_alu instid0(VALU_DEP_2) | instskip(SKIP_1) | instid1(VALU_DEP_2)
	v_fmaak_f32 v17, v17, v100, 0x3f2aaada
	v_ldexp_f32 v100, v14, 1
	v_dual_sub_f32 v14, v14, v15 :: v_dual_mul_f32 v17, v101, v17
	v_mul_f32_e32 v101, 0x3f317218, v12
	s_delay_alu instid0(VALU_DEP_2) | instskip(NEXT) | instid1(VALU_DEP_3)
	v_sub_f32_e32 v13, v13, v14
	v_add_f32_e32 v15, v100, v17
	s_delay_alu instid0(VALU_DEP_2) | instskip(NEXT) | instid1(VALU_DEP_2)
	v_ldexp_f32 v13, v13, 1
	v_sub_f32_e32 v14, v15, v100
	v_fma_f32 v100, 0x3f317218, v12, -v101
	s_delay_alu instid0(VALU_DEP_2) | instskip(NEXT) | instid1(VALU_DEP_2)
	v_sub_f32_e32 v14, v17, v14
	v_fmac_f32_e32 v100, 0xb102e308, v12
	s_delay_alu instid0(VALU_DEP_2) | instskip(NEXT) | instid1(VALU_DEP_2)
	v_add_f32_e32 v12, v13, v14
	v_add_f32_e32 v13, v101, v100
	s_delay_alu instid0(VALU_DEP_1) | instskip(NEXT) | instid1(VALU_DEP_1)
	v_dual_add_f32 v14, v15, v12 :: v_dual_sub_f32 v101, v13, v101
	v_add_f32_e32 v17, v13, v14
	s_delay_alu instid0(VALU_DEP_2) | instskip(NEXT) | instid1(VALU_DEP_2)
	v_dual_sub_f32 v15, v14, v15 :: v_dual_sub_f32 v100, v100, v101
	v_sub_f32_e32 v102, v17, v13
	s_delay_alu instid0(VALU_DEP_1) | instskip(NEXT) | instid1(VALU_DEP_1)
	v_dual_sub_f32 v12, v12, v15 :: v_dual_sub_f32 v103, v17, v102
	v_dual_sub_f32 v14, v14, v102 :: v_dual_add_f32 v15, v100, v12
	s_delay_alu instid0(VALU_DEP_2) | instskip(NEXT) | instid1(VALU_DEP_1)
	v_sub_f32_e32 v13, v13, v103
	v_dual_add_f32 v13, v14, v13 :: v_dual_sub_f32 v14, v15, v100
	s_delay_alu instid0(VALU_DEP_1) | instskip(NEXT) | instid1(VALU_DEP_2)
	v_add_f32_e32 v13, v15, v13
	v_sub_f32_e32 v15, v15, v14
	s_delay_alu instid0(VALU_DEP_2) | instskip(NEXT) | instid1(VALU_DEP_1)
	v_dual_sub_f32 v12, v12, v14 :: v_dual_add_f32 v101, v17, v13
	v_dual_sub_f32 v15, v100, v15 :: v_dual_sub_f32 v14, v101, v17
	s_delay_alu instid0(VALU_DEP_1) | instskip(NEXT) | instid1(VALU_DEP_1)
	v_dual_add_f32 v12, v12, v15 :: v_dual_sub_f32 v13, v13, v14
	v_add_f32_e32 v12, v12, v13
	s_delay_alu instid0(VALU_DEP_1) | instskip(NEXT) | instid1(VALU_DEP_1)
	v_add_f32_e32 v12, v101, v12
	v_cndmask_b32_e32 v100, v12, v8, vcc_lo
.LBB26_96:                              ;   in Loop: Header=BB26_12 Depth=1
	s_or_b32 exec_lo, exec_lo, s30
	v_and_b32_e32 v8, 0xffff0000, v9
	s_delay_alu instid0(VALU_DEP_1) | instskip(NEXT) | instid1(VALU_DEP_1)
	v_add_f32_e32 v101, s67, v8
	v_cmp_ge_f32_e32 vcc_lo, 0x41a00000, v101
	s_and_b32 s29, s80, vcc_lo
	s_delay_alu instid0(SALU_CYCLE_1)
	s_and_saveexec_b32 s30, s29
	s_cbranch_execz .LBB26_98
; %bb.97:                               ;   in Loop: Header=BB26_12 Depth=1
	v_mul_f32_e32 v8, 0x3fb8aa3b, v101
	v_cmp_ngt_f32_e32 vcc_lo, 0xc2ce8ed0, v101
	s_delay_alu instid0(VALU_DEP_2) | instskip(SKIP_1) | instid1(VALU_DEP_2)
	v_rndne_f32_e32 v9, v8
	v_fma_f32 v12, 0x3fb8aa3b, v101, -v8
	v_sub_f32_e32 v8, v8, v9
	s_delay_alu instid0(VALU_DEP_2) | instskip(SKIP_1) | instid1(VALU_DEP_2)
	v_fmac_f32_e32 v12, 0x32a5705f, v101
	v_cvt_i32_f32_e32 v9, v9
	v_add_f32_e32 v8, v8, v12
	s_delay_alu instid0(VALU_DEP_1) | instskip(SKIP_2) | instid1(VALU_DEP_1)
	v_exp_f32_e32 v8, v8
	s_waitcnt_depctr 0xfff
	v_ldexp_f32 v8, v8, v9
	v_cndmask_b32_e32 v8, 0, v8, vcc_lo
	v_cmp_nlt_f32_e32 vcc_lo, 0x42b17218, v101
	s_delay_alu instid0(VALU_DEP_2) | instskip(NEXT) | instid1(VALU_DEP_1)
	v_cndmask_b32_e32 v12, 0x7f800000, v8, vcc_lo
	v_add_f32_e32 v13, 1.0, v12
	s_delay_alu instid0(VALU_DEP_1) | instskip(NEXT) | instid1(VALU_DEP_1)
	v_cvt_f64_f32_e32 v[8:9], v13
	v_frexp_exp_i32_f64_e32 v8, v[8:9]
	v_frexp_mant_f32_e32 v9, v13
	s_delay_alu instid0(VALU_DEP_1) | instskip(SKIP_1) | instid1(VALU_DEP_1)
	v_cmp_gt_f32_e32 vcc_lo, 0x3f2aaaab, v9
	v_add_f32_e32 v9, -1.0, v13
	v_sub_f32_e32 v15, v9, v13
	s_delay_alu instid0(VALU_DEP_1) | instskip(SKIP_1) | instid1(VALU_DEP_1)
	v_add_f32_e32 v15, 1.0, v15
	v_subrev_co_ci_u32_e32 v8, vcc_lo, 0, v8, vcc_lo
	v_sub_nc_u32_e32 v14, 0, v8
	v_cvt_f32_i32_e32 v8, v8
	s_delay_alu instid0(VALU_DEP_2) | instskip(NEXT) | instid1(VALU_DEP_1)
	v_ldexp_f32 v13, v13, v14
	v_add_f32_e32 v17, 1.0, v13
	v_sub_f32_e32 v9, v12, v9
	v_cmp_eq_f32_e32 vcc_lo, 0x7f800000, v12
	v_cmp_gt_f32_e64 s29, 0x33800000, v12
	s_delay_alu instid0(VALU_DEP_3) | instskip(NEXT) | instid1(VALU_DEP_2)
	v_add_f32_e32 v9, v9, v15
	s_or_b32 vcc_lo, s29, vcc_lo
	s_delay_alu instid0(VALU_DEP_1) | instskip(SKIP_2) | instid1(VALU_DEP_1)
	v_ldexp_f32 v9, v9, v14
	v_add_f32_e32 v14, -1.0, v13
	v_add_f32_e32 v15, -1.0, v17
	v_sub_f32_e32 v15, v13, v15
	s_delay_alu instid0(VALU_DEP_3) | instskip(NEXT) | instid1(VALU_DEP_2)
	v_add_f32_e32 v101, 1.0, v14
	v_add_f32_e32 v15, v9, v15
	s_delay_alu instid0(VALU_DEP_2) | instskip(NEXT) | instid1(VALU_DEP_2)
	v_sub_f32_e32 v13, v13, v101
	v_add_f32_e32 v101, v17, v15
	s_delay_alu instid0(VALU_DEP_2) | instskip(NEXT) | instid1(VALU_DEP_2)
	v_add_f32_e32 v9, v9, v13
	v_rcp_f32_e32 v13, v101
	s_delay_alu instid0(VALU_DEP_1) | instskip(NEXT) | instid1(VALU_DEP_1)
	v_add_f32_e32 v102, v14, v9
	v_dual_sub_f32 v17, v17, v101 :: v_dual_sub_f32 v14, v14, v102
	s_delay_alu instid0(VALU_DEP_1) | instskip(SKIP_2) | instid1(VALU_DEP_1)
	v_add_f32_e32 v15, v15, v17
	s_waitcnt_depctr 0xfff
	v_mul_f32_e32 v103, v102, v13
	v_mul_f32_e32 v104, v101, v103
	s_delay_alu instid0(VALU_DEP_1) | instskip(NEXT) | instid1(VALU_DEP_1)
	v_fma_f32 v17, v103, v101, -v104
	v_fmac_f32_e32 v17, v103, v15
	v_add_f32_e32 v9, v9, v14
	s_delay_alu instid0(VALU_DEP_2) | instskip(NEXT) | instid1(VALU_DEP_1)
	v_add_f32_e32 v105, v104, v17
	v_sub_f32_e32 v106, v102, v105
	v_sub_f32_e32 v14, v105, v104
	s_delay_alu instid0(VALU_DEP_2) | instskip(NEXT) | instid1(VALU_DEP_2)
	v_sub_f32_e32 v102, v102, v106
	v_sub_f32_e32 v14, v14, v17
	s_delay_alu instid0(VALU_DEP_2) | instskip(NEXT) | instid1(VALU_DEP_1)
	v_sub_f32_e32 v102, v102, v105
	v_add_f32_e32 v9, v9, v102
	s_delay_alu instid0(VALU_DEP_1) | instskip(NEXT) | instid1(VALU_DEP_1)
	v_add_f32_e32 v9, v14, v9
	v_add_f32_e32 v14, v106, v9
	s_delay_alu instid0(VALU_DEP_1) | instskip(NEXT) | instid1(VALU_DEP_1)
	v_mul_f32_e32 v17, v13, v14
	v_dual_sub_f32 v105, v106, v14 :: v_dual_mul_f32 v102, v101, v17
	s_delay_alu instid0(VALU_DEP_1) | instskip(NEXT) | instid1(VALU_DEP_2)
	v_add_f32_e32 v9, v9, v105
	v_fma_f32 v101, v17, v101, -v102
	s_delay_alu instid0(VALU_DEP_1) | instskip(NEXT) | instid1(VALU_DEP_1)
	v_fmac_f32_e32 v101, v17, v15
	v_add_f32_e32 v15, v102, v101
	s_delay_alu instid0(VALU_DEP_1) | instskip(SKIP_1) | instid1(VALU_DEP_2)
	v_sub_f32_e32 v104, v14, v15
	v_sub_f32_e32 v102, v15, v102
	;; [unrolled: 1-line block ×3, first 2 shown]
	s_delay_alu instid0(VALU_DEP_1) | instskip(NEXT) | instid1(VALU_DEP_1)
	v_sub_f32_e32 v14, v14, v15
	v_dual_add_f32 v9, v9, v14 :: v_dual_add_f32 v14, v103, v17
	s_delay_alu instid0(VALU_DEP_4) | instskip(NEXT) | instid1(VALU_DEP_1)
	v_sub_f32_e32 v15, v102, v101
	v_add_f32_e32 v9, v15, v9
	s_delay_alu instid0(VALU_DEP_3) | instskip(NEXT) | instid1(VALU_DEP_2)
	v_sub_f32_e32 v15, v14, v103
	v_add_f32_e32 v9, v104, v9
	s_delay_alu instid0(VALU_DEP_2) | instskip(NEXT) | instid1(VALU_DEP_2)
	v_sub_f32_e32 v15, v17, v15
	v_mul_f32_e32 v9, v13, v9
	s_delay_alu instid0(VALU_DEP_1) | instskip(NEXT) | instid1(VALU_DEP_1)
	v_add_f32_e32 v9, v15, v9
	v_add_f32_e32 v13, v14, v9
	s_delay_alu instid0(VALU_DEP_1) | instskip(NEXT) | instid1(VALU_DEP_1)
	v_mul_f32_e32 v15, v13, v13
	v_fmaak_f32 v17, s84, v15, 0x3ecc95a3
	v_mul_f32_e32 v101, v13, v15
	s_delay_alu instid0(VALU_DEP_2) | instskip(SKIP_2) | instid1(VALU_DEP_3)
	v_fmaak_f32 v15, v15, v17, 0x3f2aaada
	v_ldexp_f32 v17, v13, 1
	v_sub_f32_e32 v13, v13, v14
	v_mul_f32_e32 v15, v101, v15
	v_mul_f32_e32 v101, 0x3f317218, v8
	s_delay_alu instid0(VALU_DEP_3) | instskip(NEXT) | instid1(VALU_DEP_3)
	v_sub_f32_e32 v9, v9, v13
	v_add_f32_e32 v14, v17, v15
	s_delay_alu instid0(VALU_DEP_2) | instskip(NEXT) | instid1(VALU_DEP_2)
	v_ldexp_f32 v9, v9, 1
	v_sub_f32_e32 v13, v14, v17
	v_fma_f32 v17, 0x3f317218, v8, -v101
	s_delay_alu instid0(VALU_DEP_2) | instskip(NEXT) | instid1(VALU_DEP_1)
	v_sub_f32_e32 v13, v15, v13
	v_dual_fmac_f32 v17, 0xb102e308, v8 :: v_dual_add_f32 v8, v9, v13
	s_delay_alu instid0(VALU_DEP_1) | instskip(NEXT) | instid1(VALU_DEP_2)
	v_add_f32_e32 v9, v101, v17
	v_add_f32_e32 v13, v14, v8
	s_delay_alu instid0(VALU_DEP_2) | instskip(NEXT) | instid1(VALU_DEP_2)
	v_sub_f32_e32 v101, v9, v101
	v_add_f32_e32 v15, v9, v13
	v_sub_f32_e32 v14, v13, v14
	s_delay_alu instid0(VALU_DEP_3) | instskip(NEXT) | instid1(VALU_DEP_3)
	v_sub_f32_e32 v17, v17, v101
	v_sub_f32_e32 v102, v15, v9
	s_delay_alu instid0(VALU_DEP_3) | instskip(NEXT) | instid1(VALU_DEP_2)
	v_sub_f32_e32 v8, v8, v14
	v_sub_f32_e32 v103, v15, v102
	;; [unrolled: 1-line block ×3, first 2 shown]
	s_delay_alu instid0(VALU_DEP_3) | instskip(NEXT) | instid1(VALU_DEP_3)
	v_add_f32_e32 v14, v17, v8
	v_sub_f32_e32 v9, v9, v103
	s_delay_alu instid0(VALU_DEP_1) | instskip(NEXT) | instid1(VALU_DEP_3)
	v_add_f32_e32 v9, v13, v9
	v_sub_f32_e32 v13, v14, v17
	s_delay_alu instid0(VALU_DEP_2) | instskip(NEXT) | instid1(VALU_DEP_2)
	v_add_f32_e32 v9, v14, v9
	v_sub_f32_e32 v14, v14, v13
	v_sub_f32_e32 v8, v8, v13
	s_delay_alu instid0(VALU_DEP_2) | instskip(NEXT) | instid1(VALU_DEP_1)
	v_dual_add_f32 v101, v15, v9 :: v_dual_sub_f32 v14, v17, v14
	v_dual_sub_f32 v13, v101, v15 :: v_dual_add_f32 v8, v8, v14
	s_delay_alu instid0(VALU_DEP_1) | instskip(NEXT) | instid1(VALU_DEP_1)
	v_sub_f32_e32 v9, v9, v13
	v_add_f32_e32 v8, v8, v9
	s_delay_alu instid0(VALU_DEP_1) | instskip(NEXT) | instid1(VALU_DEP_1)
	v_add_f32_e32 v8, v101, v8
	v_cndmask_b32_e32 v101, v8, v12, vcc_lo
.LBB26_98:                              ;   in Loop: Header=BB26_12 Depth=1
	s_or_b32 exec_lo, exec_lo, s30
	v_lshlrev_b32_e32 v8, 16, v10
	s_delay_alu instid0(VALU_DEP_1) | instskip(NEXT) | instid1(VALU_DEP_1)
	v_add_f32_e32 v102, s67, v8
	v_cmp_ge_f32_e32 vcc_lo, 0x41a00000, v102
	s_and_b32 s29, s80, vcc_lo
	s_delay_alu instid0(SALU_CYCLE_1)
	s_and_saveexec_b32 s30, s29
	s_cbranch_execz .LBB26_100
; %bb.99:                               ;   in Loop: Header=BB26_12 Depth=1
	v_mul_f32_e32 v8, 0x3fb8aa3b, v102
	v_cmp_ngt_f32_e32 vcc_lo, 0xc2ce8ed0, v102
	s_delay_alu instid0(VALU_DEP_2) | instskip(SKIP_1) | instid1(VALU_DEP_2)
	v_rndne_f32_e32 v9, v8
	v_fma_f32 v12, 0x3fb8aa3b, v102, -v8
	v_sub_f32_e32 v8, v8, v9
	s_delay_alu instid0(VALU_DEP_2) | instskip(SKIP_1) | instid1(VALU_DEP_2)
	v_fmac_f32_e32 v12, 0x32a5705f, v102
	v_cvt_i32_f32_e32 v9, v9
	v_add_f32_e32 v8, v8, v12
	s_delay_alu instid0(VALU_DEP_1) | instskip(SKIP_2) | instid1(VALU_DEP_1)
	v_exp_f32_e32 v8, v8
	s_waitcnt_depctr 0xfff
	v_ldexp_f32 v8, v8, v9
	v_cndmask_b32_e32 v8, 0, v8, vcc_lo
	v_cmp_nlt_f32_e32 vcc_lo, 0x42b17218, v102
	s_delay_alu instid0(VALU_DEP_2) | instskip(NEXT) | instid1(VALU_DEP_1)
	v_cndmask_b32_e32 v12, 0x7f800000, v8, vcc_lo
	v_add_f32_e32 v13, 1.0, v12
	s_delay_alu instid0(VALU_DEP_1) | instskip(NEXT) | instid1(VALU_DEP_1)
	v_cvt_f64_f32_e32 v[8:9], v13
	v_frexp_exp_i32_f64_e32 v8, v[8:9]
	v_frexp_mant_f32_e32 v9, v13
	s_delay_alu instid0(VALU_DEP_1) | instskip(SKIP_1) | instid1(VALU_DEP_1)
	v_cmp_gt_f32_e32 vcc_lo, 0x3f2aaaab, v9
	v_add_f32_e32 v9, -1.0, v13
	v_sub_f32_e32 v15, v9, v13
	s_delay_alu instid0(VALU_DEP_1) | instskip(SKIP_1) | instid1(VALU_DEP_1)
	v_add_f32_e32 v15, 1.0, v15
	v_subrev_co_ci_u32_e32 v8, vcc_lo, 0, v8, vcc_lo
	v_sub_nc_u32_e32 v14, 0, v8
	v_cvt_f32_i32_e32 v8, v8
	s_delay_alu instid0(VALU_DEP_2) | instskip(NEXT) | instid1(VALU_DEP_1)
	v_ldexp_f32 v13, v13, v14
	v_add_f32_e32 v17, 1.0, v13
	v_sub_f32_e32 v9, v12, v9
	v_cmp_eq_f32_e32 vcc_lo, 0x7f800000, v12
	v_cmp_gt_f32_e64 s29, 0x33800000, v12
	s_delay_alu instid0(VALU_DEP_3) | instskip(NEXT) | instid1(VALU_DEP_2)
	v_add_f32_e32 v9, v9, v15
	s_or_b32 vcc_lo, s29, vcc_lo
	s_delay_alu instid0(VALU_DEP_1) | instskip(SKIP_1) | instid1(VALU_DEP_1)
	v_ldexp_f32 v9, v9, v14
	v_add_f32_e32 v14, -1.0, v13
	v_dual_add_f32 v15, -1.0, v17 :: v_dual_add_f32 v102, 1.0, v14
	s_delay_alu instid0(VALU_DEP_1) | instskip(NEXT) | instid1(VALU_DEP_2)
	v_sub_f32_e32 v15, v13, v15
	v_sub_f32_e32 v13, v13, v102
	s_delay_alu instid0(VALU_DEP_2) | instskip(NEXT) | instid1(VALU_DEP_2)
	v_add_f32_e32 v15, v9, v15
	v_add_f32_e32 v9, v9, v13
	s_delay_alu instid0(VALU_DEP_1) | instskip(NEXT) | instid1(VALU_DEP_1)
	v_dual_add_f32 v102, v17, v15 :: v_dual_add_f32 v103, v14, v9
	v_rcp_f32_e32 v13, v102
	s_delay_alu instid0(VALU_DEP_1) | instskip(NEXT) | instid1(VALU_DEP_1)
	v_dual_sub_f32 v17, v17, v102 :: v_dual_sub_f32 v14, v14, v103
	v_add_f32_e32 v15, v15, v17
	s_waitcnt_depctr 0xfff
	v_dual_add_f32 v9, v9, v14 :: v_dual_mul_f32 v104, v103, v13
	s_delay_alu instid0(VALU_DEP_1) | instskip(NEXT) | instid1(VALU_DEP_1)
	v_mul_f32_e32 v105, v102, v104
	v_fma_f32 v17, v104, v102, -v105
	s_delay_alu instid0(VALU_DEP_1) | instskip(NEXT) | instid1(VALU_DEP_1)
	v_fmac_f32_e32 v17, v104, v15
	v_add_f32_e32 v106, v105, v17
	s_delay_alu instid0(VALU_DEP_1) | instskip(NEXT) | instid1(VALU_DEP_1)
	v_sub_f32_e32 v107, v103, v106
	v_dual_sub_f32 v103, v103, v107 :: v_dual_sub_f32 v14, v106, v105
	s_delay_alu instid0(VALU_DEP_1) | instskip(NEXT) | instid1(VALU_DEP_1)
	v_dual_sub_f32 v103, v103, v106 :: v_dual_sub_f32 v14, v14, v17
	v_add_f32_e32 v9, v9, v103
	s_delay_alu instid0(VALU_DEP_1) | instskip(NEXT) | instid1(VALU_DEP_1)
	v_add_f32_e32 v9, v14, v9
	v_add_f32_e32 v14, v107, v9
	s_delay_alu instid0(VALU_DEP_1) | instskip(NEXT) | instid1(VALU_DEP_1)
	v_mul_f32_e32 v17, v13, v14
	v_dual_sub_f32 v106, v107, v14 :: v_dual_mul_f32 v103, v102, v17
	s_delay_alu instid0(VALU_DEP_1) | instskip(NEXT) | instid1(VALU_DEP_2)
	v_add_f32_e32 v9, v9, v106
	v_fma_f32 v102, v17, v102, -v103
	s_delay_alu instid0(VALU_DEP_1) | instskip(NEXT) | instid1(VALU_DEP_1)
	v_fmac_f32_e32 v102, v17, v15
	v_add_f32_e32 v15, v103, v102
	s_delay_alu instid0(VALU_DEP_1) | instskip(NEXT) | instid1(VALU_DEP_1)
	v_sub_f32_e32 v105, v14, v15
	v_dual_sub_f32 v103, v15, v103 :: v_dual_sub_f32 v14, v14, v105
	s_delay_alu instid0(VALU_DEP_1) | instskip(NEXT) | instid1(VALU_DEP_1)
	v_dual_sub_f32 v14, v14, v15 :: v_dual_sub_f32 v15, v103, v102
	v_dual_add_f32 v9, v9, v14 :: v_dual_add_f32 v14, v104, v17
	s_delay_alu instid0(VALU_DEP_1) | instskip(NEXT) | instid1(VALU_DEP_2)
	v_add_f32_e32 v9, v15, v9
	v_sub_f32_e32 v15, v14, v104
	s_delay_alu instid0(VALU_DEP_2) | instskip(NEXT) | instid1(VALU_DEP_2)
	v_add_f32_e32 v9, v105, v9
	v_sub_f32_e32 v15, v17, v15
	s_delay_alu instid0(VALU_DEP_2) | instskip(NEXT) | instid1(VALU_DEP_1)
	v_mul_f32_e32 v9, v13, v9
	v_add_f32_e32 v9, v15, v9
	s_delay_alu instid0(VALU_DEP_1) | instskip(NEXT) | instid1(VALU_DEP_1)
	v_add_f32_e32 v13, v14, v9
	v_mul_f32_e32 v15, v13, v13
	s_delay_alu instid0(VALU_DEP_1) | instskip(NEXT) | instid1(VALU_DEP_1)
	v_fmaak_f32 v17, s84, v15, 0x3ecc95a3
	v_dual_mul_f32 v102, v13, v15 :: v_dual_fmaak_f32 v15, v15, v17, 0x3f2aaada
	v_ldexp_f32 v17, v13, 1
	v_sub_f32_e32 v13, v13, v14
	s_delay_alu instid0(VALU_DEP_3) | instskip(NEXT) | instid1(VALU_DEP_2)
	v_dual_mul_f32 v15, v102, v15 :: v_dual_mul_f32 v102, 0x3f317218, v8
	v_sub_f32_e32 v9, v9, v13
	s_delay_alu instid0(VALU_DEP_2) | instskip(NEXT) | instid1(VALU_DEP_2)
	v_add_f32_e32 v14, v17, v15
	v_ldexp_f32 v9, v9, 1
	s_delay_alu instid0(VALU_DEP_2) | instskip(SKIP_1) | instid1(VALU_DEP_2)
	v_sub_f32_e32 v13, v14, v17
	v_fma_f32 v17, 0x3f317218, v8, -v102
	v_sub_f32_e32 v13, v15, v13
	s_delay_alu instid0(VALU_DEP_1) | instskip(NEXT) | instid1(VALU_DEP_1)
	v_dual_fmac_f32 v17, 0xb102e308, v8 :: v_dual_add_f32 v8, v9, v13
	v_add_f32_e32 v9, v102, v17
	s_delay_alu instid0(VALU_DEP_1) | instskip(NEXT) | instid1(VALU_DEP_1)
	v_dual_add_f32 v13, v14, v8 :: v_dual_sub_f32 v102, v9, v102
	v_add_f32_e32 v15, v9, v13
	v_sub_f32_e32 v14, v13, v14
	s_delay_alu instid0(VALU_DEP_3) | instskip(NEXT) | instid1(VALU_DEP_2)
	v_sub_f32_e32 v17, v17, v102
	v_dual_sub_f32 v103, v15, v9 :: v_dual_sub_f32 v8, v8, v14
	s_delay_alu instid0(VALU_DEP_1) | instskip(SKIP_1) | instid1(VALU_DEP_3)
	v_sub_f32_e32 v104, v15, v103
	v_sub_f32_e32 v13, v13, v103
	v_add_f32_e32 v14, v17, v8
	s_delay_alu instid0(VALU_DEP_3) | instskip(NEXT) | instid1(VALU_DEP_1)
	v_sub_f32_e32 v9, v9, v104
	v_add_f32_e32 v9, v13, v9
	s_delay_alu instid0(VALU_DEP_3) | instskip(NEXT) | instid1(VALU_DEP_2)
	v_sub_f32_e32 v13, v14, v17
	v_add_f32_e32 v9, v14, v9
	s_delay_alu instid0(VALU_DEP_2) | instskip(SKIP_1) | instid1(VALU_DEP_3)
	v_sub_f32_e32 v14, v14, v13
	v_sub_f32_e32 v8, v8, v13
	v_add_f32_e32 v102, v15, v9
	s_delay_alu instid0(VALU_DEP_1) | instskip(NEXT) | instid1(VALU_DEP_1)
	v_dual_sub_f32 v14, v17, v14 :: v_dual_sub_f32 v13, v102, v15
	v_dual_add_f32 v8, v8, v14 :: v_dual_sub_f32 v9, v9, v13
	s_delay_alu instid0(VALU_DEP_1) | instskip(NEXT) | instid1(VALU_DEP_1)
	v_add_f32_e32 v8, v8, v9
	v_add_f32_e32 v8, v102, v8
	s_delay_alu instid0(VALU_DEP_1)
	v_cndmask_b32_e32 v102, v8, v12, vcc_lo
.LBB26_100:                             ;   in Loop: Header=BB26_12 Depth=1
	s_or_b32 exec_lo, exec_lo, s30
	v_and_b32_e32 v8, 0xffff0000, v10
	s_delay_alu instid0(VALU_DEP_1) | instskip(NEXT) | instid1(VALU_DEP_1)
	v_add_f32_e32 v103, s67, v8
	v_cmp_ge_f32_e32 vcc_lo, 0x41a00000, v103
	s_and_b32 s29, s80, vcc_lo
	s_delay_alu instid0(SALU_CYCLE_1)
	s_and_saveexec_b32 s30, s29
	s_cbranch_execz .LBB26_102
; %bb.101:                              ;   in Loop: Header=BB26_12 Depth=1
	v_mul_f32_e32 v8, 0x3fb8aa3b, v103
	v_cmp_ngt_f32_e32 vcc_lo, 0xc2ce8ed0, v103
	s_delay_alu instid0(VALU_DEP_2) | instskip(SKIP_1) | instid1(VALU_DEP_2)
	v_rndne_f32_e32 v9, v8
	v_fma_f32 v10, 0x3fb8aa3b, v103, -v8
	v_sub_f32_e32 v8, v8, v9
	s_delay_alu instid0(VALU_DEP_2) | instskip(SKIP_1) | instid1(VALU_DEP_2)
	v_fmac_f32_e32 v10, 0x32a5705f, v103
	v_cvt_i32_f32_e32 v9, v9
	v_add_f32_e32 v8, v8, v10
	s_delay_alu instid0(VALU_DEP_1) | instskip(SKIP_2) | instid1(VALU_DEP_1)
	v_exp_f32_e32 v8, v8
	s_waitcnt_depctr 0xfff
	v_ldexp_f32 v8, v8, v9
	v_cndmask_b32_e32 v8, 0, v8, vcc_lo
	v_cmp_nlt_f32_e32 vcc_lo, 0x42b17218, v103
	s_delay_alu instid0(VALU_DEP_2) | instskip(NEXT) | instid1(VALU_DEP_1)
	v_cndmask_b32_e32 v10, 0x7f800000, v8, vcc_lo
	v_add_f32_e32 v12, 1.0, v10
	s_delay_alu instid0(VALU_DEP_1) | instskip(NEXT) | instid1(VALU_DEP_1)
	v_cvt_f64_f32_e32 v[8:9], v12
	v_frexp_exp_i32_f64_e32 v8, v[8:9]
	v_frexp_mant_f32_e32 v9, v12
	s_delay_alu instid0(VALU_DEP_1) | instskip(SKIP_1) | instid1(VALU_DEP_1)
	v_cmp_gt_f32_e32 vcc_lo, 0x3f2aaaab, v9
	v_add_f32_e32 v9, -1.0, v12
	v_dual_sub_f32 v14, v9, v12 :: v_dual_sub_f32 v9, v10, v9
	v_subrev_co_ci_u32_e32 v8, vcc_lo, 0, v8, vcc_lo
	s_delay_alu instid0(VALU_DEP_1) | instskip(SKIP_1) | instid1(VALU_DEP_2)
	v_sub_nc_u32_e32 v13, 0, v8
	v_cvt_f32_i32_e32 v8, v8
	v_ldexp_f32 v12, v12, v13
	s_delay_alu instid0(VALU_DEP_1) | instskip(NEXT) | instid1(VALU_DEP_1)
	v_dual_add_f32 v14, 1.0, v14 :: v_dual_add_f32 v15, 1.0, v12
	v_add_f32_e32 v9, v9, v14
	s_delay_alu instid0(VALU_DEP_1) | instskip(NEXT) | instid1(VALU_DEP_3)
	v_ldexp_f32 v9, v9, v13
	v_dual_add_f32 v13, -1.0, v12 :: v_dual_add_f32 v14, -1.0, v15
	s_delay_alu instid0(VALU_DEP_1) | instskip(NEXT) | instid1(VALU_DEP_1)
	v_dual_add_f32 v17, 1.0, v13 :: v_dual_sub_f32 v14, v12, v14
	v_sub_f32_e32 v12, v12, v17
	s_delay_alu instid0(VALU_DEP_2) | instskip(NEXT) | instid1(VALU_DEP_2)
	v_add_f32_e32 v14, v9, v14
	v_add_f32_e32 v9, v9, v12
	s_delay_alu instid0(VALU_DEP_2) | instskip(SKIP_2) | instid1(VALU_DEP_4)
	v_add_f32_e32 v17, v15, v14
	v_cmp_eq_f32_e32 vcc_lo, 0x7f800000, v10
	v_cmp_gt_f32_e64 s29, 0x33800000, v10
	v_add_f32_e32 v103, v13, v9
	s_delay_alu instid0(VALU_DEP_4) | instskip(SKIP_1) | instid1(VALU_DEP_3)
	v_rcp_f32_e32 v12, v17
	v_sub_f32_e32 v15, v15, v17
	s_or_b32 vcc_lo, s29, vcc_lo
	s_delay_alu instid0(VALU_DEP_2) | instskip(NEXT) | instid1(VALU_DEP_1)
	v_sub_f32_e32 v13, v13, v103
	v_dual_add_f32 v14, v14, v15 :: v_dual_add_f32 v9, v9, v13
	s_waitcnt_depctr 0xfff
	v_mul_f32_e32 v104, v103, v12
	s_delay_alu instid0(VALU_DEP_1) | instskip(NEXT) | instid1(VALU_DEP_1)
	v_mul_f32_e32 v105, v17, v104
	v_fma_f32 v15, v104, v17, -v105
	s_delay_alu instid0(VALU_DEP_1) | instskip(NEXT) | instid1(VALU_DEP_1)
	v_fmac_f32_e32 v15, v104, v14
	v_add_f32_e32 v106, v105, v15
	s_delay_alu instid0(VALU_DEP_1) | instskip(SKIP_1) | instid1(VALU_DEP_2)
	v_sub_f32_e32 v107, v103, v106
	v_sub_f32_e32 v13, v106, v105
	;; [unrolled: 1-line block ×3, first 2 shown]
	s_delay_alu instid0(VALU_DEP_2) | instskip(NEXT) | instid1(VALU_DEP_2)
	v_sub_f32_e32 v13, v13, v15
	v_sub_f32_e32 v103, v103, v106
	s_delay_alu instid0(VALU_DEP_1) | instskip(NEXT) | instid1(VALU_DEP_1)
	v_add_f32_e32 v9, v9, v103
	v_add_f32_e32 v9, v13, v9
	s_delay_alu instid0(VALU_DEP_1) | instskip(NEXT) | instid1(VALU_DEP_1)
	v_add_f32_e32 v13, v107, v9
	v_mul_f32_e32 v15, v12, v13
	s_delay_alu instid0(VALU_DEP_1) | instskip(NEXT) | instid1(VALU_DEP_1)
	v_dual_sub_f32 v106, v107, v13 :: v_dual_mul_f32 v103, v17, v15
	v_add_f32_e32 v9, v9, v106
	s_delay_alu instid0(VALU_DEP_2) | instskip(NEXT) | instid1(VALU_DEP_1)
	v_fma_f32 v17, v15, v17, -v103
	v_fmac_f32_e32 v17, v15, v14
	s_delay_alu instid0(VALU_DEP_1) | instskip(NEXT) | instid1(VALU_DEP_1)
	v_add_f32_e32 v14, v103, v17
	v_sub_f32_e32 v105, v13, v14
	v_sub_f32_e32 v103, v14, v103
	s_delay_alu instid0(VALU_DEP_2) | instskip(NEXT) | instid1(VALU_DEP_1)
	v_sub_f32_e32 v13, v13, v105
	v_dual_sub_f32 v13, v13, v14 :: v_dual_sub_f32 v14, v103, v17
	s_delay_alu instid0(VALU_DEP_1) | instskip(SKIP_1) | instid1(VALU_DEP_1)
	v_add_f32_e32 v9, v9, v13
	v_add_f32_e32 v13, v104, v15
	v_dual_add_f32 v9, v14, v9 :: v_dual_sub_f32 v14, v13, v104
	s_delay_alu instid0(VALU_DEP_1) | instskip(NEXT) | instid1(VALU_DEP_1)
	v_dual_add_f32 v9, v105, v9 :: v_dual_sub_f32 v14, v15, v14
	v_mul_f32_e32 v9, v12, v9
	s_delay_alu instid0(VALU_DEP_1) | instskip(NEXT) | instid1(VALU_DEP_1)
	v_add_f32_e32 v9, v14, v9
	v_add_f32_e32 v12, v13, v9
	s_delay_alu instid0(VALU_DEP_1) | instskip(NEXT) | instid1(VALU_DEP_1)
	v_mul_f32_e32 v14, v12, v12
	v_fmaak_f32 v15, s84, v14, 0x3ecc95a3
	s_delay_alu instid0(VALU_DEP_1) | instskip(SKIP_2) | instid1(VALU_DEP_3)
	v_dual_mul_f32 v17, v12, v14 :: v_dual_fmaak_f32 v14, v14, v15, 0x3f2aaada
	v_ldexp_f32 v15, v12, 1
	v_sub_f32_e32 v12, v12, v13
	v_dual_mul_f32 v14, v17, v14 :: v_dual_mul_f32 v17, 0x3f317218, v8
	s_delay_alu instid0(VALU_DEP_2) | instskip(NEXT) | instid1(VALU_DEP_2)
	v_sub_f32_e32 v9, v9, v12
	v_add_f32_e32 v13, v15, v14
	s_delay_alu instid0(VALU_DEP_2) | instskip(NEXT) | instid1(VALU_DEP_2)
	v_ldexp_f32 v9, v9, 1
	v_sub_f32_e32 v12, v13, v15
	v_fma_f32 v15, 0x3f317218, v8, -v17
	s_delay_alu instid0(VALU_DEP_2) | instskip(NEXT) | instid1(VALU_DEP_2)
	v_sub_f32_e32 v12, v14, v12
	v_fmac_f32_e32 v15, 0xb102e308, v8
	s_delay_alu instid0(VALU_DEP_2) | instskip(NEXT) | instid1(VALU_DEP_2)
	v_add_f32_e32 v8, v9, v12
	v_add_f32_e32 v9, v17, v15
	s_delay_alu instid0(VALU_DEP_2) | instskip(NEXT) | instid1(VALU_DEP_2)
	v_add_f32_e32 v12, v13, v8
	v_sub_f32_e32 v17, v9, v17
	s_delay_alu instid0(VALU_DEP_2) | instskip(NEXT) | instid1(VALU_DEP_2)
	v_dual_add_f32 v14, v9, v12 :: v_dual_sub_f32 v13, v12, v13
	v_sub_f32_e32 v15, v15, v17
	s_delay_alu instid0(VALU_DEP_2) | instskip(NEXT) | instid1(VALU_DEP_3)
	v_sub_f32_e32 v103, v14, v9
	v_sub_f32_e32 v8, v8, v13
	s_delay_alu instid0(VALU_DEP_2) | instskip(NEXT) | instid1(VALU_DEP_2)
	v_sub_f32_e32 v104, v14, v103
	v_dual_sub_f32 v12, v12, v103 :: v_dual_add_f32 v13, v15, v8
	s_delay_alu instid0(VALU_DEP_2) | instskip(NEXT) | instid1(VALU_DEP_1)
	v_sub_f32_e32 v9, v9, v104
	v_dual_add_f32 v9, v12, v9 :: v_dual_sub_f32 v12, v13, v15
	s_delay_alu instid0(VALU_DEP_1) | instskip(NEXT) | instid1(VALU_DEP_2)
	v_add_f32_e32 v9, v13, v9
	v_sub_f32_e32 v13, v13, v12
	s_delay_alu instid0(VALU_DEP_2) | instskip(NEXT) | instid1(VALU_DEP_1)
	v_dual_sub_f32 v8, v8, v12 :: v_dual_add_f32 v17, v14, v9
	v_dual_sub_f32 v13, v15, v13 :: v_dual_sub_f32 v12, v17, v14
	s_delay_alu instid0(VALU_DEP_1) | instskip(NEXT) | instid1(VALU_DEP_1)
	v_dual_add_f32 v8, v8, v13 :: v_dual_sub_f32 v9, v9, v12
	v_add_f32_e32 v8, v8, v9
	s_delay_alu instid0(VALU_DEP_1) | instskip(NEXT) | instid1(VALU_DEP_1)
	v_add_f32_e32 v8, v17, v8
	v_cndmask_b32_e32 v103, v8, v10, vcc_lo
.LBB26_102:                             ;   in Loop: Header=BB26_12 Depth=1
	s_or_b32 exec_lo, exec_lo, s30
	v_lshlrev_b32_e32 v8, 16, v11
	s_delay_alu instid0(VALU_DEP_1) | instskip(NEXT) | instid1(VALU_DEP_1)
	v_add_f32_e32 v104, s67, v8
	v_cmp_ge_f32_e32 vcc_lo, 0x41a00000, v104
	s_and_b32 s29, s80, vcc_lo
	s_delay_alu instid0(SALU_CYCLE_1)
	s_and_saveexec_b32 s30, s29
	s_cbranch_execz .LBB26_104
; %bb.103:                              ;   in Loop: Header=BB26_12 Depth=1
	v_mul_f32_e32 v8, 0x3fb8aa3b, v104
	v_cmp_ngt_f32_e32 vcc_lo, 0xc2ce8ed0, v104
	s_delay_alu instid0(VALU_DEP_2) | instskip(SKIP_1) | instid1(VALU_DEP_2)
	v_rndne_f32_e32 v9, v8
	v_fma_f32 v10, 0x3fb8aa3b, v104, -v8
	v_sub_f32_e32 v8, v8, v9
	s_delay_alu instid0(VALU_DEP_2) | instskip(SKIP_1) | instid1(VALU_DEP_2)
	v_fmac_f32_e32 v10, 0x32a5705f, v104
	v_cvt_i32_f32_e32 v9, v9
	v_add_f32_e32 v8, v8, v10
	s_delay_alu instid0(VALU_DEP_1) | instskip(SKIP_2) | instid1(VALU_DEP_1)
	v_exp_f32_e32 v8, v8
	s_waitcnt_depctr 0xfff
	v_ldexp_f32 v8, v8, v9
	v_cndmask_b32_e32 v8, 0, v8, vcc_lo
	v_cmp_nlt_f32_e32 vcc_lo, 0x42b17218, v104
	s_delay_alu instid0(VALU_DEP_2) | instskip(NEXT) | instid1(VALU_DEP_1)
	v_cndmask_b32_e32 v10, 0x7f800000, v8, vcc_lo
	v_add_f32_e32 v12, 1.0, v10
	s_delay_alu instid0(VALU_DEP_1) | instskip(NEXT) | instid1(VALU_DEP_1)
	v_cvt_f64_f32_e32 v[8:9], v12
	v_frexp_exp_i32_f64_e32 v8, v[8:9]
	v_frexp_mant_f32_e32 v9, v12
	s_delay_alu instid0(VALU_DEP_1) | instskip(SKIP_1) | instid1(VALU_DEP_1)
	v_cmp_gt_f32_e32 vcc_lo, 0x3f2aaaab, v9
	v_add_f32_e32 v9, -1.0, v12
	v_dual_sub_f32 v14, v9, v12 :: v_dual_sub_f32 v9, v10, v9
	v_subrev_co_ci_u32_e32 v8, vcc_lo, 0, v8, vcc_lo
	s_delay_alu instid0(VALU_DEP_1) | instskip(SKIP_1) | instid1(VALU_DEP_2)
	v_sub_nc_u32_e32 v13, 0, v8
	v_cvt_f32_i32_e32 v8, v8
	v_ldexp_f32 v12, v12, v13
	s_delay_alu instid0(VALU_DEP_1) | instskip(NEXT) | instid1(VALU_DEP_1)
	v_dual_add_f32 v14, 1.0, v14 :: v_dual_add_f32 v15, 1.0, v12
	v_add_f32_e32 v9, v9, v14
	s_delay_alu instid0(VALU_DEP_1) | instskip(NEXT) | instid1(VALU_DEP_3)
	v_ldexp_f32 v9, v9, v13
	v_dual_add_f32 v13, -1.0, v12 :: v_dual_add_f32 v14, -1.0, v15
	s_delay_alu instid0(VALU_DEP_1) | instskip(NEXT) | instid1(VALU_DEP_1)
	v_dual_add_f32 v17, 1.0, v13 :: v_dual_sub_f32 v14, v12, v14
	v_sub_f32_e32 v12, v12, v17
	s_delay_alu instid0(VALU_DEP_2) | instskip(NEXT) | instid1(VALU_DEP_2)
	v_add_f32_e32 v14, v9, v14
	v_add_f32_e32 v9, v9, v12
	s_delay_alu instid0(VALU_DEP_2) | instskip(SKIP_2) | instid1(VALU_DEP_4)
	v_add_f32_e32 v17, v15, v14
	v_cmp_eq_f32_e32 vcc_lo, 0x7f800000, v10
	v_cmp_gt_f32_e64 s29, 0x33800000, v10
	v_add_f32_e32 v104, v13, v9
	s_delay_alu instid0(VALU_DEP_4) | instskip(SKIP_1) | instid1(VALU_DEP_3)
	v_rcp_f32_e32 v12, v17
	v_sub_f32_e32 v15, v15, v17
	s_or_b32 vcc_lo, s29, vcc_lo
	s_delay_alu instid0(VALU_DEP_2) | instskip(NEXT) | instid1(VALU_DEP_1)
	v_sub_f32_e32 v13, v13, v104
	v_add_f32_e32 v9, v9, v13
	s_waitcnt_depctr 0xfff
	v_dual_mul_f32 v105, v104, v12 :: v_dual_add_f32 v14, v14, v15
	s_delay_alu instid0(VALU_DEP_1) | instskip(NEXT) | instid1(VALU_DEP_1)
	v_mul_f32_e32 v106, v17, v105
	v_fma_f32 v15, v105, v17, -v106
	s_delay_alu instid0(VALU_DEP_1) | instskip(NEXT) | instid1(VALU_DEP_1)
	v_fmac_f32_e32 v15, v105, v14
	v_add_f32_e32 v107, v106, v15
	s_delay_alu instid0(VALU_DEP_1) | instskip(NEXT) | instid1(VALU_DEP_1)
	v_dual_sub_f32 v13, v107, v106 :: v_dual_sub_f32 v108, v104, v107
	v_dual_sub_f32 v13, v13, v15 :: v_dual_sub_f32 v104, v104, v108
	s_delay_alu instid0(VALU_DEP_1) | instskip(NEXT) | instid1(VALU_DEP_1)
	v_sub_f32_e32 v104, v104, v107
	v_add_f32_e32 v9, v9, v104
	s_delay_alu instid0(VALU_DEP_1) | instskip(NEXT) | instid1(VALU_DEP_1)
	v_add_f32_e32 v9, v13, v9
	v_add_f32_e32 v13, v108, v9
	s_delay_alu instid0(VALU_DEP_1) | instskip(NEXT) | instid1(VALU_DEP_1)
	v_mul_f32_e32 v15, v12, v13
	v_mul_f32_e32 v104, v17, v15
	s_delay_alu instid0(VALU_DEP_1) | instskip(NEXT) | instid1(VALU_DEP_1)
	v_fma_f32 v17, v15, v17, -v104
	v_fmac_f32_e32 v17, v15, v14
	s_delay_alu instid0(VALU_DEP_1) | instskip(NEXT) | instid1(VALU_DEP_1)
	v_add_f32_e32 v14, v104, v17
	v_dual_sub_f32 v107, v108, v13 :: v_dual_sub_f32 v106, v13, v14
	s_delay_alu instid0(VALU_DEP_1) | instskip(NEXT) | instid1(VALU_DEP_2)
	v_dual_sub_f32 v13, v13, v106 :: v_dual_sub_f32 v104, v14, v104
	v_add_f32_e32 v9, v9, v107
	s_delay_alu instid0(VALU_DEP_2) | instskip(NEXT) | instid1(VALU_DEP_1)
	v_dual_sub_f32 v13, v13, v14 :: v_dual_sub_f32 v14, v104, v17
	v_add_f32_e32 v9, v9, v13
	v_add_f32_e32 v13, v105, v15
	s_delay_alu instid0(VALU_DEP_2) | instskip(NEXT) | instid1(VALU_DEP_2)
	v_add_f32_e32 v9, v14, v9
	v_sub_f32_e32 v14, v13, v105
	s_delay_alu instid0(VALU_DEP_1) | instskip(NEXT) | instid1(VALU_DEP_1)
	v_dual_add_f32 v9, v106, v9 :: v_dual_sub_f32 v14, v15, v14
	v_mul_f32_e32 v9, v12, v9
	s_delay_alu instid0(VALU_DEP_1) | instskip(NEXT) | instid1(VALU_DEP_1)
	v_add_f32_e32 v9, v14, v9
	v_add_f32_e32 v12, v13, v9
	s_delay_alu instid0(VALU_DEP_1) | instskip(NEXT) | instid1(VALU_DEP_1)
	v_mul_f32_e32 v14, v12, v12
	v_fmaak_f32 v15, s84, v14, 0x3ecc95a3
	s_delay_alu instid0(VALU_DEP_1) | instskip(SKIP_1) | instid1(VALU_DEP_2)
	v_dual_mul_f32 v17, v12, v14 :: v_dual_fmaak_f32 v14, v14, v15, 0x3f2aaada
	v_ldexp_f32 v15, v12, 1
	v_mul_f32_e32 v14, v17, v14
	v_dual_sub_f32 v12, v12, v13 :: v_dual_mul_f32 v17, 0x3f317218, v8
	s_delay_alu instid0(VALU_DEP_2) | instskip(NEXT) | instid1(VALU_DEP_2)
	v_add_f32_e32 v13, v15, v14
	v_sub_f32_e32 v9, v9, v12
	s_delay_alu instid0(VALU_DEP_2) | instskip(NEXT) | instid1(VALU_DEP_4)
	v_sub_f32_e32 v12, v13, v15
	v_fma_f32 v15, 0x3f317218, v8, -v17
	s_delay_alu instid0(VALU_DEP_3) | instskip(NEXT) | instid1(VALU_DEP_3)
	v_ldexp_f32 v9, v9, 1
	v_sub_f32_e32 v12, v14, v12
	s_delay_alu instid0(VALU_DEP_3) | instskip(NEXT) | instid1(VALU_DEP_2)
	v_fmac_f32_e32 v15, 0xb102e308, v8
	v_add_f32_e32 v8, v9, v12
	s_delay_alu instid0(VALU_DEP_1) | instskip(NEXT) | instid1(VALU_DEP_3)
	v_add_f32_e32 v12, v13, v8
	v_add_f32_e32 v9, v17, v15
	s_delay_alu instid0(VALU_DEP_1) | instskip(NEXT) | instid1(VALU_DEP_1)
	v_dual_sub_f32 v13, v12, v13 :: v_dual_add_f32 v14, v9, v12
	v_sub_f32_e32 v8, v8, v13
	s_delay_alu instid0(VALU_DEP_2) | instskip(NEXT) | instid1(VALU_DEP_1)
	v_sub_f32_e32 v104, v14, v9
	v_dual_sub_f32 v12, v12, v104 :: v_dual_sub_f32 v17, v9, v17
	s_delay_alu instid0(VALU_DEP_1) | instskip(NEXT) | instid1(VALU_DEP_1)
	v_sub_f32_e32 v15, v15, v17
	v_add_f32_e32 v13, v15, v8
	v_sub_f32_e32 v105, v14, v104
	s_delay_alu instid0(VALU_DEP_1) | instskip(NEXT) | instid1(VALU_DEP_1)
	v_sub_f32_e32 v9, v9, v105
	v_dual_add_f32 v9, v12, v9 :: v_dual_sub_f32 v12, v13, v15
	s_delay_alu instid0(VALU_DEP_1) | instskip(NEXT) | instid1(VALU_DEP_2)
	v_add_f32_e32 v9, v13, v9
	v_sub_f32_e32 v13, v13, v12
	s_delay_alu instid0(VALU_DEP_2) | instskip(NEXT) | instid1(VALU_DEP_1)
	v_dual_sub_f32 v8, v8, v12 :: v_dual_add_f32 v17, v14, v9
	v_dual_sub_f32 v12, v17, v14 :: v_dual_sub_f32 v13, v15, v13
	s_delay_alu instid0(VALU_DEP_1) | instskip(NEXT) | instid1(VALU_DEP_1)
	v_dual_sub_f32 v9, v9, v12 :: v_dual_add_f32 v8, v8, v13
	v_add_f32_e32 v8, v8, v9
	s_delay_alu instid0(VALU_DEP_1) | instskip(NEXT) | instid1(VALU_DEP_1)
	v_add_f32_e32 v8, v17, v8
	v_cndmask_b32_e32 v104, v8, v10, vcc_lo
.LBB26_104:                             ;   in Loop: Header=BB26_12 Depth=1
	s_or_b32 exec_lo, exec_lo, s30
	v_and_b32_e32 v8, 0xffff0000, v11
	s_delay_alu instid0(VALU_DEP_1) | instskip(NEXT) | instid1(VALU_DEP_1)
	v_add_f32_e32 v121, s67, v8
	v_cmp_ge_f32_e32 vcc_lo, 0x41a00000, v121
	s_and_b32 s29, s80, vcc_lo
	s_delay_alu instid0(SALU_CYCLE_1)
	s_and_saveexec_b32 s30, s29
	s_cbranch_execz .LBB26_106
; %bb.105:                              ;   in Loop: Header=BB26_12 Depth=1
	v_mul_f32_e32 v8, 0x3fb8aa3b, v121
	v_cmp_ngt_f32_e32 vcc_lo, 0xc2ce8ed0, v121
	s_delay_alu instid0(VALU_DEP_2) | instskip(SKIP_1) | instid1(VALU_DEP_2)
	v_rndne_f32_e32 v9, v8
	v_fma_f32 v10, 0x3fb8aa3b, v121, -v8
	v_sub_f32_e32 v8, v8, v9
	s_delay_alu instid0(VALU_DEP_2) | instskip(SKIP_1) | instid1(VALU_DEP_2)
	v_fmac_f32_e32 v10, 0x32a5705f, v121
	v_cvt_i32_f32_e32 v9, v9
	v_add_f32_e32 v8, v8, v10
	s_delay_alu instid0(VALU_DEP_1) | instskip(SKIP_2) | instid1(VALU_DEP_1)
	v_exp_f32_e32 v8, v8
	s_waitcnt_depctr 0xfff
	v_ldexp_f32 v8, v8, v9
	v_cndmask_b32_e32 v8, 0, v8, vcc_lo
	v_cmp_nlt_f32_e32 vcc_lo, 0x42b17218, v121
	s_delay_alu instid0(VALU_DEP_2) | instskip(NEXT) | instid1(VALU_DEP_1)
	v_cndmask_b32_e32 v10, 0x7f800000, v8, vcc_lo
	v_add_f32_e32 v11, 1.0, v10
	s_delay_alu instid0(VALU_DEP_1) | instskip(NEXT) | instid1(VALU_DEP_1)
	v_cvt_f64_f32_e32 v[8:9], v11
	v_frexp_exp_i32_f64_e32 v8, v[8:9]
	v_frexp_mant_f32_e32 v9, v11
	s_delay_alu instid0(VALU_DEP_1) | instskip(SKIP_1) | instid1(VALU_DEP_1)
	v_cmp_gt_f32_e32 vcc_lo, 0x3f2aaaab, v9
	v_add_f32_e32 v9, -1.0, v11
	v_sub_f32_e32 v13, v9, v11
	v_sub_f32_e32 v9, v10, v9
	s_delay_alu instid0(VALU_DEP_2) | instskip(NEXT) | instid1(VALU_DEP_1)
	v_add_f32_e32 v13, 1.0, v13
	v_add_f32_e32 v9, v9, v13
	v_cmp_gt_f32_e64 s29, 0x33800000, v10
	v_subrev_co_ci_u32_e32 v8, vcc_lo, 0, v8, vcc_lo
	v_cmp_eq_f32_e32 vcc_lo, 0x7f800000, v10
	s_delay_alu instid0(VALU_DEP_2) | instskip(SKIP_2) | instid1(VALU_DEP_2)
	v_sub_nc_u32_e32 v12, 0, v8
	v_cvt_f32_i32_e32 v8, v8
	s_or_b32 vcc_lo, s29, vcc_lo
	v_ldexp_f32 v11, v11, v12
	v_ldexp_f32 v9, v9, v12
	s_delay_alu instid0(VALU_DEP_2) | instskip(NEXT) | instid1(VALU_DEP_1)
	v_add_f32_e32 v14, 1.0, v11
	v_dual_add_f32 v12, -1.0, v11 :: v_dual_add_f32 v13, -1.0, v14
	s_delay_alu instid0(VALU_DEP_1) | instskip(NEXT) | instid1(VALU_DEP_2)
	v_add_f32_e32 v15, 1.0, v12
	v_sub_f32_e32 v13, v11, v13
	s_delay_alu instid0(VALU_DEP_2) | instskip(NEXT) | instid1(VALU_DEP_2)
	v_sub_f32_e32 v11, v11, v15
	v_add_f32_e32 v13, v9, v13
	s_delay_alu instid0(VALU_DEP_2) | instskip(NEXT) | instid1(VALU_DEP_1)
	v_add_f32_e32 v9, v9, v11
	v_add_f32_e32 v17, v12, v9
	s_delay_alu instid0(VALU_DEP_3) | instskip(NEXT) | instid1(VALU_DEP_2)
	v_add_f32_e32 v15, v14, v13
	v_sub_f32_e32 v12, v12, v17
	s_delay_alu instid0(VALU_DEP_2) | instskip(SKIP_1) | instid1(VALU_DEP_1)
	v_rcp_f32_e32 v11, v15
	v_sub_f32_e32 v14, v14, v15
	v_add_f32_e32 v13, v13, v14
	s_waitcnt_depctr 0xfff
	v_mul_f32_e32 v105, v17, v11
	s_delay_alu instid0(VALU_DEP_1) | instskip(NEXT) | instid1(VALU_DEP_1)
	v_dual_mul_f32 v106, v15, v105 :: v_dual_add_f32 v9, v9, v12
	v_fma_f32 v14, v105, v15, -v106
	s_delay_alu instid0(VALU_DEP_1) | instskip(NEXT) | instid1(VALU_DEP_1)
	v_fmac_f32_e32 v14, v105, v13
	v_add_f32_e32 v107, v106, v14
	s_delay_alu instid0(VALU_DEP_1) | instskip(SKIP_1) | instid1(VALU_DEP_1)
	v_sub_f32_e32 v12, v107, v106
	v_sub_f32_e32 v108, v17, v107
	v_dual_sub_f32 v12, v12, v14 :: v_dual_sub_f32 v17, v17, v108
	s_delay_alu instid0(VALU_DEP_1) | instskip(NEXT) | instid1(VALU_DEP_1)
	v_sub_f32_e32 v17, v17, v107
	v_add_f32_e32 v9, v9, v17
	s_delay_alu instid0(VALU_DEP_1) | instskip(NEXT) | instid1(VALU_DEP_1)
	v_add_f32_e32 v9, v12, v9
	v_add_f32_e32 v12, v108, v9
	s_delay_alu instid0(VALU_DEP_1) | instskip(SKIP_1) | instid1(VALU_DEP_2)
	v_mul_f32_e32 v14, v11, v12
	v_sub_f32_e32 v107, v108, v12
	v_mul_f32_e32 v17, v15, v14
	s_delay_alu instid0(VALU_DEP_2) | instskip(NEXT) | instid1(VALU_DEP_2)
	v_add_f32_e32 v9, v9, v107
	v_fma_f32 v15, v14, v15, -v17
	s_delay_alu instid0(VALU_DEP_1) | instskip(NEXT) | instid1(VALU_DEP_1)
	v_fmac_f32_e32 v15, v14, v13
	v_add_f32_e32 v13, v17, v15
	s_delay_alu instid0(VALU_DEP_1) | instskip(NEXT) | instid1(VALU_DEP_1)
	v_sub_f32_e32 v106, v12, v13
	v_dual_sub_f32 v17, v13, v17 :: v_dual_sub_f32 v12, v12, v106
	s_delay_alu instid0(VALU_DEP_1) | instskip(NEXT) | instid1(VALU_DEP_1)
	v_dual_sub_f32 v12, v12, v13 :: v_dual_sub_f32 v13, v17, v15
	v_add_f32_e32 v9, v9, v12
	v_add_f32_e32 v12, v105, v14
	s_delay_alu instid0(VALU_DEP_2) | instskip(NEXT) | instid1(VALU_DEP_2)
	v_add_f32_e32 v9, v13, v9
	v_sub_f32_e32 v13, v12, v105
	s_delay_alu instid0(VALU_DEP_2) | instskip(NEXT) | instid1(VALU_DEP_2)
	v_add_f32_e32 v9, v106, v9
	v_sub_f32_e32 v13, v14, v13
	s_delay_alu instid0(VALU_DEP_2) | instskip(NEXT) | instid1(VALU_DEP_1)
	v_mul_f32_e32 v9, v11, v9
	v_add_f32_e32 v9, v13, v9
	s_delay_alu instid0(VALU_DEP_1) | instskip(NEXT) | instid1(VALU_DEP_1)
	v_add_f32_e32 v11, v12, v9
	v_mul_f32_e32 v13, v11, v11
	s_delay_alu instid0(VALU_DEP_1) | instskip(SKIP_1) | instid1(VALU_DEP_2)
	v_fmaak_f32 v14, s84, v13, 0x3ecc95a3
	v_mul_f32_e32 v15, v11, v13
	v_fmaak_f32 v13, v13, v14, 0x3f2aaada
	v_ldexp_f32 v14, v11, 1
	v_sub_f32_e32 v11, v11, v12
	s_delay_alu instid0(VALU_DEP_3) | instskip(SKIP_1) | instid1(VALU_DEP_2)
	v_mul_f32_e32 v13, v15, v13
	v_mul_f32_e32 v15, 0x3f317218, v8
	v_dual_sub_f32 v9, v9, v11 :: v_dual_add_f32 v12, v14, v13
	s_delay_alu instid0(VALU_DEP_1) | instskip(NEXT) | instid1(VALU_DEP_2)
	v_ldexp_f32 v9, v9, 1
	v_sub_f32_e32 v11, v12, v14
	s_delay_alu instid0(VALU_DEP_4) | instskip(NEXT) | instid1(VALU_DEP_1)
	v_fma_f32 v14, 0x3f317218, v8, -v15
	v_dual_sub_f32 v11, v13, v11 :: v_dual_fmac_f32 v14, 0xb102e308, v8
	s_delay_alu instid0(VALU_DEP_1) | instskip(NEXT) | instid1(VALU_DEP_1)
	v_dual_add_f32 v8, v9, v11 :: v_dual_add_f32 v9, v15, v14
	v_add_f32_e32 v11, v12, v8
	s_delay_alu instid0(VALU_DEP_2) | instskip(NEXT) | instid1(VALU_DEP_2)
	v_sub_f32_e32 v15, v9, v15
	v_dual_add_f32 v13, v9, v11 :: v_dual_sub_f32 v12, v11, v12
	s_delay_alu instid0(VALU_DEP_1) | instskip(NEXT) | instid1(VALU_DEP_1)
	v_dual_sub_f32 v14, v14, v15 :: v_dual_sub_f32 v17, v13, v9
	v_dual_sub_f32 v8, v8, v12 :: v_dual_sub_f32 v105, v13, v17
	s_delay_alu instid0(VALU_DEP_1) | instskip(NEXT) | instid1(VALU_DEP_2)
	v_dual_sub_f32 v11, v11, v17 :: v_dual_add_f32 v12, v14, v8
	v_sub_f32_e32 v9, v9, v105
	s_delay_alu instid0(VALU_DEP_1) | instskip(NEXT) | instid1(VALU_DEP_3)
	v_add_f32_e32 v9, v11, v9
	v_sub_f32_e32 v11, v12, v14
	s_delay_alu instid0(VALU_DEP_2) | instskip(NEXT) | instid1(VALU_DEP_2)
	v_add_f32_e32 v9, v12, v9
	v_sub_f32_e32 v12, v12, v11
	s_delay_alu instid0(VALU_DEP_2) | instskip(NEXT) | instid1(VALU_DEP_1)
	v_dual_sub_f32 v8, v8, v11 :: v_dual_add_f32 v15, v13, v9
	v_dual_sub_f32 v12, v14, v12 :: v_dual_sub_f32 v11, v15, v13
	s_delay_alu instid0(VALU_DEP_1) | instskip(NEXT) | instid1(VALU_DEP_1)
	v_dual_add_f32 v8, v8, v12 :: v_dual_sub_f32 v9, v9, v11
	v_add_f32_e32 v8, v8, v9
	s_delay_alu instid0(VALU_DEP_1) | instskip(NEXT) | instid1(VALU_DEP_1)
	v_add_f32_e32 v8, v15, v8
	v_cndmask_b32_e32 v121, v8, v10, vcc_lo
.LBB26_106:                             ;   in Loop: Header=BB26_12 Depth=1
	s_or_b32 exec_lo, exec_lo, s30
	v_and_b32_e32 v11, 0xffff0000, v3
	v_and_b32_e32 v9, 0xffff0000, v6
	v_lshlrev_b32_e32 v6, 16, v6
	v_and_b32_e32 v15, 0xffff0000, v0
	v_lshlrev_b32_e32 v8, 16, v7
	v_mul_f32_e32 v115, s68, v11
	v_mul_f32_e32 v105, s68, v9
	v_dual_mul_f32 v107, s68, v6 :: v_dual_and_b32 v10, 0xffff0000, v5
	v_and_b32_e32 v14, 0xffff0000, v7
	v_and_b32_e32 v7, 0xffff0000, v4
	v_lshlrev_b32_e32 v5, 16, v5
	s_delay_alu instid0(VALU_DEP_4) | instskip(NEXT) | instid1(VALU_DEP_4)
	v_dual_mul_f32 v109, s68, v10 :: v_dual_lshlrev_b32 v0, 16, v0
	v_mul_f32_e32 v111, s68, v14
	v_and_b32_e32 v13, 0xffff0000, v1
	v_lshlrev_b32_e32 v3, 16, v3
	v_mul_f32_e32 v108, s68, v7
	v_mul_f32_e32 v120, s68, v0
	s_delay_alu instid0(VALU_DEP_4) | instskip(SKIP_3) | instid1(VALU_DEP_4)
	v_dual_mul_f32 v113, s68, v13 :: v_dual_and_b32 v12, 0xffff0000, v2
	v_lshlrev_b32_e32 v1, 16, v1
	v_mul_f32_e32 v110, s68, v5
	v_mul_f32_e32 v106, s68, v8
	;; [unrolled: 1-line block ×5, first 2 shown]
	v_dual_mul_f32 v119, s68, v15 :: v_dual_lshlrev_b32 v2, 16, v2
	v_lshlrev_b32_e32 v4, 16, v4
	s_and_b32 vcc_lo, exec_lo, s81
	s_delay_alu instid0(VALU_DEP_2) | instskip(SKIP_1) | instid1(VALU_DEP_2)
	v_mul_f32_e32 v117, s68, v2
	s_barrier
	v_mul_f32_e32 v112, s68, v4
	buffer_gl0_inv
	s_cbranch_vccz .LBB26_204
; %bb.107:                              ;   in Loop: Header=BB26_12 Depth=1
	v_dual_mul_f32 v122, v121, v14 :: v_dual_mul_f32 v127, v104, v8
	v_add_co_u32 v14, s29, s53, v16
	s_delay_alu instid0(VALU_DEP_1) | instskip(SKIP_1) | instid1(VALU_DEP_1)
	v_add_co_ci_u32_e64 v17, null, s74, 0, s29
	v_add_co_u32 v16, s29, s57, v16
	v_add_co_ci_u32_e64 v126, null, s75, 0, s29
	s_delay_alu instid0(VALU_DEP_4) | instskip(NEXT) | instid1(VALU_DEP_4)
	v_add_co_u32 v123, vcc_lo, v14, v89
	v_add_co_ci_u32_e32 v124, vcc_lo, 0, v17, vcc_lo
	s_delay_alu instid0(VALU_DEP_4) | instskip(NEXT) | instid1(VALU_DEP_4)
	v_add_co_u32 v125, vcc_lo, v16, v89
	v_add_co_ci_u32_e32 v126, vcc_lo, 0, v126, vcc_lo
	v_cmp_gt_u32_e32 vcc_lo, s41, v18
	s_cmp_lg_u32 s86, 0
	v_cmp_gt_u32_e64 s31, s41, v75
	s_cselect_b32 s51, -1, 0
	s_cmp_eq_u32 s86, s83
	v_cmp_gt_u32_e64 s33, s41, v76
	s_cselect_b32 s87, -1, 0
	s_or_b32 s29, s82, vcc_lo
	v_cmp_gt_u32_e32 vcc_lo, s41, v74
	v_cmp_gt_u32_e64 s34, s41, v77
	v_cmp_gt_u32_e64 s35, s41, v78
	;; [unrolled: 1-line block ×4, first 2 shown]
	s_or_b32 s30, s82, vcc_lo
	v_cmp_gt_u32_e32 vcc_lo, s41, v79
	v_cmp_gt_u32_e64 s39, s41, v82
	v_cmp_gt_u32_e64 s40, s41, v83
	;; [unrolled: 1-line block ×4, first 2 shown]
	s_or_b32 s36, s82, vcc_lo
	v_cmp_gt_u32_e32 vcc_lo, s41, v84
	v_cmp_gt_u32_e64 s44, s41, v87
	v_cmp_gt_u32_e64 s45, s41, v88
	v_dual_mul_f32 v128, v103, v9 :: v_dual_mul_f32 v129, v102, v6
	v_dual_mul_f32 v130, v101, v10 :: v_dual_mul_f32 v131, v100, v5
	;; [unrolled: 1-line block ×7, first 2 shown]
	s_mov_b32 s64, 0
	s_or_b32 s31, s82, s31
	s_or_b32 s33, s82, s33
	;; [unrolled: 1-line block ×8, first 2 shown]
	s_or_b32 s41, s82, vcc_lo
	s_or_b32 s42, s82, s42
	s_or_b32 s43, s82, s43
	;; [unrolled: 1-line block ×4, first 2 shown]
	s_mov_b32 s54, s64
	s_mov_b32 s58, s64
	;; [unrolled: 1-line block ×5, first 2 shown]
	s_branch .LBB26_109
.LBB26_108:                             ;   in Loop: Header=BB26_109 Depth=2
	s_or_b32 exec_lo, exec_lo, s46
	v_cndmask_b32_e64 v9, v171, v11, s12
	v_cndmask_b32_e64 v10, v170, v10, s12
	s_add_i32 s88, s88, -1
	s_add_i32 s89, s89, 8
	s_add_i32 s60, s60, s62
	v_fma_f32 v9, v9, v145, v144
	v_mul_f32_e32 v10, v10, v145
	s_add_i32 s58, s58, s56
	s_add_i32 s54, s54, s52
	;; [unrolled: 1-line block ×3, first 2 shown]
	v_cndmask_b32_e64 v9, v9, v144, s11
	v_cndmask_b32_e64 v10, v10, v145, s11
	s_cmp_eq_u32 s88, 0
	s_waitcnt lgkmcnt(0)
	s_delay_alu instid0(VALU_DEP_1) | instskip(NEXT) | instid1(VALU_DEP_1)
	v_dual_fmac_f32 v9, v8, v10 :: v_dual_and_b32 v10, 0xffff0000, v5
	v_dual_fmac_f32 v12, v9, v147 :: v_dual_lshlrev_b32 v5, 16, v5
	s_delay_alu instid0(VALU_DEP_1) | instskip(NEXT) | instid1(VALU_DEP_1)
	v_fmac_f32_e32 v13, v12, v148
	v_dual_fmac_f32 v118, v13, v5 :: v_dual_and_b32 v17, 0xffff0000, v0
	v_fmac_f32_e32 v14, v13, v150
	s_delay_alu instid0(VALU_DEP_1) | instskip(NEXT) | instid1(VALU_DEP_1)
	v_fmac_f32_e32 v15, v14, v153
	v_fmac_f32_e32 v142, v15, v154
	s_delay_alu instid0(VALU_DEP_1) | instskip(NEXT) | instid1(VALU_DEP_1)
	v_fmac_f32_e32 v143, v142, v155
	v_fmac_f32_e32 v146, v143, v156
	s_delay_alu instid0(VALU_DEP_1) | instskip(SKIP_1) | instid1(VALU_DEP_2)
	v_dual_fmac_f32 v149, v146, v158 :: v_dual_and_b32 v8, 0xffff0000, v4
	v_lshlrev_b32_e32 v4, 16, v4
	v_dual_fmac_f32 v119, v12, v8 :: v_dual_and_b32 v16, 0xffff0000, v7
	s_delay_alu instid0(VALU_DEP_3) | instskip(SKIP_1) | instid1(VALU_DEP_4)
	v_fmac_f32_e32 v151, v149, v159
	v_and_b32_e32 v11, 0xffff0000, v6
	v_dual_fmac_f32 v120, v9, v4 :: v_dual_lshlrev_b32 v7, 16, v7
	s_delay_alu instid0(VALU_DEP_4) | instskip(NEXT) | instid1(VALU_DEP_4)
	v_fmac_f32_e32 v115, v146, v16
	v_fmac_f32_e32 v152, v151, v160
	s_delay_alu instid0(VALU_DEP_4) | instskip(NEXT) | instid1(VALU_DEP_2)
	v_fmac_f32_e32 v114, v142, v11
	v_dual_fmac_f32 v108, v151, v17 :: v_dual_fmac_f32 v157, v152, v168
	v_lshlrev_b32_e32 v6, 16, v6
	v_dual_fmac_f32 v113, v14, v10 :: v_dual_lshlrev_b32 v0, 16, v0
	v_and_b32_e32 v147, 0xffff0000, v3
	s_delay_alu instid0(VALU_DEP_4) | instskip(SKIP_3) | instid1(VALU_DEP_4)
	v_fmac_f32_e32 v161, v157, v163
	v_and_b32_e32 v145, 0xffff0000, v2
	v_lshlrev_b32_e32 v2, 16, v2
	v_dual_fmac_f32 v117, v15, v6 :: v_dual_and_b32 v144, 0xffff0000, v1
	v_fmac_f32_e32 v162, v161, v165
	v_lshlrev_b32_e32 v1, 16, v1
	v_lshlrev_b32_e32 v3, 16, v3
	v_dual_fmac_f32 v107, v161, v2 :: v_dual_fmac_f32 v116, v143, v7
	s_delay_alu instid0(VALU_DEP_4) | instskip(SKIP_1) | instid1(VALU_DEP_2)
	v_dual_fmac_f32 v109, v157, v144 :: v_dual_fmac_f32 v164, v162, v167
	v_dual_fmac_f32 v112, v149, v0 :: v_dual_fmac_f32 v105, v162, v145
	v_fmac_f32_e32 v106, v164, v3
	v_fmac_f32_e32 v166, v164, v169
	s_delay_alu instid0(VALU_DEP_1)
	v_dual_fmac_f32 v110, v152, v1 :: v_dual_fmac_f32 v111, v166, v147
	s_cbranch_scc1 .LBB26_204
.LBB26_109:                             ;   Parent Loop BB26_12 Depth=1
                                        ; =>  This Inner Loop Header: Depth=2
	s_lshl_b64 s[46:47], s[64:65], 2
	s_mov_b32 s55, s65
	s_add_u32 s46, s73, s46
	s_addc_u32 s47, s63, s47
	v_dual_mov_b32 v2, 0 :: v_dual_mov_b32 v3, 0
	global_load_b32 v142, v21, s[46:47]
	s_lshl_b64 s[46:47], s[54:55], 1
	s_delay_alu instid0(SALU_CYCLE_1)
	v_add_co_u32 v0, vcc_lo, v123, s46
	v_add_co_ci_u32_e32 v1, vcc_lo, s47, v124, vcc_lo
	s_and_saveexec_b32 s46, s13
	s_cbranch_execz .LBB26_111
; %bb.110:                              ;   in Loop: Header=BB26_109 Depth=2
	global_load_u16 v3, v[0:1], off
.LBB26_111:                             ;   in Loop: Header=BB26_109 Depth=2
	s_or_b32 exec_lo, exec_lo, s46
	s_and_saveexec_b32 s46, s14
	s_cbranch_execz .LBB26_113
; %bb.112:                              ;   in Loop: Header=BB26_109 Depth=2
	global_load_u16 v2, v[0:1], off offset:64
.LBB26_113:                             ;   in Loop: Header=BB26_109 Depth=2
	s_or_b32 exec_lo, exec_lo, s46
	v_dual_mov_b32 v4, 0 :: v_dual_mov_b32 v5, 0
	s_and_saveexec_b32 s46, s15
	s_cbranch_execz .LBB26_115
; %bb.114:                              ;   in Loop: Header=BB26_109 Depth=2
	global_load_u16 v5, v[0:1], off offset:128
.LBB26_115:                             ;   in Loop: Header=BB26_109 Depth=2
	s_or_b32 exec_lo, exec_lo, s46
	s_and_saveexec_b32 s46, s16
	s_cbranch_execz .LBB26_117
; %bb.116:                              ;   in Loop: Header=BB26_109 Depth=2
	global_load_u16 v4, v[0:1], off offset:192
.LBB26_117:                             ;   in Loop: Header=BB26_109 Depth=2
	s_or_b32 exec_lo, exec_lo, s46
	v_dual_mov_b32 v6, 0 :: v_dual_mov_b32 v7, 0
	s_and_saveexec_b32 s46, s17
	s_cbranch_execz .LBB26_119
; %bb.118:                              ;   in Loop: Header=BB26_109 Depth=2
	global_load_u16 v7, v[0:1], off offset:256
.LBB26_119:                             ;   in Loop: Header=BB26_109 Depth=2
	s_or_b32 exec_lo, exec_lo, s46
	s_and_saveexec_b32 s46, s18
	s_cbranch_execz .LBB26_121
; %bb.120:                              ;   in Loop: Header=BB26_109 Depth=2
	global_load_u16 v6, v[0:1], off offset:320
.LBB26_121:                             ;   in Loop: Header=BB26_109 Depth=2
	s_or_b32 exec_lo, exec_lo, s46
	v_dual_mov_b32 v8, 0 :: v_dual_mov_b32 v9, 0
	s_and_saveexec_b32 s46, s19
	s_cbranch_execz .LBB26_123
; %bb.122:                              ;   in Loop: Header=BB26_109 Depth=2
	global_load_u16 v9, v[0:1], off offset:384
.LBB26_123:                             ;   in Loop: Header=BB26_109 Depth=2
	s_or_b32 exec_lo, exec_lo, s46
	s_and_saveexec_b32 s46, s20
	s_cbranch_execz .LBB26_125
; %bb.124:                              ;   in Loop: Header=BB26_109 Depth=2
	global_load_u16 v8, v[0:1], off offset:448
.LBB26_125:                             ;   in Loop: Header=BB26_109 Depth=2
	s_or_b32 exec_lo, exec_lo, s46
	v_dual_mov_b32 v10, 0 :: v_dual_mov_b32 v11, 0
	s_and_saveexec_b32 s46, s21
	s_cbranch_execz .LBB26_127
; %bb.126:                              ;   in Loop: Header=BB26_109 Depth=2
	global_load_u16 v11, v[0:1], off offset:512
.LBB26_127:                             ;   in Loop: Header=BB26_109 Depth=2
	s_or_b32 exec_lo, exec_lo, s46
	s_and_saveexec_b32 s46, s22
	s_cbranch_execz .LBB26_129
; %bb.128:                              ;   in Loop: Header=BB26_109 Depth=2
	global_load_u16 v10, v[0:1], off offset:576
.LBB26_129:                             ;   in Loop: Header=BB26_109 Depth=2
	s_or_b32 exec_lo, exec_lo, s46
	v_dual_mov_b32 v12, 0 :: v_dual_mov_b32 v13, 0
	s_and_saveexec_b32 s46, s23
	s_cbranch_execz .LBB26_131
; %bb.130:                              ;   in Loop: Header=BB26_109 Depth=2
	global_load_u16 v13, v[0:1], off offset:640
.LBB26_131:                             ;   in Loop: Header=BB26_109 Depth=2
	s_or_b32 exec_lo, exec_lo, s46
	s_and_saveexec_b32 s46, s24
	s_cbranch_execz .LBB26_133
; %bb.132:                              ;   in Loop: Header=BB26_109 Depth=2
	global_load_u16 v12, v[0:1], off offset:704
.LBB26_133:                             ;   in Loop: Header=BB26_109 Depth=2
	s_or_b32 exec_lo, exec_lo, s46
	v_dual_mov_b32 v14, 0 :: v_dual_mov_b32 v15, 0
	s_and_saveexec_b32 s46, s25
	s_cbranch_execz .LBB26_135
; %bb.134:                              ;   in Loop: Header=BB26_109 Depth=2
	global_load_u16 v15, v[0:1], off offset:768
.LBB26_135:                             ;   in Loop: Header=BB26_109 Depth=2
	s_or_b32 exec_lo, exec_lo, s46
	s_and_saveexec_b32 s46, s26
	s_cbranch_execz .LBB26_137
; %bb.136:                              ;   in Loop: Header=BB26_109 Depth=2
	global_load_u16 v14, v[0:1], off offset:832
.LBB26_137:                             ;   in Loop: Header=BB26_109 Depth=2
	s_or_b32 exec_lo, exec_lo, s46
	v_dual_mov_b32 v16, 0 :: v_dual_mov_b32 v17, 0
	s_and_saveexec_b32 s46, s27
	s_cbranch_execz .LBB26_139
; %bb.138:                              ;   in Loop: Header=BB26_109 Depth=2
	global_load_u16 v17, v[0:1], off offset:896
.LBB26_139:                             ;   in Loop: Header=BB26_109 Depth=2
	s_or_b32 exec_lo, exec_lo, s46
	s_and_saveexec_b32 s46, s28
	s_cbranch_execz .LBB26_141
; %bb.140:                              ;   in Loop: Header=BB26_109 Depth=2
	global_load_u16 v16, v[0:1], off offset:960
.LBB26_141:                             ;   in Loop: Header=BB26_109 Depth=2
	s_or_b32 exec_lo, exec_lo, s46
	s_waitcnt vmcnt(0)
	ds_store_b16 v37, v3
	ds_store_b16 v37, v2 offset:64
	ds_store_b16 v38, v5 offset:128
	;; [unrolled: 1-line block ×15, first 2 shown]
	; wave barrier
	ds_load_b128 v[12:15], v52
	ds_load_b128 v[8:11], v52 offset:16
	s_mov_b32 s59, s65
	v_dual_mov_b32 v2, 0 :: v_dual_mov_b32 v3, 0
	s_lshl_b64 s[46:47], s[58:59], 1
	s_delay_alu instid0(SALU_CYCLE_1)
	v_add_co_u32 v0, vcc_lo, v125, s46
	v_add_co_ci_u32_e32 v1, vcc_lo, s47, v126, vcc_lo
	s_and_saveexec_b32 s46, s13
	s_cbranch_execz .LBB26_143
; %bb.142:                              ;   in Loop: Header=BB26_109 Depth=2
	global_load_u16 v3, v[0:1], off
.LBB26_143:                             ;   in Loop: Header=BB26_109 Depth=2
	s_or_b32 exec_lo, exec_lo, s46
	s_and_saveexec_b32 s46, s14
	s_cbranch_execz .LBB26_145
; %bb.144:                              ;   in Loop: Header=BB26_109 Depth=2
	global_load_u16 v2, v[0:1], off offset:64
.LBB26_145:                             ;   in Loop: Header=BB26_109 Depth=2
	s_or_b32 exec_lo, exec_lo, s46
	v_dual_mov_b32 v4, 0 :: v_dual_mov_b32 v5, 0
	s_and_saveexec_b32 s46, s15
	s_cbranch_execz .LBB26_147
; %bb.146:                              ;   in Loop: Header=BB26_109 Depth=2
	global_load_u16 v5, v[0:1], off offset:128
.LBB26_147:                             ;   in Loop: Header=BB26_109 Depth=2
	s_or_b32 exec_lo, exec_lo, s46
	s_and_saveexec_b32 s46, s16
	s_cbranch_execz .LBB26_149
; %bb.148:                              ;   in Loop: Header=BB26_109 Depth=2
	global_load_u16 v4, v[0:1], off offset:192
.LBB26_149:                             ;   in Loop: Header=BB26_109 Depth=2
	s_or_b32 exec_lo, exec_lo, s46
	v_dual_mov_b32 v6, 0 :: v_dual_mov_b32 v7, 0
	s_and_saveexec_b32 s46, s17
	s_cbranch_execz .LBB26_151
; %bb.150:                              ;   in Loop: Header=BB26_109 Depth=2
	global_load_u16 v7, v[0:1], off offset:256
.LBB26_151:                             ;   in Loop: Header=BB26_109 Depth=2
	;; [unrolled: 13-line block ×7, first 2 shown]
	s_or_b32 exec_lo, exec_lo, s46
	s_and_saveexec_b32 s46, s28
	s_cbranch_execz .LBB26_173
; %bb.172:                              ;   in Loop: Header=BB26_109 Depth=2
	global_load_u16 v149, v[0:1], off offset:960
.LBB26_173:                             ;   in Loop: Header=BB26_109 Depth=2
	s_or_b32 exec_lo, exec_lo, s46
	s_waitcnt vmcnt(0)
	ds_store_b16 v37, v3 offset:4224
	ds_store_b16 v53, v2 offset:64
	;; [unrolled: 1-line block ×16, first 2 shown]
	; wave barrier
	ds_load_b128 v[4:7], v52 offset:4224
	ds_load_b128 v[0:3], v68 offset:16
	s_and_not1_b32 vcc_lo, exec_lo, s51
	s_cbranch_vccnz .LBB26_175
; %bb.174:                              ;   in Loop: Header=BB26_109 Depth=2
	v_mov_b32_e32 v16, s89
	ds_load_b64 v[16:17], v16
	s_cbranch_execz .LBB26_176
	s_branch .LBB26_179
.LBB26_175:                             ;   in Loop: Header=BB26_109 Depth=2
                                        ; implicit-def: $vgpr16
.LBB26_176:                             ;   in Loop: Header=BB26_109 Depth=2
	s_waitcnt lgkmcnt(0)
	v_mov_b32_e32 v17, 0
	s_and_not1_b32 vcc_lo, exec_lo, s66
	s_cbranch_vccnz .LBB26_178
; %bb.177:                              ;   in Loop: Header=BB26_109 Depth=2
	s_mov_b32 s61, s65
	s_delay_alu instid0(SALU_CYCLE_1) | instskip(NEXT) | instid1(SALU_CYCLE_1)
	s_lshl_b64 s[46:47], s[60:61], 1
	s_add_u32 s46, s76, s46
	s_addc_u32 s47, s77, s47
	global_load_u16 v16, v21, s[46:47]
	s_waitcnt vmcnt(0)
	v_lshlrev_b32_e32 v17, 16, v16
.LBB26_178:                             ;   in Loop: Header=BB26_109 Depth=2
	v_mov_b32_e32 v16, 1.0
.LBB26_179:                             ;   in Loop: Header=BB26_109 Depth=2
	s_waitcnt lgkmcnt(19)
	v_dual_mul_f32 v164, 0x3fb8aa3b, v142 :: v_dual_lshlrev_b32 v143, 16, v12
	v_and_b32_e32 v12, 0xffff0000, v12
	v_lshlrev_b32_e32 v142, 16, v13
	v_and_b32_e32 v146, 0xffff0000, v13
	v_lshlrev_b32_e32 v149, 16, v14
	v_mul_f32_e32 v13, v164, v90
	v_dual_mul_f32 v14, v164, v91 :: v_dual_and_b32 v151, 0xffff0000, v14
	v_dual_mul_f32 v145, v164, v93 :: v_dual_lshlrev_b32 v152, 16, v15
	s_delay_alu instid0(VALU_DEP_3) | instskip(SKIP_1) | instid1(VALU_DEP_4)
	v_cmp_gt_f32_e32 vcc_lo, 0xc2fc0000, v13
	v_dual_mul_f32 v12, v140, v12 :: v_dual_and_b32 v155, 0xffff0000, v15
	v_cmp_gt_f32_e64 s46, 0xc2fc0000, v14
	v_mul_f32_e32 v15, v164, v92
	v_cndmask_b32_e64 v13, 0, 0x42800000, vcc_lo
	v_cndmask_b32_e64 v144, 1.0, 0x1f800000, vcc_lo
	s_waitcnt lgkmcnt(18)
	v_lshlrev_b32_e32 v161, 16, v10
	v_cndmask_b32_e64 v14, 0, 0x42800000, s46
	v_mul_f32_e32 v143, v141, v143
	v_fmac_f32_e32 v13, v164, v90
	v_dual_mul_f32 v142, v139, v142 :: v_dual_lshlrev_b32 v157, 16, v8
	v_and_b32_e32 v8, 0xffff0000, v8
	v_fmac_f32_e32 v14, v164, v91
	s_delay_alu instid0(VALU_DEP_4) | instskip(SKIP_2) | instid1(VALU_DEP_3)
	v_exp_f32_e32 v13, v13
	v_cmp_gt_f32_e32 vcc_lo, 0xc2fc0000, v15
	v_dual_mul_f32 v151, v136, v151 :: v_dual_and_b32 v10, 0xffff0000, v10
	v_exp_f32_e32 v14, v14
	v_dual_mul_f32 v157, v133, v157 :: v_dual_mul_f32 v8, v132, v8
	v_cndmask_b32_e64 v15, 0, 0x42800000, vcc_lo
	v_lshlrev_b32_e32 v166, 16, v11
	v_and_b32_e32 v11, 0xffff0000, v11
	s_delay_alu instid0(TRANS32_DEP_2)
	v_mul_f32_e32 v13, v13, v144
	v_cndmask_b32_e64 v144, 0, v143, s29
	v_cndmask_b32_e64 v143, 1.0, 0x1f800000, s46
	v_cmp_gt_f32_e64 s46, 0xc2fc0000, v145
	v_fmac_f32_e32 v15, v164, v92
	v_cndmask_b32_e64 v145, 1.0, v13, s29
	v_cndmask_b32_e64 v12, 0, v12, s30
	v_mul_f32_e32 v13, v14, v143
	v_cndmask_b32_e64 v147, 0, 0x42800000, s46
	v_exp_f32_e32 v14, v15
	v_cndmask_b32_e64 v143, 1.0, 0x1f800000, vcc_lo
	v_lshlrev_b32_e32 v159, 16, v9
	v_mul_f32_e32 v15, v164, v94
	v_fmac_f32_e32 v147, v164, v93
	v_and_b32_e32 v9, 0xffff0000, v9
	v_mul_f32_e32 v167, v164, v103
	v_mul_f32_e32 v169, v164, v121
	v_cmp_gt_f32_e32 vcc_lo, 0xc2fc0000, v15
	v_exp_f32_e32 v150, v147
	v_mul_f32_e32 v14, v14, v143
	v_cndmask_b32_e64 v143, 1.0, 0x1f800000, s46
	v_mul_f32_e32 v153, v164, v97
	v_cndmask_b32_e64 v15, 0, 0x42800000, vcc_lo
	v_mul_f32_e32 v156, v164, v98
	v_cndmask_b32_e64 v148, 1.0, v14, s31
	v_mul_f32_e32 v14, v138, v146
	v_mul_f32_e32 v146, v164, v96
	v_fmac_f32_e32 v15, v164, v94
	v_mul_f32_e32 v143, v150, v143
	v_cmp_gt_f32_e64 s47, 0xc2fc0000, v153
	v_cndmask_b32_e64 v14, 0, v14, s33
	v_mul_f32_e32 v158, v164, v100
	v_exp_f32_e32 v15, v15
	v_cndmask_b32_e64 v150, 1.0, v143, s33
	v_cndmask_b32_e64 v143, 1.0, 0x1f800000, vcc_lo
	v_cmp_gt_f32_e32 vcc_lo, 0xc2fc0000, v146
	v_mul_f32_e32 v166, v127, v166
	v_dual_mul_f32 v10, v128, v10 :: v_dual_mul_f32 v11, v122, v11
	v_cndmask_b32_e64 v146, 0, 0x42800000, vcc_lo
	s_delay_alu instid0(TRANS32_DEP_1) | instskip(SKIP_2) | instid1(VALU_DEP_4)
	v_mul_f32_e32 v143, v15, v143
	v_mul_f32_e32 v15, v137, v149
	v_cndmask_b32_e64 v149, 0, 0x42800000, s47
	v_fmac_f32_e32 v146, v164, v96
	v_cndmask_b32_e64 v147, 1.0, v13, s30
	v_cndmask_b32_e64 v13, 0, v142, s31
	v_mul_f32_e32 v142, v164, v95
	v_cndmask_b32_e64 v153, 1.0, v143, s34
	v_exp_f32_e32 v146, v146
	v_fma_f32 v165, v147, v144, v12
	v_cndmask_b32_e64 v15, 0, v15, s34
	v_cmp_gt_f32_e64 s46, 0xc2fc0000, v142
	s_delay_alu instid0(VALU_DEP_1) | instskip(SKIP_1) | instid1(VALU_DEP_2)
	v_cndmask_b32_e64 v142, 0, 0x42800000, s46
	v_cndmask_b32_e64 v154, 1.0, 0x1f800000, s46
	v_fmac_f32_e32 v142, v164, v95
	s_delay_alu instid0(VALU_DEP_1)
	v_exp_f32_e32 v142, v142
	s_waitcnt_depctr 0xfff
	v_mul_f32_e32 v143, v142, v154
	v_cndmask_b32_e64 v142, 0, v151, s35
	v_cndmask_b32_e64 v151, 1.0, 0x1f800000, vcc_lo
	v_cmp_gt_f32_e32 vcc_lo, 0xc2fc0000, v156
	v_mul_f32_e32 v156, v134, v155
	v_cndmask_b32_e64 v154, 1.0, v143, s35
	s_delay_alu instid0(VALU_DEP_4)
	v_dual_mul_f32 v143, v135, v152 :: v_dual_mul_f32 v146, v146, v151
	v_cndmask_b32_e64 v151, 1.0, 0x1f800000, s47
	v_cmp_gt_f32_e64 s47, 0xc2fc0000, v158
	v_mul_f32_e32 v158, v164, v101
	v_cndmask_b32_e64 v152, 0, 0x42800000, vcc_lo
	v_cndmask_b32_e64 v160, 1.0, 0x1f800000, vcc_lo
	v_cndmask_b32_e64 v155, 1.0, v146, s36
	v_cndmask_b32_e64 v146, 0, v156, s37
	v_cmp_gt_f32_e32 vcc_lo, 0xc2fc0000, v158
	v_fmac_f32_e32 v152, v164, v98
	v_cndmask_b32_e64 v143, 0, v143, s36
	v_cndmask_b32_e64 v162, 0, 0x42800000, vcc_lo
	v_cndmask_b32_e64 v163, 1.0, 0x1f800000, vcc_lo
	s_delay_alu instid0(VALU_DEP_2) | instskip(NEXT) | instid1(VALU_DEP_1)
	v_fmac_f32_e32 v162, v164, v101
	v_exp_f32_e32 v162, v162
	v_fmac_f32_e32 v149, v164, v97
	s_delay_alu instid0(VALU_DEP_1) | instskip(SKIP_3) | instid1(VALU_DEP_2)
	v_exp_f32_e32 v149, v149
	s_waitcnt_depctr 0xfff
	v_mul_f32_e32 v149, v149, v151
	v_mul_f32_e32 v151, v164, v99
	v_cndmask_b32_e64 v156, 1.0, v149, s37
	s_delay_alu instid0(VALU_DEP_2) | instskip(SKIP_2) | instid1(VALU_DEP_2)
	v_cmp_gt_f32_e64 s46, 0xc2fc0000, v151
	v_exp_f32_e32 v149, v152
	v_cndmask_b32_e64 v152, 0, 0x42800000, s47
	v_cndmask_b32_e64 v151, 0, 0x42800000, s46
	s_delay_alu instid0(VALU_DEP_2)
	v_fmac_f32_e32 v152, v164, v100
	s_waitcnt_depctr 0xfff
	v_dual_fmac_f32 v151, v164, v99 :: v_dual_mul_f32 v158, v149, v160
	v_cndmask_b32_e64 v149, 0, v157, s38
	v_exp_f32_e32 v152, v152
	v_cndmask_b32_e64 v157, 1.0, 0x1f800000, s46
	s_delay_alu instid0(VALU_DEP_3) | instskip(SKIP_3) | instid1(VALU_DEP_2)
	v_exp_f32_e32 v151, v151
	v_cndmask_b32_e64 v160, 1.0, 0x1f800000, s47
	v_cmp_gt_f32_e64 s46, 0xc2fc0000, v167
	v_cndmask_b32_e64 v158, 1.0, v158, s38
	v_cndmask_b32_e64 v167, 1.0, 0x1f800000, s46
	s_waitcnt_depctr 0xfff
	v_dual_mul_f32 v160, v152, v160 :: v_dual_mul_f32 v157, v151, v157
	v_cndmask_b32_e64 v151, 0, v8, s39
	v_mul_f32_e32 v8, v131, v159
	s_delay_alu instid0(VALU_DEP_3) | instskip(NEXT) | instid1(VALU_DEP_4)
	v_cndmask_b32_e64 v160, 1.0, v160, s40
	v_cndmask_b32_e64 v159, 1.0, v157, s39
	v_mul_f32_e32 v157, v164, v102
	s_delay_alu instid0(VALU_DEP_4) | instskip(SKIP_1) | instid1(VALU_DEP_3)
	v_cndmask_b32_e64 v152, 0, v8, s40
	v_dual_mul_f32 v8, v162, v163 :: v_dual_mul_f32 v163, v147, v145
	v_cmp_gt_f32_e32 vcc_lo, 0xc2fc0000, v157
	s_delay_alu instid0(VALU_DEP_2) | instskip(SKIP_3) | instid1(VALU_DEP_3)
	v_cndmask_b32_e64 v168, 1.0, v8, s41
	v_cndmask_b32_e64 v162, 0, 0x42800000, vcc_lo
	v_mul_f32_e32 v9, v130, v9
	v_cndmask_b32_e64 v8, 1.0, 0x1f800000, vcc_lo
	v_fmac_f32_e32 v162, v164, v102
	s_delay_alu instid0(VALU_DEP_3)
	v_cndmask_b32_e64 v157, 0, v9, s41
	v_mul_f32_e32 v9, v163, v148
	v_fma_f32 v163, v165, v148, v13
	v_cndmask_b32_e64 v165, 0, 0x42800000, s46
	v_exp_f32_e32 v162, v162
	v_cmp_gt_f32_e64 s46, 0xc2fc0000, v169
	v_mul_f32_e32 v9, v9, v150
	v_fma_f32 v163, v163, v150, v14
	v_fmac_f32_e32 v165, v164, v103
	s_delay_alu instid0(VALU_DEP_3) | instskip(NEXT) | instid1(VALU_DEP_3)
	v_mul_f32_e32 v9, v9, v153
	v_fma_f32 v163, v163, v153, v15
	s_delay_alu instid0(VALU_DEP_3)
	v_exp_f32_e32 v165, v165
	s_delay_alu instid0(TRANS32_DEP_2) | instid1(VALU_DEP_2)
	v_dual_mul_f32 v8, v162, v8 :: v_dual_mul_f32 v9, v9, v154
	s_delay_alu instid0(VALU_DEP_2) | instskip(NEXT) | instid1(VALU_DEP_2)
	v_fma_f32 v162, v163, v154, v142
	v_cndmask_b32_e64 v163, 1.0, v8, s42
	s_delay_alu instid0(VALU_DEP_3) | instskip(NEXT) | instid1(VALU_DEP_3)
	v_mul_f32_e32 v8, v9, v155
	v_fma_f32 v9, v162, v155, v143
	v_mul_f32_e32 v162, v164, v104
	s_delay_alu instid0(VALU_DEP_3) | instskip(NEXT) | instid1(VALU_DEP_3)
	v_mul_f32_e32 v8, v8, v156
	v_fma_f32 v9, v9, v156, v146
	s_delay_alu instid0(VALU_DEP_3)
	v_cmp_gt_f32_e32 vcc_lo, 0xc2fc0000, v162
	v_mul_f32_e32 v161, v129, v161
	v_cndmask_b32_e64 v162, 0, v10, s43
	v_mul_f32_e32 v8, v8, v158
	v_fma_f32 v9, v9, v158, v149
	v_cndmask_b32_e64 v10, 0, 0x42800000, s46
	v_mul_f32_e32 v165, v165, v167
	v_cndmask_b32_e64 v167, 0, 0x42800000, vcc_lo
	v_mul_f32_e32 v8, v8, v159
	v_fma_f32 v9, v9, v159, v151
	v_fmac_f32_e32 v10, v164, v121
	v_cndmask_b32_e64 v161, 0, v161, s42
	v_fmac_f32_e32 v167, v164, v104
	v_mul_f32_e32 v8, v8, v160
	v_fma_f32 v9, v9, v160, v152
	v_cndmask_b32_e64 v164, 1.0, 0x1f800000, vcc_lo
	v_exp_f32_e32 v10, v10
	v_exp_f32_e32 v167, v167
	v_mul_f32_e32 v8, v8, v168
	v_fma_f32 v9, v9, v168, v157
	v_cndmask_b32_e64 v165, 1.0, v165, s43
	s_delay_alu instid0(VALU_DEP_3) | instskip(NEXT) | instid1(VALU_DEP_3)
	v_mul_f32_e32 v8, v8, v163
	v_fma_f32 v9, v9, v163, v161
	s_waitcnt_depctr 0xfff
	v_mul_f32_e32 v167, v167, v164
	v_cndmask_b32_e64 v164, 0, v166, s44
	v_cndmask_b32_e64 v166, 1.0, 0x1f800000, s46
	v_mul_f32_e32 v8, v8, v165
	v_fma_f32 v9, v9, v165, v162
	v_cndmask_b32_e64 v167, 1.0, v167, s44
	s_delay_alu instid0(VALU_DEP_4) | instskip(SKIP_1) | instid1(VALU_DEP_3)
	v_mul_f32_e32 v10, v10, v166
	v_cndmask_b32_e64 v166, 0, v11, s45
	v_mul_f32_e32 v8, v8, v167
	v_fma_f32 v9, v9, v167, v164
	s_delay_alu instid0(VALU_DEP_4) | instskip(NEXT) | instid1(VALU_DEP_1)
	v_cndmask_b32_e64 v169, 1.0, v10, s45
	v_mul_f32_e32 v8, v8, v169
	s_delay_alu instid0(VALU_DEP_3) | instskip(NEXT) | instid1(VALU_DEP_2)
	v_fma_f32 v9, v9, v169, v166
	v_mov_b32_dpp v11, v8 row_shr:1 row_mask:0xf bank_mask:0xf
	s_delay_alu instid0(VALU_DEP_2)
	v_mov_b32_dpp v10, v9 row_shr:1 row_mask:0xf bank_mask:0xf
	s_and_saveexec_b32 s46, s0
; %bb.180:                              ;   in Loop: Header=BB26_109 Depth=2
	s_delay_alu instid0(VALU_DEP_2) | instskip(NEXT) | instid1(VALU_DEP_1)
	v_mul_f32_e32 v11, v8, v11
	v_dual_fmac_f32 v9, v8, v10 :: v_dual_mov_b32 v8, v11
; %bb.181:                              ;   in Loop: Header=BB26_109 Depth=2
	s_or_b32 exec_lo, exec_lo, s46
	s_delay_alu instid0(VALU_DEP_1) | instskip(NEXT) | instid1(VALU_DEP_2)
	v_mov_b32_dpp v10, v8 row_shr:2 row_mask:0xf bank_mask:0xf
	v_mov_b32_dpp v11, v9 row_shr:2 row_mask:0xf bank_mask:0xf
	s_and_saveexec_b32 s46, s1
; %bb.182:                              ;   in Loop: Header=BB26_109 Depth=2
	s_delay_alu instid0(VALU_DEP_1) | instskip(NEXT) | instid1(VALU_DEP_3)
	v_fmac_f32_e32 v9, v8, v11
	v_mul_f32_e32 v8, v8, v10
; %bb.183:                              ;   in Loop: Header=BB26_109 Depth=2
	s_or_b32 exec_lo, exec_lo, s46
	s_delay_alu instid0(VALU_DEP_1) | instskip(NEXT) | instid1(VALU_DEP_3)
	v_mov_b32_dpp v10, v8 row_shr:4 row_mask:0xf bank_mask:0xf
	v_mov_b32_dpp v11, v9 row_shr:4 row_mask:0xf bank_mask:0xf
	s_and_saveexec_b32 s46, s2
; %bb.184:                              ;   in Loop: Header=BB26_109 Depth=2
	s_delay_alu instid0(VALU_DEP_1) | instskip(NEXT) | instid1(VALU_DEP_3)
	v_fmac_f32_e32 v9, v8, v11
	v_mul_f32_e32 v8, v8, v10
; %bb.185:                              ;   in Loop: Header=BB26_109 Depth=2
	s_or_b32 exec_lo, exec_lo, s46
	s_delay_alu instid0(VALU_DEP_1) | instskip(NEXT) | instid1(VALU_DEP_3)
	v_mov_b32_dpp v10, v8 row_shr:8 row_mask:0xf bank_mask:0xf
	v_mov_b32_dpp v11, v9 row_shr:8 row_mask:0xf bank_mask:0xf
	s_and_saveexec_b32 s46, s3
; %bb.186:                              ;   in Loop: Header=BB26_109 Depth=2
	s_delay_alu instid0(VALU_DEP_1) | instskip(NEXT) | instid1(VALU_DEP_3)
	v_fmac_f32_e32 v9, v8, v11
	v_mul_f32_e32 v8, v8, v10
; %bb.187:                              ;   in Loop: Header=BB26_109 Depth=2
	s_or_b32 exec_lo, exec_lo, s46
	ds_swizzle_b32 v11, v8 offset:swizzle(BROADCAST,32,15)
	ds_swizzle_b32 v10, v9 offset:swizzle(BROADCAST,32,15)
	s_and_saveexec_b32 s46, s4
	s_cbranch_execz .LBB26_189
; %bb.188:                              ;   in Loop: Header=BB26_109 Depth=2
	s_waitcnt lgkmcnt(1)
	v_mul_f32_e32 v11, v8, v11
	s_waitcnt lgkmcnt(0)
	s_delay_alu instid0(VALU_DEP_1)
	v_dual_fmac_f32 v9, v8, v10 :: v_dual_mov_b32 v8, v11
.LBB26_189:                             ;   in Loop: Header=BB26_109 Depth=2
	s_or_b32 exec_lo, exec_lo, s46
	s_and_saveexec_b32 s46, s5
	s_cbranch_execz .LBB26_191
; %bb.190:                              ;   in Loop: Header=BB26_109 Depth=2
	ds_store_b64 v69, v[8:9] offset:8448
.LBB26_191:                             ;   in Loop: Header=BB26_109 Depth=2
	s_or_b32 exec_lo, exec_lo, s46
	s_waitcnt lgkmcnt(0)
	s_waitcnt_vscnt null, 0x0
	s_barrier
	buffer_gl0_inv
	s_and_saveexec_b32 s46, s6
	s_cbranch_execz .LBB26_195
; %bb.192:                              ;   in Loop: Header=BB26_109 Depth=2
	ds_load_b64 v[10:11], v70 offset:8448
	s_waitcnt lgkmcnt(0)
	v_mov_b32_dpp v172, v10 row_shr:1 row_mask:0xf bank_mask:0xf
	v_mov_b32_dpp v171, v11 row_shr:1 row_mask:0xf bank_mask:0xf
	v_mov_b32_e32 v170, v10
	s_and_saveexec_b32 s47, s7
; %bb.193:                              ;   in Loop: Header=BB26_109 Depth=2
	s_delay_alu instid0(VALU_DEP_3) | instskip(NEXT) | instid1(VALU_DEP_3)
	v_mul_f32_e32 v170, v10, v172
	v_fmac_f32_e32 v11, v10, v171
	s_delay_alu instid0(VALU_DEP_2)
	v_mov_b32_e32 v10, v170
; %bb.194:                              ;   in Loop: Header=BB26_109 Depth=2
	s_or_b32 exec_lo, exec_lo, s47
	v_mov_b32_dpp v170, v170 row_shr:2 row_mask:0xf bank_mask:0xf
	s_delay_alu instid0(VALU_DEP_3) | instskip(NEXT) | instid1(VALU_DEP_2)
	v_mov_b32_dpp v171, v11 row_shr:2 row_mask:0xf bank_mask:0xf
	v_mul_f32_e32 v170, v10, v170
	s_delay_alu instid0(VALU_DEP_2) | instskip(NEXT) | instid1(VALU_DEP_2)
	v_fma_f32 v171, v10, v171, v11
	v_cndmask_b32_e64 v10, v10, v170, s8
	s_delay_alu instid0(VALU_DEP_2)
	v_cndmask_b32_e64 v11, v11, v171, s8
	ds_store_b64 v70, v[10:11] offset:8448
.LBB26_195:                             ;   in Loop: Header=BB26_109 Depth=2
	s_or_b32 exec_lo, exec_lo, s46
	s_waitcnt lgkmcnt(0)
	s_barrier
	buffer_gl0_inv
                                        ; implicit-def: $vgpr11
	s_and_saveexec_b32 s46, s10
	s_cbranch_execz .LBB26_197
; %bb.196:                              ;   in Loop: Header=BB26_109 Depth=2
	ds_load_b64 v[10:11], v69 offset:8440
	s_waitcnt lgkmcnt(0)
	v_mul_f32_e32 v170, v8, v10
	s_delay_alu instid0(VALU_DEP_1)
	v_dual_fmac_f32 v9, v8, v11 :: v_dual_mov_b32 v8, v170
.LBB26_197:                             ;   in Loop: Header=BB26_109 Depth=2
	s_or_b32 exec_lo, exec_lo, s46
	ds_bpermute_b32 v170, v71, v8
	ds_bpermute_b32 v171, v71, v9
	s_and_saveexec_b32 s46, s9
	s_cbranch_execz .LBB26_201
; %bb.198:                              ;   in Loop: Header=BB26_109 Depth=2
	ds_load_b64 v[8:9], v21 offset:8472
	s_and_saveexec_b32 s47, s11
	s_cbranch_execz .LBB26_200
; %bb.199:                              ;   in Loop: Header=BB26_109 Depth=2
	ds_store_b64 v21, v[16:17] offset:8472
.LBB26_200:                             ;   in Loop: Header=BB26_109 Depth=2
	s_or_b32 exec_lo, exec_lo, s47
	s_waitcnt lgkmcnt(0)
	v_fmac_f32_e32 v9, v8, v17
	s_delay_alu instid0(VALU_DEP_1)
	v_dual_mul_f32 v16, v16, v8 :: v_dual_mov_b32 v17, v9
.LBB26_201:                             ;   in Loop: Header=BB26_109 Depth=2
	s_or_b32 exec_lo, exec_lo, s46
	s_waitcnt lgkmcnt(0)
	s_barrier
	buffer_gl0_inv
	ds_load_b32 v8, v21 offset:8476
	s_and_saveexec_b32 s46, s11
	s_cbranch_execz .LBB26_108
; %bb.202:                              ;   in Loop: Header=BB26_109 Depth=2
	v_mov_b32_e32 v9, s89
	s_and_not1_b32 vcc_lo, exec_lo, s87
	ds_store_b64 v9, v[16:17]
	s_cbranch_vccnz .LBB26_108
; %bb.203:                              ;   in Loop: Header=BB26_109 Depth=2
	v_bfe_u32 v9, v17, 16, 1
	v_cmp_o_f32_e32 vcc_lo, v17, v17
	s_mov_b32 s61, s65
	s_delay_alu instid0(SALU_CYCLE_1) | instskip(NEXT) | instid1(VALU_DEP_2)
	s_lshl_b64 s[90:91], s[60:61], 1
	v_add3_u32 v9, v17, v9, 0x7fff
	s_add_u32 s90, s76, s90
	s_addc_u32 s91, s77, s91
	s_delay_alu instid0(VALU_DEP_1) | instskip(NEXT) | instid1(VALU_DEP_1)
	v_lshrrev_b32_e32 v9, 16, v9
	v_cndmask_b32_e32 v9, 0x7fc0, v9, vcc_lo
	global_store_b16 v21, v9, s[90:91]
	s_branch .LBB26_108
.LBB26_204:                             ;   in Loop: Header=BB26_12 Depth=1
	v_bfe_u32 v0, v120, 16, 1
	v_bfe_u32 v1, v119, 16, 1
	v_cmp_o_f32_e32 vcc_lo, v120, v120
	v_bfe_u32 v2, v118, 16, 1
	v_bfe_u32 v4, v114, 16, 1
	v_add3_u32 v0, v120, v0, 0x7fff
	v_add3_u32 v1, v119, v1, 0x7fff
	v_bfe_u32 v7, v116, 16, 1
	v_add3_u32 v2, v118, v2, 0x7fff
	v_bfe_u32 v6, v115, 16, 1
	v_lshrrev_b32_e32 v0, 16, v0
	v_lshrrev_b32_e32 v1, 16, v1
	v_add3_u32 v4, v114, v4, 0x7fff
	v_lshrrev_b32_e32 v2, 16, v2
	v_add3_u32 v7, v116, v7, 0x7fff
	v_cndmask_b32_e32 v0, 0x7fc0, v0, vcc_lo
	v_cmp_o_f32_e32 vcc_lo, v119, v119
	v_add3_u32 v6, v115, v6, 0x7fff
	v_bfe_u32 v3, v113, 16, 1
	v_bfe_u32 v10, v109, 16, 1
	;; [unrolled: 1-line block ×3, first 2 shown]
	v_cndmask_b32_e32 v5, 0x7fc0, v1, vcc_lo
	v_bfe_u32 v1, v117, 16, 1
	v_cmp_o_f32_e32 vcc_lo, v118, v118
	v_lshrrev_b32_e32 v6, 16, v6
	v_add3_u32 v3, v113, v3, 0x7fff
	v_bfe_u32 v12, v111, 16, 1
	v_add3_u32 v1, v117, v1, 0x7fff
	v_cndmask_b32_e32 v8, 0x7fc0, v2, vcc_lo
	v_cmp_o_f32_e32 vcc_lo, v117, v117
	v_lshrrev_b32_e32 v2, 16, v4
	v_lshrrev_b32_e32 v4, 16, v7
	;; [unrolled: 1-line block ×4, first 2 shown]
	v_bfe_u32 v7, v112, 16, 1
	v_add3_u32 v11, v106, v11, 0x7fff
	v_perm_b32 v0, v5, v0, 0x5040100
	v_cndmask_b32_e32 v1, 0x7fc0, v1, vcc_lo
	v_cmp_o_f32_e32 vcc_lo, v116, v116
	s_waitcnt_vscnt null, 0x0
	s_barrier
	buffer_gl0_inv
	s_mov_b32 s51, s65
	v_cndmask_b32_e32 v4, 0x7fc0, v4, vcc_lo
	v_cmp_o_f32_e32 vcc_lo, v115, v115
	s_lshl_b64 s[30:31], s[50:51], 1
	v_cndmask_b32_e32 v6, 0x7fc0, v6, vcc_lo
	v_cmp_o_f32_e32 vcc_lo, v114, v114
	v_cndmask_b32_e32 v2, 0x7fc0, v2, vcc_lo
	v_cmp_o_f32_e32 vcc_lo, v113, v113
	s_delay_alu instid0(VALU_DEP_2)
	v_perm_b32 v2, v2, v1, 0x5040100
	v_cndmask_b32_e32 v9, 0x7fc0, v3, vcc_lo
	v_perm_b32 v3, v6, v4, 0x5040100
	v_add3_u32 v6, v112, v7, 0x7fff
	v_bfe_u32 v7, v110, 16, 1
	v_cmp_o_f32_e32 vcc_lo, v112, v112
	v_perm_b32 v1, v9, v8, 0x5040100
	v_add3_u32 v8, v109, v10, 0x7fff
	v_lshrrev_b32_e32 v6, 16, v6
	v_add3_u32 v7, v110, v7, 0x7fff
	v_bfe_u32 v10, v105, 16, 1
	v_bfe_u32 v4, v108, 16, 1
	s_delay_alu instid0(VALU_DEP_4) | instskip(NEXT) | instid1(VALU_DEP_4)
	v_cndmask_b32_e32 v9, 0x7fc0, v6, vcc_lo
	v_lshrrev_b32_e32 v6, 16, v7
	v_lshrrev_b32_e32 v7, 16, v8
	v_bfe_u32 v8, v107, 16, 1
	v_cmp_o_f32_e32 vcc_lo, v110, v110
	v_add3_u32 v4, v108, v4, 0x7fff
	s_delay_alu instid0(VALU_DEP_3)
	v_add3_u32 v8, v107, v8, 0x7fff
	v_cndmask_b32_e32 v13, 0x7fc0, v6, vcc_lo
	v_cmp_o_f32_e32 vcc_lo, v109, v109
	v_add3_u32 v6, v105, v10, 0x7fff
	v_add3_u32 v10, v111, v12, 0x7fff
	v_lshrrev_b32_e32 v4, 16, v4
	v_cndmask_b32_e32 v12, 0x7fc0, v7, vcc_lo
	v_lshrrev_b32_e32 v7, 16, v8
	v_cmp_o_f32_e32 vcc_lo, v107, v107
	v_lshrrev_b32_e32 v8, 16, v11
	v_lshrrev_b32_e32 v10, 16, v10
	;; [unrolled: 1-line block ×3, first 2 shown]
	v_perm_b32 v5, v12, v13, 0x5040100
	v_cndmask_b32_e32 v11, 0x7fc0, v7, vcc_lo
	v_cmp_o_f32_e32 vcc_lo, v106, v106
	v_cndmask_b32_e32 v7, 0x7fc0, v8, vcc_lo
	v_cmp_o_f32_e32 vcc_lo, v111, v111
	;; [unrolled: 2-line block ×3, first 2 shown]
	s_delay_alu instid0(VALU_DEP_2) | instskip(SKIP_2) | instid1(VALU_DEP_2)
	v_perm_b32 v7, v8, v7, 0x5040100
	v_cndmask_b32_e32 v6, 0x7fc0, v6, vcc_lo
	v_cmp_o_f32_e32 vcc_lo, v108, v108
	v_perm_b32 v6, v6, v11, 0x5040100
	v_cndmask_b32_e32 v4, 0x7fc0, v4, vcc_lo
	s_delay_alu instid0(VALU_DEP_1)
	v_perm_b32 v4, v4, v9, 0x5040100
	ds_store_b128 v52, v[0:3]
	ds_store_b128 v52, v[4:7] offset:16
	; wave barrier
	ds_load_u16 v16, v37 offset:64
	ds_load_u16 v15, v38 offset:128
	;; [unrolled: 1-line block ×15, first 2 shown]
	v_add_co_u32 v0, vcc_lo, v72, s30
	v_add_co_ci_u32_e32 v1, vcc_lo, s31, v73, vcc_lo
	s_and_saveexec_b32 s29, s13
	s_cbranch_execnz .LBB26_222
; %bb.205:                              ;   in Loop: Header=BB26_12 Depth=1
	s_or_b32 exec_lo, exec_lo, s29
	s_and_saveexec_b32 s13, s14
	s_cbranch_execnz .LBB26_223
.LBB26_206:                             ;   in Loop: Header=BB26_12 Depth=1
	s_or_b32 exec_lo, exec_lo, s13
	s_and_saveexec_b32 s13, s15
	s_cbranch_execnz .LBB26_224
.LBB26_207:                             ;   in Loop: Header=BB26_12 Depth=1
	s_or_b32 exec_lo, exec_lo, s13
	s_and_saveexec_b32 s13, s16
	s_cbranch_execnz .LBB26_225
.LBB26_208:                             ;   in Loop: Header=BB26_12 Depth=1
	s_or_b32 exec_lo, exec_lo, s13
	s_and_saveexec_b32 s13, s17
	s_cbranch_execnz .LBB26_226
.LBB26_209:                             ;   in Loop: Header=BB26_12 Depth=1
	s_or_b32 exec_lo, exec_lo, s13
	s_and_saveexec_b32 s13, s18
	s_cbranch_execnz .LBB26_227
.LBB26_210:                             ;   in Loop: Header=BB26_12 Depth=1
	s_or_b32 exec_lo, exec_lo, s13
	s_and_saveexec_b32 s13, s19
	s_cbranch_execnz .LBB26_228
.LBB26_211:                             ;   in Loop: Header=BB26_12 Depth=1
	s_or_b32 exec_lo, exec_lo, s13
	s_and_saveexec_b32 s13, s20
	s_cbranch_execnz .LBB26_229
.LBB26_212:                             ;   in Loop: Header=BB26_12 Depth=1
	s_or_b32 exec_lo, exec_lo, s13
	s_and_saveexec_b32 s13, s21
	s_cbranch_execnz .LBB26_230
.LBB26_213:                             ;   in Loop: Header=BB26_12 Depth=1
	s_or_b32 exec_lo, exec_lo, s13
	s_and_saveexec_b32 s13, s22
	s_cbranch_execnz .LBB26_231
.LBB26_214:                             ;   in Loop: Header=BB26_12 Depth=1
	s_or_b32 exec_lo, exec_lo, s13
	s_and_saveexec_b32 s13, s23
	s_cbranch_execnz .LBB26_232
.LBB26_215:                             ;   in Loop: Header=BB26_12 Depth=1
	s_or_b32 exec_lo, exec_lo, s13
	s_and_saveexec_b32 s13, s24
	s_cbranch_execnz .LBB26_233
.LBB26_216:                             ;   in Loop: Header=BB26_12 Depth=1
	s_or_b32 exec_lo, exec_lo, s13
	s_and_saveexec_b32 s13, s25
	s_cbranch_execnz .LBB26_234
.LBB26_217:                             ;   in Loop: Header=BB26_12 Depth=1
	s_or_b32 exec_lo, exec_lo, s13
	s_and_saveexec_b32 s13, s26
	s_cbranch_execnz .LBB26_235
.LBB26_218:                             ;   in Loop: Header=BB26_12 Depth=1
	s_or_b32 exec_lo, exec_lo, s13
	s_and_saveexec_b32 s13, s27
	s_cbranch_execnz .LBB26_236
.LBB26_219:                             ;   in Loop: Header=BB26_12 Depth=1
	s_or_b32 exec_lo, exec_lo, s13
	s_and_saveexec_b32 s13, s28
	s_cbranch_execz .LBB26_11
	s_branch .LBB26_237
.LBB26_220:                             ;   in Loop: Header=BB26_12 Depth=1
	global_load_u16 v97, v[8:9], off offset:832
	s_or_b32 exec_lo, exec_lo, s29
	s_and_saveexec_b32 s29, s27
	s_cbranch_execz .LBB26_72
.LBB26_221:                             ;   in Loop: Header=BB26_12 Depth=1
	global_load_u16 v96, v[8:9], off offset:896
	s_or_b32 exec_lo, exec_lo, s29
	v_mov_b32_e32 v98, 0
	s_and_saveexec_b32 s29, s28
	s_cbranch_execnz .LBB26_73
	s_branch .LBB26_74
.LBB26_222:                             ;   in Loop: Header=BB26_12 Depth=1
	ds_load_u16 v17, v37
	s_waitcnt lgkmcnt(0)
	global_store_b16 v[0:1], v17, off
	s_or_b32 exec_lo, exec_lo, s29
	s_and_saveexec_b32 s13, s14
	s_cbranch_execz .LBB26_206
.LBB26_223:                             ;   in Loop: Header=BB26_12 Depth=1
	s_waitcnt lgkmcnt(14)
	global_store_b16 v[0:1], v16, off offset:64
	s_or_b32 exec_lo, exec_lo, s13
	s_and_saveexec_b32 s13, s15
	s_cbranch_execz .LBB26_207
.LBB26_224:                             ;   in Loop: Header=BB26_12 Depth=1
	s_waitcnt lgkmcnt(13)
	global_store_b16 v[0:1], v15, off offset:128
	s_or_b32 exec_lo, exec_lo, s13
	s_and_saveexec_b32 s13, s16
	s_cbranch_execz .LBB26_208
.LBB26_225:                             ;   in Loop: Header=BB26_12 Depth=1
	s_waitcnt lgkmcnt(12)
	global_store_b16 v[0:1], v14, off offset:192
	s_or_b32 exec_lo, exec_lo, s13
	s_and_saveexec_b32 s13, s17
	s_cbranch_execz .LBB26_209
.LBB26_226:                             ;   in Loop: Header=BB26_12 Depth=1
	s_waitcnt lgkmcnt(11)
	global_store_b16 v[0:1], v13, off offset:256
	s_or_b32 exec_lo, exec_lo, s13
	s_and_saveexec_b32 s13, s18
	s_cbranch_execz .LBB26_210
.LBB26_227:                             ;   in Loop: Header=BB26_12 Depth=1
	s_waitcnt lgkmcnt(10)
	global_store_b16 v[0:1], v12, off offset:320
	s_or_b32 exec_lo, exec_lo, s13
	s_and_saveexec_b32 s13, s19
	s_cbranch_execz .LBB26_211
.LBB26_228:                             ;   in Loop: Header=BB26_12 Depth=1
	s_waitcnt lgkmcnt(9)
	global_store_b16 v[0:1], v11, off offset:384
	s_or_b32 exec_lo, exec_lo, s13
	s_and_saveexec_b32 s13, s20
	s_cbranch_execz .LBB26_212
.LBB26_229:                             ;   in Loop: Header=BB26_12 Depth=1
	s_waitcnt lgkmcnt(8)
	global_store_b16 v[0:1], v10, off offset:448
	s_or_b32 exec_lo, exec_lo, s13
	s_and_saveexec_b32 s13, s21
	s_cbranch_execz .LBB26_213
.LBB26_230:                             ;   in Loop: Header=BB26_12 Depth=1
	s_waitcnt lgkmcnt(7)
	global_store_b16 v[0:1], v9, off offset:512
	s_or_b32 exec_lo, exec_lo, s13
	s_and_saveexec_b32 s13, s22
	s_cbranch_execz .LBB26_214
.LBB26_231:                             ;   in Loop: Header=BB26_12 Depth=1
	s_waitcnt lgkmcnt(6)
	global_store_b16 v[0:1], v8, off offset:576
	s_or_b32 exec_lo, exec_lo, s13
	s_and_saveexec_b32 s13, s23
	s_cbranch_execz .LBB26_215
.LBB26_232:                             ;   in Loop: Header=BB26_12 Depth=1
	s_waitcnt lgkmcnt(5)
	global_store_b16 v[0:1], v7, off offset:640
	s_or_b32 exec_lo, exec_lo, s13
	s_and_saveexec_b32 s13, s24
	s_cbranch_execz .LBB26_216
.LBB26_233:                             ;   in Loop: Header=BB26_12 Depth=1
	s_waitcnt lgkmcnt(4)
	global_store_b16 v[0:1], v6, off offset:704
	s_or_b32 exec_lo, exec_lo, s13
	s_and_saveexec_b32 s13, s25
	s_cbranch_execz .LBB26_217
.LBB26_234:                             ;   in Loop: Header=BB26_12 Depth=1
	s_waitcnt lgkmcnt(3)
	global_store_b16 v[0:1], v5, off offset:768
	s_or_b32 exec_lo, exec_lo, s13
	s_and_saveexec_b32 s13, s26
	s_cbranch_execz .LBB26_218
.LBB26_235:                             ;   in Loop: Header=BB26_12 Depth=1
	s_waitcnt lgkmcnt(2)
	global_store_b16 v[0:1], v4, off offset:832
	s_or_b32 exec_lo, exec_lo, s13
	s_and_saveexec_b32 s13, s27
	s_cbranch_execz .LBB26_219
.LBB26_236:                             ;   in Loop: Header=BB26_12 Depth=1
	s_waitcnt lgkmcnt(1)
	global_store_b16 v[0:1], v3, off offset:896
	s_or_b32 exec_lo, exec_lo, s13
	s_and_saveexec_b32 s13, s28
	s_cbranch_execz .LBB26_11
.LBB26_237:                             ;   in Loop: Header=BB26_12 Depth=1
	s_waitcnt lgkmcnt(0)
	global_store_b16 v[0:1], v2, off offset:960
	s_branch .LBB26_11
.LBB26_238:
	s_nop 0
	s_sendmsg sendmsg(MSG_DEALLOC_VGPRS)
	s_endpgm
	.section	.rodata,"a",@progbits
	.p2align	6, 0x0
	.amdhsa_kernel _Z25selective_scan_fwd_kernelI32Selective_Scan_fwd_kernel_traitsILi128ELi16ELi1ELb1ELb1ELb1ELb0ELb1EN3c108BFloat16EfS2_EEv13SSMParamsBase
		.amdhsa_group_segment_fixed_size 0
		.amdhsa_private_segment_fixed_size 0
		.amdhsa_kernarg_size 248
		.amdhsa_user_sgpr_count 14
		.amdhsa_user_sgpr_dispatch_ptr 0
		.amdhsa_user_sgpr_queue_ptr 0
		.amdhsa_user_sgpr_kernarg_segment_ptr 1
		.amdhsa_user_sgpr_dispatch_id 0
		.amdhsa_user_sgpr_private_segment_size 0
		.amdhsa_wavefront_size32 1
		.amdhsa_uses_dynamic_stack 0
		.amdhsa_enable_private_segment 0
		.amdhsa_system_sgpr_workgroup_id_x 1
		.amdhsa_system_sgpr_workgroup_id_y 1
		.amdhsa_system_sgpr_workgroup_id_z 0
		.amdhsa_system_sgpr_workgroup_info 0
		.amdhsa_system_vgpr_workitem_id 0
		.amdhsa_next_free_vgpr 173
		.amdhsa_next_free_sgpr 92
		.amdhsa_reserve_vcc 1
		.amdhsa_float_round_mode_32 0
		.amdhsa_float_round_mode_16_64 0
		.amdhsa_float_denorm_mode_32 3
		.amdhsa_float_denorm_mode_16_64 3
		.amdhsa_dx10_clamp 1
		.amdhsa_ieee_mode 1
		.amdhsa_fp16_overflow 0
		.amdhsa_workgroup_processor_mode 1
		.amdhsa_memory_ordered 1
		.amdhsa_forward_progress 0
		.amdhsa_shared_vgpr_count 0
		.amdhsa_exception_fp_ieee_invalid_op 0
		.amdhsa_exception_fp_denorm_src 0
		.amdhsa_exception_fp_ieee_div_zero 0
		.amdhsa_exception_fp_ieee_overflow 0
		.amdhsa_exception_fp_ieee_underflow 0
		.amdhsa_exception_fp_ieee_inexact 0
		.amdhsa_exception_int_div_zero 0
	.end_amdhsa_kernel
	.section	.text._Z25selective_scan_fwd_kernelI32Selective_Scan_fwd_kernel_traitsILi128ELi16ELi1ELb1ELb1ELb1ELb0ELb1EN3c108BFloat16EfS2_EEv13SSMParamsBase,"axG",@progbits,_Z25selective_scan_fwd_kernelI32Selective_Scan_fwd_kernel_traitsILi128ELi16ELi1ELb1ELb1ELb1ELb0ELb1EN3c108BFloat16EfS2_EEv13SSMParamsBase,comdat
.Lfunc_end26:
	.size	_Z25selective_scan_fwd_kernelI32Selective_Scan_fwd_kernel_traitsILi128ELi16ELi1ELb1ELb1ELb1ELb0ELb1EN3c108BFloat16EfS2_EEv13SSMParamsBase, .Lfunc_end26-_Z25selective_scan_fwd_kernelI32Selective_Scan_fwd_kernel_traitsILi128ELi16ELi1ELb1ELb1ELb1ELb0ELb1EN3c108BFloat16EfS2_EEv13SSMParamsBase
                                        ; -- End function
	.section	.AMDGPU.csdata,"",@progbits
; Kernel info:
; codeLenInByte = 21556
; NumSgprs: 94
; NumVgprs: 173
; ScratchSize: 0
; MemoryBound: 0
; FloatMode: 240
; IeeeMode: 1
; LDSByteSize: 0 bytes/workgroup (compile time only)
; SGPRBlocks: 11
; VGPRBlocks: 21
; NumSGPRsForWavesPerEU: 94
; NumVGPRsForWavesPerEU: 173
; Occupancy: 8
; WaveLimiterHint : 1
; COMPUTE_PGM_RSRC2:SCRATCH_EN: 0
; COMPUTE_PGM_RSRC2:USER_SGPR: 14
; COMPUTE_PGM_RSRC2:TRAP_HANDLER: 0
; COMPUTE_PGM_RSRC2:TGID_X_EN: 1
; COMPUTE_PGM_RSRC2:TGID_Y_EN: 1
; COMPUTE_PGM_RSRC2:TGID_Z_EN: 0
; COMPUTE_PGM_RSRC2:TIDIG_COMP_CNT: 0
	.section	.text._Z25selective_scan_fwd_kernelI32Selective_Scan_fwd_kernel_traitsILi128ELi16ELi1ELb1ELb1ELb1ELb0ELb0EN3c108BFloat16EfS2_EEv13SSMParamsBase,"axG",@progbits,_Z25selective_scan_fwd_kernelI32Selective_Scan_fwd_kernel_traitsILi128ELi16ELi1ELb1ELb1ELb1ELb0ELb0EN3c108BFloat16EfS2_EEv13SSMParamsBase,comdat
	.protected	_Z25selective_scan_fwd_kernelI32Selective_Scan_fwd_kernel_traitsILi128ELi16ELi1ELb1ELb1ELb1ELb0ELb0EN3c108BFloat16EfS2_EEv13SSMParamsBase ; -- Begin function _Z25selective_scan_fwd_kernelI32Selective_Scan_fwd_kernel_traitsILi128ELi16ELi1ELb1ELb1ELb1ELb0ELb0EN3c108BFloat16EfS2_EEv13SSMParamsBase
	.globl	_Z25selective_scan_fwd_kernelI32Selective_Scan_fwd_kernel_traitsILi128ELi16ELi1ELb1ELb1ELb1ELb0ELb0EN3c108BFloat16EfS2_EEv13SSMParamsBase
	.p2align	8
	.type	_Z25selective_scan_fwd_kernelI32Selective_Scan_fwd_kernel_traitsILi128ELi16ELi1ELb1ELb1ELb1ELb0ELb0EN3c108BFloat16EfS2_EEv13SSMParamsBase,@function
_Z25selective_scan_fwd_kernelI32Selective_Scan_fwd_kernel_traitsILi128ELi16ELi1ELb1ELb1ELb1ELb0ELb0EN3c108BFloat16EfS2_EEv13SSMParamsBase: ; @_Z25selective_scan_fwd_kernelI32Selective_Scan_fwd_kernel_traitsILi128ELi16ELi1ELb1ELb1ELb1ELb0ELb0EN3c108BFloat16EfS2_EEv13SSMParamsBase
; %bb.0:
	s_clause 0x1
	s_load_b32 s9, s[0:1], 0x18
	s_load_b128 s[4:7], s[0:1], 0xe8
	s_mov_b32 s54, s15
	s_mov_b32 s56, 0
	s_waitcnt lgkmcnt(0)
	s_abs_i32 s8, s9
	s_cmp_eq_u64 s[6:7], 0
	v_cvt_f32_u32_e32 v1, s8
	s_delay_alu instid0(VALU_DEP_1) | instskip(SKIP_2) | instid1(VALU_DEP_1)
	v_rcp_iflag_f32_e32 v1, v1
	s_waitcnt_depctr 0xfff
	v_mul_f32_e32 v1, 0x4f7ffffe, v1
	v_cvt_u32_f32_e32 v1, v1
	s_delay_alu instid0(VALU_DEP_1)
	v_readfirstlane_b32 s10, v1
	s_cbranch_scc1 .LBB27_2
; %bb.1:
	v_mov_b32_e32 v1, 0
	s_ashr_i32 s3, s14, 31
	s_add_u32 s2, s6, s14
	s_addc_u32 s3, s7, s3
	global_load_u8 v1, v1, s[2:3]
	s_waitcnt vmcnt(0)
	v_and_b32_e32 v1, 1, v1
	s_delay_alu instid0(VALU_DEP_1)
	v_cmp_eq_u32_e64 s56, 1, v1
.LBB27_2:
	s_load_b64 s[6:7], s[0:1], 0x20
	s_cmp_eq_u64 s[4:5], 0
	s_cbranch_scc1 .LBB27_4
; %bb.3:
	s_ashr_i32 s15, s14, 31
	s_delay_alu instid0(SALU_CYCLE_1) | instskip(NEXT) | instid1(SALU_CYCLE_1)
	s_lshl_b64 s[2:3], s[14:15], 2
	s_add_u32 s2, s4, s2
	s_addc_u32 s3, s5, s3
	s_load_b32 s2, s[2:3], 0x0
	s_waitcnt lgkmcnt(0)
	s_ashr_i32 s3, s2, 31
	s_delay_alu instid0(SALU_CYCLE_1)
	s_cmp_eq_u64 s[6:7], s[2:3]
	s_cbranch_scc0 .LBB27_5
	s_branch .LBB27_86
.LBB27_4:
	s_mov_b32 s2, s14
	s_delay_alu instid0(SALU_CYCLE_1)
	s_ashr_i32 s3, s2, 31
	s_waitcnt lgkmcnt(0)
	s_cmp_eq_u64 s[6:7], s[2:3]
	s_cbranch_scc1 .LBB27_86
.LBB27_5:
	s_clause 0x1
	s_load_b512 s[16:31], s[0:1], 0x88
	s_load_b64 s[34:35], s[0:1], 0x8
	s_mov_b32 s57, 0
	s_mov_b32 s58, 0
	s_waitcnt lgkmcnt(0)
	s_cmp_eq_u64 s[22:23], 0
	s_cbranch_scc1 .LBB27_7
; %bb.6:
	s_ashr_i32 s55, s54, 31
	s_delay_alu instid0(SALU_CYCLE_1) | instskip(NEXT) | instid1(SALU_CYCLE_1)
	s_lshl_b64 s[4:5], s[54:55], 2
	s_add_u32 s4, s22, s4
	s_addc_u32 s5, s23, s5
	s_load_b32 s58, s[4:5], 0x0
.LBB27_7:
	s_cmp_eq_u64 s[28:29], 0
	s_cbranch_scc1 .LBB27_9
; %bb.8:
	s_ashr_i32 s55, s54, 31
	s_delay_alu instid0(SALU_CYCLE_1) | instskip(NEXT) | instid1(SALU_CYCLE_1)
	s_lshl_b64 s[4:5], s[54:55], 2
	s_add_u32 s4, s28, s4
	s_addc_u32 s5, s29, s5
	s_load_b32 s57, s[4:5], 0x0
.LBB27_9:
	s_cmp_lt_i32 s34, 1
	s_cbranch_scc1 .LBB27_86
; %bb.10:
	s_sub_i32 s3, 0, s8
	s_clause 0x1
	s_load_b64 s[4:5], s[0:1], 0x5c
	s_load_b128 s[44:47], s[0:1], 0x4c
	s_mul_i32 s3, s3, s10
	s_abs_i32 s6, s54
	s_mul_hi_u32 s3, s10, s3
	s_ashr_i32 s9, s9, 31
	s_add_i32 s10, s10, s3
	s_ashr_i32 s3, s54, 31
	s_mul_hi_u32 s7, s6, s10
	s_xor_b32 s3, s3, s9
	s_mul_i32 s10, s7, s8
	s_add_i32 s9, s7, 1
	s_sub_i32 s6, s6, s10
	s_load_b256 s[36:43], s[0:1], 0x2c
	s_sub_i32 s10, s6, s8
	s_cmp_ge_u32 s6, s8
	s_mov_b32 s53, 0
	s_cselect_b32 s7, s9, s7
	s_cselect_b32 s6, s10, s6
	s_add_i32 s9, s7, 1
	s_cmp_ge_u32 s6, s8
	s_waitcnt lgkmcnt(0)
	s_mul_i32 s52, s46, s14
	s_cselect_b32 s6, s9, s7
	s_load_b128 s[48:51], s[0:1], 0x7c
	s_xor_b32 s8, s6, s3
	s_lshl_b64 s[6:7], s[52:53], 1
	s_sub_i32 s3, s8, s3
	s_mul_i32 s52, s47, s54
	s_add_u32 s8, s24, s6
	s_addc_u32 s9, s25, s7
	s_lshl_b64 s[6:7], s[52:53], 1
	s_mul_i32 s52, s4, s14
	s_add_u32 s55, s8, s6
	s_addc_u32 s59, s9, s7
	s_lshl_b64 s[6:7], s[52:53], 1
	;; [unrolled: 4-line block ×3, first 2 shown]
	s_mul_i32 s52, s36, s54
	s_add_u32 s60, s6, s4
	s_addc_u32 s36, s7, s5
	s_load_b64 s[6:7], s[0:1], 0xc8
	s_lshl_b64 s[4:5], s[52:53], 2
	s_mul_i32 s52, s38, s14
	s_add_u32 s61, s16, s4
	s_waitcnt lgkmcnt(0)
	s_addc_u32 s51, s17, s5
	s_load_b64 s[16:17], s[0:1], 0x6c
	s_lshl_b64 s[4:5], s[52:53], 1
	s_mul_i32 s52, s3, s41
	s_add_u32 s8, s18, s4
	s_addc_u32 s9, s19, s5
	s_lshl_b64 s[4:5], s[52:53], 1
	s_mul_i32 s52, s42, s14
	s_add_u32 s41, s8, s4
	s_addc_u32 s62, s9, s5
	s_lshl_b64 s[4:5], s[52:53], 1
	s_mul_i32 s52, s3, s45
	s_add_u32 s8, s20, s4
	s_addc_u32 s3, s21, s5
	s_lshl_b64 s[4:5], s[52:53], 1
	s_mul_i32 s52, s2, s48
	v_dual_mov_b32 v34, 0 :: v_dual_lshlrev_b32 v1, 1, v0
	s_add_u32 s45, s8, s4
	s_addc_u32 s63, s3, s5
	s_lshl_b64 s[2:3], s[52:53], 1
	v_mbcnt_lo_u32_b32 v2, -1, 0
	s_add_u32 s4, s6, s2
	s_load_b32 s6, s[0:1], 0x28
	v_and_b32_e32 v1, 0xc0, v1
	v_and_b32_e32 v4, 0x60, v0
	s_mul_i32 s52, s49, s54
	s_addc_u32 s5, s7, s3
	s_lshl_b64 s[2:3], s[52:53], 1
	v_or_b32_e32 v3, v2, v1
	s_add_u32 s64, s4, s2
	v_lshrrev_b32_e32 v5, 5, v1
	v_or_b32_e32 v7, v2, v4
	s_addc_u32 s65, s5, s3
	v_or_b32_e32 v6, 32, v3
	s_add_i32 s0, s34, 0x7ff
	v_add_nc_u32_e32 v5, v5, v3
	s_lshr_b32 s66, s0, 11
	v_cmp_gt_u32_e64 s0, 0x100, v3
	v_lshrrev_b32_e32 v8, 5, v6
	v_lshlrev_b32_e32 v9, 1, v7
	v_bfe_u32 v7, v7, 4, 27
	v_lshl_add_u32 v35, v5, 4, 0
	s_waitcnt lgkmcnt(0)
	s_bitcmp1_b32 s6, 0
	v_add_lshl_u32 v3, v8, v3, 4
	s_cselect_b32 s67, -1, 0
	s_cmp_gt_i32 s35, 0
	v_add_lshl_u32 v5, v7, v9, 4
	s_cselect_b32 s68, -1, 0
	s_add_i32 s2, 0, 0x1080
	v_add_nc_u32_e32 v36, 0, v3
	v_add_nc_u32_e32 v38, s2, v3
	v_and_b32_e32 v3, 15, v2
	s_and_b32 s3, s34, 0x7ff
	v_add_nc_u32_e32 v39, s2, v5
	s_cmp_eq_u32 s3, 0
	s_mul_i32 s52, s16, s14
	v_cmp_ne_u32_e64 s2, 0, v3
	v_cmp_lt_u32_e64 s3, 1, v3
	v_cmp_lt_u32_e64 s4, 3, v3
	v_cmp_lt_u32_e64 s5, 7, v3
	v_add_nc_u32_e32 v3, -1, v2
	s_cselect_b32 s69, -1, 0
	s_lshl_b64 s[14:15], s[52:53], 1
	s_add_i32 s70, s66, -1
	s_mul_i32 s52, s17, s54
	v_cmp_gt_i32_e32 vcc_lo, 0, v3
	v_add_nc_u32_e32 v37, 0, v5
	v_lshlrev_b32_e32 v40, 4, v0
	v_lshrrev_b32_e32 v5, 2, v0
	v_cmp_gt_u32_e64 s8, 4, v0
	v_cndmask_b32_e32 v3, v3, v2, vcc_lo
	v_or_b32_e32 v4, 31, v4
	v_lshl_add_u32 v42, v0, 3, 0
	v_cmp_gt_u32_e64 s11, 32, v0
	v_cmp_lt_u32_e64 s12, 31, v0
	v_cmp_eq_u32_e64 s13, 0, v0
	v_cmp_eq_u32_e64 s7, v4, v0
	s_add_u32 s16, s30, s14
	v_lshlrev_b32_e32 v0, 4, v2
	s_addc_u32 s17, s31, s15
	s_lshl_b64 s[14:15], s[52:53], 1
	v_and_b32_e32 v4, 3, v2
	s_add_u32 s14, s16, s14
	v_lshlrev_b32_e32 v43, 2, v3
	s_addc_u32 s15, s17, s15
	v_lshlrev_b32_e32 v3, 4, v1
	v_add_co_u32 v0, s14, s14, v0
	v_cmp_gt_u32_e64 s1, 0x100, v6
	v_and_b32_e32 v6, 16, v2
	v_and_b32_e32 v5, 24, v5
	v_cmp_ne_u32_e64 s9, 0, v4
	v_cmp_lt_u32_e64 s10, 1, v4
	v_add_co_ci_u32_e64 v4, null, s15, 0, s14
	v_add_co_u32 v44, vcc_lo, v0, v3
	v_cmp_ne_u32_e64 s6, 0, v6
	v_add_nc_u32_e32 v41, 0, v5
	v_cmp_eq_u32_e64 s14, 0, v2
	v_add_co_ci_u32_e32 v45, vcc_lo, 0, v4, vcc_lo
	v_or_b32_e32 v46, 1, v40
	v_or_b32_e32 v47, 2, v40
	;; [unrolled: 1-line block ×15, first 2 shown]
	v_lshlrev_b32_e32 v61, 4, v2
	v_lshlrev_b32_e32 v62, 4, v1
	s_mov_b32 s54, 0x3e9b6dac
	s_add_i32 s71, 0, 0x2120
	s_mov_b32 s72, 0
                                        ; implicit-def: $vgpr4
                                        ; implicit-def: $vgpr0
                                        ; implicit-def: $vgpr12
                                        ; implicit-def: $vgpr8
	s_branch .LBB27_12
.LBB27_11:                              ;   in Loop: Header=BB27_12 Depth=1
	v_bfe_u32 v16, v93, 16, 1
	v_bfe_u32 v17, v92, 16, 1
	v_cmp_o_f32_e32 vcc_lo, v93, v93
	v_bfe_u32 v18, v91, 16, 1
	v_bfe_u32 v20, v87, 16, 1
	v_add3_u32 v16, v93, v16, 0x7fff
	v_add3_u32 v17, v92, v17, 0x7fff
	v_bfe_u32 v23, v89, 16, 1
	v_add3_u32 v18, v91, v18, 0x7fff
	v_bfe_u32 v22, v88, 16, 1
	v_lshrrev_b32_e32 v16, 16, v16
	v_lshrrev_b32_e32 v17, 16, v17
	v_add3_u32 v20, v87, v20, 0x7fff
	v_lshrrev_b32_e32 v18, 16, v18
	v_add3_u32 v23, v89, v23, 0x7fff
	v_cndmask_b32_e32 v16, 0x7fc0, v16, vcc_lo
	v_cmp_o_f32_e32 vcc_lo, v92, v92
	v_add3_u32 v22, v88, v22, 0x7fff
	v_bfe_u32 v19, v86, 16, 1
	v_bfe_u32 v26, v81, 16, 1
	;; [unrolled: 1-line block ×3, first 2 shown]
	v_cndmask_b32_e32 v21, 0x7fc0, v17, vcc_lo
	v_bfe_u32 v17, v90, 16, 1
	v_cmp_o_f32_e32 vcc_lo, v91, v91
	v_lshrrev_b32_e32 v22, 16, v22
	v_add3_u32 v19, v86, v19, 0x7fff
	v_bfe_u32 v28, v84, 16, 1
	v_add3_u32 v17, v90, v17, 0x7fff
	v_cndmask_b32_e32 v24, 0x7fc0, v18, vcc_lo
	v_cmp_o_f32_e32 vcc_lo, v90, v90
	v_lshrrev_b32_e32 v18, 16, v20
	v_lshrrev_b32_e32 v20, 16, v23
	;; [unrolled: 1-line block ×4, first 2 shown]
	v_bfe_u32 v23, v85, 16, 1
	v_add3_u32 v27, v79, v27, 0x7fff
	v_perm_b32 v16, v21, v16, 0x5040100
	v_cndmask_b32_e32 v17, 0x7fc0, v17, vcc_lo
	v_cmp_o_f32_e32 vcc_lo, v89, v89
	s_waitcnt_vscnt null, 0x0
	s_barrier
	buffer_gl0_inv
	s_add_u32 s60, s60, 0x1000
	v_cndmask_b32_e32 v20, 0x7fc0, v20, vcc_lo
	v_cmp_o_f32_e32 vcc_lo, v88, v88
	s_addc_u32 s36, s36, 0
	s_mov_b32 s39, s53
	s_add_u32 s55, s55, 0x1000
	s_addc_u32 s59, s59, 0
	v_cndmask_b32_e32 v22, 0x7fc0, v22, vcc_lo
	v_cmp_o_f32_e32 vcc_lo, v87, v87
	s_lshl_b64 s[16:17], s[38:39], 1
	s_add_u32 s41, s41, 0x1000
	s_addc_u32 s62, s62, 0
	s_add_u32 s45, s45, 0x1000
	v_cndmask_b32_e32 v18, 0x7fc0, v18, vcc_lo
	v_cmp_o_f32_e32 vcc_lo, v86, v86
	s_addc_u32 s63, s63, 0
	s_add_i32 s72, s72, 1
	s_delay_alu instid0(VALU_DEP_2)
	v_perm_b32 v18, v18, v17, 0x5040100
	v_cndmask_b32_e32 v25, 0x7fc0, v19, vcc_lo
	v_perm_b32 v19, v22, v20, 0x5040100
	v_add3_u32 v22, v85, v23, 0x7fff
	v_bfe_u32 v23, v83, 16, 1
	v_cmp_o_f32_e32 vcc_lo, v85, v85
	v_perm_b32 v17, v25, v24, 0x5040100
	v_add3_u32 v24, v81, v26, 0x7fff
	v_lshrrev_b32_e32 v22, 16, v22
	v_add3_u32 v23, v83, v23, 0x7fff
	v_bfe_u32 v26, v78, 16, 1
	v_bfe_u32 v20, v82, 16, 1
	s_cmp_eq_u32 s72, s66
	v_cndmask_b32_e32 v25, 0x7fc0, v22, vcc_lo
	v_lshrrev_b32_e32 v22, 16, v23
	v_lshrrev_b32_e32 v23, 16, v24
	v_bfe_u32 v24, v80, 16, 1
	v_cmp_o_f32_e32 vcc_lo, v83, v83
	v_add3_u32 v20, v82, v20, 0x7fff
	s_delay_alu instid0(VALU_DEP_3)
	v_add3_u32 v24, v80, v24, 0x7fff
	v_cndmask_b32_e32 v29, 0x7fc0, v22, vcc_lo
	v_cmp_o_f32_e32 vcc_lo, v81, v81
	v_add3_u32 v22, v78, v26, 0x7fff
	v_add3_u32 v26, v84, v28, 0x7fff
	v_lshrrev_b32_e32 v20, 16, v20
	v_cndmask_b32_e32 v28, 0x7fc0, v23, vcc_lo
	v_lshrrev_b32_e32 v23, 16, v24
	v_cmp_o_f32_e32 vcc_lo, v80, v80
	v_lshrrev_b32_e32 v24, 16, v27
	v_lshrrev_b32_e32 v26, 16, v26
	;; [unrolled: 1-line block ×3, first 2 shown]
	v_perm_b32 v21, v28, v29, 0x5040100
	v_cndmask_b32_e32 v27, 0x7fc0, v23, vcc_lo
	v_cmp_o_f32_e32 vcc_lo, v79, v79
	v_cndmask_b32_e32 v23, 0x7fc0, v24, vcc_lo
	v_cmp_o_f32_e32 vcc_lo, v84, v84
	;; [unrolled: 2-line block ×3, first 2 shown]
	s_delay_alu instid0(VALU_DEP_2) | instskip(SKIP_2) | instid1(VALU_DEP_2)
	v_perm_b32 v23, v24, v23, 0x5040100
	v_cndmask_b32_e32 v22, 0x7fc0, v22, vcc_lo
	v_cmp_o_f32_e32 vcc_lo, v82, v82
	v_perm_b32 v22, v22, v27, 0x5040100
	v_cndmask_b32_e32 v20, 0x7fc0, v20, vcc_lo
	v_add_co_u32 v24, vcc_lo, v44, s16
	s_delay_alu instid0(VALU_DEP_2)
	v_perm_b32 v20, v20, v25, 0x5040100
	ds_store_b128 v37, v[16:19]
	ds_store_b128 v37, v[20:23] offset:16
	; wave barrier
	ds_load_b128 v[16:19], v35
	ds_load_b128 v[20:23], v36 offset:512
	v_add_co_ci_u32_e32 v25, vcc_lo, s17, v45, vcc_lo
	s_waitcnt lgkmcnt(1)
	v_alignbit_b32 v27, v18, v17, 16
	v_alignbit_b32 v26, v17, v16, 16
	v_alignbit_b32 v17, v19, v18, 16
	s_clause 0x3
	global_store_b16 v[24:25], v16, off
	global_store_d16_hi_b16 v[24:25], v19, off offset:14
	global_store_b32 v[24:25], v17, off offset:10
	global_store_b64 v[24:25], v[26:27], off offset:2
	s_waitcnt lgkmcnt(0)
	global_store_b128 v[24:25], v[20:23], off offset:512
	s_cbranch_scc1 .LBB27_86
.LBB27_12:                              ; =>This Loop Header: Depth=1
                                        ;     Child Loop BB27_55 Depth 2
	v_add_co_u32 v16, s15, s55, v61
	s_delay_alu instid0(VALU_DEP_1) | instskip(NEXT) | instid1(VALU_DEP_2)
	v_add_co_ci_u32_e64 v17, null, s59, 0, s15
	v_add_co_u32 v16, vcc_lo, v16, v62
	s_delay_alu instid0(VALU_DEP_2)
	v_add_co_ci_u32_e32 v17, vcc_lo, 0, v17, vcc_lo
	s_waitcnt_vscnt null, 0x0
	s_barrier
	buffer_gl0_inv
	s_and_saveexec_b32 s15, s0
	s_cbranch_execz .LBB27_14
; %bb.13:                               ;   in Loop: Header=BB27_12 Depth=1
	global_load_b128 v[12:15], v[16:17], off
.LBB27_14:                              ;   in Loop: Header=BB27_12 Depth=1
	s_or_b32 exec_lo, exec_lo, s15
	s_and_saveexec_b32 s15, s1
	s_cbranch_execz .LBB27_16
; %bb.15:                               ;   in Loop: Header=BB27_12 Depth=1
	global_load_b128 v[8:11], v[16:17], off offset:512
.LBB27_16:                              ;   in Loop: Header=BB27_12 Depth=1
	s_or_b32 exec_lo, exec_lo, s15
	s_waitcnt vmcnt(0)
	ds_store_b128 v35, v[12:15]
	ds_store_b128 v36, v[8:11] offset:512
	; wave barrier
	ds_load_b128 v[12:15], v37
	ds_load_b128 v[8:11], v37 offset:16
	v_add_co_u32 v16, s15, s60, v61
	s_delay_alu instid0(VALU_DEP_1) | instskip(SKIP_1) | instid1(VALU_DEP_2)
	v_add_co_ci_u32_e64 v17, null, s36, 0, s15
	s_waitcnt lgkmcnt(0)
	v_add_co_u32 v16, vcc_lo, v16, v62
	s_delay_alu instid0(VALU_DEP_2)
	v_add_co_ci_u32_e32 v17, vcc_lo, 0, v17, vcc_lo
	s_barrier
	buffer_gl0_inv
	s_and_saveexec_b32 s15, s0
	s_cbranch_execz .LBB27_18
; %bb.17:                               ;   in Loop: Header=BB27_12 Depth=1
	global_load_b128 v[4:7], v[16:17], off
.LBB27_18:                              ;   in Loop: Header=BB27_12 Depth=1
	s_or_b32 exec_lo, exec_lo, s15
	s_and_saveexec_b32 s15, s1
	s_cbranch_execz .LBB27_20
; %bb.19:                               ;   in Loop: Header=BB27_12 Depth=1
	global_load_b128 v[0:3], v[16:17], off offset:512
.LBB27_20:                              ;   in Loop: Header=BB27_12 Depth=1
	s_or_b32 exec_lo, exec_lo, s15
	s_waitcnt vmcnt(0)
	ds_store_b128 v35, v[4:7]
	ds_store_b128 v36, v[0:3] offset:512
	; wave barrier
	ds_load_b128 v[4:7], v37
	ds_load_b128 v[0:3], v37 offset:16
	s_waitcnt lgkmcnt(1)
	v_lshlrev_b32_e32 v16, 16, v4
	s_delay_alu instid0(VALU_DEP_1) | instskip(NEXT) | instid1(VALU_DEP_1)
	v_add_f32_e32 v63, s57, v16
	v_cmp_ge_f32_e32 vcc_lo, 0x41a00000, v63
	s_and_b32 s15, s67, vcc_lo
	s_delay_alu instid0(SALU_CYCLE_1)
	s_and_saveexec_b32 s16, s15
	s_cbranch_execz .LBB27_22
; %bb.21:                               ;   in Loop: Header=BB27_12 Depth=1
	v_mul_f32_e32 v16, 0x3fb8aa3b, v63
	v_cmp_ngt_f32_e32 vcc_lo, 0xc2ce8ed0, v63
	s_delay_alu instid0(VALU_DEP_2) | instskip(SKIP_1) | instid1(VALU_DEP_2)
	v_rndne_f32_e32 v17, v16
	v_fma_f32 v18, 0x3fb8aa3b, v63, -v16
	v_sub_f32_e32 v16, v16, v17
	s_delay_alu instid0(VALU_DEP_2) | instskip(SKIP_1) | instid1(VALU_DEP_2)
	v_fmac_f32_e32 v18, 0x32a5705f, v63
	v_cvt_i32_f32_e32 v17, v17
	v_add_f32_e32 v16, v16, v18
	s_delay_alu instid0(VALU_DEP_1) | instskip(SKIP_2) | instid1(VALU_DEP_1)
	v_exp_f32_e32 v16, v16
	s_waitcnt_depctr 0xfff
	v_ldexp_f32 v16, v16, v17
	v_cndmask_b32_e32 v16, 0, v16, vcc_lo
	v_cmp_nlt_f32_e32 vcc_lo, 0x42b17218, v63
	s_delay_alu instid0(VALU_DEP_2) | instskip(NEXT) | instid1(VALU_DEP_1)
	v_cndmask_b32_e32 v18, 0x7f800000, v16, vcc_lo
	v_add_f32_e32 v19, 1.0, v18
	s_delay_alu instid0(VALU_DEP_1) | instskip(NEXT) | instid1(VALU_DEP_1)
	v_cvt_f64_f32_e32 v[16:17], v19
	v_frexp_exp_i32_f64_e32 v16, v[16:17]
	v_frexp_mant_f32_e32 v17, v19
	s_delay_alu instid0(VALU_DEP_1) | instskip(SKIP_1) | instid1(VALU_DEP_1)
	v_cmp_gt_f32_e32 vcc_lo, 0x3f2aaaab, v17
	v_add_f32_e32 v17, -1.0, v19
	v_sub_f32_e32 v21, v17, v19
	v_sub_f32_e32 v17, v18, v17
	s_delay_alu instid0(VALU_DEP_2) | instskip(NEXT) | instid1(VALU_DEP_1)
	v_add_f32_e32 v21, 1.0, v21
	v_add_f32_e32 v17, v17, v21
	v_cmp_gt_f32_e64 s15, 0x33800000, v18
	v_subrev_co_ci_u32_e32 v16, vcc_lo, 0, v16, vcc_lo
	v_cmp_eq_f32_e32 vcc_lo, 0x7f800000, v18
	s_delay_alu instid0(VALU_DEP_2) | instskip(SKIP_2) | instid1(VALU_DEP_2)
	v_sub_nc_u32_e32 v20, 0, v16
	v_cvt_f32_i32_e32 v16, v16
	s_or_b32 vcc_lo, s15, vcc_lo
	v_ldexp_f32 v19, v19, v20
	v_ldexp_f32 v17, v17, v20
	s_delay_alu instid0(VALU_DEP_2) | instskip(NEXT) | instid1(VALU_DEP_1)
	v_add_f32_e32 v22, 1.0, v19
	v_dual_add_f32 v20, -1.0, v19 :: v_dual_add_f32 v21, -1.0, v22
	s_delay_alu instid0(VALU_DEP_1) | instskip(NEXT) | instid1(VALU_DEP_2)
	v_add_f32_e32 v23, 1.0, v20
	v_sub_f32_e32 v21, v19, v21
	s_delay_alu instid0(VALU_DEP_2) | instskip(NEXT) | instid1(VALU_DEP_2)
	v_sub_f32_e32 v19, v19, v23
	v_add_f32_e32 v21, v17, v21
	s_delay_alu instid0(VALU_DEP_2) | instskip(NEXT) | instid1(VALU_DEP_1)
	v_add_f32_e32 v17, v17, v19
	v_add_f32_e32 v24, v20, v17
	s_delay_alu instid0(VALU_DEP_1) | instskip(NEXT) | instid1(VALU_DEP_1)
	v_dual_add_f32 v23, v22, v21 :: v_dual_sub_f32 v20, v20, v24
	v_rcp_f32_e32 v19, v23
	v_sub_f32_e32 v22, v22, v23
	s_delay_alu instid0(VALU_DEP_1) | instskip(SKIP_2) | instid1(VALU_DEP_1)
	v_add_f32_e32 v21, v21, v22
	s_waitcnt_depctr 0xfff
	v_mul_f32_e32 v25, v24, v19
	v_mul_f32_e32 v26, v23, v25
	s_delay_alu instid0(VALU_DEP_1) | instskip(NEXT) | instid1(VALU_DEP_1)
	v_fma_f32 v22, v25, v23, -v26
	v_fmac_f32_e32 v22, v25, v21
	s_delay_alu instid0(VALU_DEP_1) | instskip(NEXT) | instid1(VALU_DEP_1)
	v_add_f32_e32 v27, v26, v22
	v_sub_f32_e32 v28, v24, v27
	s_delay_alu instid0(VALU_DEP_1) | instskip(SKIP_1) | instid1(VALU_DEP_2)
	v_sub_f32_e32 v24, v24, v28
	v_dual_add_f32 v17, v17, v20 :: v_dual_sub_f32 v20, v27, v26
	v_sub_f32_e32 v24, v24, v27
	s_delay_alu instid0(VALU_DEP_1) | instskip(NEXT) | instid1(VALU_DEP_1)
	v_dual_sub_f32 v20, v20, v22 :: v_dual_add_f32 v17, v17, v24
	v_add_f32_e32 v17, v20, v17
	s_delay_alu instid0(VALU_DEP_1) | instskip(NEXT) | instid1(VALU_DEP_1)
	v_add_f32_e32 v20, v28, v17
	v_mul_f32_e32 v22, v19, v20
	s_delay_alu instid0(VALU_DEP_1) | instskip(NEXT) | instid1(VALU_DEP_1)
	v_dual_sub_f32 v27, v28, v20 :: v_dual_mul_f32 v24, v23, v22
	v_add_f32_e32 v17, v17, v27
	s_delay_alu instid0(VALU_DEP_2) | instskip(NEXT) | instid1(VALU_DEP_1)
	v_fma_f32 v23, v22, v23, -v24
	v_fmac_f32_e32 v23, v22, v21
	s_delay_alu instid0(VALU_DEP_1) | instskip(NEXT) | instid1(VALU_DEP_1)
	v_add_f32_e32 v21, v24, v23
	v_sub_f32_e32 v26, v20, v21
	s_delay_alu instid0(VALU_DEP_1) | instskip(NEXT) | instid1(VALU_DEP_1)
	v_sub_f32_e32 v20, v20, v26
	v_sub_f32_e32 v20, v20, v21
	s_delay_alu instid0(VALU_DEP_1) | instskip(SKIP_2) | instid1(VALU_DEP_1)
	v_add_f32_e32 v17, v17, v20
	v_add_f32_e32 v20, v25, v22
	v_sub_f32_e32 v24, v21, v24
	v_sub_f32_e32 v21, v24, v23
	s_delay_alu instid0(VALU_DEP_1) | instskip(NEXT) | instid1(VALU_DEP_4)
	v_add_f32_e32 v17, v21, v17
	v_sub_f32_e32 v21, v20, v25
	s_delay_alu instid0(VALU_DEP_2) | instskip(NEXT) | instid1(VALU_DEP_2)
	v_add_f32_e32 v17, v26, v17
	v_sub_f32_e32 v21, v22, v21
	s_delay_alu instid0(VALU_DEP_2) | instskip(NEXT) | instid1(VALU_DEP_1)
	v_mul_f32_e32 v17, v19, v17
	v_add_f32_e32 v17, v21, v17
	s_delay_alu instid0(VALU_DEP_1) | instskip(NEXT) | instid1(VALU_DEP_1)
	v_add_f32_e32 v19, v20, v17
	v_mul_f32_e32 v21, v19, v19
	s_delay_alu instid0(VALU_DEP_1) | instskip(SKIP_1) | instid1(VALU_DEP_2)
	v_fmaak_f32 v22, s54, v21, 0x3ecc95a3
	v_mul_f32_e32 v23, v19, v21
	v_fmaak_f32 v21, v21, v22, 0x3f2aaada
	v_ldexp_f32 v22, v19, 1
	s_delay_alu instid0(VALU_DEP_2) | instskip(SKIP_1) | instid1(VALU_DEP_2)
	v_mul_f32_e32 v21, v23, v21
	v_sub_f32_e32 v19, v19, v20
	v_dual_mul_f32 v23, 0x3f317218, v16 :: v_dual_add_f32 v20, v22, v21
	s_delay_alu instid0(VALU_DEP_2) | instskip(NEXT) | instid1(VALU_DEP_2)
	v_sub_f32_e32 v17, v17, v19
	v_sub_f32_e32 v19, v20, v22
	s_delay_alu instid0(VALU_DEP_3) | instskip(NEXT) | instid1(VALU_DEP_3)
	v_fma_f32 v22, 0x3f317218, v16, -v23
	v_ldexp_f32 v17, v17, 1
	s_delay_alu instid0(VALU_DEP_2) | instskip(NEXT) | instid1(VALU_DEP_1)
	v_dual_sub_f32 v19, v21, v19 :: v_dual_fmac_f32 v22, 0xb102e308, v16
	v_dual_add_f32 v16, v17, v19 :: v_dual_add_f32 v17, v23, v22
	s_delay_alu instid0(VALU_DEP_1) | instskip(NEXT) | instid1(VALU_DEP_1)
	v_add_f32_e32 v19, v20, v16
	v_dual_add_f32 v21, v17, v19 :: v_dual_sub_f32 v20, v19, v20
	s_delay_alu instid0(VALU_DEP_1) | instskip(NEXT) | instid1(VALU_DEP_2)
	v_sub_f32_e32 v24, v21, v17
	v_dual_sub_f32 v23, v17, v23 :: v_dual_sub_f32 v16, v16, v20
	s_delay_alu instid0(VALU_DEP_1) | instskip(SKIP_1) | instid1(VALU_DEP_2)
	v_dual_sub_f32 v25, v21, v24 :: v_dual_sub_f32 v22, v22, v23
	v_sub_f32_e32 v19, v19, v24
	v_dual_sub_f32 v17, v17, v25 :: v_dual_add_f32 v20, v22, v16
	s_delay_alu instid0(VALU_DEP_1) | instskip(NEXT) | instid1(VALU_DEP_2)
	v_add_f32_e32 v17, v19, v17
	v_sub_f32_e32 v19, v20, v22
	s_delay_alu instid0(VALU_DEP_2) | instskip(NEXT) | instid1(VALU_DEP_2)
	v_add_f32_e32 v17, v20, v17
	v_sub_f32_e32 v20, v20, v19
	s_delay_alu instid0(VALU_DEP_2) | instskip(NEXT) | instid1(VALU_DEP_1)
	v_dual_sub_f32 v16, v16, v19 :: v_dual_add_f32 v23, v21, v17
	v_dual_sub_f32 v20, v22, v20 :: v_dual_sub_f32 v19, v23, v21
	s_delay_alu instid0(VALU_DEP_1) | instskip(NEXT) | instid1(VALU_DEP_1)
	v_dual_add_f32 v16, v16, v20 :: v_dual_sub_f32 v17, v17, v19
	v_add_f32_e32 v16, v16, v17
	s_delay_alu instid0(VALU_DEP_1) | instskip(NEXT) | instid1(VALU_DEP_1)
	v_add_f32_e32 v16, v23, v16
	v_cndmask_b32_e32 v63, v16, v18, vcc_lo
.LBB27_22:                              ;   in Loop: Header=BB27_12 Depth=1
	s_or_b32 exec_lo, exec_lo, s16
	v_and_b32_e32 v16, 0xffff0000, v4
	s_delay_alu instid0(VALU_DEP_1) | instskip(NEXT) | instid1(VALU_DEP_1)
	v_add_f32_e32 v64, s57, v16
	v_cmp_ge_f32_e32 vcc_lo, 0x41a00000, v64
	s_and_b32 s15, s67, vcc_lo
	s_delay_alu instid0(SALU_CYCLE_1)
	s_and_saveexec_b32 s16, s15
	s_cbranch_execz .LBB27_24
; %bb.23:                               ;   in Loop: Header=BB27_12 Depth=1
	v_mul_f32_e32 v16, 0x3fb8aa3b, v64
	v_cmp_ngt_f32_e32 vcc_lo, 0xc2ce8ed0, v64
	s_delay_alu instid0(VALU_DEP_2) | instskip(SKIP_1) | instid1(VALU_DEP_2)
	v_rndne_f32_e32 v17, v16
	v_fma_f32 v18, 0x3fb8aa3b, v64, -v16
	v_sub_f32_e32 v16, v16, v17
	s_delay_alu instid0(VALU_DEP_2) | instskip(SKIP_1) | instid1(VALU_DEP_2)
	v_fmac_f32_e32 v18, 0x32a5705f, v64
	v_cvt_i32_f32_e32 v17, v17
	v_add_f32_e32 v16, v16, v18
	s_delay_alu instid0(VALU_DEP_1) | instskip(SKIP_2) | instid1(VALU_DEP_1)
	v_exp_f32_e32 v16, v16
	s_waitcnt_depctr 0xfff
	v_ldexp_f32 v16, v16, v17
	v_cndmask_b32_e32 v16, 0, v16, vcc_lo
	v_cmp_nlt_f32_e32 vcc_lo, 0x42b17218, v64
	s_delay_alu instid0(VALU_DEP_2) | instskip(NEXT) | instid1(VALU_DEP_1)
	v_cndmask_b32_e32 v18, 0x7f800000, v16, vcc_lo
	v_add_f32_e32 v19, 1.0, v18
	s_delay_alu instid0(VALU_DEP_1) | instskip(NEXT) | instid1(VALU_DEP_1)
	v_cvt_f64_f32_e32 v[16:17], v19
	v_frexp_exp_i32_f64_e32 v16, v[16:17]
	v_frexp_mant_f32_e32 v17, v19
	s_delay_alu instid0(VALU_DEP_1) | instskip(SKIP_1) | instid1(VALU_DEP_1)
	v_cmp_gt_f32_e32 vcc_lo, 0x3f2aaaab, v17
	v_add_f32_e32 v17, -1.0, v19
	v_sub_f32_e32 v21, v17, v19
	v_sub_f32_e32 v17, v18, v17
	s_delay_alu instid0(VALU_DEP_2) | instskip(NEXT) | instid1(VALU_DEP_1)
	v_add_f32_e32 v21, 1.0, v21
	v_add_f32_e32 v17, v17, v21
	v_cmp_gt_f32_e64 s15, 0x33800000, v18
	v_subrev_co_ci_u32_e32 v16, vcc_lo, 0, v16, vcc_lo
	v_cmp_eq_f32_e32 vcc_lo, 0x7f800000, v18
	s_delay_alu instid0(VALU_DEP_2) | instskip(SKIP_2) | instid1(VALU_DEP_2)
	v_sub_nc_u32_e32 v20, 0, v16
	v_cvt_f32_i32_e32 v16, v16
	s_or_b32 vcc_lo, s15, vcc_lo
	v_ldexp_f32 v19, v19, v20
	v_ldexp_f32 v17, v17, v20
	s_delay_alu instid0(VALU_DEP_2) | instskip(NEXT) | instid1(VALU_DEP_1)
	v_add_f32_e32 v22, 1.0, v19
	v_dual_add_f32 v20, -1.0, v19 :: v_dual_add_f32 v21, -1.0, v22
	s_delay_alu instid0(VALU_DEP_1) | instskip(NEXT) | instid1(VALU_DEP_2)
	v_add_f32_e32 v23, 1.0, v20
	v_sub_f32_e32 v21, v19, v21
	s_delay_alu instid0(VALU_DEP_2) | instskip(NEXT) | instid1(VALU_DEP_2)
	v_sub_f32_e32 v19, v19, v23
	v_add_f32_e32 v21, v17, v21
	s_delay_alu instid0(VALU_DEP_2) | instskip(NEXT) | instid1(VALU_DEP_1)
	v_add_f32_e32 v17, v17, v19
	v_add_f32_e32 v24, v20, v17
	s_delay_alu instid0(VALU_DEP_1) | instskip(NEXT) | instid1(VALU_DEP_1)
	v_dual_add_f32 v23, v22, v21 :: v_dual_sub_f32 v20, v20, v24
	v_rcp_f32_e32 v19, v23
	v_sub_f32_e32 v22, v22, v23
	s_delay_alu instid0(VALU_DEP_1) | instskip(SKIP_2) | instid1(VALU_DEP_1)
	v_add_f32_e32 v21, v21, v22
	s_waitcnt_depctr 0xfff
	v_mul_f32_e32 v25, v24, v19
	v_mul_f32_e32 v26, v23, v25
	s_delay_alu instid0(VALU_DEP_1) | instskip(NEXT) | instid1(VALU_DEP_1)
	v_fma_f32 v22, v25, v23, -v26
	v_fmac_f32_e32 v22, v25, v21
	s_delay_alu instid0(VALU_DEP_1) | instskip(NEXT) | instid1(VALU_DEP_1)
	v_add_f32_e32 v27, v26, v22
	v_sub_f32_e32 v28, v24, v27
	s_delay_alu instid0(VALU_DEP_1) | instskip(SKIP_1) | instid1(VALU_DEP_2)
	v_sub_f32_e32 v24, v24, v28
	v_dual_add_f32 v17, v17, v20 :: v_dual_sub_f32 v20, v27, v26
	v_sub_f32_e32 v24, v24, v27
	s_delay_alu instid0(VALU_DEP_1) | instskip(NEXT) | instid1(VALU_DEP_1)
	v_dual_sub_f32 v20, v20, v22 :: v_dual_add_f32 v17, v17, v24
	v_add_f32_e32 v17, v20, v17
	s_delay_alu instid0(VALU_DEP_1) | instskip(NEXT) | instid1(VALU_DEP_1)
	v_add_f32_e32 v20, v28, v17
	v_mul_f32_e32 v22, v19, v20
	s_delay_alu instid0(VALU_DEP_1) | instskip(NEXT) | instid1(VALU_DEP_1)
	v_dual_sub_f32 v27, v28, v20 :: v_dual_mul_f32 v24, v23, v22
	v_add_f32_e32 v17, v17, v27
	s_delay_alu instid0(VALU_DEP_2) | instskip(NEXT) | instid1(VALU_DEP_1)
	v_fma_f32 v23, v22, v23, -v24
	v_fmac_f32_e32 v23, v22, v21
	s_delay_alu instid0(VALU_DEP_1) | instskip(NEXT) | instid1(VALU_DEP_1)
	v_add_f32_e32 v21, v24, v23
	v_sub_f32_e32 v26, v20, v21
	s_delay_alu instid0(VALU_DEP_1) | instskip(NEXT) | instid1(VALU_DEP_1)
	v_sub_f32_e32 v20, v20, v26
	v_sub_f32_e32 v20, v20, v21
	s_delay_alu instid0(VALU_DEP_1) | instskip(SKIP_2) | instid1(VALU_DEP_1)
	v_add_f32_e32 v17, v17, v20
	v_add_f32_e32 v20, v25, v22
	v_sub_f32_e32 v24, v21, v24
	v_sub_f32_e32 v21, v24, v23
	s_delay_alu instid0(VALU_DEP_1) | instskip(NEXT) | instid1(VALU_DEP_4)
	v_add_f32_e32 v17, v21, v17
	v_sub_f32_e32 v21, v20, v25
	s_delay_alu instid0(VALU_DEP_2) | instskip(NEXT) | instid1(VALU_DEP_2)
	v_add_f32_e32 v17, v26, v17
	v_sub_f32_e32 v21, v22, v21
	s_delay_alu instid0(VALU_DEP_2) | instskip(NEXT) | instid1(VALU_DEP_1)
	v_mul_f32_e32 v17, v19, v17
	v_add_f32_e32 v17, v21, v17
	s_delay_alu instid0(VALU_DEP_1) | instskip(NEXT) | instid1(VALU_DEP_1)
	v_add_f32_e32 v19, v20, v17
	v_mul_f32_e32 v21, v19, v19
	s_delay_alu instid0(VALU_DEP_1) | instskip(SKIP_1) | instid1(VALU_DEP_2)
	v_fmaak_f32 v22, s54, v21, 0x3ecc95a3
	v_mul_f32_e32 v23, v19, v21
	v_fmaak_f32 v21, v21, v22, 0x3f2aaada
	v_ldexp_f32 v22, v19, 1
	s_delay_alu instid0(VALU_DEP_2) | instskip(SKIP_1) | instid1(VALU_DEP_2)
	v_mul_f32_e32 v21, v23, v21
	v_sub_f32_e32 v19, v19, v20
	v_dual_mul_f32 v23, 0x3f317218, v16 :: v_dual_add_f32 v20, v22, v21
	s_delay_alu instid0(VALU_DEP_2) | instskip(NEXT) | instid1(VALU_DEP_2)
	v_sub_f32_e32 v17, v17, v19
	v_sub_f32_e32 v19, v20, v22
	s_delay_alu instid0(VALU_DEP_3) | instskip(NEXT) | instid1(VALU_DEP_3)
	v_fma_f32 v22, 0x3f317218, v16, -v23
	v_ldexp_f32 v17, v17, 1
	s_delay_alu instid0(VALU_DEP_2) | instskip(NEXT) | instid1(VALU_DEP_1)
	v_dual_sub_f32 v19, v21, v19 :: v_dual_fmac_f32 v22, 0xb102e308, v16
	v_dual_add_f32 v16, v17, v19 :: v_dual_add_f32 v17, v23, v22
	s_delay_alu instid0(VALU_DEP_1) | instskip(NEXT) | instid1(VALU_DEP_1)
	v_add_f32_e32 v19, v20, v16
	v_dual_add_f32 v21, v17, v19 :: v_dual_sub_f32 v20, v19, v20
	s_delay_alu instid0(VALU_DEP_1) | instskip(NEXT) | instid1(VALU_DEP_2)
	v_sub_f32_e32 v24, v21, v17
	v_dual_sub_f32 v23, v17, v23 :: v_dual_sub_f32 v16, v16, v20
	s_delay_alu instid0(VALU_DEP_1) | instskip(SKIP_1) | instid1(VALU_DEP_2)
	v_dual_sub_f32 v25, v21, v24 :: v_dual_sub_f32 v22, v22, v23
	v_sub_f32_e32 v19, v19, v24
	v_dual_sub_f32 v17, v17, v25 :: v_dual_add_f32 v20, v22, v16
	s_delay_alu instid0(VALU_DEP_1) | instskip(NEXT) | instid1(VALU_DEP_2)
	v_add_f32_e32 v17, v19, v17
	v_sub_f32_e32 v19, v20, v22
	s_delay_alu instid0(VALU_DEP_2) | instskip(NEXT) | instid1(VALU_DEP_2)
	v_add_f32_e32 v17, v20, v17
	v_sub_f32_e32 v20, v20, v19
	s_delay_alu instid0(VALU_DEP_2) | instskip(NEXT) | instid1(VALU_DEP_1)
	v_dual_sub_f32 v16, v16, v19 :: v_dual_add_f32 v23, v21, v17
	v_dual_sub_f32 v20, v22, v20 :: v_dual_sub_f32 v19, v23, v21
	s_delay_alu instid0(VALU_DEP_1) | instskip(NEXT) | instid1(VALU_DEP_1)
	v_dual_add_f32 v16, v16, v20 :: v_dual_sub_f32 v17, v17, v19
	v_add_f32_e32 v16, v16, v17
	s_delay_alu instid0(VALU_DEP_1) | instskip(NEXT) | instid1(VALU_DEP_1)
	v_add_f32_e32 v16, v23, v16
	v_cndmask_b32_e32 v64, v16, v18, vcc_lo
.LBB27_24:                              ;   in Loop: Header=BB27_12 Depth=1
	s_or_b32 exec_lo, exec_lo, s16
	v_lshlrev_b32_e32 v16, 16, v5
	s_delay_alu instid0(VALU_DEP_1) | instskip(NEXT) | instid1(VALU_DEP_1)
	v_add_f32_e32 v65, s57, v16
	v_cmp_ge_f32_e32 vcc_lo, 0x41a00000, v65
	s_and_b32 s15, s67, vcc_lo
	s_delay_alu instid0(SALU_CYCLE_1)
	s_and_saveexec_b32 s16, s15
	s_cbranch_execz .LBB27_26
; %bb.25:                               ;   in Loop: Header=BB27_12 Depth=1
	v_mul_f32_e32 v16, 0x3fb8aa3b, v65
	v_cmp_ngt_f32_e32 vcc_lo, 0xc2ce8ed0, v65
	s_delay_alu instid0(VALU_DEP_2) | instskip(SKIP_1) | instid1(VALU_DEP_2)
	v_rndne_f32_e32 v17, v16
	v_fma_f32 v18, 0x3fb8aa3b, v65, -v16
	v_sub_f32_e32 v16, v16, v17
	s_delay_alu instid0(VALU_DEP_2) | instskip(SKIP_1) | instid1(VALU_DEP_2)
	v_fmac_f32_e32 v18, 0x32a5705f, v65
	v_cvt_i32_f32_e32 v17, v17
	v_add_f32_e32 v16, v16, v18
	s_delay_alu instid0(VALU_DEP_1) | instskip(SKIP_2) | instid1(VALU_DEP_1)
	v_exp_f32_e32 v16, v16
	s_waitcnt_depctr 0xfff
	v_ldexp_f32 v16, v16, v17
	v_cndmask_b32_e32 v16, 0, v16, vcc_lo
	v_cmp_nlt_f32_e32 vcc_lo, 0x42b17218, v65
	s_delay_alu instid0(VALU_DEP_2) | instskip(NEXT) | instid1(VALU_DEP_1)
	v_cndmask_b32_e32 v18, 0x7f800000, v16, vcc_lo
	v_add_f32_e32 v19, 1.0, v18
	s_delay_alu instid0(VALU_DEP_1) | instskip(NEXT) | instid1(VALU_DEP_1)
	v_cvt_f64_f32_e32 v[16:17], v19
	v_frexp_exp_i32_f64_e32 v16, v[16:17]
	v_frexp_mant_f32_e32 v17, v19
	s_delay_alu instid0(VALU_DEP_1) | instskip(SKIP_1) | instid1(VALU_DEP_1)
	v_cmp_gt_f32_e32 vcc_lo, 0x3f2aaaab, v17
	v_add_f32_e32 v17, -1.0, v19
	v_sub_f32_e32 v21, v17, v19
	v_sub_f32_e32 v17, v18, v17
	s_delay_alu instid0(VALU_DEP_2) | instskip(NEXT) | instid1(VALU_DEP_1)
	v_add_f32_e32 v21, 1.0, v21
	v_add_f32_e32 v17, v17, v21
	v_cmp_gt_f32_e64 s15, 0x33800000, v18
	v_subrev_co_ci_u32_e32 v16, vcc_lo, 0, v16, vcc_lo
	v_cmp_eq_f32_e32 vcc_lo, 0x7f800000, v18
	s_delay_alu instid0(VALU_DEP_2) | instskip(SKIP_2) | instid1(VALU_DEP_2)
	v_sub_nc_u32_e32 v20, 0, v16
	v_cvt_f32_i32_e32 v16, v16
	s_or_b32 vcc_lo, s15, vcc_lo
	v_ldexp_f32 v19, v19, v20
	v_ldexp_f32 v17, v17, v20
	s_delay_alu instid0(VALU_DEP_2) | instskip(NEXT) | instid1(VALU_DEP_1)
	v_add_f32_e32 v22, 1.0, v19
	v_dual_add_f32 v20, -1.0, v19 :: v_dual_add_f32 v21, -1.0, v22
	s_delay_alu instid0(VALU_DEP_1) | instskip(NEXT) | instid1(VALU_DEP_2)
	v_add_f32_e32 v23, 1.0, v20
	v_sub_f32_e32 v21, v19, v21
	s_delay_alu instid0(VALU_DEP_2) | instskip(NEXT) | instid1(VALU_DEP_2)
	v_sub_f32_e32 v19, v19, v23
	v_add_f32_e32 v21, v17, v21
	s_delay_alu instid0(VALU_DEP_2) | instskip(NEXT) | instid1(VALU_DEP_1)
	v_add_f32_e32 v17, v17, v19
	v_add_f32_e32 v24, v20, v17
	s_delay_alu instid0(VALU_DEP_1) | instskip(NEXT) | instid1(VALU_DEP_1)
	v_dual_add_f32 v23, v22, v21 :: v_dual_sub_f32 v20, v20, v24
	v_rcp_f32_e32 v19, v23
	v_sub_f32_e32 v22, v22, v23
	s_delay_alu instid0(VALU_DEP_1) | instskip(SKIP_2) | instid1(VALU_DEP_1)
	v_add_f32_e32 v21, v21, v22
	s_waitcnt_depctr 0xfff
	v_mul_f32_e32 v25, v24, v19
	v_mul_f32_e32 v26, v23, v25
	s_delay_alu instid0(VALU_DEP_1) | instskip(NEXT) | instid1(VALU_DEP_1)
	v_fma_f32 v22, v25, v23, -v26
	v_fmac_f32_e32 v22, v25, v21
	s_delay_alu instid0(VALU_DEP_1) | instskip(NEXT) | instid1(VALU_DEP_1)
	v_add_f32_e32 v27, v26, v22
	v_sub_f32_e32 v28, v24, v27
	s_delay_alu instid0(VALU_DEP_1) | instskip(SKIP_1) | instid1(VALU_DEP_2)
	v_sub_f32_e32 v24, v24, v28
	v_dual_add_f32 v17, v17, v20 :: v_dual_sub_f32 v20, v27, v26
	v_sub_f32_e32 v24, v24, v27
	s_delay_alu instid0(VALU_DEP_1) | instskip(NEXT) | instid1(VALU_DEP_1)
	v_dual_sub_f32 v20, v20, v22 :: v_dual_add_f32 v17, v17, v24
	v_add_f32_e32 v17, v20, v17
	s_delay_alu instid0(VALU_DEP_1) | instskip(NEXT) | instid1(VALU_DEP_1)
	v_add_f32_e32 v20, v28, v17
	v_mul_f32_e32 v22, v19, v20
	s_delay_alu instid0(VALU_DEP_1) | instskip(NEXT) | instid1(VALU_DEP_1)
	v_dual_sub_f32 v27, v28, v20 :: v_dual_mul_f32 v24, v23, v22
	v_add_f32_e32 v17, v17, v27
	s_delay_alu instid0(VALU_DEP_2) | instskip(NEXT) | instid1(VALU_DEP_1)
	v_fma_f32 v23, v22, v23, -v24
	v_fmac_f32_e32 v23, v22, v21
	s_delay_alu instid0(VALU_DEP_1) | instskip(NEXT) | instid1(VALU_DEP_1)
	v_add_f32_e32 v21, v24, v23
	v_sub_f32_e32 v26, v20, v21
	s_delay_alu instid0(VALU_DEP_1) | instskip(NEXT) | instid1(VALU_DEP_1)
	v_sub_f32_e32 v20, v20, v26
	v_sub_f32_e32 v20, v20, v21
	s_delay_alu instid0(VALU_DEP_1) | instskip(SKIP_2) | instid1(VALU_DEP_1)
	v_add_f32_e32 v17, v17, v20
	v_add_f32_e32 v20, v25, v22
	v_sub_f32_e32 v24, v21, v24
	v_sub_f32_e32 v21, v24, v23
	s_delay_alu instid0(VALU_DEP_1) | instskip(NEXT) | instid1(VALU_DEP_4)
	v_add_f32_e32 v17, v21, v17
	v_sub_f32_e32 v21, v20, v25
	s_delay_alu instid0(VALU_DEP_2) | instskip(NEXT) | instid1(VALU_DEP_2)
	v_add_f32_e32 v17, v26, v17
	v_sub_f32_e32 v21, v22, v21
	s_delay_alu instid0(VALU_DEP_2) | instskip(NEXT) | instid1(VALU_DEP_1)
	v_mul_f32_e32 v17, v19, v17
	v_add_f32_e32 v17, v21, v17
	s_delay_alu instid0(VALU_DEP_1) | instskip(NEXT) | instid1(VALU_DEP_1)
	v_add_f32_e32 v19, v20, v17
	v_mul_f32_e32 v21, v19, v19
	s_delay_alu instid0(VALU_DEP_1) | instskip(SKIP_1) | instid1(VALU_DEP_2)
	v_fmaak_f32 v22, s54, v21, 0x3ecc95a3
	v_mul_f32_e32 v23, v19, v21
	v_fmaak_f32 v21, v21, v22, 0x3f2aaada
	v_ldexp_f32 v22, v19, 1
	s_delay_alu instid0(VALU_DEP_2) | instskip(SKIP_1) | instid1(VALU_DEP_2)
	v_mul_f32_e32 v21, v23, v21
	v_sub_f32_e32 v19, v19, v20
	v_dual_mul_f32 v23, 0x3f317218, v16 :: v_dual_add_f32 v20, v22, v21
	s_delay_alu instid0(VALU_DEP_2) | instskip(NEXT) | instid1(VALU_DEP_2)
	v_sub_f32_e32 v17, v17, v19
	v_sub_f32_e32 v19, v20, v22
	s_delay_alu instid0(VALU_DEP_3) | instskip(NEXT) | instid1(VALU_DEP_3)
	v_fma_f32 v22, 0x3f317218, v16, -v23
	v_ldexp_f32 v17, v17, 1
	s_delay_alu instid0(VALU_DEP_2) | instskip(NEXT) | instid1(VALU_DEP_1)
	v_dual_sub_f32 v19, v21, v19 :: v_dual_fmac_f32 v22, 0xb102e308, v16
	v_dual_add_f32 v16, v17, v19 :: v_dual_add_f32 v17, v23, v22
	s_delay_alu instid0(VALU_DEP_1) | instskip(NEXT) | instid1(VALU_DEP_1)
	v_add_f32_e32 v19, v20, v16
	v_dual_add_f32 v21, v17, v19 :: v_dual_sub_f32 v20, v19, v20
	s_delay_alu instid0(VALU_DEP_1) | instskip(NEXT) | instid1(VALU_DEP_2)
	v_sub_f32_e32 v24, v21, v17
	v_dual_sub_f32 v23, v17, v23 :: v_dual_sub_f32 v16, v16, v20
	s_delay_alu instid0(VALU_DEP_1) | instskip(SKIP_1) | instid1(VALU_DEP_2)
	v_dual_sub_f32 v25, v21, v24 :: v_dual_sub_f32 v22, v22, v23
	v_sub_f32_e32 v19, v19, v24
	v_dual_sub_f32 v17, v17, v25 :: v_dual_add_f32 v20, v22, v16
	s_delay_alu instid0(VALU_DEP_1) | instskip(NEXT) | instid1(VALU_DEP_2)
	v_add_f32_e32 v17, v19, v17
	v_sub_f32_e32 v19, v20, v22
	s_delay_alu instid0(VALU_DEP_2) | instskip(NEXT) | instid1(VALU_DEP_2)
	v_add_f32_e32 v17, v20, v17
	v_sub_f32_e32 v20, v20, v19
	s_delay_alu instid0(VALU_DEP_2) | instskip(NEXT) | instid1(VALU_DEP_1)
	v_dual_sub_f32 v16, v16, v19 :: v_dual_add_f32 v23, v21, v17
	v_dual_sub_f32 v20, v22, v20 :: v_dual_sub_f32 v19, v23, v21
	s_delay_alu instid0(VALU_DEP_1) | instskip(NEXT) | instid1(VALU_DEP_1)
	v_dual_add_f32 v16, v16, v20 :: v_dual_sub_f32 v17, v17, v19
	v_add_f32_e32 v16, v16, v17
	s_delay_alu instid0(VALU_DEP_1) | instskip(NEXT) | instid1(VALU_DEP_1)
	v_add_f32_e32 v16, v23, v16
	v_cndmask_b32_e32 v65, v16, v18, vcc_lo
.LBB27_26:                              ;   in Loop: Header=BB27_12 Depth=1
	s_or_b32 exec_lo, exec_lo, s16
	v_and_b32_e32 v16, 0xffff0000, v5
	s_delay_alu instid0(VALU_DEP_1) | instskip(NEXT) | instid1(VALU_DEP_1)
	v_add_f32_e32 v66, s57, v16
	v_cmp_ge_f32_e32 vcc_lo, 0x41a00000, v66
	s_and_b32 s15, s67, vcc_lo
	s_delay_alu instid0(SALU_CYCLE_1)
	s_and_saveexec_b32 s16, s15
	s_cbranch_execz .LBB27_28
; %bb.27:                               ;   in Loop: Header=BB27_12 Depth=1
	v_mul_f32_e32 v16, 0x3fb8aa3b, v66
	v_cmp_ngt_f32_e32 vcc_lo, 0xc2ce8ed0, v66
	s_delay_alu instid0(VALU_DEP_2) | instskip(SKIP_1) | instid1(VALU_DEP_2)
	v_rndne_f32_e32 v17, v16
	v_fma_f32 v18, 0x3fb8aa3b, v66, -v16
	v_sub_f32_e32 v16, v16, v17
	s_delay_alu instid0(VALU_DEP_2) | instskip(SKIP_1) | instid1(VALU_DEP_2)
	v_fmac_f32_e32 v18, 0x32a5705f, v66
	v_cvt_i32_f32_e32 v17, v17
	v_add_f32_e32 v16, v16, v18
	s_delay_alu instid0(VALU_DEP_1) | instskip(SKIP_2) | instid1(VALU_DEP_1)
	v_exp_f32_e32 v16, v16
	s_waitcnt_depctr 0xfff
	v_ldexp_f32 v16, v16, v17
	v_cndmask_b32_e32 v16, 0, v16, vcc_lo
	v_cmp_nlt_f32_e32 vcc_lo, 0x42b17218, v66
	s_delay_alu instid0(VALU_DEP_2) | instskip(NEXT) | instid1(VALU_DEP_1)
	v_cndmask_b32_e32 v18, 0x7f800000, v16, vcc_lo
	v_add_f32_e32 v19, 1.0, v18
	s_delay_alu instid0(VALU_DEP_1) | instskip(NEXT) | instid1(VALU_DEP_1)
	v_cvt_f64_f32_e32 v[16:17], v19
	v_frexp_exp_i32_f64_e32 v16, v[16:17]
	v_frexp_mant_f32_e32 v17, v19
	s_delay_alu instid0(VALU_DEP_1) | instskip(SKIP_1) | instid1(VALU_DEP_1)
	v_cmp_gt_f32_e32 vcc_lo, 0x3f2aaaab, v17
	v_add_f32_e32 v17, -1.0, v19
	v_sub_f32_e32 v21, v17, v19
	v_sub_f32_e32 v17, v18, v17
	s_delay_alu instid0(VALU_DEP_2) | instskip(NEXT) | instid1(VALU_DEP_1)
	v_add_f32_e32 v21, 1.0, v21
	v_add_f32_e32 v17, v17, v21
	v_cmp_gt_f32_e64 s15, 0x33800000, v18
	v_subrev_co_ci_u32_e32 v16, vcc_lo, 0, v16, vcc_lo
	v_cmp_eq_f32_e32 vcc_lo, 0x7f800000, v18
	s_delay_alu instid0(VALU_DEP_2) | instskip(SKIP_2) | instid1(VALU_DEP_2)
	v_sub_nc_u32_e32 v20, 0, v16
	v_cvt_f32_i32_e32 v16, v16
	s_or_b32 vcc_lo, s15, vcc_lo
	v_ldexp_f32 v19, v19, v20
	v_ldexp_f32 v17, v17, v20
	s_delay_alu instid0(VALU_DEP_2) | instskip(NEXT) | instid1(VALU_DEP_1)
	v_add_f32_e32 v22, 1.0, v19
	v_dual_add_f32 v20, -1.0, v19 :: v_dual_add_f32 v21, -1.0, v22
	s_delay_alu instid0(VALU_DEP_1) | instskip(NEXT) | instid1(VALU_DEP_2)
	v_add_f32_e32 v23, 1.0, v20
	v_sub_f32_e32 v21, v19, v21
	s_delay_alu instid0(VALU_DEP_2) | instskip(NEXT) | instid1(VALU_DEP_2)
	v_sub_f32_e32 v19, v19, v23
	v_add_f32_e32 v21, v17, v21
	s_delay_alu instid0(VALU_DEP_2) | instskip(NEXT) | instid1(VALU_DEP_1)
	v_add_f32_e32 v17, v17, v19
	v_add_f32_e32 v24, v20, v17
	s_delay_alu instid0(VALU_DEP_1) | instskip(NEXT) | instid1(VALU_DEP_1)
	v_dual_add_f32 v23, v22, v21 :: v_dual_sub_f32 v20, v20, v24
	v_rcp_f32_e32 v19, v23
	v_sub_f32_e32 v22, v22, v23
	s_delay_alu instid0(VALU_DEP_1) | instskip(SKIP_2) | instid1(VALU_DEP_1)
	v_add_f32_e32 v21, v21, v22
	s_waitcnt_depctr 0xfff
	v_mul_f32_e32 v25, v24, v19
	v_mul_f32_e32 v26, v23, v25
	s_delay_alu instid0(VALU_DEP_1) | instskip(NEXT) | instid1(VALU_DEP_1)
	v_fma_f32 v22, v25, v23, -v26
	v_fmac_f32_e32 v22, v25, v21
	s_delay_alu instid0(VALU_DEP_1) | instskip(NEXT) | instid1(VALU_DEP_1)
	v_add_f32_e32 v27, v26, v22
	v_sub_f32_e32 v28, v24, v27
	s_delay_alu instid0(VALU_DEP_1) | instskip(SKIP_1) | instid1(VALU_DEP_2)
	v_sub_f32_e32 v24, v24, v28
	v_dual_add_f32 v17, v17, v20 :: v_dual_sub_f32 v20, v27, v26
	v_sub_f32_e32 v24, v24, v27
	s_delay_alu instid0(VALU_DEP_1) | instskip(NEXT) | instid1(VALU_DEP_1)
	v_dual_sub_f32 v20, v20, v22 :: v_dual_add_f32 v17, v17, v24
	v_add_f32_e32 v17, v20, v17
	s_delay_alu instid0(VALU_DEP_1) | instskip(NEXT) | instid1(VALU_DEP_1)
	v_add_f32_e32 v20, v28, v17
	v_mul_f32_e32 v22, v19, v20
	s_delay_alu instid0(VALU_DEP_1) | instskip(NEXT) | instid1(VALU_DEP_1)
	v_dual_sub_f32 v27, v28, v20 :: v_dual_mul_f32 v24, v23, v22
	v_add_f32_e32 v17, v17, v27
	s_delay_alu instid0(VALU_DEP_2) | instskip(NEXT) | instid1(VALU_DEP_1)
	v_fma_f32 v23, v22, v23, -v24
	v_fmac_f32_e32 v23, v22, v21
	s_delay_alu instid0(VALU_DEP_1) | instskip(NEXT) | instid1(VALU_DEP_1)
	v_add_f32_e32 v21, v24, v23
	v_sub_f32_e32 v26, v20, v21
	s_delay_alu instid0(VALU_DEP_1) | instskip(NEXT) | instid1(VALU_DEP_1)
	v_sub_f32_e32 v20, v20, v26
	v_sub_f32_e32 v20, v20, v21
	s_delay_alu instid0(VALU_DEP_1) | instskip(SKIP_2) | instid1(VALU_DEP_1)
	v_add_f32_e32 v17, v17, v20
	v_add_f32_e32 v20, v25, v22
	v_sub_f32_e32 v24, v21, v24
	v_sub_f32_e32 v21, v24, v23
	s_delay_alu instid0(VALU_DEP_1) | instskip(NEXT) | instid1(VALU_DEP_4)
	v_add_f32_e32 v17, v21, v17
	v_sub_f32_e32 v21, v20, v25
	s_delay_alu instid0(VALU_DEP_2) | instskip(NEXT) | instid1(VALU_DEP_2)
	v_add_f32_e32 v17, v26, v17
	v_sub_f32_e32 v21, v22, v21
	s_delay_alu instid0(VALU_DEP_2) | instskip(NEXT) | instid1(VALU_DEP_1)
	v_mul_f32_e32 v17, v19, v17
	v_add_f32_e32 v17, v21, v17
	s_delay_alu instid0(VALU_DEP_1) | instskip(NEXT) | instid1(VALU_DEP_1)
	v_add_f32_e32 v19, v20, v17
	v_mul_f32_e32 v21, v19, v19
	s_delay_alu instid0(VALU_DEP_1) | instskip(SKIP_1) | instid1(VALU_DEP_2)
	v_fmaak_f32 v22, s54, v21, 0x3ecc95a3
	v_mul_f32_e32 v23, v19, v21
	v_fmaak_f32 v21, v21, v22, 0x3f2aaada
	v_ldexp_f32 v22, v19, 1
	s_delay_alu instid0(VALU_DEP_2) | instskip(SKIP_1) | instid1(VALU_DEP_2)
	v_mul_f32_e32 v21, v23, v21
	v_sub_f32_e32 v19, v19, v20
	v_dual_mul_f32 v23, 0x3f317218, v16 :: v_dual_add_f32 v20, v22, v21
	s_delay_alu instid0(VALU_DEP_2) | instskip(NEXT) | instid1(VALU_DEP_2)
	v_sub_f32_e32 v17, v17, v19
	v_sub_f32_e32 v19, v20, v22
	s_delay_alu instid0(VALU_DEP_3) | instskip(NEXT) | instid1(VALU_DEP_3)
	v_fma_f32 v22, 0x3f317218, v16, -v23
	v_ldexp_f32 v17, v17, 1
	s_delay_alu instid0(VALU_DEP_2) | instskip(NEXT) | instid1(VALU_DEP_1)
	v_dual_sub_f32 v19, v21, v19 :: v_dual_fmac_f32 v22, 0xb102e308, v16
	v_dual_add_f32 v16, v17, v19 :: v_dual_add_f32 v17, v23, v22
	s_delay_alu instid0(VALU_DEP_1) | instskip(NEXT) | instid1(VALU_DEP_1)
	v_add_f32_e32 v19, v20, v16
	v_dual_add_f32 v21, v17, v19 :: v_dual_sub_f32 v20, v19, v20
	s_delay_alu instid0(VALU_DEP_1) | instskip(NEXT) | instid1(VALU_DEP_2)
	v_sub_f32_e32 v24, v21, v17
	v_dual_sub_f32 v23, v17, v23 :: v_dual_sub_f32 v16, v16, v20
	s_delay_alu instid0(VALU_DEP_1) | instskip(SKIP_1) | instid1(VALU_DEP_2)
	v_dual_sub_f32 v25, v21, v24 :: v_dual_sub_f32 v22, v22, v23
	v_sub_f32_e32 v19, v19, v24
	v_dual_sub_f32 v17, v17, v25 :: v_dual_add_f32 v20, v22, v16
	s_delay_alu instid0(VALU_DEP_1) | instskip(NEXT) | instid1(VALU_DEP_2)
	v_add_f32_e32 v17, v19, v17
	v_sub_f32_e32 v19, v20, v22
	s_delay_alu instid0(VALU_DEP_2) | instskip(NEXT) | instid1(VALU_DEP_2)
	v_add_f32_e32 v17, v20, v17
	v_sub_f32_e32 v20, v20, v19
	s_delay_alu instid0(VALU_DEP_2) | instskip(NEXT) | instid1(VALU_DEP_1)
	v_dual_sub_f32 v16, v16, v19 :: v_dual_add_f32 v23, v21, v17
	v_dual_sub_f32 v20, v22, v20 :: v_dual_sub_f32 v19, v23, v21
	s_delay_alu instid0(VALU_DEP_1) | instskip(NEXT) | instid1(VALU_DEP_1)
	v_dual_add_f32 v16, v16, v20 :: v_dual_sub_f32 v17, v17, v19
	v_add_f32_e32 v16, v16, v17
	s_delay_alu instid0(VALU_DEP_1) | instskip(NEXT) | instid1(VALU_DEP_1)
	v_add_f32_e32 v16, v23, v16
	v_cndmask_b32_e32 v66, v16, v18, vcc_lo
.LBB27_28:                              ;   in Loop: Header=BB27_12 Depth=1
	s_or_b32 exec_lo, exec_lo, s16
	v_lshlrev_b32_e32 v16, 16, v6
	s_delay_alu instid0(VALU_DEP_1) | instskip(NEXT) | instid1(VALU_DEP_1)
	v_add_f32_e32 v67, s57, v16
	v_cmp_ge_f32_e32 vcc_lo, 0x41a00000, v67
	s_and_b32 s15, s67, vcc_lo
	s_delay_alu instid0(SALU_CYCLE_1)
	s_and_saveexec_b32 s16, s15
	s_cbranch_execz .LBB27_30
; %bb.29:                               ;   in Loop: Header=BB27_12 Depth=1
	v_mul_f32_e32 v16, 0x3fb8aa3b, v67
	v_cmp_ngt_f32_e32 vcc_lo, 0xc2ce8ed0, v67
	s_delay_alu instid0(VALU_DEP_2) | instskip(SKIP_1) | instid1(VALU_DEP_2)
	v_rndne_f32_e32 v17, v16
	v_fma_f32 v18, 0x3fb8aa3b, v67, -v16
	v_sub_f32_e32 v16, v16, v17
	s_delay_alu instid0(VALU_DEP_2) | instskip(SKIP_1) | instid1(VALU_DEP_2)
	v_fmac_f32_e32 v18, 0x32a5705f, v67
	v_cvt_i32_f32_e32 v17, v17
	v_add_f32_e32 v16, v16, v18
	s_delay_alu instid0(VALU_DEP_1) | instskip(SKIP_2) | instid1(VALU_DEP_1)
	v_exp_f32_e32 v16, v16
	s_waitcnt_depctr 0xfff
	v_ldexp_f32 v16, v16, v17
	v_cndmask_b32_e32 v16, 0, v16, vcc_lo
	v_cmp_nlt_f32_e32 vcc_lo, 0x42b17218, v67
	s_delay_alu instid0(VALU_DEP_2) | instskip(NEXT) | instid1(VALU_DEP_1)
	v_cndmask_b32_e32 v18, 0x7f800000, v16, vcc_lo
	v_add_f32_e32 v19, 1.0, v18
	s_delay_alu instid0(VALU_DEP_1) | instskip(NEXT) | instid1(VALU_DEP_1)
	v_cvt_f64_f32_e32 v[16:17], v19
	v_frexp_exp_i32_f64_e32 v16, v[16:17]
	v_frexp_mant_f32_e32 v17, v19
	s_delay_alu instid0(VALU_DEP_1) | instskip(SKIP_1) | instid1(VALU_DEP_1)
	v_cmp_gt_f32_e32 vcc_lo, 0x3f2aaaab, v17
	v_add_f32_e32 v17, -1.0, v19
	v_sub_f32_e32 v21, v17, v19
	v_sub_f32_e32 v17, v18, v17
	s_delay_alu instid0(VALU_DEP_2) | instskip(NEXT) | instid1(VALU_DEP_1)
	v_add_f32_e32 v21, 1.0, v21
	v_add_f32_e32 v17, v17, v21
	v_cmp_gt_f32_e64 s15, 0x33800000, v18
	v_subrev_co_ci_u32_e32 v16, vcc_lo, 0, v16, vcc_lo
	v_cmp_eq_f32_e32 vcc_lo, 0x7f800000, v18
	s_delay_alu instid0(VALU_DEP_2) | instskip(SKIP_2) | instid1(VALU_DEP_2)
	v_sub_nc_u32_e32 v20, 0, v16
	v_cvt_f32_i32_e32 v16, v16
	s_or_b32 vcc_lo, s15, vcc_lo
	v_ldexp_f32 v19, v19, v20
	v_ldexp_f32 v17, v17, v20
	s_delay_alu instid0(VALU_DEP_2) | instskip(NEXT) | instid1(VALU_DEP_1)
	v_add_f32_e32 v22, 1.0, v19
	v_dual_add_f32 v20, -1.0, v19 :: v_dual_add_f32 v21, -1.0, v22
	s_delay_alu instid0(VALU_DEP_1) | instskip(NEXT) | instid1(VALU_DEP_2)
	v_add_f32_e32 v23, 1.0, v20
	v_sub_f32_e32 v21, v19, v21
	s_delay_alu instid0(VALU_DEP_2) | instskip(NEXT) | instid1(VALU_DEP_2)
	v_sub_f32_e32 v19, v19, v23
	v_add_f32_e32 v21, v17, v21
	s_delay_alu instid0(VALU_DEP_2) | instskip(NEXT) | instid1(VALU_DEP_1)
	v_add_f32_e32 v17, v17, v19
	v_add_f32_e32 v24, v20, v17
	s_delay_alu instid0(VALU_DEP_1) | instskip(NEXT) | instid1(VALU_DEP_1)
	v_dual_add_f32 v23, v22, v21 :: v_dual_sub_f32 v20, v20, v24
	v_rcp_f32_e32 v19, v23
	v_sub_f32_e32 v22, v22, v23
	s_delay_alu instid0(VALU_DEP_1) | instskip(SKIP_2) | instid1(VALU_DEP_1)
	v_add_f32_e32 v21, v21, v22
	s_waitcnt_depctr 0xfff
	v_mul_f32_e32 v25, v24, v19
	v_mul_f32_e32 v26, v23, v25
	s_delay_alu instid0(VALU_DEP_1) | instskip(NEXT) | instid1(VALU_DEP_1)
	v_fma_f32 v22, v25, v23, -v26
	v_fmac_f32_e32 v22, v25, v21
	s_delay_alu instid0(VALU_DEP_1) | instskip(NEXT) | instid1(VALU_DEP_1)
	v_add_f32_e32 v27, v26, v22
	v_sub_f32_e32 v28, v24, v27
	s_delay_alu instid0(VALU_DEP_1) | instskip(SKIP_1) | instid1(VALU_DEP_2)
	v_sub_f32_e32 v24, v24, v28
	v_dual_add_f32 v17, v17, v20 :: v_dual_sub_f32 v20, v27, v26
	v_sub_f32_e32 v24, v24, v27
	s_delay_alu instid0(VALU_DEP_1) | instskip(NEXT) | instid1(VALU_DEP_1)
	v_dual_sub_f32 v20, v20, v22 :: v_dual_add_f32 v17, v17, v24
	v_add_f32_e32 v17, v20, v17
	s_delay_alu instid0(VALU_DEP_1) | instskip(NEXT) | instid1(VALU_DEP_1)
	v_add_f32_e32 v20, v28, v17
	v_mul_f32_e32 v22, v19, v20
	s_delay_alu instid0(VALU_DEP_1) | instskip(NEXT) | instid1(VALU_DEP_1)
	v_dual_sub_f32 v27, v28, v20 :: v_dual_mul_f32 v24, v23, v22
	v_add_f32_e32 v17, v17, v27
	s_delay_alu instid0(VALU_DEP_2) | instskip(NEXT) | instid1(VALU_DEP_1)
	v_fma_f32 v23, v22, v23, -v24
	v_fmac_f32_e32 v23, v22, v21
	s_delay_alu instid0(VALU_DEP_1) | instskip(NEXT) | instid1(VALU_DEP_1)
	v_add_f32_e32 v21, v24, v23
	v_sub_f32_e32 v26, v20, v21
	s_delay_alu instid0(VALU_DEP_1) | instskip(NEXT) | instid1(VALU_DEP_1)
	v_sub_f32_e32 v20, v20, v26
	v_sub_f32_e32 v20, v20, v21
	s_delay_alu instid0(VALU_DEP_1) | instskip(SKIP_2) | instid1(VALU_DEP_1)
	v_add_f32_e32 v17, v17, v20
	v_add_f32_e32 v20, v25, v22
	v_sub_f32_e32 v24, v21, v24
	v_sub_f32_e32 v21, v24, v23
	s_delay_alu instid0(VALU_DEP_1) | instskip(NEXT) | instid1(VALU_DEP_4)
	v_add_f32_e32 v17, v21, v17
	v_sub_f32_e32 v21, v20, v25
	s_delay_alu instid0(VALU_DEP_2) | instskip(NEXT) | instid1(VALU_DEP_2)
	v_add_f32_e32 v17, v26, v17
	v_sub_f32_e32 v21, v22, v21
	s_delay_alu instid0(VALU_DEP_2) | instskip(NEXT) | instid1(VALU_DEP_1)
	v_mul_f32_e32 v17, v19, v17
	v_add_f32_e32 v17, v21, v17
	s_delay_alu instid0(VALU_DEP_1) | instskip(NEXT) | instid1(VALU_DEP_1)
	v_add_f32_e32 v19, v20, v17
	v_mul_f32_e32 v21, v19, v19
	s_delay_alu instid0(VALU_DEP_1) | instskip(SKIP_1) | instid1(VALU_DEP_2)
	v_fmaak_f32 v22, s54, v21, 0x3ecc95a3
	v_mul_f32_e32 v23, v19, v21
	v_fmaak_f32 v21, v21, v22, 0x3f2aaada
	v_ldexp_f32 v22, v19, 1
	s_delay_alu instid0(VALU_DEP_2) | instskip(SKIP_1) | instid1(VALU_DEP_2)
	v_mul_f32_e32 v21, v23, v21
	v_sub_f32_e32 v19, v19, v20
	v_dual_mul_f32 v23, 0x3f317218, v16 :: v_dual_add_f32 v20, v22, v21
	s_delay_alu instid0(VALU_DEP_2) | instskip(NEXT) | instid1(VALU_DEP_2)
	v_sub_f32_e32 v17, v17, v19
	v_sub_f32_e32 v19, v20, v22
	s_delay_alu instid0(VALU_DEP_3) | instskip(NEXT) | instid1(VALU_DEP_3)
	v_fma_f32 v22, 0x3f317218, v16, -v23
	v_ldexp_f32 v17, v17, 1
	s_delay_alu instid0(VALU_DEP_2) | instskip(NEXT) | instid1(VALU_DEP_1)
	v_dual_sub_f32 v19, v21, v19 :: v_dual_fmac_f32 v22, 0xb102e308, v16
	v_dual_add_f32 v16, v17, v19 :: v_dual_add_f32 v17, v23, v22
	s_delay_alu instid0(VALU_DEP_1) | instskip(NEXT) | instid1(VALU_DEP_1)
	v_add_f32_e32 v19, v20, v16
	v_dual_add_f32 v21, v17, v19 :: v_dual_sub_f32 v20, v19, v20
	s_delay_alu instid0(VALU_DEP_1) | instskip(NEXT) | instid1(VALU_DEP_2)
	v_sub_f32_e32 v24, v21, v17
	v_dual_sub_f32 v23, v17, v23 :: v_dual_sub_f32 v16, v16, v20
	s_delay_alu instid0(VALU_DEP_1) | instskip(SKIP_1) | instid1(VALU_DEP_2)
	v_dual_sub_f32 v25, v21, v24 :: v_dual_sub_f32 v22, v22, v23
	v_sub_f32_e32 v19, v19, v24
	v_dual_sub_f32 v17, v17, v25 :: v_dual_add_f32 v20, v22, v16
	s_delay_alu instid0(VALU_DEP_1) | instskip(NEXT) | instid1(VALU_DEP_2)
	v_add_f32_e32 v17, v19, v17
	v_sub_f32_e32 v19, v20, v22
	s_delay_alu instid0(VALU_DEP_2) | instskip(NEXT) | instid1(VALU_DEP_2)
	v_add_f32_e32 v17, v20, v17
	v_sub_f32_e32 v20, v20, v19
	s_delay_alu instid0(VALU_DEP_2) | instskip(NEXT) | instid1(VALU_DEP_1)
	v_dual_sub_f32 v16, v16, v19 :: v_dual_add_f32 v23, v21, v17
	v_dual_sub_f32 v20, v22, v20 :: v_dual_sub_f32 v19, v23, v21
	s_delay_alu instid0(VALU_DEP_1) | instskip(NEXT) | instid1(VALU_DEP_1)
	v_dual_add_f32 v16, v16, v20 :: v_dual_sub_f32 v17, v17, v19
	v_add_f32_e32 v16, v16, v17
	s_delay_alu instid0(VALU_DEP_1) | instskip(NEXT) | instid1(VALU_DEP_1)
	v_add_f32_e32 v16, v23, v16
	v_cndmask_b32_e32 v67, v16, v18, vcc_lo
.LBB27_30:                              ;   in Loop: Header=BB27_12 Depth=1
	s_or_b32 exec_lo, exec_lo, s16
	v_and_b32_e32 v16, 0xffff0000, v6
	s_delay_alu instid0(VALU_DEP_1) | instskip(NEXT) | instid1(VALU_DEP_1)
	v_add_f32_e32 v68, s57, v16
	v_cmp_ge_f32_e32 vcc_lo, 0x41a00000, v68
	s_and_b32 s15, s67, vcc_lo
	s_delay_alu instid0(SALU_CYCLE_1)
	s_and_saveexec_b32 s16, s15
	s_cbranch_execz .LBB27_32
; %bb.31:                               ;   in Loop: Header=BB27_12 Depth=1
	v_mul_f32_e32 v16, 0x3fb8aa3b, v68
	v_cmp_ngt_f32_e32 vcc_lo, 0xc2ce8ed0, v68
	s_delay_alu instid0(VALU_DEP_2) | instskip(SKIP_1) | instid1(VALU_DEP_2)
	v_rndne_f32_e32 v17, v16
	v_fma_f32 v18, 0x3fb8aa3b, v68, -v16
	v_sub_f32_e32 v16, v16, v17
	s_delay_alu instid0(VALU_DEP_2) | instskip(SKIP_1) | instid1(VALU_DEP_2)
	v_fmac_f32_e32 v18, 0x32a5705f, v68
	v_cvt_i32_f32_e32 v17, v17
	v_add_f32_e32 v16, v16, v18
	s_delay_alu instid0(VALU_DEP_1) | instskip(SKIP_2) | instid1(VALU_DEP_1)
	v_exp_f32_e32 v16, v16
	s_waitcnt_depctr 0xfff
	v_ldexp_f32 v16, v16, v17
	v_cndmask_b32_e32 v16, 0, v16, vcc_lo
	v_cmp_nlt_f32_e32 vcc_lo, 0x42b17218, v68
	s_delay_alu instid0(VALU_DEP_2) | instskip(NEXT) | instid1(VALU_DEP_1)
	v_cndmask_b32_e32 v18, 0x7f800000, v16, vcc_lo
	v_add_f32_e32 v19, 1.0, v18
	s_delay_alu instid0(VALU_DEP_1) | instskip(NEXT) | instid1(VALU_DEP_1)
	v_cvt_f64_f32_e32 v[16:17], v19
	v_frexp_exp_i32_f64_e32 v16, v[16:17]
	v_frexp_mant_f32_e32 v17, v19
	s_delay_alu instid0(VALU_DEP_1) | instskip(SKIP_1) | instid1(VALU_DEP_1)
	v_cmp_gt_f32_e32 vcc_lo, 0x3f2aaaab, v17
	v_add_f32_e32 v17, -1.0, v19
	v_sub_f32_e32 v21, v17, v19
	v_sub_f32_e32 v17, v18, v17
	s_delay_alu instid0(VALU_DEP_2) | instskip(NEXT) | instid1(VALU_DEP_1)
	v_add_f32_e32 v21, 1.0, v21
	v_add_f32_e32 v17, v17, v21
	v_cmp_gt_f32_e64 s15, 0x33800000, v18
	v_subrev_co_ci_u32_e32 v16, vcc_lo, 0, v16, vcc_lo
	v_cmp_eq_f32_e32 vcc_lo, 0x7f800000, v18
	s_delay_alu instid0(VALU_DEP_2) | instskip(SKIP_2) | instid1(VALU_DEP_2)
	v_sub_nc_u32_e32 v20, 0, v16
	v_cvt_f32_i32_e32 v16, v16
	s_or_b32 vcc_lo, s15, vcc_lo
	v_ldexp_f32 v19, v19, v20
	v_ldexp_f32 v17, v17, v20
	s_delay_alu instid0(VALU_DEP_2) | instskip(NEXT) | instid1(VALU_DEP_1)
	v_add_f32_e32 v22, 1.0, v19
	v_dual_add_f32 v20, -1.0, v19 :: v_dual_add_f32 v21, -1.0, v22
	s_delay_alu instid0(VALU_DEP_1) | instskip(NEXT) | instid1(VALU_DEP_2)
	v_add_f32_e32 v23, 1.0, v20
	v_sub_f32_e32 v21, v19, v21
	s_delay_alu instid0(VALU_DEP_2) | instskip(NEXT) | instid1(VALU_DEP_2)
	v_sub_f32_e32 v19, v19, v23
	v_add_f32_e32 v21, v17, v21
	s_delay_alu instid0(VALU_DEP_2) | instskip(NEXT) | instid1(VALU_DEP_1)
	v_add_f32_e32 v17, v17, v19
	v_add_f32_e32 v24, v20, v17
	s_delay_alu instid0(VALU_DEP_1) | instskip(NEXT) | instid1(VALU_DEP_1)
	v_dual_add_f32 v23, v22, v21 :: v_dual_sub_f32 v20, v20, v24
	v_rcp_f32_e32 v19, v23
	v_sub_f32_e32 v22, v22, v23
	s_delay_alu instid0(VALU_DEP_1) | instskip(SKIP_2) | instid1(VALU_DEP_1)
	v_add_f32_e32 v21, v21, v22
	s_waitcnt_depctr 0xfff
	v_mul_f32_e32 v25, v24, v19
	v_mul_f32_e32 v26, v23, v25
	s_delay_alu instid0(VALU_DEP_1) | instskip(NEXT) | instid1(VALU_DEP_1)
	v_fma_f32 v22, v25, v23, -v26
	v_fmac_f32_e32 v22, v25, v21
	s_delay_alu instid0(VALU_DEP_1) | instskip(NEXT) | instid1(VALU_DEP_1)
	v_add_f32_e32 v27, v26, v22
	v_sub_f32_e32 v28, v24, v27
	s_delay_alu instid0(VALU_DEP_1) | instskip(SKIP_1) | instid1(VALU_DEP_2)
	v_sub_f32_e32 v24, v24, v28
	v_dual_add_f32 v17, v17, v20 :: v_dual_sub_f32 v20, v27, v26
	v_sub_f32_e32 v24, v24, v27
	s_delay_alu instid0(VALU_DEP_1) | instskip(NEXT) | instid1(VALU_DEP_1)
	v_dual_sub_f32 v20, v20, v22 :: v_dual_add_f32 v17, v17, v24
	v_add_f32_e32 v17, v20, v17
	s_delay_alu instid0(VALU_DEP_1) | instskip(NEXT) | instid1(VALU_DEP_1)
	v_add_f32_e32 v20, v28, v17
	v_mul_f32_e32 v22, v19, v20
	s_delay_alu instid0(VALU_DEP_1) | instskip(NEXT) | instid1(VALU_DEP_1)
	v_dual_sub_f32 v27, v28, v20 :: v_dual_mul_f32 v24, v23, v22
	v_add_f32_e32 v17, v17, v27
	s_delay_alu instid0(VALU_DEP_2) | instskip(NEXT) | instid1(VALU_DEP_1)
	v_fma_f32 v23, v22, v23, -v24
	v_fmac_f32_e32 v23, v22, v21
	s_delay_alu instid0(VALU_DEP_1) | instskip(NEXT) | instid1(VALU_DEP_1)
	v_add_f32_e32 v21, v24, v23
	v_sub_f32_e32 v26, v20, v21
	s_delay_alu instid0(VALU_DEP_1) | instskip(NEXT) | instid1(VALU_DEP_1)
	v_sub_f32_e32 v20, v20, v26
	v_sub_f32_e32 v20, v20, v21
	s_delay_alu instid0(VALU_DEP_1) | instskip(SKIP_2) | instid1(VALU_DEP_1)
	v_add_f32_e32 v17, v17, v20
	v_add_f32_e32 v20, v25, v22
	v_sub_f32_e32 v24, v21, v24
	v_sub_f32_e32 v21, v24, v23
	s_delay_alu instid0(VALU_DEP_1) | instskip(NEXT) | instid1(VALU_DEP_4)
	v_add_f32_e32 v17, v21, v17
	v_sub_f32_e32 v21, v20, v25
	s_delay_alu instid0(VALU_DEP_2) | instskip(NEXT) | instid1(VALU_DEP_2)
	v_add_f32_e32 v17, v26, v17
	v_sub_f32_e32 v21, v22, v21
	s_delay_alu instid0(VALU_DEP_2) | instskip(NEXT) | instid1(VALU_DEP_1)
	v_mul_f32_e32 v17, v19, v17
	v_add_f32_e32 v17, v21, v17
	s_delay_alu instid0(VALU_DEP_1) | instskip(NEXT) | instid1(VALU_DEP_1)
	v_add_f32_e32 v19, v20, v17
	v_mul_f32_e32 v21, v19, v19
	s_delay_alu instid0(VALU_DEP_1) | instskip(SKIP_1) | instid1(VALU_DEP_2)
	v_fmaak_f32 v22, s54, v21, 0x3ecc95a3
	v_mul_f32_e32 v23, v19, v21
	v_fmaak_f32 v21, v21, v22, 0x3f2aaada
	v_ldexp_f32 v22, v19, 1
	s_delay_alu instid0(VALU_DEP_2) | instskip(SKIP_1) | instid1(VALU_DEP_2)
	v_mul_f32_e32 v21, v23, v21
	v_sub_f32_e32 v19, v19, v20
	v_dual_mul_f32 v23, 0x3f317218, v16 :: v_dual_add_f32 v20, v22, v21
	s_delay_alu instid0(VALU_DEP_2) | instskip(NEXT) | instid1(VALU_DEP_2)
	v_sub_f32_e32 v17, v17, v19
	v_sub_f32_e32 v19, v20, v22
	s_delay_alu instid0(VALU_DEP_3) | instskip(NEXT) | instid1(VALU_DEP_3)
	v_fma_f32 v22, 0x3f317218, v16, -v23
	v_ldexp_f32 v17, v17, 1
	s_delay_alu instid0(VALU_DEP_2) | instskip(NEXT) | instid1(VALU_DEP_1)
	v_dual_sub_f32 v19, v21, v19 :: v_dual_fmac_f32 v22, 0xb102e308, v16
	v_dual_add_f32 v16, v17, v19 :: v_dual_add_f32 v17, v23, v22
	s_delay_alu instid0(VALU_DEP_1) | instskip(NEXT) | instid1(VALU_DEP_1)
	v_add_f32_e32 v19, v20, v16
	v_dual_add_f32 v21, v17, v19 :: v_dual_sub_f32 v20, v19, v20
	s_delay_alu instid0(VALU_DEP_1) | instskip(NEXT) | instid1(VALU_DEP_2)
	v_sub_f32_e32 v24, v21, v17
	v_dual_sub_f32 v23, v17, v23 :: v_dual_sub_f32 v16, v16, v20
	s_delay_alu instid0(VALU_DEP_1) | instskip(SKIP_1) | instid1(VALU_DEP_2)
	v_dual_sub_f32 v25, v21, v24 :: v_dual_sub_f32 v22, v22, v23
	v_sub_f32_e32 v19, v19, v24
	v_dual_sub_f32 v17, v17, v25 :: v_dual_add_f32 v20, v22, v16
	s_delay_alu instid0(VALU_DEP_1) | instskip(NEXT) | instid1(VALU_DEP_2)
	v_add_f32_e32 v17, v19, v17
	v_sub_f32_e32 v19, v20, v22
	s_delay_alu instid0(VALU_DEP_2) | instskip(NEXT) | instid1(VALU_DEP_2)
	v_add_f32_e32 v17, v20, v17
	v_sub_f32_e32 v20, v20, v19
	s_delay_alu instid0(VALU_DEP_2) | instskip(NEXT) | instid1(VALU_DEP_1)
	v_dual_sub_f32 v16, v16, v19 :: v_dual_add_f32 v23, v21, v17
	v_dual_sub_f32 v20, v22, v20 :: v_dual_sub_f32 v19, v23, v21
	s_delay_alu instid0(VALU_DEP_1) | instskip(NEXT) | instid1(VALU_DEP_1)
	v_dual_add_f32 v16, v16, v20 :: v_dual_sub_f32 v17, v17, v19
	v_add_f32_e32 v16, v16, v17
	s_delay_alu instid0(VALU_DEP_1) | instskip(NEXT) | instid1(VALU_DEP_1)
	v_add_f32_e32 v16, v23, v16
	v_cndmask_b32_e32 v68, v16, v18, vcc_lo
.LBB27_32:                              ;   in Loop: Header=BB27_12 Depth=1
	s_or_b32 exec_lo, exec_lo, s16
	v_lshlrev_b32_e32 v16, 16, v7
	s_delay_alu instid0(VALU_DEP_1) | instskip(NEXT) | instid1(VALU_DEP_1)
	v_add_f32_e32 v69, s57, v16
	v_cmp_ge_f32_e32 vcc_lo, 0x41a00000, v69
	s_and_b32 s15, s67, vcc_lo
	s_delay_alu instid0(SALU_CYCLE_1)
	s_and_saveexec_b32 s16, s15
	s_cbranch_execz .LBB27_34
; %bb.33:                               ;   in Loop: Header=BB27_12 Depth=1
	v_mul_f32_e32 v16, 0x3fb8aa3b, v69
	v_cmp_ngt_f32_e32 vcc_lo, 0xc2ce8ed0, v69
	s_delay_alu instid0(VALU_DEP_2) | instskip(SKIP_1) | instid1(VALU_DEP_2)
	v_rndne_f32_e32 v17, v16
	v_fma_f32 v18, 0x3fb8aa3b, v69, -v16
	v_sub_f32_e32 v16, v16, v17
	s_delay_alu instid0(VALU_DEP_2) | instskip(SKIP_1) | instid1(VALU_DEP_2)
	v_fmac_f32_e32 v18, 0x32a5705f, v69
	v_cvt_i32_f32_e32 v17, v17
	v_add_f32_e32 v16, v16, v18
	s_delay_alu instid0(VALU_DEP_1) | instskip(SKIP_2) | instid1(VALU_DEP_1)
	v_exp_f32_e32 v16, v16
	s_waitcnt_depctr 0xfff
	v_ldexp_f32 v16, v16, v17
	v_cndmask_b32_e32 v16, 0, v16, vcc_lo
	v_cmp_nlt_f32_e32 vcc_lo, 0x42b17218, v69
	s_delay_alu instid0(VALU_DEP_2) | instskip(NEXT) | instid1(VALU_DEP_1)
	v_cndmask_b32_e32 v18, 0x7f800000, v16, vcc_lo
	v_add_f32_e32 v19, 1.0, v18
	s_delay_alu instid0(VALU_DEP_1) | instskip(NEXT) | instid1(VALU_DEP_1)
	v_cvt_f64_f32_e32 v[16:17], v19
	v_frexp_exp_i32_f64_e32 v16, v[16:17]
	v_frexp_mant_f32_e32 v17, v19
	s_delay_alu instid0(VALU_DEP_1) | instskip(SKIP_1) | instid1(VALU_DEP_1)
	v_cmp_gt_f32_e32 vcc_lo, 0x3f2aaaab, v17
	v_add_f32_e32 v17, -1.0, v19
	v_sub_f32_e32 v21, v17, v19
	v_sub_f32_e32 v17, v18, v17
	s_delay_alu instid0(VALU_DEP_2) | instskip(NEXT) | instid1(VALU_DEP_1)
	v_add_f32_e32 v21, 1.0, v21
	v_add_f32_e32 v17, v17, v21
	v_cmp_gt_f32_e64 s15, 0x33800000, v18
	v_subrev_co_ci_u32_e32 v16, vcc_lo, 0, v16, vcc_lo
	v_cmp_eq_f32_e32 vcc_lo, 0x7f800000, v18
	s_delay_alu instid0(VALU_DEP_2) | instskip(SKIP_2) | instid1(VALU_DEP_2)
	v_sub_nc_u32_e32 v20, 0, v16
	v_cvt_f32_i32_e32 v16, v16
	s_or_b32 vcc_lo, s15, vcc_lo
	v_ldexp_f32 v19, v19, v20
	v_ldexp_f32 v17, v17, v20
	s_delay_alu instid0(VALU_DEP_2) | instskip(NEXT) | instid1(VALU_DEP_1)
	v_add_f32_e32 v22, 1.0, v19
	v_dual_add_f32 v20, -1.0, v19 :: v_dual_add_f32 v21, -1.0, v22
	s_delay_alu instid0(VALU_DEP_1) | instskip(NEXT) | instid1(VALU_DEP_2)
	v_add_f32_e32 v23, 1.0, v20
	v_sub_f32_e32 v21, v19, v21
	s_delay_alu instid0(VALU_DEP_2) | instskip(NEXT) | instid1(VALU_DEP_2)
	v_sub_f32_e32 v19, v19, v23
	v_add_f32_e32 v21, v17, v21
	s_delay_alu instid0(VALU_DEP_2) | instskip(NEXT) | instid1(VALU_DEP_1)
	v_add_f32_e32 v17, v17, v19
	v_add_f32_e32 v24, v20, v17
	s_delay_alu instid0(VALU_DEP_1) | instskip(NEXT) | instid1(VALU_DEP_1)
	v_dual_add_f32 v23, v22, v21 :: v_dual_sub_f32 v20, v20, v24
	v_rcp_f32_e32 v19, v23
	v_sub_f32_e32 v22, v22, v23
	s_delay_alu instid0(VALU_DEP_1) | instskip(SKIP_2) | instid1(VALU_DEP_1)
	v_add_f32_e32 v21, v21, v22
	s_waitcnt_depctr 0xfff
	v_mul_f32_e32 v25, v24, v19
	v_mul_f32_e32 v26, v23, v25
	s_delay_alu instid0(VALU_DEP_1) | instskip(NEXT) | instid1(VALU_DEP_1)
	v_fma_f32 v22, v25, v23, -v26
	v_fmac_f32_e32 v22, v25, v21
	s_delay_alu instid0(VALU_DEP_1) | instskip(NEXT) | instid1(VALU_DEP_1)
	v_add_f32_e32 v27, v26, v22
	v_sub_f32_e32 v28, v24, v27
	s_delay_alu instid0(VALU_DEP_1) | instskip(SKIP_1) | instid1(VALU_DEP_2)
	v_sub_f32_e32 v24, v24, v28
	v_dual_add_f32 v17, v17, v20 :: v_dual_sub_f32 v20, v27, v26
	v_sub_f32_e32 v24, v24, v27
	s_delay_alu instid0(VALU_DEP_1) | instskip(NEXT) | instid1(VALU_DEP_1)
	v_dual_sub_f32 v20, v20, v22 :: v_dual_add_f32 v17, v17, v24
	v_add_f32_e32 v17, v20, v17
	s_delay_alu instid0(VALU_DEP_1) | instskip(NEXT) | instid1(VALU_DEP_1)
	v_add_f32_e32 v20, v28, v17
	v_mul_f32_e32 v22, v19, v20
	s_delay_alu instid0(VALU_DEP_1) | instskip(NEXT) | instid1(VALU_DEP_1)
	v_dual_sub_f32 v27, v28, v20 :: v_dual_mul_f32 v24, v23, v22
	v_add_f32_e32 v17, v17, v27
	s_delay_alu instid0(VALU_DEP_2) | instskip(NEXT) | instid1(VALU_DEP_1)
	v_fma_f32 v23, v22, v23, -v24
	v_fmac_f32_e32 v23, v22, v21
	s_delay_alu instid0(VALU_DEP_1) | instskip(NEXT) | instid1(VALU_DEP_1)
	v_add_f32_e32 v21, v24, v23
	v_sub_f32_e32 v26, v20, v21
	s_delay_alu instid0(VALU_DEP_1) | instskip(NEXT) | instid1(VALU_DEP_1)
	v_sub_f32_e32 v20, v20, v26
	v_sub_f32_e32 v20, v20, v21
	s_delay_alu instid0(VALU_DEP_1) | instskip(SKIP_2) | instid1(VALU_DEP_1)
	v_add_f32_e32 v17, v17, v20
	v_add_f32_e32 v20, v25, v22
	v_sub_f32_e32 v24, v21, v24
	v_sub_f32_e32 v21, v24, v23
	s_delay_alu instid0(VALU_DEP_1) | instskip(NEXT) | instid1(VALU_DEP_4)
	v_add_f32_e32 v17, v21, v17
	v_sub_f32_e32 v21, v20, v25
	s_delay_alu instid0(VALU_DEP_2) | instskip(NEXT) | instid1(VALU_DEP_2)
	v_add_f32_e32 v17, v26, v17
	v_sub_f32_e32 v21, v22, v21
	s_delay_alu instid0(VALU_DEP_2) | instskip(NEXT) | instid1(VALU_DEP_1)
	v_mul_f32_e32 v17, v19, v17
	v_add_f32_e32 v17, v21, v17
	s_delay_alu instid0(VALU_DEP_1) | instskip(NEXT) | instid1(VALU_DEP_1)
	v_add_f32_e32 v19, v20, v17
	v_mul_f32_e32 v21, v19, v19
	s_delay_alu instid0(VALU_DEP_1) | instskip(SKIP_1) | instid1(VALU_DEP_2)
	v_fmaak_f32 v22, s54, v21, 0x3ecc95a3
	v_mul_f32_e32 v23, v19, v21
	v_fmaak_f32 v21, v21, v22, 0x3f2aaada
	v_ldexp_f32 v22, v19, 1
	s_delay_alu instid0(VALU_DEP_2) | instskip(SKIP_1) | instid1(VALU_DEP_2)
	v_mul_f32_e32 v21, v23, v21
	v_sub_f32_e32 v19, v19, v20
	v_dual_mul_f32 v23, 0x3f317218, v16 :: v_dual_add_f32 v20, v22, v21
	s_delay_alu instid0(VALU_DEP_2) | instskip(NEXT) | instid1(VALU_DEP_2)
	v_sub_f32_e32 v17, v17, v19
	v_sub_f32_e32 v19, v20, v22
	s_delay_alu instid0(VALU_DEP_3) | instskip(NEXT) | instid1(VALU_DEP_3)
	v_fma_f32 v22, 0x3f317218, v16, -v23
	v_ldexp_f32 v17, v17, 1
	s_delay_alu instid0(VALU_DEP_2) | instskip(NEXT) | instid1(VALU_DEP_1)
	v_dual_sub_f32 v19, v21, v19 :: v_dual_fmac_f32 v22, 0xb102e308, v16
	v_dual_add_f32 v16, v17, v19 :: v_dual_add_f32 v17, v23, v22
	s_delay_alu instid0(VALU_DEP_1) | instskip(NEXT) | instid1(VALU_DEP_1)
	v_add_f32_e32 v19, v20, v16
	v_dual_add_f32 v21, v17, v19 :: v_dual_sub_f32 v20, v19, v20
	s_delay_alu instid0(VALU_DEP_1) | instskip(NEXT) | instid1(VALU_DEP_2)
	v_sub_f32_e32 v24, v21, v17
	v_dual_sub_f32 v23, v17, v23 :: v_dual_sub_f32 v16, v16, v20
	s_delay_alu instid0(VALU_DEP_1) | instskip(SKIP_1) | instid1(VALU_DEP_2)
	v_dual_sub_f32 v25, v21, v24 :: v_dual_sub_f32 v22, v22, v23
	v_sub_f32_e32 v19, v19, v24
	v_dual_sub_f32 v17, v17, v25 :: v_dual_add_f32 v20, v22, v16
	s_delay_alu instid0(VALU_DEP_1) | instskip(NEXT) | instid1(VALU_DEP_2)
	v_add_f32_e32 v17, v19, v17
	v_sub_f32_e32 v19, v20, v22
	s_delay_alu instid0(VALU_DEP_2) | instskip(NEXT) | instid1(VALU_DEP_2)
	v_add_f32_e32 v17, v20, v17
	v_sub_f32_e32 v20, v20, v19
	s_delay_alu instid0(VALU_DEP_2) | instskip(NEXT) | instid1(VALU_DEP_1)
	v_dual_sub_f32 v16, v16, v19 :: v_dual_add_f32 v23, v21, v17
	v_dual_sub_f32 v20, v22, v20 :: v_dual_sub_f32 v19, v23, v21
	s_delay_alu instid0(VALU_DEP_1) | instskip(NEXT) | instid1(VALU_DEP_1)
	v_dual_add_f32 v16, v16, v20 :: v_dual_sub_f32 v17, v17, v19
	v_add_f32_e32 v16, v16, v17
	s_delay_alu instid0(VALU_DEP_1) | instskip(NEXT) | instid1(VALU_DEP_1)
	v_add_f32_e32 v16, v23, v16
	v_cndmask_b32_e32 v69, v16, v18, vcc_lo
.LBB27_34:                              ;   in Loop: Header=BB27_12 Depth=1
	s_or_b32 exec_lo, exec_lo, s16
	v_and_b32_e32 v16, 0xffff0000, v7
	s_delay_alu instid0(VALU_DEP_1) | instskip(NEXT) | instid1(VALU_DEP_1)
	v_add_f32_e32 v70, s57, v16
	v_cmp_ge_f32_e32 vcc_lo, 0x41a00000, v70
	s_and_b32 s15, s67, vcc_lo
	s_delay_alu instid0(SALU_CYCLE_1)
	s_and_saveexec_b32 s16, s15
	s_cbranch_execz .LBB27_36
; %bb.35:                               ;   in Loop: Header=BB27_12 Depth=1
	v_mul_f32_e32 v16, 0x3fb8aa3b, v70
	v_cmp_ngt_f32_e32 vcc_lo, 0xc2ce8ed0, v70
	s_delay_alu instid0(VALU_DEP_2) | instskip(SKIP_1) | instid1(VALU_DEP_2)
	v_rndne_f32_e32 v17, v16
	v_fma_f32 v18, 0x3fb8aa3b, v70, -v16
	v_sub_f32_e32 v16, v16, v17
	s_delay_alu instid0(VALU_DEP_2) | instskip(SKIP_1) | instid1(VALU_DEP_2)
	v_fmac_f32_e32 v18, 0x32a5705f, v70
	v_cvt_i32_f32_e32 v17, v17
	v_add_f32_e32 v16, v16, v18
	s_delay_alu instid0(VALU_DEP_1) | instskip(SKIP_2) | instid1(VALU_DEP_1)
	v_exp_f32_e32 v16, v16
	s_waitcnt_depctr 0xfff
	v_ldexp_f32 v16, v16, v17
	v_cndmask_b32_e32 v16, 0, v16, vcc_lo
	v_cmp_nlt_f32_e32 vcc_lo, 0x42b17218, v70
	s_delay_alu instid0(VALU_DEP_2) | instskip(NEXT) | instid1(VALU_DEP_1)
	v_cndmask_b32_e32 v18, 0x7f800000, v16, vcc_lo
	v_add_f32_e32 v19, 1.0, v18
	s_delay_alu instid0(VALU_DEP_1) | instskip(NEXT) | instid1(VALU_DEP_1)
	v_cvt_f64_f32_e32 v[16:17], v19
	v_frexp_exp_i32_f64_e32 v16, v[16:17]
	v_frexp_mant_f32_e32 v17, v19
	s_delay_alu instid0(VALU_DEP_1) | instskip(SKIP_1) | instid1(VALU_DEP_1)
	v_cmp_gt_f32_e32 vcc_lo, 0x3f2aaaab, v17
	v_add_f32_e32 v17, -1.0, v19
	v_sub_f32_e32 v21, v17, v19
	v_sub_f32_e32 v17, v18, v17
	s_delay_alu instid0(VALU_DEP_2) | instskip(NEXT) | instid1(VALU_DEP_1)
	v_add_f32_e32 v21, 1.0, v21
	v_add_f32_e32 v17, v17, v21
	v_cmp_gt_f32_e64 s15, 0x33800000, v18
	v_subrev_co_ci_u32_e32 v16, vcc_lo, 0, v16, vcc_lo
	v_cmp_eq_f32_e32 vcc_lo, 0x7f800000, v18
	s_delay_alu instid0(VALU_DEP_2) | instskip(SKIP_2) | instid1(VALU_DEP_2)
	v_sub_nc_u32_e32 v20, 0, v16
	v_cvt_f32_i32_e32 v16, v16
	s_or_b32 vcc_lo, s15, vcc_lo
	v_ldexp_f32 v19, v19, v20
	v_ldexp_f32 v17, v17, v20
	s_delay_alu instid0(VALU_DEP_2) | instskip(NEXT) | instid1(VALU_DEP_1)
	v_add_f32_e32 v22, 1.0, v19
	v_dual_add_f32 v20, -1.0, v19 :: v_dual_add_f32 v21, -1.0, v22
	s_delay_alu instid0(VALU_DEP_1) | instskip(NEXT) | instid1(VALU_DEP_2)
	v_add_f32_e32 v23, 1.0, v20
	v_sub_f32_e32 v21, v19, v21
	s_delay_alu instid0(VALU_DEP_2) | instskip(NEXT) | instid1(VALU_DEP_2)
	v_sub_f32_e32 v19, v19, v23
	v_add_f32_e32 v21, v17, v21
	s_delay_alu instid0(VALU_DEP_2) | instskip(NEXT) | instid1(VALU_DEP_1)
	v_add_f32_e32 v17, v17, v19
	v_add_f32_e32 v24, v20, v17
	s_delay_alu instid0(VALU_DEP_1) | instskip(NEXT) | instid1(VALU_DEP_1)
	v_dual_add_f32 v23, v22, v21 :: v_dual_sub_f32 v20, v20, v24
	v_rcp_f32_e32 v19, v23
	v_sub_f32_e32 v22, v22, v23
	s_delay_alu instid0(VALU_DEP_1) | instskip(SKIP_2) | instid1(VALU_DEP_1)
	v_add_f32_e32 v21, v21, v22
	s_waitcnt_depctr 0xfff
	v_mul_f32_e32 v25, v24, v19
	v_mul_f32_e32 v26, v23, v25
	s_delay_alu instid0(VALU_DEP_1) | instskip(NEXT) | instid1(VALU_DEP_1)
	v_fma_f32 v22, v25, v23, -v26
	v_fmac_f32_e32 v22, v25, v21
	s_delay_alu instid0(VALU_DEP_1) | instskip(NEXT) | instid1(VALU_DEP_1)
	v_add_f32_e32 v27, v26, v22
	v_sub_f32_e32 v28, v24, v27
	s_delay_alu instid0(VALU_DEP_1) | instskip(SKIP_1) | instid1(VALU_DEP_2)
	v_sub_f32_e32 v24, v24, v28
	v_dual_add_f32 v17, v17, v20 :: v_dual_sub_f32 v20, v27, v26
	v_sub_f32_e32 v24, v24, v27
	s_delay_alu instid0(VALU_DEP_1) | instskip(NEXT) | instid1(VALU_DEP_1)
	v_dual_sub_f32 v20, v20, v22 :: v_dual_add_f32 v17, v17, v24
	v_add_f32_e32 v17, v20, v17
	s_delay_alu instid0(VALU_DEP_1) | instskip(NEXT) | instid1(VALU_DEP_1)
	v_add_f32_e32 v20, v28, v17
	v_mul_f32_e32 v22, v19, v20
	s_delay_alu instid0(VALU_DEP_1) | instskip(NEXT) | instid1(VALU_DEP_1)
	v_dual_sub_f32 v27, v28, v20 :: v_dual_mul_f32 v24, v23, v22
	v_add_f32_e32 v17, v17, v27
	s_delay_alu instid0(VALU_DEP_2) | instskip(NEXT) | instid1(VALU_DEP_1)
	v_fma_f32 v23, v22, v23, -v24
	v_fmac_f32_e32 v23, v22, v21
	s_delay_alu instid0(VALU_DEP_1) | instskip(NEXT) | instid1(VALU_DEP_1)
	v_add_f32_e32 v21, v24, v23
	v_sub_f32_e32 v26, v20, v21
	s_delay_alu instid0(VALU_DEP_1) | instskip(NEXT) | instid1(VALU_DEP_1)
	v_sub_f32_e32 v20, v20, v26
	v_sub_f32_e32 v20, v20, v21
	s_delay_alu instid0(VALU_DEP_1) | instskip(SKIP_2) | instid1(VALU_DEP_1)
	v_add_f32_e32 v17, v17, v20
	v_add_f32_e32 v20, v25, v22
	v_sub_f32_e32 v24, v21, v24
	v_sub_f32_e32 v21, v24, v23
	s_delay_alu instid0(VALU_DEP_1) | instskip(NEXT) | instid1(VALU_DEP_4)
	v_add_f32_e32 v17, v21, v17
	v_sub_f32_e32 v21, v20, v25
	s_delay_alu instid0(VALU_DEP_2) | instskip(NEXT) | instid1(VALU_DEP_2)
	v_add_f32_e32 v17, v26, v17
	v_sub_f32_e32 v21, v22, v21
	s_delay_alu instid0(VALU_DEP_2) | instskip(NEXT) | instid1(VALU_DEP_1)
	v_mul_f32_e32 v17, v19, v17
	v_add_f32_e32 v17, v21, v17
	s_delay_alu instid0(VALU_DEP_1) | instskip(NEXT) | instid1(VALU_DEP_1)
	v_add_f32_e32 v19, v20, v17
	v_mul_f32_e32 v21, v19, v19
	s_delay_alu instid0(VALU_DEP_1) | instskip(SKIP_1) | instid1(VALU_DEP_2)
	v_fmaak_f32 v22, s54, v21, 0x3ecc95a3
	v_mul_f32_e32 v23, v19, v21
	v_fmaak_f32 v21, v21, v22, 0x3f2aaada
	v_ldexp_f32 v22, v19, 1
	s_delay_alu instid0(VALU_DEP_2) | instskip(SKIP_1) | instid1(VALU_DEP_2)
	v_mul_f32_e32 v21, v23, v21
	v_sub_f32_e32 v19, v19, v20
	v_dual_mul_f32 v23, 0x3f317218, v16 :: v_dual_add_f32 v20, v22, v21
	s_delay_alu instid0(VALU_DEP_2) | instskip(NEXT) | instid1(VALU_DEP_2)
	v_sub_f32_e32 v17, v17, v19
	v_sub_f32_e32 v19, v20, v22
	s_delay_alu instid0(VALU_DEP_3) | instskip(NEXT) | instid1(VALU_DEP_3)
	v_fma_f32 v22, 0x3f317218, v16, -v23
	v_ldexp_f32 v17, v17, 1
	s_delay_alu instid0(VALU_DEP_2) | instskip(NEXT) | instid1(VALU_DEP_1)
	v_dual_sub_f32 v19, v21, v19 :: v_dual_fmac_f32 v22, 0xb102e308, v16
	v_dual_add_f32 v16, v17, v19 :: v_dual_add_f32 v17, v23, v22
	s_delay_alu instid0(VALU_DEP_1) | instskip(NEXT) | instid1(VALU_DEP_1)
	v_add_f32_e32 v19, v20, v16
	v_dual_add_f32 v21, v17, v19 :: v_dual_sub_f32 v20, v19, v20
	s_delay_alu instid0(VALU_DEP_1) | instskip(NEXT) | instid1(VALU_DEP_2)
	v_sub_f32_e32 v24, v21, v17
	v_dual_sub_f32 v23, v17, v23 :: v_dual_sub_f32 v16, v16, v20
	s_delay_alu instid0(VALU_DEP_1) | instskip(SKIP_1) | instid1(VALU_DEP_2)
	v_dual_sub_f32 v25, v21, v24 :: v_dual_sub_f32 v22, v22, v23
	v_sub_f32_e32 v19, v19, v24
	v_dual_sub_f32 v17, v17, v25 :: v_dual_add_f32 v20, v22, v16
	s_delay_alu instid0(VALU_DEP_1) | instskip(NEXT) | instid1(VALU_DEP_2)
	v_add_f32_e32 v17, v19, v17
	v_sub_f32_e32 v19, v20, v22
	s_delay_alu instid0(VALU_DEP_2) | instskip(NEXT) | instid1(VALU_DEP_2)
	v_add_f32_e32 v17, v20, v17
	v_sub_f32_e32 v20, v20, v19
	s_delay_alu instid0(VALU_DEP_2) | instskip(NEXT) | instid1(VALU_DEP_1)
	v_dual_sub_f32 v16, v16, v19 :: v_dual_add_f32 v23, v21, v17
	v_dual_sub_f32 v20, v22, v20 :: v_dual_sub_f32 v19, v23, v21
	s_delay_alu instid0(VALU_DEP_1) | instskip(NEXT) | instid1(VALU_DEP_1)
	v_dual_add_f32 v16, v16, v20 :: v_dual_sub_f32 v17, v17, v19
	v_add_f32_e32 v16, v16, v17
	s_delay_alu instid0(VALU_DEP_1) | instskip(NEXT) | instid1(VALU_DEP_1)
	v_add_f32_e32 v16, v23, v16
	v_cndmask_b32_e32 v70, v16, v18, vcc_lo
.LBB27_36:                              ;   in Loop: Header=BB27_12 Depth=1
	s_or_b32 exec_lo, exec_lo, s16
	s_waitcnt lgkmcnt(0)
	v_lshlrev_b32_e32 v16, 16, v0
	s_delay_alu instid0(VALU_DEP_1) | instskip(NEXT) | instid1(VALU_DEP_1)
	v_add_f32_e32 v71, s57, v16
	v_cmp_ge_f32_e32 vcc_lo, 0x41a00000, v71
	s_and_b32 s15, s67, vcc_lo
	s_delay_alu instid0(SALU_CYCLE_1)
	s_and_saveexec_b32 s16, s15
	s_cbranch_execz .LBB27_38
; %bb.37:                               ;   in Loop: Header=BB27_12 Depth=1
	v_mul_f32_e32 v16, 0x3fb8aa3b, v71
	v_cmp_ngt_f32_e32 vcc_lo, 0xc2ce8ed0, v71
	s_delay_alu instid0(VALU_DEP_2) | instskip(SKIP_1) | instid1(VALU_DEP_2)
	v_rndne_f32_e32 v17, v16
	v_fma_f32 v18, 0x3fb8aa3b, v71, -v16
	v_sub_f32_e32 v16, v16, v17
	s_delay_alu instid0(VALU_DEP_2) | instskip(SKIP_1) | instid1(VALU_DEP_2)
	v_fmac_f32_e32 v18, 0x32a5705f, v71
	v_cvt_i32_f32_e32 v17, v17
	v_add_f32_e32 v16, v16, v18
	s_delay_alu instid0(VALU_DEP_1) | instskip(SKIP_2) | instid1(VALU_DEP_1)
	v_exp_f32_e32 v16, v16
	s_waitcnt_depctr 0xfff
	v_ldexp_f32 v16, v16, v17
	v_cndmask_b32_e32 v16, 0, v16, vcc_lo
	v_cmp_nlt_f32_e32 vcc_lo, 0x42b17218, v71
	s_delay_alu instid0(VALU_DEP_2) | instskip(NEXT) | instid1(VALU_DEP_1)
	v_cndmask_b32_e32 v18, 0x7f800000, v16, vcc_lo
	v_add_f32_e32 v19, 1.0, v18
	s_delay_alu instid0(VALU_DEP_1) | instskip(NEXT) | instid1(VALU_DEP_1)
	v_cvt_f64_f32_e32 v[16:17], v19
	v_frexp_exp_i32_f64_e32 v16, v[16:17]
	v_frexp_mant_f32_e32 v17, v19
	s_delay_alu instid0(VALU_DEP_1) | instskip(SKIP_1) | instid1(VALU_DEP_1)
	v_cmp_gt_f32_e32 vcc_lo, 0x3f2aaaab, v17
	v_add_f32_e32 v17, -1.0, v19
	v_sub_f32_e32 v21, v17, v19
	v_sub_f32_e32 v17, v18, v17
	s_delay_alu instid0(VALU_DEP_2) | instskip(NEXT) | instid1(VALU_DEP_1)
	v_add_f32_e32 v21, 1.0, v21
	v_add_f32_e32 v17, v17, v21
	v_cmp_gt_f32_e64 s15, 0x33800000, v18
	v_subrev_co_ci_u32_e32 v16, vcc_lo, 0, v16, vcc_lo
	v_cmp_eq_f32_e32 vcc_lo, 0x7f800000, v18
	s_delay_alu instid0(VALU_DEP_2) | instskip(SKIP_2) | instid1(VALU_DEP_2)
	v_sub_nc_u32_e32 v20, 0, v16
	v_cvt_f32_i32_e32 v16, v16
	s_or_b32 vcc_lo, s15, vcc_lo
	v_ldexp_f32 v19, v19, v20
	v_ldexp_f32 v17, v17, v20
	s_delay_alu instid0(VALU_DEP_2) | instskip(NEXT) | instid1(VALU_DEP_1)
	v_add_f32_e32 v22, 1.0, v19
	v_dual_add_f32 v20, -1.0, v19 :: v_dual_add_f32 v21, -1.0, v22
	s_delay_alu instid0(VALU_DEP_1) | instskip(NEXT) | instid1(VALU_DEP_2)
	v_add_f32_e32 v23, 1.0, v20
	v_sub_f32_e32 v21, v19, v21
	s_delay_alu instid0(VALU_DEP_2) | instskip(NEXT) | instid1(VALU_DEP_2)
	v_sub_f32_e32 v19, v19, v23
	v_add_f32_e32 v21, v17, v21
	s_delay_alu instid0(VALU_DEP_2) | instskip(NEXT) | instid1(VALU_DEP_1)
	v_add_f32_e32 v17, v17, v19
	v_add_f32_e32 v24, v20, v17
	s_delay_alu instid0(VALU_DEP_1) | instskip(NEXT) | instid1(VALU_DEP_1)
	v_dual_add_f32 v23, v22, v21 :: v_dual_sub_f32 v20, v20, v24
	v_rcp_f32_e32 v19, v23
	v_sub_f32_e32 v22, v22, v23
	s_delay_alu instid0(VALU_DEP_1) | instskip(SKIP_2) | instid1(VALU_DEP_1)
	v_add_f32_e32 v21, v21, v22
	s_waitcnt_depctr 0xfff
	v_mul_f32_e32 v25, v24, v19
	v_mul_f32_e32 v26, v23, v25
	s_delay_alu instid0(VALU_DEP_1) | instskip(NEXT) | instid1(VALU_DEP_1)
	v_fma_f32 v22, v25, v23, -v26
	v_fmac_f32_e32 v22, v25, v21
	s_delay_alu instid0(VALU_DEP_1) | instskip(NEXT) | instid1(VALU_DEP_1)
	v_add_f32_e32 v27, v26, v22
	v_sub_f32_e32 v28, v24, v27
	s_delay_alu instid0(VALU_DEP_1) | instskip(SKIP_1) | instid1(VALU_DEP_2)
	v_sub_f32_e32 v24, v24, v28
	v_dual_add_f32 v17, v17, v20 :: v_dual_sub_f32 v20, v27, v26
	v_sub_f32_e32 v24, v24, v27
	s_delay_alu instid0(VALU_DEP_1) | instskip(NEXT) | instid1(VALU_DEP_1)
	v_dual_sub_f32 v20, v20, v22 :: v_dual_add_f32 v17, v17, v24
	v_add_f32_e32 v17, v20, v17
	s_delay_alu instid0(VALU_DEP_1) | instskip(NEXT) | instid1(VALU_DEP_1)
	v_add_f32_e32 v20, v28, v17
	v_mul_f32_e32 v22, v19, v20
	s_delay_alu instid0(VALU_DEP_1) | instskip(NEXT) | instid1(VALU_DEP_1)
	v_dual_sub_f32 v27, v28, v20 :: v_dual_mul_f32 v24, v23, v22
	v_add_f32_e32 v17, v17, v27
	s_delay_alu instid0(VALU_DEP_2) | instskip(NEXT) | instid1(VALU_DEP_1)
	v_fma_f32 v23, v22, v23, -v24
	v_fmac_f32_e32 v23, v22, v21
	s_delay_alu instid0(VALU_DEP_1) | instskip(NEXT) | instid1(VALU_DEP_1)
	v_add_f32_e32 v21, v24, v23
	v_sub_f32_e32 v26, v20, v21
	s_delay_alu instid0(VALU_DEP_1) | instskip(NEXT) | instid1(VALU_DEP_1)
	v_sub_f32_e32 v20, v20, v26
	v_sub_f32_e32 v20, v20, v21
	s_delay_alu instid0(VALU_DEP_1) | instskip(SKIP_2) | instid1(VALU_DEP_1)
	v_add_f32_e32 v17, v17, v20
	v_add_f32_e32 v20, v25, v22
	v_sub_f32_e32 v24, v21, v24
	v_sub_f32_e32 v21, v24, v23
	s_delay_alu instid0(VALU_DEP_1) | instskip(NEXT) | instid1(VALU_DEP_4)
	v_add_f32_e32 v17, v21, v17
	v_sub_f32_e32 v21, v20, v25
	s_delay_alu instid0(VALU_DEP_2) | instskip(NEXT) | instid1(VALU_DEP_2)
	v_add_f32_e32 v17, v26, v17
	v_sub_f32_e32 v21, v22, v21
	s_delay_alu instid0(VALU_DEP_2) | instskip(NEXT) | instid1(VALU_DEP_1)
	v_mul_f32_e32 v17, v19, v17
	v_add_f32_e32 v17, v21, v17
	s_delay_alu instid0(VALU_DEP_1) | instskip(NEXT) | instid1(VALU_DEP_1)
	v_add_f32_e32 v19, v20, v17
	v_mul_f32_e32 v21, v19, v19
	s_delay_alu instid0(VALU_DEP_1) | instskip(SKIP_1) | instid1(VALU_DEP_2)
	v_fmaak_f32 v22, s54, v21, 0x3ecc95a3
	v_mul_f32_e32 v23, v19, v21
	v_fmaak_f32 v21, v21, v22, 0x3f2aaada
	v_ldexp_f32 v22, v19, 1
	s_delay_alu instid0(VALU_DEP_2) | instskip(SKIP_1) | instid1(VALU_DEP_2)
	v_mul_f32_e32 v21, v23, v21
	v_sub_f32_e32 v19, v19, v20
	v_dual_mul_f32 v23, 0x3f317218, v16 :: v_dual_add_f32 v20, v22, v21
	s_delay_alu instid0(VALU_DEP_2) | instskip(NEXT) | instid1(VALU_DEP_2)
	v_sub_f32_e32 v17, v17, v19
	v_sub_f32_e32 v19, v20, v22
	s_delay_alu instid0(VALU_DEP_3) | instskip(NEXT) | instid1(VALU_DEP_3)
	v_fma_f32 v22, 0x3f317218, v16, -v23
	v_ldexp_f32 v17, v17, 1
	s_delay_alu instid0(VALU_DEP_2) | instskip(NEXT) | instid1(VALU_DEP_1)
	v_dual_sub_f32 v19, v21, v19 :: v_dual_fmac_f32 v22, 0xb102e308, v16
	v_dual_add_f32 v16, v17, v19 :: v_dual_add_f32 v17, v23, v22
	s_delay_alu instid0(VALU_DEP_1) | instskip(NEXT) | instid1(VALU_DEP_1)
	v_add_f32_e32 v19, v20, v16
	v_dual_add_f32 v21, v17, v19 :: v_dual_sub_f32 v20, v19, v20
	s_delay_alu instid0(VALU_DEP_1) | instskip(NEXT) | instid1(VALU_DEP_2)
	v_sub_f32_e32 v24, v21, v17
	v_dual_sub_f32 v23, v17, v23 :: v_dual_sub_f32 v16, v16, v20
	s_delay_alu instid0(VALU_DEP_1) | instskip(SKIP_1) | instid1(VALU_DEP_2)
	v_dual_sub_f32 v25, v21, v24 :: v_dual_sub_f32 v22, v22, v23
	v_sub_f32_e32 v19, v19, v24
	v_dual_sub_f32 v17, v17, v25 :: v_dual_add_f32 v20, v22, v16
	s_delay_alu instid0(VALU_DEP_1) | instskip(NEXT) | instid1(VALU_DEP_2)
	v_add_f32_e32 v17, v19, v17
	v_sub_f32_e32 v19, v20, v22
	s_delay_alu instid0(VALU_DEP_2) | instskip(NEXT) | instid1(VALU_DEP_2)
	v_add_f32_e32 v17, v20, v17
	v_sub_f32_e32 v20, v20, v19
	s_delay_alu instid0(VALU_DEP_2) | instskip(NEXT) | instid1(VALU_DEP_1)
	v_dual_sub_f32 v16, v16, v19 :: v_dual_add_f32 v23, v21, v17
	v_dual_sub_f32 v20, v22, v20 :: v_dual_sub_f32 v19, v23, v21
	s_delay_alu instid0(VALU_DEP_1) | instskip(NEXT) | instid1(VALU_DEP_1)
	v_dual_add_f32 v16, v16, v20 :: v_dual_sub_f32 v17, v17, v19
	v_add_f32_e32 v16, v16, v17
	s_delay_alu instid0(VALU_DEP_1) | instskip(NEXT) | instid1(VALU_DEP_1)
	v_add_f32_e32 v16, v23, v16
	v_cndmask_b32_e32 v71, v16, v18, vcc_lo
.LBB27_38:                              ;   in Loop: Header=BB27_12 Depth=1
	s_or_b32 exec_lo, exec_lo, s16
	v_and_b32_e32 v16, 0xffff0000, v0
	s_delay_alu instid0(VALU_DEP_1) | instskip(NEXT) | instid1(VALU_DEP_1)
	v_add_f32_e32 v72, s57, v16
	v_cmp_ge_f32_e32 vcc_lo, 0x41a00000, v72
	s_and_b32 s15, s67, vcc_lo
	s_delay_alu instid0(SALU_CYCLE_1)
	s_and_saveexec_b32 s16, s15
	s_cbranch_execz .LBB27_40
; %bb.39:                               ;   in Loop: Header=BB27_12 Depth=1
	v_mul_f32_e32 v16, 0x3fb8aa3b, v72
	v_cmp_ngt_f32_e32 vcc_lo, 0xc2ce8ed0, v72
	s_delay_alu instid0(VALU_DEP_2) | instskip(SKIP_1) | instid1(VALU_DEP_2)
	v_rndne_f32_e32 v17, v16
	v_fma_f32 v18, 0x3fb8aa3b, v72, -v16
	v_sub_f32_e32 v16, v16, v17
	s_delay_alu instid0(VALU_DEP_2) | instskip(SKIP_1) | instid1(VALU_DEP_2)
	v_fmac_f32_e32 v18, 0x32a5705f, v72
	v_cvt_i32_f32_e32 v17, v17
	v_add_f32_e32 v16, v16, v18
	s_delay_alu instid0(VALU_DEP_1) | instskip(SKIP_2) | instid1(VALU_DEP_1)
	v_exp_f32_e32 v16, v16
	s_waitcnt_depctr 0xfff
	v_ldexp_f32 v16, v16, v17
	v_cndmask_b32_e32 v16, 0, v16, vcc_lo
	v_cmp_nlt_f32_e32 vcc_lo, 0x42b17218, v72
	s_delay_alu instid0(VALU_DEP_2) | instskip(NEXT) | instid1(VALU_DEP_1)
	v_cndmask_b32_e32 v18, 0x7f800000, v16, vcc_lo
	v_add_f32_e32 v19, 1.0, v18
	s_delay_alu instid0(VALU_DEP_1) | instskip(NEXT) | instid1(VALU_DEP_1)
	v_cvt_f64_f32_e32 v[16:17], v19
	v_frexp_exp_i32_f64_e32 v16, v[16:17]
	v_frexp_mant_f32_e32 v17, v19
	s_delay_alu instid0(VALU_DEP_1) | instskip(SKIP_1) | instid1(VALU_DEP_1)
	v_cmp_gt_f32_e32 vcc_lo, 0x3f2aaaab, v17
	v_add_f32_e32 v17, -1.0, v19
	v_sub_f32_e32 v21, v17, v19
	v_sub_f32_e32 v17, v18, v17
	s_delay_alu instid0(VALU_DEP_2) | instskip(NEXT) | instid1(VALU_DEP_1)
	v_add_f32_e32 v21, 1.0, v21
	v_add_f32_e32 v17, v17, v21
	v_cmp_gt_f32_e64 s15, 0x33800000, v18
	v_subrev_co_ci_u32_e32 v16, vcc_lo, 0, v16, vcc_lo
	v_cmp_eq_f32_e32 vcc_lo, 0x7f800000, v18
	s_delay_alu instid0(VALU_DEP_2) | instskip(SKIP_2) | instid1(VALU_DEP_2)
	v_sub_nc_u32_e32 v20, 0, v16
	v_cvt_f32_i32_e32 v16, v16
	s_or_b32 vcc_lo, s15, vcc_lo
	v_ldexp_f32 v19, v19, v20
	v_ldexp_f32 v17, v17, v20
	s_delay_alu instid0(VALU_DEP_2) | instskip(NEXT) | instid1(VALU_DEP_1)
	v_add_f32_e32 v22, 1.0, v19
	v_dual_add_f32 v20, -1.0, v19 :: v_dual_add_f32 v21, -1.0, v22
	s_delay_alu instid0(VALU_DEP_1) | instskip(NEXT) | instid1(VALU_DEP_2)
	v_add_f32_e32 v23, 1.0, v20
	v_sub_f32_e32 v21, v19, v21
	s_delay_alu instid0(VALU_DEP_2) | instskip(NEXT) | instid1(VALU_DEP_2)
	v_sub_f32_e32 v19, v19, v23
	v_add_f32_e32 v21, v17, v21
	s_delay_alu instid0(VALU_DEP_2) | instskip(NEXT) | instid1(VALU_DEP_1)
	v_add_f32_e32 v17, v17, v19
	v_add_f32_e32 v24, v20, v17
	s_delay_alu instid0(VALU_DEP_1) | instskip(NEXT) | instid1(VALU_DEP_1)
	v_dual_add_f32 v23, v22, v21 :: v_dual_sub_f32 v20, v20, v24
	v_rcp_f32_e32 v19, v23
	v_sub_f32_e32 v22, v22, v23
	s_delay_alu instid0(VALU_DEP_1) | instskip(SKIP_2) | instid1(VALU_DEP_1)
	v_add_f32_e32 v21, v21, v22
	s_waitcnt_depctr 0xfff
	v_mul_f32_e32 v25, v24, v19
	v_mul_f32_e32 v26, v23, v25
	s_delay_alu instid0(VALU_DEP_1) | instskip(NEXT) | instid1(VALU_DEP_1)
	v_fma_f32 v22, v25, v23, -v26
	v_fmac_f32_e32 v22, v25, v21
	s_delay_alu instid0(VALU_DEP_1) | instskip(NEXT) | instid1(VALU_DEP_1)
	v_add_f32_e32 v27, v26, v22
	v_sub_f32_e32 v28, v24, v27
	s_delay_alu instid0(VALU_DEP_1) | instskip(SKIP_1) | instid1(VALU_DEP_2)
	v_sub_f32_e32 v24, v24, v28
	v_dual_add_f32 v17, v17, v20 :: v_dual_sub_f32 v20, v27, v26
	v_sub_f32_e32 v24, v24, v27
	s_delay_alu instid0(VALU_DEP_1) | instskip(NEXT) | instid1(VALU_DEP_1)
	v_dual_sub_f32 v20, v20, v22 :: v_dual_add_f32 v17, v17, v24
	v_add_f32_e32 v17, v20, v17
	s_delay_alu instid0(VALU_DEP_1) | instskip(NEXT) | instid1(VALU_DEP_1)
	v_add_f32_e32 v20, v28, v17
	v_mul_f32_e32 v22, v19, v20
	s_delay_alu instid0(VALU_DEP_1) | instskip(NEXT) | instid1(VALU_DEP_1)
	v_dual_sub_f32 v27, v28, v20 :: v_dual_mul_f32 v24, v23, v22
	v_add_f32_e32 v17, v17, v27
	s_delay_alu instid0(VALU_DEP_2) | instskip(NEXT) | instid1(VALU_DEP_1)
	v_fma_f32 v23, v22, v23, -v24
	v_fmac_f32_e32 v23, v22, v21
	s_delay_alu instid0(VALU_DEP_1) | instskip(NEXT) | instid1(VALU_DEP_1)
	v_add_f32_e32 v21, v24, v23
	v_sub_f32_e32 v26, v20, v21
	s_delay_alu instid0(VALU_DEP_1) | instskip(NEXT) | instid1(VALU_DEP_1)
	v_sub_f32_e32 v20, v20, v26
	v_sub_f32_e32 v20, v20, v21
	s_delay_alu instid0(VALU_DEP_1) | instskip(SKIP_2) | instid1(VALU_DEP_1)
	v_add_f32_e32 v17, v17, v20
	v_add_f32_e32 v20, v25, v22
	v_sub_f32_e32 v24, v21, v24
	v_sub_f32_e32 v21, v24, v23
	s_delay_alu instid0(VALU_DEP_1) | instskip(NEXT) | instid1(VALU_DEP_4)
	v_add_f32_e32 v17, v21, v17
	v_sub_f32_e32 v21, v20, v25
	s_delay_alu instid0(VALU_DEP_2) | instskip(NEXT) | instid1(VALU_DEP_2)
	v_add_f32_e32 v17, v26, v17
	v_sub_f32_e32 v21, v22, v21
	s_delay_alu instid0(VALU_DEP_2) | instskip(NEXT) | instid1(VALU_DEP_1)
	v_mul_f32_e32 v17, v19, v17
	v_add_f32_e32 v17, v21, v17
	s_delay_alu instid0(VALU_DEP_1) | instskip(NEXT) | instid1(VALU_DEP_1)
	v_add_f32_e32 v19, v20, v17
	v_mul_f32_e32 v21, v19, v19
	s_delay_alu instid0(VALU_DEP_1) | instskip(SKIP_1) | instid1(VALU_DEP_2)
	v_fmaak_f32 v22, s54, v21, 0x3ecc95a3
	v_mul_f32_e32 v23, v19, v21
	v_fmaak_f32 v21, v21, v22, 0x3f2aaada
	v_ldexp_f32 v22, v19, 1
	s_delay_alu instid0(VALU_DEP_2) | instskip(SKIP_1) | instid1(VALU_DEP_2)
	v_mul_f32_e32 v21, v23, v21
	v_sub_f32_e32 v19, v19, v20
	v_dual_mul_f32 v23, 0x3f317218, v16 :: v_dual_add_f32 v20, v22, v21
	s_delay_alu instid0(VALU_DEP_2) | instskip(NEXT) | instid1(VALU_DEP_2)
	v_sub_f32_e32 v17, v17, v19
	v_sub_f32_e32 v19, v20, v22
	s_delay_alu instid0(VALU_DEP_3) | instskip(NEXT) | instid1(VALU_DEP_3)
	v_fma_f32 v22, 0x3f317218, v16, -v23
	v_ldexp_f32 v17, v17, 1
	s_delay_alu instid0(VALU_DEP_2) | instskip(NEXT) | instid1(VALU_DEP_1)
	v_dual_sub_f32 v19, v21, v19 :: v_dual_fmac_f32 v22, 0xb102e308, v16
	v_dual_add_f32 v16, v17, v19 :: v_dual_add_f32 v17, v23, v22
	s_delay_alu instid0(VALU_DEP_1) | instskip(NEXT) | instid1(VALU_DEP_1)
	v_add_f32_e32 v19, v20, v16
	v_dual_add_f32 v21, v17, v19 :: v_dual_sub_f32 v20, v19, v20
	s_delay_alu instid0(VALU_DEP_1) | instskip(NEXT) | instid1(VALU_DEP_2)
	v_sub_f32_e32 v24, v21, v17
	v_dual_sub_f32 v23, v17, v23 :: v_dual_sub_f32 v16, v16, v20
	s_delay_alu instid0(VALU_DEP_1) | instskip(SKIP_1) | instid1(VALU_DEP_2)
	v_dual_sub_f32 v25, v21, v24 :: v_dual_sub_f32 v22, v22, v23
	v_sub_f32_e32 v19, v19, v24
	v_dual_sub_f32 v17, v17, v25 :: v_dual_add_f32 v20, v22, v16
	s_delay_alu instid0(VALU_DEP_1) | instskip(NEXT) | instid1(VALU_DEP_2)
	v_add_f32_e32 v17, v19, v17
	v_sub_f32_e32 v19, v20, v22
	s_delay_alu instid0(VALU_DEP_2) | instskip(NEXT) | instid1(VALU_DEP_2)
	v_add_f32_e32 v17, v20, v17
	v_sub_f32_e32 v20, v20, v19
	s_delay_alu instid0(VALU_DEP_2) | instskip(NEXT) | instid1(VALU_DEP_1)
	v_dual_sub_f32 v16, v16, v19 :: v_dual_add_f32 v23, v21, v17
	v_dual_sub_f32 v20, v22, v20 :: v_dual_sub_f32 v19, v23, v21
	s_delay_alu instid0(VALU_DEP_1) | instskip(NEXT) | instid1(VALU_DEP_1)
	v_dual_add_f32 v16, v16, v20 :: v_dual_sub_f32 v17, v17, v19
	v_add_f32_e32 v16, v16, v17
	s_delay_alu instid0(VALU_DEP_1) | instskip(NEXT) | instid1(VALU_DEP_1)
	v_add_f32_e32 v16, v23, v16
	v_cndmask_b32_e32 v72, v16, v18, vcc_lo
.LBB27_40:                              ;   in Loop: Header=BB27_12 Depth=1
	s_or_b32 exec_lo, exec_lo, s16
	v_lshlrev_b32_e32 v16, 16, v1
	s_delay_alu instid0(VALU_DEP_1) | instskip(NEXT) | instid1(VALU_DEP_1)
	v_add_f32_e32 v73, s57, v16
	v_cmp_ge_f32_e32 vcc_lo, 0x41a00000, v73
	s_and_b32 s15, s67, vcc_lo
	s_delay_alu instid0(SALU_CYCLE_1)
	s_and_saveexec_b32 s16, s15
	s_cbranch_execz .LBB27_42
; %bb.41:                               ;   in Loop: Header=BB27_12 Depth=1
	v_mul_f32_e32 v16, 0x3fb8aa3b, v73
	v_cmp_ngt_f32_e32 vcc_lo, 0xc2ce8ed0, v73
	s_delay_alu instid0(VALU_DEP_2) | instskip(SKIP_1) | instid1(VALU_DEP_2)
	v_rndne_f32_e32 v17, v16
	v_fma_f32 v18, 0x3fb8aa3b, v73, -v16
	v_sub_f32_e32 v16, v16, v17
	s_delay_alu instid0(VALU_DEP_2) | instskip(SKIP_1) | instid1(VALU_DEP_2)
	v_fmac_f32_e32 v18, 0x32a5705f, v73
	v_cvt_i32_f32_e32 v17, v17
	v_add_f32_e32 v16, v16, v18
	s_delay_alu instid0(VALU_DEP_1) | instskip(SKIP_2) | instid1(VALU_DEP_1)
	v_exp_f32_e32 v16, v16
	s_waitcnt_depctr 0xfff
	v_ldexp_f32 v16, v16, v17
	v_cndmask_b32_e32 v16, 0, v16, vcc_lo
	v_cmp_nlt_f32_e32 vcc_lo, 0x42b17218, v73
	s_delay_alu instid0(VALU_DEP_2) | instskip(NEXT) | instid1(VALU_DEP_1)
	v_cndmask_b32_e32 v18, 0x7f800000, v16, vcc_lo
	v_add_f32_e32 v19, 1.0, v18
	s_delay_alu instid0(VALU_DEP_1) | instskip(NEXT) | instid1(VALU_DEP_1)
	v_cvt_f64_f32_e32 v[16:17], v19
	v_frexp_exp_i32_f64_e32 v16, v[16:17]
	v_frexp_mant_f32_e32 v17, v19
	s_delay_alu instid0(VALU_DEP_1) | instskip(SKIP_1) | instid1(VALU_DEP_1)
	v_cmp_gt_f32_e32 vcc_lo, 0x3f2aaaab, v17
	v_add_f32_e32 v17, -1.0, v19
	v_sub_f32_e32 v21, v17, v19
	v_sub_f32_e32 v17, v18, v17
	s_delay_alu instid0(VALU_DEP_2) | instskip(NEXT) | instid1(VALU_DEP_1)
	v_add_f32_e32 v21, 1.0, v21
	v_add_f32_e32 v17, v17, v21
	v_cmp_gt_f32_e64 s15, 0x33800000, v18
	v_subrev_co_ci_u32_e32 v16, vcc_lo, 0, v16, vcc_lo
	v_cmp_eq_f32_e32 vcc_lo, 0x7f800000, v18
	s_delay_alu instid0(VALU_DEP_2) | instskip(SKIP_2) | instid1(VALU_DEP_2)
	v_sub_nc_u32_e32 v20, 0, v16
	v_cvt_f32_i32_e32 v16, v16
	s_or_b32 vcc_lo, s15, vcc_lo
	v_ldexp_f32 v19, v19, v20
	v_ldexp_f32 v17, v17, v20
	s_delay_alu instid0(VALU_DEP_2) | instskip(NEXT) | instid1(VALU_DEP_1)
	v_add_f32_e32 v22, 1.0, v19
	v_dual_add_f32 v20, -1.0, v19 :: v_dual_add_f32 v21, -1.0, v22
	s_delay_alu instid0(VALU_DEP_1) | instskip(NEXT) | instid1(VALU_DEP_2)
	v_add_f32_e32 v23, 1.0, v20
	v_sub_f32_e32 v21, v19, v21
	s_delay_alu instid0(VALU_DEP_2) | instskip(NEXT) | instid1(VALU_DEP_2)
	v_sub_f32_e32 v19, v19, v23
	v_add_f32_e32 v21, v17, v21
	s_delay_alu instid0(VALU_DEP_2) | instskip(NEXT) | instid1(VALU_DEP_1)
	v_add_f32_e32 v17, v17, v19
	v_add_f32_e32 v24, v20, v17
	s_delay_alu instid0(VALU_DEP_1) | instskip(NEXT) | instid1(VALU_DEP_1)
	v_dual_add_f32 v23, v22, v21 :: v_dual_sub_f32 v20, v20, v24
	v_rcp_f32_e32 v19, v23
	v_sub_f32_e32 v22, v22, v23
	s_delay_alu instid0(VALU_DEP_1) | instskip(SKIP_2) | instid1(VALU_DEP_1)
	v_add_f32_e32 v21, v21, v22
	s_waitcnt_depctr 0xfff
	v_mul_f32_e32 v25, v24, v19
	v_mul_f32_e32 v26, v23, v25
	s_delay_alu instid0(VALU_DEP_1) | instskip(NEXT) | instid1(VALU_DEP_1)
	v_fma_f32 v22, v25, v23, -v26
	v_fmac_f32_e32 v22, v25, v21
	s_delay_alu instid0(VALU_DEP_1) | instskip(NEXT) | instid1(VALU_DEP_1)
	v_add_f32_e32 v27, v26, v22
	v_sub_f32_e32 v28, v24, v27
	s_delay_alu instid0(VALU_DEP_1) | instskip(SKIP_1) | instid1(VALU_DEP_2)
	v_sub_f32_e32 v24, v24, v28
	v_dual_add_f32 v17, v17, v20 :: v_dual_sub_f32 v20, v27, v26
	v_sub_f32_e32 v24, v24, v27
	s_delay_alu instid0(VALU_DEP_1) | instskip(NEXT) | instid1(VALU_DEP_1)
	v_dual_sub_f32 v20, v20, v22 :: v_dual_add_f32 v17, v17, v24
	v_add_f32_e32 v17, v20, v17
	s_delay_alu instid0(VALU_DEP_1) | instskip(NEXT) | instid1(VALU_DEP_1)
	v_add_f32_e32 v20, v28, v17
	v_mul_f32_e32 v22, v19, v20
	s_delay_alu instid0(VALU_DEP_1) | instskip(NEXT) | instid1(VALU_DEP_1)
	v_dual_sub_f32 v27, v28, v20 :: v_dual_mul_f32 v24, v23, v22
	v_add_f32_e32 v17, v17, v27
	s_delay_alu instid0(VALU_DEP_2) | instskip(NEXT) | instid1(VALU_DEP_1)
	v_fma_f32 v23, v22, v23, -v24
	v_fmac_f32_e32 v23, v22, v21
	s_delay_alu instid0(VALU_DEP_1) | instskip(NEXT) | instid1(VALU_DEP_1)
	v_add_f32_e32 v21, v24, v23
	v_sub_f32_e32 v26, v20, v21
	s_delay_alu instid0(VALU_DEP_1) | instskip(NEXT) | instid1(VALU_DEP_1)
	v_sub_f32_e32 v20, v20, v26
	v_sub_f32_e32 v20, v20, v21
	s_delay_alu instid0(VALU_DEP_1) | instskip(SKIP_2) | instid1(VALU_DEP_1)
	v_add_f32_e32 v17, v17, v20
	v_add_f32_e32 v20, v25, v22
	v_sub_f32_e32 v24, v21, v24
	v_sub_f32_e32 v21, v24, v23
	s_delay_alu instid0(VALU_DEP_1) | instskip(NEXT) | instid1(VALU_DEP_4)
	v_add_f32_e32 v17, v21, v17
	v_sub_f32_e32 v21, v20, v25
	s_delay_alu instid0(VALU_DEP_2) | instskip(NEXT) | instid1(VALU_DEP_2)
	v_add_f32_e32 v17, v26, v17
	v_sub_f32_e32 v21, v22, v21
	s_delay_alu instid0(VALU_DEP_2) | instskip(NEXT) | instid1(VALU_DEP_1)
	v_mul_f32_e32 v17, v19, v17
	v_add_f32_e32 v17, v21, v17
	s_delay_alu instid0(VALU_DEP_1) | instskip(NEXT) | instid1(VALU_DEP_1)
	v_add_f32_e32 v19, v20, v17
	v_mul_f32_e32 v21, v19, v19
	s_delay_alu instid0(VALU_DEP_1) | instskip(SKIP_1) | instid1(VALU_DEP_2)
	v_fmaak_f32 v22, s54, v21, 0x3ecc95a3
	v_mul_f32_e32 v23, v19, v21
	v_fmaak_f32 v21, v21, v22, 0x3f2aaada
	v_ldexp_f32 v22, v19, 1
	s_delay_alu instid0(VALU_DEP_2) | instskip(SKIP_1) | instid1(VALU_DEP_2)
	v_mul_f32_e32 v21, v23, v21
	v_sub_f32_e32 v19, v19, v20
	v_dual_mul_f32 v23, 0x3f317218, v16 :: v_dual_add_f32 v20, v22, v21
	s_delay_alu instid0(VALU_DEP_2) | instskip(NEXT) | instid1(VALU_DEP_2)
	v_sub_f32_e32 v17, v17, v19
	v_sub_f32_e32 v19, v20, v22
	s_delay_alu instid0(VALU_DEP_3) | instskip(NEXT) | instid1(VALU_DEP_3)
	v_fma_f32 v22, 0x3f317218, v16, -v23
	v_ldexp_f32 v17, v17, 1
	s_delay_alu instid0(VALU_DEP_2) | instskip(NEXT) | instid1(VALU_DEP_1)
	v_dual_sub_f32 v19, v21, v19 :: v_dual_fmac_f32 v22, 0xb102e308, v16
	v_dual_add_f32 v16, v17, v19 :: v_dual_add_f32 v17, v23, v22
	s_delay_alu instid0(VALU_DEP_1) | instskip(NEXT) | instid1(VALU_DEP_1)
	v_add_f32_e32 v19, v20, v16
	v_dual_add_f32 v21, v17, v19 :: v_dual_sub_f32 v20, v19, v20
	s_delay_alu instid0(VALU_DEP_1) | instskip(NEXT) | instid1(VALU_DEP_2)
	v_sub_f32_e32 v24, v21, v17
	v_dual_sub_f32 v23, v17, v23 :: v_dual_sub_f32 v16, v16, v20
	s_delay_alu instid0(VALU_DEP_1) | instskip(SKIP_1) | instid1(VALU_DEP_2)
	v_dual_sub_f32 v25, v21, v24 :: v_dual_sub_f32 v22, v22, v23
	v_sub_f32_e32 v19, v19, v24
	v_dual_sub_f32 v17, v17, v25 :: v_dual_add_f32 v20, v22, v16
	s_delay_alu instid0(VALU_DEP_1) | instskip(NEXT) | instid1(VALU_DEP_2)
	v_add_f32_e32 v17, v19, v17
	v_sub_f32_e32 v19, v20, v22
	s_delay_alu instid0(VALU_DEP_2) | instskip(NEXT) | instid1(VALU_DEP_2)
	v_add_f32_e32 v17, v20, v17
	v_sub_f32_e32 v20, v20, v19
	s_delay_alu instid0(VALU_DEP_2) | instskip(NEXT) | instid1(VALU_DEP_1)
	v_dual_sub_f32 v16, v16, v19 :: v_dual_add_f32 v23, v21, v17
	v_dual_sub_f32 v20, v22, v20 :: v_dual_sub_f32 v19, v23, v21
	s_delay_alu instid0(VALU_DEP_1) | instskip(NEXT) | instid1(VALU_DEP_1)
	v_dual_add_f32 v16, v16, v20 :: v_dual_sub_f32 v17, v17, v19
	v_add_f32_e32 v16, v16, v17
	s_delay_alu instid0(VALU_DEP_1) | instskip(NEXT) | instid1(VALU_DEP_1)
	v_add_f32_e32 v16, v23, v16
	v_cndmask_b32_e32 v73, v16, v18, vcc_lo
.LBB27_42:                              ;   in Loop: Header=BB27_12 Depth=1
	s_or_b32 exec_lo, exec_lo, s16
	v_and_b32_e32 v16, 0xffff0000, v1
	s_delay_alu instid0(VALU_DEP_1) | instskip(NEXT) | instid1(VALU_DEP_1)
	v_add_f32_e32 v74, s57, v16
	v_cmp_ge_f32_e32 vcc_lo, 0x41a00000, v74
	s_and_b32 s15, s67, vcc_lo
	s_delay_alu instid0(SALU_CYCLE_1)
	s_and_saveexec_b32 s16, s15
	s_cbranch_execz .LBB27_44
; %bb.43:                               ;   in Loop: Header=BB27_12 Depth=1
	v_mul_f32_e32 v16, 0x3fb8aa3b, v74
	v_cmp_ngt_f32_e32 vcc_lo, 0xc2ce8ed0, v74
	s_delay_alu instid0(VALU_DEP_2) | instskip(SKIP_1) | instid1(VALU_DEP_2)
	v_rndne_f32_e32 v17, v16
	v_fma_f32 v18, 0x3fb8aa3b, v74, -v16
	v_sub_f32_e32 v16, v16, v17
	s_delay_alu instid0(VALU_DEP_2) | instskip(SKIP_1) | instid1(VALU_DEP_2)
	v_fmac_f32_e32 v18, 0x32a5705f, v74
	v_cvt_i32_f32_e32 v17, v17
	v_add_f32_e32 v16, v16, v18
	s_delay_alu instid0(VALU_DEP_1) | instskip(SKIP_2) | instid1(VALU_DEP_1)
	v_exp_f32_e32 v16, v16
	s_waitcnt_depctr 0xfff
	v_ldexp_f32 v16, v16, v17
	v_cndmask_b32_e32 v16, 0, v16, vcc_lo
	v_cmp_nlt_f32_e32 vcc_lo, 0x42b17218, v74
	s_delay_alu instid0(VALU_DEP_2) | instskip(NEXT) | instid1(VALU_DEP_1)
	v_cndmask_b32_e32 v18, 0x7f800000, v16, vcc_lo
	v_add_f32_e32 v19, 1.0, v18
	s_delay_alu instid0(VALU_DEP_1) | instskip(NEXT) | instid1(VALU_DEP_1)
	v_cvt_f64_f32_e32 v[16:17], v19
	v_frexp_exp_i32_f64_e32 v16, v[16:17]
	v_frexp_mant_f32_e32 v17, v19
	s_delay_alu instid0(VALU_DEP_1) | instskip(SKIP_1) | instid1(VALU_DEP_1)
	v_cmp_gt_f32_e32 vcc_lo, 0x3f2aaaab, v17
	v_add_f32_e32 v17, -1.0, v19
	v_sub_f32_e32 v21, v17, v19
	v_sub_f32_e32 v17, v18, v17
	s_delay_alu instid0(VALU_DEP_2) | instskip(NEXT) | instid1(VALU_DEP_1)
	v_add_f32_e32 v21, 1.0, v21
	v_add_f32_e32 v17, v17, v21
	v_cmp_gt_f32_e64 s15, 0x33800000, v18
	v_subrev_co_ci_u32_e32 v16, vcc_lo, 0, v16, vcc_lo
	v_cmp_eq_f32_e32 vcc_lo, 0x7f800000, v18
	s_delay_alu instid0(VALU_DEP_2) | instskip(SKIP_2) | instid1(VALU_DEP_2)
	v_sub_nc_u32_e32 v20, 0, v16
	v_cvt_f32_i32_e32 v16, v16
	s_or_b32 vcc_lo, s15, vcc_lo
	v_ldexp_f32 v19, v19, v20
	v_ldexp_f32 v17, v17, v20
	s_delay_alu instid0(VALU_DEP_2) | instskip(NEXT) | instid1(VALU_DEP_1)
	v_add_f32_e32 v22, 1.0, v19
	v_dual_add_f32 v20, -1.0, v19 :: v_dual_add_f32 v21, -1.0, v22
	s_delay_alu instid0(VALU_DEP_1) | instskip(NEXT) | instid1(VALU_DEP_2)
	v_add_f32_e32 v23, 1.0, v20
	v_sub_f32_e32 v21, v19, v21
	s_delay_alu instid0(VALU_DEP_2) | instskip(NEXT) | instid1(VALU_DEP_2)
	v_sub_f32_e32 v19, v19, v23
	v_add_f32_e32 v21, v17, v21
	s_delay_alu instid0(VALU_DEP_2) | instskip(NEXT) | instid1(VALU_DEP_1)
	v_add_f32_e32 v17, v17, v19
	v_add_f32_e32 v24, v20, v17
	s_delay_alu instid0(VALU_DEP_1) | instskip(NEXT) | instid1(VALU_DEP_1)
	v_dual_add_f32 v23, v22, v21 :: v_dual_sub_f32 v20, v20, v24
	v_rcp_f32_e32 v19, v23
	v_sub_f32_e32 v22, v22, v23
	s_delay_alu instid0(VALU_DEP_1) | instskip(SKIP_2) | instid1(VALU_DEP_1)
	v_add_f32_e32 v21, v21, v22
	s_waitcnt_depctr 0xfff
	v_mul_f32_e32 v25, v24, v19
	v_mul_f32_e32 v26, v23, v25
	s_delay_alu instid0(VALU_DEP_1) | instskip(NEXT) | instid1(VALU_DEP_1)
	v_fma_f32 v22, v25, v23, -v26
	v_fmac_f32_e32 v22, v25, v21
	s_delay_alu instid0(VALU_DEP_1) | instskip(NEXT) | instid1(VALU_DEP_1)
	v_add_f32_e32 v27, v26, v22
	v_sub_f32_e32 v28, v24, v27
	s_delay_alu instid0(VALU_DEP_1) | instskip(SKIP_1) | instid1(VALU_DEP_2)
	v_sub_f32_e32 v24, v24, v28
	v_dual_add_f32 v17, v17, v20 :: v_dual_sub_f32 v20, v27, v26
	v_sub_f32_e32 v24, v24, v27
	s_delay_alu instid0(VALU_DEP_1) | instskip(NEXT) | instid1(VALU_DEP_1)
	v_dual_sub_f32 v20, v20, v22 :: v_dual_add_f32 v17, v17, v24
	v_add_f32_e32 v17, v20, v17
	s_delay_alu instid0(VALU_DEP_1) | instskip(NEXT) | instid1(VALU_DEP_1)
	v_add_f32_e32 v20, v28, v17
	v_mul_f32_e32 v22, v19, v20
	s_delay_alu instid0(VALU_DEP_1) | instskip(NEXT) | instid1(VALU_DEP_1)
	v_dual_sub_f32 v27, v28, v20 :: v_dual_mul_f32 v24, v23, v22
	v_add_f32_e32 v17, v17, v27
	s_delay_alu instid0(VALU_DEP_2) | instskip(NEXT) | instid1(VALU_DEP_1)
	v_fma_f32 v23, v22, v23, -v24
	v_fmac_f32_e32 v23, v22, v21
	s_delay_alu instid0(VALU_DEP_1) | instskip(NEXT) | instid1(VALU_DEP_1)
	v_add_f32_e32 v21, v24, v23
	v_sub_f32_e32 v26, v20, v21
	s_delay_alu instid0(VALU_DEP_1) | instskip(NEXT) | instid1(VALU_DEP_1)
	v_sub_f32_e32 v20, v20, v26
	v_sub_f32_e32 v20, v20, v21
	s_delay_alu instid0(VALU_DEP_1) | instskip(SKIP_2) | instid1(VALU_DEP_1)
	v_add_f32_e32 v17, v17, v20
	v_add_f32_e32 v20, v25, v22
	v_sub_f32_e32 v24, v21, v24
	v_sub_f32_e32 v21, v24, v23
	s_delay_alu instid0(VALU_DEP_1) | instskip(NEXT) | instid1(VALU_DEP_4)
	v_add_f32_e32 v17, v21, v17
	v_sub_f32_e32 v21, v20, v25
	s_delay_alu instid0(VALU_DEP_2) | instskip(NEXT) | instid1(VALU_DEP_2)
	v_add_f32_e32 v17, v26, v17
	v_sub_f32_e32 v21, v22, v21
	s_delay_alu instid0(VALU_DEP_2) | instskip(NEXT) | instid1(VALU_DEP_1)
	v_mul_f32_e32 v17, v19, v17
	v_add_f32_e32 v17, v21, v17
	s_delay_alu instid0(VALU_DEP_1) | instskip(NEXT) | instid1(VALU_DEP_1)
	v_add_f32_e32 v19, v20, v17
	v_mul_f32_e32 v21, v19, v19
	s_delay_alu instid0(VALU_DEP_1) | instskip(SKIP_1) | instid1(VALU_DEP_2)
	v_fmaak_f32 v22, s54, v21, 0x3ecc95a3
	v_mul_f32_e32 v23, v19, v21
	v_fmaak_f32 v21, v21, v22, 0x3f2aaada
	v_ldexp_f32 v22, v19, 1
	s_delay_alu instid0(VALU_DEP_2) | instskip(SKIP_1) | instid1(VALU_DEP_2)
	v_mul_f32_e32 v21, v23, v21
	v_sub_f32_e32 v19, v19, v20
	v_dual_mul_f32 v23, 0x3f317218, v16 :: v_dual_add_f32 v20, v22, v21
	s_delay_alu instid0(VALU_DEP_2) | instskip(NEXT) | instid1(VALU_DEP_2)
	v_sub_f32_e32 v17, v17, v19
	v_sub_f32_e32 v19, v20, v22
	s_delay_alu instid0(VALU_DEP_3) | instskip(NEXT) | instid1(VALU_DEP_3)
	v_fma_f32 v22, 0x3f317218, v16, -v23
	v_ldexp_f32 v17, v17, 1
	s_delay_alu instid0(VALU_DEP_2) | instskip(NEXT) | instid1(VALU_DEP_1)
	v_dual_sub_f32 v19, v21, v19 :: v_dual_fmac_f32 v22, 0xb102e308, v16
	v_dual_add_f32 v16, v17, v19 :: v_dual_add_f32 v17, v23, v22
	s_delay_alu instid0(VALU_DEP_1) | instskip(NEXT) | instid1(VALU_DEP_1)
	v_add_f32_e32 v19, v20, v16
	v_dual_add_f32 v21, v17, v19 :: v_dual_sub_f32 v20, v19, v20
	s_delay_alu instid0(VALU_DEP_1) | instskip(NEXT) | instid1(VALU_DEP_2)
	v_sub_f32_e32 v24, v21, v17
	v_dual_sub_f32 v23, v17, v23 :: v_dual_sub_f32 v16, v16, v20
	s_delay_alu instid0(VALU_DEP_1) | instskip(SKIP_1) | instid1(VALU_DEP_2)
	v_dual_sub_f32 v25, v21, v24 :: v_dual_sub_f32 v22, v22, v23
	v_sub_f32_e32 v19, v19, v24
	v_dual_sub_f32 v17, v17, v25 :: v_dual_add_f32 v20, v22, v16
	s_delay_alu instid0(VALU_DEP_1) | instskip(NEXT) | instid1(VALU_DEP_2)
	v_add_f32_e32 v17, v19, v17
	v_sub_f32_e32 v19, v20, v22
	s_delay_alu instid0(VALU_DEP_2) | instskip(NEXT) | instid1(VALU_DEP_2)
	v_add_f32_e32 v17, v20, v17
	v_sub_f32_e32 v20, v20, v19
	s_delay_alu instid0(VALU_DEP_2) | instskip(NEXT) | instid1(VALU_DEP_1)
	v_dual_sub_f32 v16, v16, v19 :: v_dual_add_f32 v23, v21, v17
	v_dual_sub_f32 v20, v22, v20 :: v_dual_sub_f32 v19, v23, v21
	s_delay_alu instid0(VALU_DEP_1) | instskip(NEXT) | instid1(VALU_DEP_1)
	v_dual_add_f32 v16, v16, v20 :: v_dual_sub_f32 v17, v17, v19
	v_add_f32_e32 v16, v16, v17
	s_delay_alu instid0(VALU_DEP_1) | instskip(NEXT) | instid1(VALU_DEP_1)
	v_add_f32_e32 v16, v23, v16
	v_cndmask_b32_e32 v74, v16, v18, vcc_lo
.LBB27_44:                              ;   in Loop: Header=BB27_12 Depth=1
	s_or_b32 exec_lo, exec_lo, s16
	v_lshlrev_b32_e32 v16, 16, v2
	s_delay_alu instid0(VALU_DEP_1) | instskip(NEXT) | instid1(VALU_DEP_1)
	v_add_f32_e32 v75, s57, v16
	v_cmp_ge_f32_e32 vcc_lo, 0x41a00000, v75
	s_and_b32 s15, s67, vcc_lo
	s_delay_alu instid0(SALU_CYCLE_1)
	s_and_saveexec_b32 s16, s15
	s_cbranch_execz .LBB27_46
; %bb.45:                               ;   in Loop: Header=BB27_12 Depth=1
	v_mul_f32_e32 v16, 0x3fb8aa3b, v75
	v_cmp_ngt_f32_e32 vcc_lo, 0xc2ce8ed0, v75
	s_delay_alu instid0(VALU_DEP_2) | instskip(SKIP_1) | instid1(VALU_DEP_2)
	v_rndne_f32_e32 v17, v16
	v_fma_f32 v18, 0x3fb8aa3b, v75, -v16
	v_sub_f32_e32 v16, v16, v17
	s_delay_alu instid0(VALU_DEP_2) | instskip(SKIP_1) | instid1(VALU_DEP_2)
	v_fmac_f32_e32 v18, 0x32a5705f, v75
	v_cvt_i32_f32_e32 v17, v17
	v_add_f32_e32 v16, v16, v18
	s_delay_alu instid0(VALU_DEP_1) | instskip(SKIP_2) | instid1(VALU_DEP_1)
	v_exp_f32_e32 v16, v16
	s_waitcnt_depctr 0xfff
	v_ldexp_f32 v16, v16, v17
	v_cndmask_b32_e32 v16, 0, v16, vcc_lo
	v_cmp_nlt_f32_e32 vcc_lo, 0x42b17218, v75
	s_delay_alu instid0(VALU_DEP_2) | instskip(NEXT) | instid1(VALU_DEP_1)
	v_cndmask_b32_e32 v18, 0x7f800000, v16, vcc_lo
	v_add_f32_e32 v19, 1.0, v18
	s_delay_alu instid0(VALU_DEP_1) | instskip(NEXT) | instid1(VALU_DEP_1)
	v_cvt_f64_f32_e32 v[16:17], v19
	v_frexp_exp_i32_f64_e32 v16, v[16:17]
	v_frexp_mant_f32_e32 v17, v19
	s_delay_alu instid0(VALU_DEP_1) | instskip(SKIP_1) | instid1(VALU_DEP_1)
	v_cmp_gt_f32_e32 vcc_lo, 0x3f2aaaab, v17
	v_add_f32_e32 v17, -1.0, v19
	v_sub_f32_e32 v21, v17, v19
	v_sub_f32_e32 v17, v18, v17
	s_delay_alu instid0(VALU_DEP_2) | instskip(NEXT) | instid1(VALU_DEP_1)
	v_add_f32_e32 v21, 1.0, v21
	v_add_f32_e32 v17, v17, v21
	v_cmp_gt_f32_e64 s15, 0x33800000, v18
	v_subrev_co_ci_u32_e32 v16, vcc_lo, 0, v16, vcc_lo
	v_cmp_eq_f32_e32 vcc_lo, 0x7f800000, v18
	s_delay_alu instid0(VALU_DEP_2) | instskip(SKIP_2) | instid1(VALU_DEP_2)
	v_sub_nc_u32_e32 v20, 0, v16
	v_cvt_f32_i32_e32 v16, v16
	s_or_b32 vcc_lo, s15, vcc_lo
	v_ldexp_f32 v19, v19, v20
	v_ldexp_f32 v17, v17, v20
	s_delay_alu instid0(VALU_DEP_2) | instskip(NEXT) | instid1(VALU_DEP_1)
	v_add_f32_e32 v22, 1.0, v19
	v_dual_add_f32 v20, -1.0, v19 :: v_dual_add_f32 v21, -1.0, v22
	s_delay_alu instid0(VALU_DEP_1) | instskip(NEXT) | instid1(VALU_DEP_2)
	v_add_f32_e32 v23, 1.0, v20
	v_sub_f32_e32 v21, v19, v21
	s_delay_alu instid0(VALU_DEP_2) | instskip(NEXT) | instid1(VALU_DEP_2)
	v_sub_f32_e32 v19, v19, v23
	v_add_f32_e32 v21, v17, v21
	s_delay_alu instid0(VALU_DEP_2) | instskip(NEXT) | instid1(VALU_DEP_1)
	v_add_f32_e32 v17, v17, v19
	v_add_f32_e32 v24, v20, v17
	s_delay_alu instid0(VALU_DEP_1) | instskip(NEXT) | instid1(VALU_DEP_1)
	v_dual_add_f32 v23, v22, v21 :: v_dual_sub_f32 v20, v20, v24
	v_rcp_f32_e32 v19, v23
	v_sub_f32_e32 v22, v22, v23
	s_delay_alu instid0(VALU_DEP_1) | instskip(SKIP_2) | instid1(VALU_DEP_1)
	v_add_f32_e32 v21, v21, v22
	s_waitcnt_depctr 0xfff
	v_mul_f32_e32 v25, v24, v19
	v_mul_f32_e32 v26, v23, v25
	s_delay_alu instid0(VALU_DEP_1) | instskip(NEXT) | instid1(VALU_DEP_1)
	v_fma_f32 v22, v25, v23, -v26
	v_fmac_f32_e32 v22, v25, v21
	s_delay_alu instid0(VALU_DEP_1) | instskip(NEXT) | instid1(VALU_DEP_1)
	v_add_f32_e32 v27, v26, v22
	v_sub_f32_e32 v28, v24, v27
	s_delay_alu instid0(VALU_DEP_1) | instskip(SKIP_1) | instid1(VALU_DEP_2)
	v_sub_f32_e32 v24, v24, v28
	v_dual_add_f32 v17, v17, v20 :: v_dual_sub_f32 v20, v27, v26
	v_sub_f32_e32 v24, v24, v27
	s_delay_alu instid0(VALU_DEP_1) | instskip(NEXT) | instid1(VALU_DEP_1)
	v_dual_sub_f32 v20, v20, v22 :: v_dual_add_f32 v17, v17, v24
	v_add_f32_e32 v17, v20, v17
	s_delay_alu instid0(VALU_DEP_1) | instskip(NEXT) | instid1(VALU_DEP_1)
	v_add_f32_e32 v20, v28, v17
	v_mul_f32_e32 v22, v19, v20
	s_delay_alu instid0(VALU_DEP_1) | instskip(NEXT) | instid1(VALU_DEP_1)
	v_dual_sub_f32 v27, v28, v20 :: v_dual_mul_f32 v24, v23, v22
	v_add_f32_e32 v17, v17, v27
	s_delay_alu instid0(VALU_DEP_2) | instskip(NEXT) | instid1(VALU_DEP_1)
	v_fma_f32 v23, v22, v23, -v24
	v_fmac_f32_e32 v23, v22, v21
	s_delay_alu instid0(VALU_DEP_1) | instskip(NEXT) | instid1(VALU_DEP_1)
	v_add_f32_e32 v21, v24, v23
	v_sub_f32_e32 v26, v20, v21
	s_delay_alu instid0(VALU_DEP_1) | instskip(NEXT) | instid1(VALU_DEP_1)
	v_sub_f32_e32 v20, v20, v26
	v_sub_f32_e32 v20, v20, v21
	s_delay_alu instid0(VALU_DEP_1) | instskip(SKIP_2) | instid1(VALU_DEP_1)
	v_add_f32_e32 v17, v17, v20
	v_add_f32_e32 v20, v25, v22
	v_sub_f32_e32 v24, v21, v24
	v_sub_f32_e32 v21, v24, v23
	s_delay_alu instid0(VALU_DEP_1) | instskip(NEXT) | instid1(VALU_DEP_4)
	v_add_f32_e32 v17, v21, v17
	v_sub_f32_e32 v21, v20, v25
	s_delay_alu instid0(VALU_DEP_2) | instskip(NEXT) | instid1(VALU_DEP_2)
	v_add_f32_e32 v17, v26, v17
	v_sub_f32_e32 v21, v22, v21
	s_delay_alu instid0(VALU_DEP_2) | instskip(NEXT) | instid1(VALU_DEP_1)
	v_mul_f32_e32 v17, v19, v17
	v_add_f32_e32 v17, v21, v17
	s_delay_alu instid0(VALU_DEP_1) | instskip(NEXT) | instid1(VALU_DEP_1)
	v_add_f32_e32 v19, v20, v17
	v_mul_f32_e32 v21, v19, v19
	s_delay_alu instid0(VALU_DEP_1) | instskip(SKIP_1) | instid1(VALU_DEP_2)
	v_fmaak_f32 v22, s54, v21, 0x3ecc95a3
	v_mul_f32_e32 v23, v19, v21
	v_fmaak_f32 v21, v21, v22, 0x3f2aaada
	v_ldexp_f32 v22, v19, 1
	s_delay_alu instid0(VALU_DEP_2) | instskip(SKIP_1) | instid1(VALU_DEP_2)
	v_mul_f32_e32 v21, v23, v21
	v_sub_f32_e32 v19, v19, v20
	v_dual_mul_f32 v23, 0x3f317218, v16 :: v_dual_add_f32 v20, v22, v21
	s_delay_alu instid0(VALU_DEP_2) | instskip(NEXT) | instid1(VALU_DEP_2)
	v_sub_f32_e32 v17, v17, v19
	v_sub_f32_e32 v19, v20, v22
	s_delay_alu instid0(VALU_DEP_3) | instskip(NEXT) | instid1(VALU_DEP_3)
	v_fma_f32 v22, 0x3f317218, v16, -v23
	v_ldexp_f32 v17, v17, 1
	s_delay_alu instid0(VALU_DEP_2) | instskip(NEXT) | instid1(VALU_DEP_1)
	v_dual_sub_f32 v19, v21, v19 :: v_dual_fmac_f32 v22, 0xb102e308, v16
	v_dual_add_f32 v16, v17, v19 :: v_dual_add_f32 v17, v23, v22
	s_delay_alu instid0(VALU_DEP_1) | instskip(NEXT) | instid1(VALU_DEP_1)
	v_add_f32_e32 v19, v20, v16
	v_dual_add_f32 v21, v17, v19 :: v_dual_sub_f32 v20, v19, v20
	s_delay_alu instid0(VALU_DEP_1) | instskip(NEXT) | instid1(VALU_DEP_2)
	v_sub_f32_e32 v24, v21, v17
	v_dual_sub_f32 v23, v17, v23 :: v_dual_sub_f32 v16, v16, v20
	s_delay_alu instid0(VALU_DEP_1) | instskip(SKIP_1) | instid1(VALU_DEP_2)
	v_dual_sub_f32 v25, v21, v24 :: v_dual_sub_f32 v22, v22, v23
	v_sub_f32_e32 v19, v19, v24
	v_dual_sub_f32 v17, v17, v25 :: v_dual_add_f32 v20, v22, v16
	s_delay_alu instid0(VALU_DEP_1) | instskip(NEXT) | instid1(VALU_DEP_2)
	v_add_f32_e32 v17, v19, v17
	v_sub_f32_e32 v19, v20, v22
	s_delay_alu instid0(VALU_DEP_2) | instskip(NEXT) | instid1(VALU_DEP_2)
	v_add_f32_e32 v17, v20, v17
	v_sub_f32_e32 v20, v20, v19
	s_delay_alu instid0(VALU_DEP_2) | instskip(NEXT) | instid1(VALU_DEP_1)
	v_dual_sub_f32 v16, v16, v19 :: v_dual_add_f32 v23, v21, v17
	v_dual_sub_f32 v20, v22, v20 :: v_dual_sub_f32 v19, v23, v21
	s_delay_alu instid0(VALU_DEP_1) | instskip(NEXT) | instid1(VALU_DEP_1)
	v_dual_add_f32 v16, v16, v20 :: v_dual_sub_f32 v17, v17, v19
	v_add_f32_e32 v16, v16, v17
	s_delay_alu instid0(VALU_DEP_1) | instskip(NEXT) | instid1(VALU_DEP_1)
	v_add_f32_e32 v16, v23, v16
	v_cndmask_b32_e32 v75, v16, v18, vcc_lo
.LBB27_46:                              ;   in Loop: Header=BB27_12 Depth=1
	s_or_b32 exec_lo, exec_lo, s16
	v_and_b32_e32 v16, 0xffff0000, v2
	s_delay_alu instid0(VALU_DEP_1) | instskip(NEXT) | instid1(VALU_DEP_1)
	v_add_f32_e32 v76, s57, v16
	v_cmp_ge_f32_e32 vcc_lo, 0x41a00000, v76
	s_and_b32 s15, s67, vcc_lo
	s_delay_alu instid0(SALU_CYCLE_1)
	s_and_saveexec_b32 s16, s15
	s_cbranch_execz .LBB27_48
; %bb.47:                               ;   in Loop: Header=BB27_12 Depth=1
	v_mul_f32_e32 v16, 0x3fb8aa3b, v76
	v_cmp_ngt_f32_e32 vcc_lo, 0xc2ce8ed0, v76
	s_delay_alu instid0(VALU_DEP_2) | instskip(SKIP_1) | instid1(VALU_DEP_2)
	v_rndne_f32_e32 v17, v16
	v_fma_f32 v18, 0x3fb8aa3b, v76, -v16
	v_sub_f32_e32 v16, v16, v17
	s_delay_alu instid0(VALU_DEP_2) | instskip(SKIP_1) | instid1(VALU_DEP_2)
	v_fmac_f32_e32 v18, 0x32a5705f, v76
	v_cvt_i32_f32_e32 v17, v17
	v_add_f32_e32 v16, v16, v18
	s_delay_alu instid0(VALU_DEP_1) | instskip(SKIP_2) | instid1(VALU_DEP_1)
	v_exp_f32_e32 v16, v16
	s_waitcnt_depctr 0xfff
	v_ldexp_f32 v16, v16, v17
	v_cndmask_b32_e32 v16, 0, v16, vcc_lo
	v_cmp_nlt_f32_e32 vcc_lo, 0x42b17218, v76
	s_delay_alu instid0(VALU_DEP_2) | instskip(NEXT) | instid1(VALU_DEP_1)
	v_cndmask_b32_e32 v18, 0x7f800000, v16, vcc_lo
	v_add_f32_e32 v19, 1.0, v18
	s_delay_alu instid0(VALU_DEP_1) | instskip(NEXT) | instid1(VALU_DEP_1)
	v_cvt_f64_f32_e32 v[16:17], v19
	v_frexp_exp_i32_f64_e32 v16, v[16:17]
	v_frexp_mant_f32_e32 v17, v19
	s_delay_alu instid0(VALU_DEP_1) | instskip(SKIP_1) | instid1(VALU_DEP_1)
	v_cmp_gt_f32_e32 vcc_lo, 0x3f2aaaab, v17
	v_add_f32_e32 v17, -1.0, v19
	v_sub_f32_e32 v21, v17, v19
	v_sub_f32_e32 v17, v18, v17
	s_delay_alu instid0(VALU_DEP_2) | instskip(NEXT) | instid1(VALU_DEP_1)
	v_add_f32_e32 v21, 1.0, v21
	v_add_f32_e32 v17, v17, v21
	v_cmp_gt_f32_e64 s15, 0x33800000, v18
	v_subrev_co_ci_u32_e32 v16, vcc_lo, 0, v16, vcc_lo
	v_cmp_eq_f32_e32 vcc_lo, 0x7f800000, v18
	s_delay_alu instid0(VALU_DEP_2) | instskip(SKIP_2) | instid1(VALU_DEP_2)
	v_sub_nc_u32_e32 v20, 0, v16
	v_cvt_f32_i32_e32 v16, v16
	s_or_b32 vcc_lo, s15, vcc_lo
	v_ldexp_f32 v19, v19, v20
	v_ldexp_f32 v17, v17, v20
	s_delay_alu instid0(VALU_DEP_2) | instskip(NEXT) | instid1(VALU_DEP_1)
	v_add_f32_e32 v22, 1.0, v19
	v_dual_add_f32 v20, -1.0, v19 :: v_dual_add_f32 v21, -1.0, v22
	s_delay_alu instid0(VALU_DEP_1) | instskip(NEXT) | instid1(VALU_DEP_2)
	v_add_f32_e32 v23, 1.0, v20
	v_sub_f32_e32 v21, v19, v21
	s_delay_alu instid0(VALU_DEP_2) | instskip(NEXT) | instid1(VALU_DEP_2)
	v_sub_f32_e32 v19, v19, v23
	v_add_f32_e32 v21, v17, v21
	s_delay_alu instid0(VALU_DEP_2) | instskip(NEXT) | instid1(VALU_DEP_1)
	v_add_f32_e32 v17, v17, v19
	v_add_f32_e32 v24, v20, v17
	s_delay_alu instid0(VALU_DEP_1) | instskip(NEXT) | instid1(VALU_DEP_1)
	v_dual_add_f32 v23, v22, v21 :: v_dual_sub_f32 v20, v20, v24
	v_rcp_f32_e32 v19, v23
	v_sub_f32_e32 v22, v22, v23
	s_delay_alu instid0(VALU_DEP_1) | instskip(SKIP_2) | instid1(VALU_DEP_1)
	v_add_f32_e32 v21, v21, v22
	s_waitcnt_depctr 0xfff
	v_mul_f32_e32 v25, v24, v19
	v_mul_f32_e32 v26, v23, v25
	s_delay_alu instid0(VALU_DEP_1) | instskip(NEXT) | instid1(VALU_DEP_1)
	v_fma_f32 v22, v25, v23, -v26
	v_fmac_f32_e32 v22, v25, v21
	s_delay_alu instid0(VALU_DEP_1) | instskip(NEXT) | instid1(VALU_DEP_1)
	v_add_f32_e32 v27, v26, v22
	v_sub_f32_e32 v28, v24, v27
	s_delay_alu instid0(VALU_DEP_1) | instskip(SKIP_1) | instid1(VALU_DEP_2)
	v_sub_f32_e32 v24, v24, v28
	v_dual_add_f32 v17, v17, v20 :: v_dual_sub_f32 v20, v27, v26
	v_sub_f32_e32 v24, v24, v27
	s_delay_alu instid0(VALU_DEP_1) | instskip(NEXT) | instid1(VALU_DEP_1)
	v_dual_sub_f32 v20, v20, v22 :: v_dual_add_f32 v17, v17, v24
	v_add_f32_e32 v17, v20, v17
	s_delay_alu instid0(VALU_DEP_1) | instskip(NEXT) | instid1(VALU_DEP_1)
	v_add_f32_e32 v20, v28, v17
	v_mul_f32_e32 v22, v19, v20
	s_delay_alu instid0(VALU_DEP_1) | instskip(NEXT) | instid1(VALU_DEP_1)
	v_dual_sub_f32 v27, v28, v20 :: v_dual_mul_f32 v24, v23, v22
	v_add_f32_e32 v17, v17, v27
	s_delay_alu instid0(VALU_DEP_2) | instskip(NEXT) | instid1(VALU_DEP_1)
	v_fma_f32 v23, v22, v23, -v24
	v_fmac_f32_e32 v23, v22, v21
	s_delay_alu instid0(VALU_DEP_1) | instskip(NEXT) | instid1(VALU_DEP_1)
	v_add_f32_e32 v21, v24, v23
	v_sub_f32_e32 v26, v20, v21
	s_delay_alu instid0(VALU_DEP_1) | instskip(NEXT) | instid1(VALU_DEP_1)
	v_sub_f32_e32 v20, v20, v26
	v_sub_f32_e32 v20, v20, v21
	s_delay_alu instid0(VALU_DEP_1) | instskip(SKIP_2) | instid1(VALU_DEP_1)
	v_add_f32_e32 v17, v17, v20
	v_add_f32_e32 v20, v25, v22
	v_sub_f32_e32 v24, v21, v24
	v_sub_f32_e32 v21, v24, v23
	s_delay_alu instid0(VALU_DEP_1) | instskip(NEXT) | instid1(VALU_DEP_4)
	v_add_f32_e32 v17, v21, v17
	v_sub_f32_e32 v21, v20, v25
	s_delay_alu instid0(VALU_DEP_2) | instskip(NEXT) | instid1(VALU_DEP_2)
	v_add_f32_e32 v17, v26, v17
	v_sub_f32_e32 v21, v22, v21
	s_delay_alu instid0(VALU_DEP_2) | instskip(NEXT) | instid1(VALU_DEP_1)
	v_mul_f32_e32 v17, v19, v17
	v_add_f32_e32 v17, v21, v17
	s_delay_alu instid0(VALU_DEP_1) | instskip(NEXT) | instid1(VALU_DEP_1)
	v_add_f32_e32 v19, v20, v17
	v_mul_f32_e32 v21, v19, v19
	s_delay_alu instid0(VALU_DEP_1) | instskip(SKIP_1) | instid1(VALU_DEP_2)
	v_fmaak_f32 v22, s54, v21, 0x3ecc95a3
	v_mul_f32_e32 v23, v19, v21
	v_fmaak_f32 v21, v21, v22, 0x3f2aaada
	v_ldexp_f32 v22, v19, 1
	s_delay_alu instid0(VALU_DEP_2) | instskip(SKIP_1) | instid1(VALU_DEP_2)
	v_mul_f32_e32 v21, v23, v21
	v_sub_f32_e32 v19, v19, v20
	v_dual_mul_f32 v23, 0x3f317218, v16 :: v_dual_add_f32 v20, v22, v21
	s_delay_alu instid0(VALU_DEP_2) | instskip(NEXT) | instid1(VALU_DEP_2)
	v_sub_f32_e32 v17, v17, v19
	v_sub_f32_e32 v19, v20, v22
	s_delay_alu instid0(VALU_DEP_3) | instskip(NEXT) | instid1(VALU_DEP_3)
	v_fma_f32 v22, 0x3f317218, v16, -v23
	v_ldexp_f32 v17, v17, 1
	s_delay_alu instid0(VALU_DEP_2) | instskip(NEXT) | instid1(VALU_DEP_1)
	v_dual_sub_f32 v19, v21, v19 :: v_dual_fmac_f32 v22, 0xb102e308, v16
	v_dual_add_f32 v16, v17, v19 :: v_dual_add_f32 v17, v23, v22
	s_delay_alu instid0(VALU_DEP_1) | instskip(NEXT) | instid1(VALU_DEP_1)
	v_add_f32_e32 v19, v20, v16
	v_dual_add_f32 v21, v17, v19 :: v_dual_sub_f32 v20, v19, v20
	s_delay_alu instid0(VALU_DEP_1) | instskip(NEXT) | instid1(VALU_DEP_2)
	v_sub_f32_e32 v24, v21, v17
	v_dual_sub_f32 v23, v17, v23 :: v_dual_sub_f32 v16, v16, v20
	s_delay_alu instid0(VALU_DEP_1) | instskip(SKIP_1) | instid1(VALU_DEP_2)
	v_dual_sub_f32 v25, v21, v24 :: v_dual_sub_f32 v22, v22, v23
	v_sub_f32_e32 v19, v19, v24
	v_dual_sub_f32 v17, v17, v25 :: v_dual_add_f32 v20, v22, v16
	s_delay_alu instid0(VALU_DEP_1) | instskip(NEXT) | instid1(VALU_DEP_2)
	v_add_f32_e32 v17, v19, v17
	v_sub_f32_e32 v19, v20, v22
	s_delay_alu instid0(VALU_DEP_2) | instskip(NEXT) | instid1(VALU_DEP_2)
	v_add_f32_e32 v17, v20, v17
	v_sub_f32_e32 v20, v20, v19
	s_delay_alu instid0(VALU_DEP_2) | instskip(NEXT) | instid1(VALU_DEP_1)
	v_dual_sub_f32 v16, v16, v19 :: v_dual_add_f32 v23, v21, v17
	v_dual_sub_f32 v20, v22, v20 :: v_dual_sub_f32 v19, v23, v21
	s_delay_alu instid0(VALU_DEP_1) | instskip(NEXT) | instid1(VALU_DEP_1)
	v_dual_add_f32 v16, v16, v20 :: v_dual_sub_f32 v17, v17, v19
	v_add_f32_e32 v16, v16, v17
	s_delay_alu instid0(VALU_DEP_1) | instskip(NEXT) | instid1(VALU_DEP_1)
	v_add_f32_e32 v16, v23, v16
	v_cndmask_b32_e32 v76, v16, v18, vcc_lo
.LBB27_48:                              ;   in Loop: Header=BB27_12 Depth=1
	s_or_b32 exec_lo, exec_lo, s16
	v_lshlrev_b32_e32 v16, 16, v3
	s_delay_alu instid0(VALU_DEP_1) | instskip(NEXT) | instid1(VALU_DEP_1)
	v_add_f32_e32 v77, s57, v16
	v_cmp_ge_f32_e32 vcc_lo, 0x41a00000, v77
	s_and_b32 s15, s67, vcc_lo
	s_delay_alu instid0(SALU_CYCLE_1)
	s_and_saveexec_b32 s16, s15
	s_cbranch_execz .LBB27_50
; %bb.49:                               ;   in Loop: Header=BB27_12 Depth=1
	v_mul_f32_e32 v16, 0x3fb8aa3b, v77
	v_cmp_ngt_f32_e32 vcc_lo, 0xc2ce8ed0, v77
	s_delay_alu instid0(VALU_DEP_2) | instskip(SKIP_1) | instid1(VALU_DEP_2)
	v_rndne_f32_e32 v17, v16
	v_fma_f32 v18, 0x3fb8aa3b, v77, -v16
	v_sub_f32_e32 v16, v16, v17
	s_delay_alu instid0(VALU_DEP_2) | instskip(SKIP_1) | instid1(VALU_DEP_2)
	v_fmac_f32_e32 v18, 0x32a5705f, v77
	v_cvt_i32_f32_e32 v17, v17
	v_add_f32_e32 v16, v16, v18
	s_delay_alu instid0(VALU_DEP_1) | instskip(SKIP_2) | instid1(VALU_DEP_1)
	v_exp_f32_e32 v16, v16
	s_waitcnt_depctr 0xfff
	v_ldexp_f32 v16, v16, v17
	v_cndmask_b32_e32 v16, 0, v16, vcc_lo
	v_cmp_nlt_f32_e32 vcc_lo, 0x42b17218, v77
	s_delay_alu instid0(VALU_DEP_2) | instskip(NEXT) | instid1(VALU_DEP_1)
	v_cndmask_b32_e32 v18, 0x7f800000, v16, vcc_lo
	v_add_f32_e32 v19, 1.0, v18
	s_delay_alu instid0(VALU_DEP_1) | instskip(NEXT) | instid1(VALU_DEP_1)
	v_cvt_f64_f32_e32 v[16:17], v19
	v_frexp_exp_i32_f64_e32 v16, v[16:17]
	v_frexp_mant_f32_e32 v17, v19
	s_delay_alu instid0(VALU_DEP_1) | instskip(SKIP_1) | instid1(VALU_DEP_1)
	v_cmp_gt_f32_e32 vcc_lo, 0x3f2aaaab, v17
	v_add_f32_e32 v17, -1.0, v19
	v_sub_f32_e32 v21, v17, v19
	v_sub_f32_e32 v17, v18, v17
	s_delay_alu instid0(VALU_DEP_2) | instskip(NEXT) | instid1(VALU_DEP_1)
	v_add_f32_e32 v21, 1.0, v21
	v_add_f32_e32 v17, v17, v21
	v_cmp_gt_f32_e64 s15, 0x33800000, v18
	v_subrev_co_ci_u32_e32 v16, vcc_lo, 0, v16, vcc_lo
	v_cmp_eq_f32_e32 vcc_lo, 0x7f800000, v18
	s_delay_alu instid0(VALU_DEP_2) | instskip(SKIP_2) | instid1(VALU_DEP_2)
	v_sub_nc_u32_e32 v20, 0, v16
	v_cvt_f32_i32_e32 v16, v16
	s_or_b32 vcc_lo, s15, vcc_lo
	v_ldexp_f32 v19, v19, v20
	v_ldexp_f32 v17, v17, v20
	s_delay_alu instid0(VALU_DEP_2) | instskip(NEXT) | instid1(VALU_DEP_1)
	v_add_f32_e32 v22, 1.0, v19
	v_dual_add_f32 v20, -1.0, v19 :: v_dual_add_f32 v21, -1.0, v22
	s_delay_alu instid0(VALU_DEP_1) | instskip(NEXT) | instid1(VALU_DEP_2)
	v_add_f32_e32 v23, 1.0, v20
	v_sub_f32_e32 v21, v19, v21
	s_delay_alu instid0(VALU_DEP_2) | instskip(NEXT) | instid1(VALU_DEP_2)
	v_sub_f32_e32 v19, v19, v23
	v_add_f32_e32 v21, v17, v21
	s_delay_alu instid0(VALU_DEP_2) | instskip(NEXT) | instid1(VALU_DEP_1)
	v_add_f32_e32 v17, v17, v19
	v_add_f32_e32 v24, v20, v17
	s_delay_alu instid0(VALU_DEP_1) | instskip(NEXT) | instid1(VALU_DEP_1)
	v_dual_add_f32 v23, v22, v21 :: v_dual_sub_f32 v20, v20, v24
	v_rcp_f32_e32 v19, v23
	v_sub_f32_e32 v22, v22, v23
	s_delay_alu instid0(VALU_DEP_1) | instskip(SKIP_2) | instid1(VALU_DEP_1)
	v_add_f32_e32 v21, v21, v22
	s_waitcnt_depctr 0xfff
	v_mul_f32_e32 v25, v24, v19
	v_mul_f32_e32 v26, v23, v25
	s_delay_alu instid0(VALU_DEP_1) | instskip(NEXT) | instid1(VALU_DEP_1)
	v_fma_f32 v22, v25, v23, -v26
	v_fmac_f32_e32 v22, v25, v21
	s_delay_alu instid0(VALU_DEP_1) | instskip(NEXT) | instid1(VALU_DEP_1)
	v_add_f32_e32 v27, v26, v22
	v_sub_f32_e32 v28, v24, v27
	s_delay_alu instid0(VALU_DEP_1) | instskip(SKIP_1) | instid1(VALU_DEP_2)
	v_sub_f32_e32 v24, v24, v28
	v_dual_add_f32 v17, v17, v20 :: v_dual_sub_f32 v20, v27, v26
	v_sub_f32_e32 v24, v24, v27
	s_delay_alu instid0(VALU_DEP_1) | instskip(NEXT) | instid1(VALU_DEP_1)
	v_dual_sub_f32 v20, v20, v22 :: v_dual_add_f32 v17, v17, v24
	v_add_f32_e32 v17, v20, v17
	s_delay_alu instid0(VALU_DEP_1) | instskip(NEXT) | instid1(VALU_DEP_1)
	v_add_f32_e32 v20, v28, v17
	v_mul_f32_e32 v22, v19, v20
	s_delay_alu instid0(VALU_DEP_1) | instskip(NEXT) | instid1(VALU_DEP_1)
	v_dual_sub_f32 v27, v28, v20 :: v_dual_mul_f32 v24, v23, v22
	v_add_f32_e32 v17, v17, v27
	s_delay_alu instid0(VALU_DEP_2) | instskip(NEXT) | instid1(VALU_DEP_1)
	v_fma_f32 v23, v22, v23, -v24
	v_fmac_f32_e32 v23, v22, v21
	s_delay_alu instid0(VALU_DEP_1) | instskip(NEXT) | instid1(VALU_DEP_1)
	v_add_f32_e32 v21, v24, v23
	v_sub_f32_e32 v26, v20, v21
	s_delay_alu instid0(VALU_DEP_1) | instskip(NEXT) | instid1(VALU_DEP_1)
	v_sub_f32_e32 v20, v20, v26
	v_sub_f32_e32 v20, v20, v21
	s_delay_alu instid0(VALU_DEP_1) | instskip(SKIP_2) | instid1(VALU_DEP_1)
	v_add_f32_e32 v17, v17, v20
	v_add_f32_e32 v20, v25, v22
	v_sub_f32_e32 v24, v21, v24
	v_sub_f32_e32 v21, v24, v23
	s_delay_alu instid0(VALU_DEP_1) | instskip(NEXT) | instid1(VALU_DEP_4)
	v_add_f32_e32 v17, v21, v17
	v_sub_f32_e32 v21, v20, v25
	s_delay_alu instid0(VALU_DEP_2) | instskip(NEXT) | instid1(VALU_DEP_2)
	v_add_f32_e32 v17, v26, v17
	v_sub_f32_e32 v21, v22, v21
	s_delay_alu instid0(VALU_DEP_2) | instskip(NEXT) | instid1(VALU_DEP_1)
	v_mul_f32_e32 v17, v19, v17
	v_add_f32_e32 v17, v21, v17
	s_delay_alu instid0(VALU_DEP_1) | instskip(NEXT) | instid1(VALU_DEP_1)
	v_add_f32_e32 v19, v20, v17
	v_mul_f32_e32 v21, v19, v19
	s_delay_alu instid0(VALU_DEP_1) | instskip(SKIP_1) | instid1(VALU_DEP_2)
	v_fmaak_f32 v22, s54, v21, 0x3ecc95a3
	v_mul_f32_e32 v23, v19, v21
	v_fmaak_f32 v21, v21, v22, 0x3f2aaada
	v_ldexp_f32 v22, v19, 1
	s_delay_alu instid0(VALU_DEP_2) | instskip(SKIP_1) | instid1(VALU_DEP_2)
	v_mul_f32_e32 v21, v23, v21
	v_sub_f32_e32 v19, v19, v20
	v_dual_mul_f32 v23, 0x3f317218, v16 :: v_dual_add_f32 v20, v22, v21
	s_delay_alu instid0(VALU_DEP_2) | instskip(NEXT) | instid1(VALU_DEP_2)
	v_sub_f32_e32 v17, v17, v19
	v_sub_f32_e32 v19, v20, v22
	s_delay_alu instid0(VALU_DEP_3) | instskip(NEXT) | instid1(VALU_DEP_3)
	v_fma_f32 v22, 0x3f317218, v16, -v23
	v_ldexp_f32 v17, v17, 1
	s_delay_alu instid0(VALU_DEP_2) | instskip(NEXT) | instid1(VALU_DEP_1)
	v_dual_sub_f32 v19, v21, v19 :: v_dual_fmac_f32 v22, 0xb102e308, v16
	v_dual_add_f32 v16, v17, v19 :: v_dual_add_f32 v17, v23, v22
	s_delay_alu instid0(VALU_DEP_1) | instskip(NEXT) | instid1(VALU_DEP_1)
	v_add_f32_e32 v19, v20, v16
	v_dual_add_f32 v21, v17, v19 :: v_dual_sub_f32 v20, v19, v20
	s_delay_alu instid0(VALU_DEP_1) | instskip(NEXT) | instid1(VALU_DEP_2)
	v_sub_f32_e32 v24, v21, v17
	v_dual_sub_f32 v23, v17, v23 :: v_dual_sub_f32 v16, v16, v20
	s_delay_alu instid0(VALU_DEP_1) | instskip(SKIP_1) | instid1(VALU_DEP_2)
	v_dual_sub_f32 v25, v21, v24 :: v_dual_sub_f32 v22, v22, v23
	v_sub_f32_e32 v19, v19, v24
	v_dual_sub_f32 v17, v17, v25 :: v_dual_add_f32 v20, v22, v16
	s_delay_alu instid0(VALU_DEP_1) | instskip(NEXT) | instid1(VALU_DEP_2)
	v_add_f32_e32 v17, v19, v17
	v_sub_f32_e32 v19, v20, v22
	s_delay_alu instid0(VALU_DEP_2) | instskip(NEXT) | instid1(VALU_DEP_2)
	v_add_f32_e32 v17, v20, v17
	v_sub_f32_e32 v20, v20, v19
	s_delay_alu instid0(VALU_DEP_2) | instskip(NEXT) | instid1(VALU_DEP_1)
	v_dual_sub_f32 v16, v16, v19 :: v_dual_add_f32 v23, v21, v17
	v_dual_sub_f32 v20, v22, v20 :: v_dual_sub_f32 v19, v23, v21
	s_delay_alu instid0(VALU_DEP_1) | instskip(NEXT) | instid1(VALU_DEP_1)
	v_dual_add_f32 v16, v16, v20 :: v_dual_sub_f32 v17, v17, v19
	v_add_f32_e32 v16, v16, v17
	s_delay_alu instid0(VALU_DEP_1) | instskip(NEXT) | instid1(VALU_DEP_1)
	v_add_f32_e32 v16, v23, v16
	v_cndmask_b32_e32 v77, v16, v18, vcc_lo
.LBB27_50:                              ;   in Loop: Header=BB27_12 Depth=1
	s_or_b32 exec_lo, exec_lo, s16
	v_and_b32_e32 v16, 0xffff0000, v3
	s_delay_alu instid0(VALU_DEP_1) | instskip(NEXT) | instid1(VALU_DEP_1)
	v_add_f32_e32 v94, s57, v16
	v_cmp_ge_f32_e32 vcc_lo, 0x41a00000, v94
	s_and_b32 s15, s67, vcc_lo
	s_delay_alu instid0(SALU_CYCLE_1)
	s_and_saveexec_b32 s16, s15
	s_cbranch_execz .LBB27_52
; %bb.51:                               ;   in Loop: Header=BB27_12 Depth=1
	v_mul_f32_e32 v16, 0x3fb8aa3b, v94
	v_cmp_ngt_f32_e32 vcc_lo, 0xc2ce8ed0, v94
	s_delay_alu instid0(VALU_DEP_2) | instskip(SKIP_1) | instid1(VALU_DEP_2)
	v_rndne_f32_e32 v17, v16
	v_fma_f32 v18, 0x3fb8aa3b, v94, -v16
	v_sub_f32_e32 v16, v16, v17
	s_delay_alu instid0(VALU_DEP_2) | instskip(SKIP_1) | instid1(VALU_DEP_2)
	v_fmac_f32_e32 v18, 0x32a5705f, v94
	v_cvt_i32_f32_e32 v17, v17
	v_add_f32_e32 v16, v16, v18
	s_delay_alu instid0(VALU_DEP_1) | instskip(SKIP_2) | instid1(VALU_DEP_1)
	v_exp_f32_e32 v16, v16
	s_waitcnt_depctr 0xfff
	v_ldexp_f32 v16, v16, v17
	v_cndmask_b32_e32 v16, 0, v16, vcc_lo
	v_cmp_nlt_f32_e32 vcc_lo, 0x42b17218, v94
	s_delay_alu instid0(VALU_DEP_2) | instskip(NEXT) | instid1(VALU_DEP_1)
	v_cndmask_b32_e32 v18, 0x7f800000, v16, vcc_lo
	v_add_f32_e32 v19, 1.0, v18
	s_delay_alu instid0(VALU_DEP_1) | instskip(NEXT) | instid1(VALU_DEP_1)
	v_cvt_f64_f32_e32 v[16:17], v19
	v_frexp_exp_i32_f64_e32 v16, v[16:17]
	v_frexp_mant_f32_e32 v17, v19
	s_delay_alu instid0(VALU_DEP_1) | instskip(SKIP_1) | instid1(VALU_DEP_1)
	v_cmp_gt_f32_e32 vcc_lo, 0x3f2aaaab, v17
	v_add_f32_e32 v17, -1.0, v19
	v_sub_f32_e32 v21, v17, v19
	v_sub_f32_e32 v17, v18, v17
	s_delay_alu instid0(VALU_DEP_2) | instskip(NEXT) | instid1(VALU_DEP_1)
	v_add_f32_e32 v21, 1.0, v21
	v_add_f32_e32 v17, v17, v21
	v_cmp_gt_f32_e64 s15, 0x33800000, v18
	v_subrev_co_ci_u32_e32 v16, vcc_lo, 0, v16, vcc_lo
	v_cmp_eq_f32_e32 vcc_lo, 0x7f800000, v18
	s_delay_alu instid0(VALU_DEP_2) | instskip(SKIP_2) | instid1(VALU_DEP_2)
	v_sub_nc_u32_e32 v20, 0, v16
	v_cvt_f32_i32_e32 v16, v16
	s_or_b32 vcc_lo, s15, vcc_lo
	v_ldexp_f32 v19, v19, v20
	v_ldexp_f32 v17, v17, v20
	s_delay_alu instid0(VALU_DEP_2) | instskip(NEXT) | instid1(VALU_DEP_1)
	v_add_f32_e32 v22, 1.0, v19
	v_dual_add_f32 v20, -1.0, v19 :: v_dual_add_f32 v21, -1.0, v22
	s_delay_alu instid0(VALU_DEP_1) | instskip(NEXT) | instid1(VALU_DEP_2)
	v_add_f32_e32 v23, 1.0, v20
	v_sub_f32_e32 v21, v19, v21
	s_delay_alu instid0(VALU_DEP_2) | instskip(NEXT) | instid1(VALU_DEP_2)
	v_sub_f32_e32 v19, v19, v23
	v_add_f32_e32 v21, v17, v21
	s_delay_alu instid0(VALU_DEP_2) | instskip(NEXT) | instid1(VALU_DEP_1)
	v_add_f32_e32 v17, v17, v19
	v_add_f32_e32 v24, v20, v17
	s_delay_alu instid0(VALU_DEP_1) | instskip(NEXT) | instid1(VALU_DEP_1)
	v_dual_add_f32 v23, v22, v21 :: v_dual_sub_f32 v20, v20, v24
	v_rcp_f32_e32 v19, v23
	v_sub_f32_e32 v22, v22, v23
	s_delay_alu instid0(VALU_DEP_1) | instskip(SKIP_2) | instid1(VALU_DEP_1)
	v_add_f32_e32 v21, v21, v22
	s_waitcnt_depctr 0xfff
	v_mul_f32_e32 v25, v24, v19
	v_mul_f32_e32 v26, v23, v25
	s_delay_alu instid0(VALU_DEP_1) | instskip(NEXT) | instid1(VALU_DEP_1)
	v_fma_f32 v22, v25, v23, -v26
	v_fmac_f32_e32 v22, v25, v21
	s_delay_alu instid0(VALU_DEP_1) | instskip(NEXT) | instid1(VALU_DEP_1)
	v_add_f32_e32 v27, v26, v22
	v_sub_f32_e32 v28, v24, v27
	s_delay_alu instid0(VALU_DEP_1) | instskip(SKIP_1) | instid1(VALU_DEP_2)
	v_sub_f32_e32 v24, v24, v28
	v_dual_add_f32 v17, v17, v20 :: v_dual_sub_f32 v20, v27, v26
	v_sub_f32_e32 v24, v24, v27
	s_delay_alu instid0(VALU_DEP_1) | instskip(NEXT) | instid1(VALU_DEP_1)
	v_dual_sub_f32 v20, v20, v22 :: v_dual_add_f32 v17, v17, v24
	v_add_f32_e32 v17, v20, v17
	s_delay_alu instid0(VALU_DEP_1) | instskip(NEXT) | instid1(VALU_DEP_1)
	v_add_f32_e32 v20, v28, v17
	v_mul_f32_e32 v22, v19, v20
	s_delay_alu instid0(VALU_DEP_1) | instskip(NEXT) | instid1(VALU_DEP_1)
	v_dual_sub_f32 v27, v28, v20 :: v_dual_mul_f32 v24, v23, v22
	v_add_f32_e32 v17, v17, v27
	s_delay_alu instid0(VALU_DEP_2) | instskip(NEXT) | instid1(VALU_DEP_1)
	v_fma_f32 v23, v22, v23, -v24
	v_fmac_f32_e32 v23, v22, v21
	s_delay_alu instid0(VALU_DEP_1) | instskip(NEXT) | instid1(VALU_DEP_1)
	v_add_f32_e32 v21, v24, v23
	v_sub_f32_e32 v26, v20, v21
	s_delay_alu instid0(VALU_DEP_1) | instskip(NEXT) | instid1(VALU_DEP_1)
	v_sub_f32_e32 v20, v20, v26
	v_sub_f32_e32 v20, v20, v21
	s_delay_alu instid0(VALU_DEP_1) | instskip(SKIP_2) | instid1(VALU_DEP_1)
	v_add_f32_e32 v17, v17, v20
	v_add_f32_e32 v20, v25, v22
	v_sub_f32_e32 v24, v21, v24
	v_sub_f32_e32 v21, v24, v23
	s_delay_alu instid0(VALU_DEP_1) | instskip(NEXT) | instid1(VALU_DEP_4)
	v_add_f32_e32 v17, v21, v17
	v_sub_f32_e32 v21, v20, v25
	s_delay_alu instid0(VALU_DEP_2) | instskip(NEXT) | instid1(VALU_DEP_2)
	v_add_f32_e32 v17, v26, v17
	v_sub_f32_e32 v21, v22, v21
	s_delay_alu instid0(VALU_DEP_2) | instskip(NEXT) | instid1(VALU_DEP_1)
	v_mul_f32_e32 v17, v19, v17
	v_add_f32_e32 v17, v21, v17
	s_delay_alu instid0(VALU_DEP_1) | instskip(NEXT) | instid1(VALU_DEP_1)
	v_add_f32_e32 v19, v20, v17
	v_mul_f32_e32 v21, v19, v19
	s_delay_alu instid0(VALU_DEP_1) | instskip(SKIP_1) | instid1(VALU_DEP_2)
	v_fmaak_f32 v22, s54, v21, 0x3ecc95a3
	v_mul_f32_e32 v23, v19, v21
	v_fmaak_f32 v21, v21, v22, 0x3f2aaada
	v_ldexp_f32 v22, v19, 1
	s_delay_alu instid0(VALU_DEP_2) | instskip(SKIP_1) | instid1(VALU_DEP_2)
	v_mul_f32_e32 v21, v23, v21
	v_sub_f32_e32 v19, v19, v20
	v_dual_mul_f32 v23, 0x3f317218, v16 :: v_dual_add_f32 v20, v22, v21
	s_delay_alu instid0(VALU_DEP_2) | instskip(NEXT) | instid1(VALU_DEP_2)
	v_sub_f32_e32 v17, v17, v19
	v_sub_f32_e32 v19, v20, v22
	s_delay_alu instid0(VALU_DEP_3) | instskip(NEXT) | instid1(VALU_DEP_3)
	v_fma_f32 v22, 0x3f317218, v16, -v23
	v_ldexp_f32 v17, v17, 1
	s_delay_alu instid0(VALU_DEP_2) | instskip(NEXT) | instid1(VALU_DEP_1)
	v_dual_sub_f32 v19, v21, v19 :: v_dual_fmac_f32 v22, 0xb102e308, v16
	v_dual_add_f32 v16, v17, v19 :: v_dual_add_f32 v17, v23, v22
	s_delay_alu instid0(VALU_DEP_1) | instskip(NEXT) | instid1(VALU_DEP_1)
	v_add_f32_e32 v19, v20, v16
	v_dual_add_f32 v21, v17, v19 :: v_dual_sub_f32 v20, v19, v20
	s_delay_alu instid0(VALU_DEP_1) | instskip(NEXT) | instid1(VALU_DEP_2)
	v_sub_f32_e32 v24, v21, v17
	v_dual_sub_f32 v23, v17, v23 :: v_dual_sub_f32 v16, v16, v20
	s_delay_alu instid0(VALU_DEP_1) | instskip(SKIP_1) | instid1(VALU_DEP_2)
	v_dual_sub_f32 v25, v21, v24 :: v_dual_sub_f32 v22, v22, v23
	v_sub_f32_e32 v19, v19, v24
	v_dual_sub_f32 v17, v17, v25 :: v_dual_add_f32 v20, v22, v16
	s_delay_alu instid0(VALU_DEP_1) | instskip(NEXT) | instid1(VALU_DEP_2)
	v_add_f32_e32 v17, v19, v17
	v_sub_f32_e32 v19, v20, v22
	s_delay_alu instid0(VALU_DEP_2) | instskip(NEXT) | instid1(VALU_DEP_2)
	v_add_f32_e32 v17, v20, v17
	v_sub_f32_e32 v20, v20, v19
	s_delay_alu instid0(VALU_DEP_2) | instskip(NEXT) | instid1(VALU_DEP_1)
	v_dual_sub_f32 v16, v16, v19 :: v_dual_add_f32 v23, v21, v17
	v_dual_sub_f32 v20, v22, v20 :: v_dual_sub_f32 v19, v23, v21
	s_delay_alu instid0(VALU_DEP_1) | instskip(NEXT) | instid1(VALU_DEP_1)
	v_dual_add_f32 v16, v16, v20 :: v_dual_sub_f32 v17, v17, v19
	v_add_f32_e32 v16, v16, v17
	s_delay_alu instid0(VALU_DEP_1) | instskip(NEXT) | instid1(VALU_DEP_1)
	v_add_f32_e32 v16, v23, v16
	v_cndmask_b32_e32 v94, v16, v18, vcc_lo
.LBB27_52:                              ;   in Loop: Header=BB27_12 Depth=1
	s_or_b32 exec_lo, exec_lo, s16
	v_lshlrev_b32_e32 v31, 16, v12
	v_and_b32_e32 v30, 0xffff0000, v12
	v_lshlrev_b32_e32 v20, 16, v9
	v_lshlrev_b32_e32 v16, 16, v11
	v_and_b32_e32 v21, 0xffff0000, v8
	v_mul_f32_e32 v93, s58, v31
	v_dual_mul_f32 v92, s58, v30 :: v_dual_lshlrev_b32 v29, 16, v13
	v_lshlrev_b32_e32 v24, 16, v15
	s_delay_alu instid0(VALU_DEP_4) | instskip(SKIP_1) | instid1(VALU_DEP_4)
	v_dual_mul_f32 v82, s58, v21 :: v_dual_and_b32 v17, 0xffff0000, v10
	v_and_b32_e32 v28, 0xffff0000, v13
	v_mul_f32_e32 v91, s58, v29
	s_delay_alu instid0(VALU_DEP_4) | instskip(NEXT) | instid1(VALU_DEP_4)
	v_mul_f32_e32 v89, s58, v24
	v_dual_mul_f32 v78, s58, v17 :: v_dual_lshlrev_b32 v27, 16, v14
	s_delay_alu instid0(VALU_DEP_4) | instskip(NEXT) | instid1(VALU_DEP_2)
	v_dual_mul_f32 v86, s58, v28 :: v_dual_and_b32 v23, 0xffff0000, v15
	v_dual_mul_f32 v90, s58, v27 :: v_dual_and_b32 v25, 0xffff0000, v14
	v_dual_mul_f32 v83, s58, v20 :: v_dual_lshlrev_b32 v18, 16, v10
	v_mul_f32_e32 v79, s58, v16
	v_and_b32_e32 v19, 0xffff0000, v9
	s_delay_alu instid0(VALU_DEP_4) | instskip(SKIP_1) | instid1(VALU_DEP_3)
	v_dual_mul_f32 v87, s58, v25 :: v_dual_lshlrev_b32 v22, 16, v8
	v_and_b32_e32 v26, 0xffff0000, v11
	v_dual_mul_f32 v80, s58, v18 :: v_dual_mul_f32 v81, s58, v19
	s_delay_alu instid0(VALU_DEP_3) | instskip(NEXT) | instid1(VALU_DEP_3)
	v_dual_mul_f32 v85, s58, v22 :: v_dual_mul_f32 v88, s58, v23
	v_mul_f32_e32 v84, s58, v26
	s_lshl_b32 s38, s72, 11
	s_and_b32 vcc_lo, exec_lo, s68
	s_barrier
	buffer_gl0_inv
	s_cbranch_vccz .LBB27_11
; %bb.53:                               ;   in Loop: Header=BB27_12 Depth=1
	v_dual_mul_f32 v95, v94, v26 :: v_dual_mul_f32 v100, v77, v16
	v_add_co_u32 v26, s15, s41, v61
	s_delay_alu instid0(VALU_DEP_1) | instskip(SKIP_1) | instid1(VALU_DEP_1)
	v_add_co_ci_u32_e64 v32, null, s62, 0, s15
	v_add_co_u32 v33, s15, s45, v61
	v_add_co_ci_u32_e64 v99, null, s63, 0, s15
	s_delay_alu instid0(VALU_DEP_4) | instskip(NEXT) | instid1(VALU_DEP_4)
	v_add_co_u32 v96, vcc_lo, v26, v62
	v_add_co_ci_u32_e32 v97, vcc_lo, 0, v32, vcc_lo
	s_delay_alu instid0(VALU_DEP_4)
	v_add_co_u32 v98, vcc_lo, v33, v62
	s_sub_i32 s26, s34, s38
	v_add_co_ci_u32_e32 v99, vcc_lo, 0, v99, vcc_lo
	v_cmp_gt_u32_e32 vcc_lo, s26, v40
	s_cmp_lg_u32 s72, 0
	v_cmp_gt_u32_e64 s17, s26, v47
	s_cselect_b32 s39, -1, 0
	s_cmp_eq_u32 s72, s70
	v_cmp_gt_u32_e64 s18, s26, v48
	s_cselect_b32 s73, -1, 0
	s_or_b32 s15, s69, vcc_lo
	v_cmp_gt_u32_e32 vcc_lo, s26, v46
	v_cmp_gt_u32_e64 s19, s26, v49
	v_cmp_gt_u32_e64 s20, s26, v50
	;; [unrolled: 1-line block ×4, first 2 shown]
	s_or_b32 s16, s69, vcc_lo
	v_cmp_gt_u32_e32 vcc_lo, s26, v51
	v_cmp_gt_u32_e64 s24, s26, v54
	v_cmp_gt_u32_e64 s25, s26, v55
	;; [unrolled: 1-line block ×4, first 2 shown]
	s_or_b32 s21, s69, vcc_lo
	v_cmp_gt_u32_e32 vcc_lo, s26, v56
	v_cmp_gt_u32_e64 s29, s26, v59
	v_cmp_gt_u32_e64 s30, s26, v60
	v_dual_mul_f32 v101, v76, v17 :: v_dual_mul_f32 v102, v75, v18
	v_dual_mul_f32 v103, v74, v19 :: v_dual_mul_f32 v104, v73, v20
	v_dual_mul_f32 v105, v72, v21 :: v_dual_mul_f32 v106, v71, v22
	v_dual_mul_f32 v107, v70, v23 :: v_dual_mul_f32 v108, v69, v24
	v_dual_mul_f32 v109, v68, v25 :: v_dual_mul_f32 v110, v67, v27
	v_dual_mul_f32 v111, v66, v28 :: v_dual_mul_f32 v112, v65, v29
	v_dual_mul_f32 v113, v64, v30 :: v_dual_mul_f32 v114, v63, v31
	s_mov_b32 s52, 0
	s_or_b32 s17, s69, s17
	s_or_b32 s18, s69, s18
	;; [unrolled: 1-line block ×8, first 2 shown]
	s_or_b32 s26, s69, vcc_lo
	s_or_b32 s27, s69, s27
	s_or_b32 s28, s69, s28
	s_or_b32 s29, s69, s29
	s_or_b32 s30, s69, s30
	s_mov_b32 s42, s52
	s_mov_b32 s46, s52
	s_mov_b32 s48, s52
	s_mov_b32 s74, s35
	s_mov_b32 s75, s71
	s_branch .LBB27_55
.LBB27_54:                              ;   in Loop: Header=BB27_55 Depth=2
	s_or_b32 exec_lo, exec_lo, s31
	v_cndmask_b32_e64 v25, v144, v27, s14
	v_cndmask_b32_e64 v26, v143, v26, s14
	s_add_i32 s74, s74, -1
	s_add_i32 s75, s75, 8
	s_add_i32 s48, s48, s50
	v_fma_f32 v25, v25, v118, v117
	v_mul_f32_e32 v26, v26, v118
	s_add_i32 s46, s46, s44
	s_add_i32 s42, s42, s40
	;; [unrolled: 1-line block ×3, first 2 shown]
	v_cndmask_b32_e64 v25, v25, v117, s13
	v_cndmask_b32_e64 v26, v26, v118, s13
	s_cmp_eq_u32 s74, 0
	v_and_b32_e32 v27, 0xffff0000, v22
	s_waitcnt lgkmcnt(0)
	s_delay_alu instid0(VALU_DEP_2) | instskip(SKIP_1) | instid1(VALU_DEP_2)
	v_dual_fmac_f32 v25, v24, v26 :: v_dual_and_b32 v24, 0xffff0000, v20
	v_lshlrev_b32_e32 v20, 16, v20
	v_fmac_f32_e32 v28, v25, v120
	s_delay_alu instid0(VALU_DEP_1) | instskip(NEXT) | instid1(VALU_DEP_1)
	v_fmac_f32_e32 v29, v28, v121
	v_fmac_f32_e32 v30, v29, v123
	s_delay_alu instid0(VALU_DEP_4) | instskip(SKIP_1) | instid1(VALU_DEP_3)
	v_dual_fmac_f32 v93, v25, v20 :: v_dual_and_b32 v26, 0xffff0000, v21
	v_lshlrev_b32_e32 v21, 16, v21
	v_dual_fmac_f32 v31, v30, v126 :: v_dual_and_b32 v32, 0xffff0000, v23
	v_dual_fmac_f32 v92, v28, v24 :: v_dual_lshlrev_b32 v23, 16, v23
	s_delay_alu instid0(VALU_DEP_3) | instskip(NEXT) | instid1(VALU_DEP_3)
	v_dual_fmac_f32 v91, v29, v21 :: v_dual_fmac_f32 v86, v30, v26
	v_dual_fmac_f32 v115, v31, v127 :: v_dual_and_b32 v118, 0xffff0000, v18
	s_delay_alu instid0(VALU_DEP_1) | instskip(SKIP_1) | instid1(VALU_DEP_1)
	v_fmac_f32_e32 v87, v115, v27
	v_fmac_f32_e32 v116, v115, v128
	v_dual_fmac_f32 v89, v116, v23 :: v_dual_lshlrev_b32 v18, 16, v18
	v_fmac_f32_e32 v119, v116, v129
	s_delay_alu instid0(VALU_DEP_1) | instskip(NEXT) | instid1(VALU_DEP_1)
	v_fmac_f32_e32 v122, v119, v131
	v_fmac_f32_e32 v124, v122, v132
	s_delay_alu instid0(VALU_DEP_1) | instskip(NEXT) | instid1(VALU_DEP_1)
	v_dual_fmac_f32 v125, v124, v133 :: v_dual_lshlrev_b32 v22, 16, v22
	v_dual_fmac_f32 v130, v125, v141 :: v_dual_and_b32 v33, 0xffff0000, v16
	v_and_b32_e32 v117, 0xffff0000, v17
	v_dual_fmac_f32 v88, v119, v32 :: v_dual_lshlrev_b32 v17, 16, v17
	s_delay_alu instid0(VALU_DEP_3) | instskip(NEXT) | instid1(VALU_DEP_2)
	v_fmac_f32_e32 v134, v130, v136
	v_dual_fmac_f32 v83, v125, v17 :: v_dual_lshlrev_b32 v16, 16, v16
	s_delay_alu instid0(VALU_DEP_2) | instskip(SKIP_1) | instid1(VALU_DEP_3)
	v_dual_fmac_f32 v135, v134, v138 :: v_dual_and_b32 v120, 0xffff0000, v19
	v_dual_fmac_f32 v90, v31, v22 :: v_dual_lshlrev_b32 v19, 16, v19
	v_fmac_f32_e32 v85, v122, v16
	s_delay_alu instid0(VALU_DEP_3) | instskip(SKIP_1) | instid1(VALU_DEP_2)
	v_dual_fmac_f32 v137, v135, v140 :: v_dual_fmac_f32 v82, v124, v33
	v_dual_fmac_f32 v81, v130, v117 :: v_dual_fmac_f32 v78, v135, v118
	;; [unrolled: 1-line block ×3, first 2 shown]
	v_fmac_f32_e32 v139, v137, v142
	s_delay_alu instid0(VALU_DEP_1)
	v_fmac_f32_e32 v84, v139, v120
	s_cbranch_scc1 .LBB27_11
.LBB27_55:                              ;   Parent Loop BB27_12 Depth=1
                                        ; =>  This Inner Loop Header: Depth=2
	s_lshl_b64 s[76:77], s[52:53], 2
	s_mov_b32 s43, s53
	s_add_u32 s76, s61, s76
	s_addc_u32 s77, s51, s77
	s_lshl_b64 s[78:79], s[42:43], 1
	s_mov_b32 s47, s53
	v_add_co_u32 v20, vcc_lo, v96, s78
	v_add_co_ci_u32_e32 v21, vcc_lo, s79, v97, vcc_lo
	s_lshl_b64 s[78:79], s[46:47], 1
	s_clause 0x1
	global_load_b128 v[16:19], v[20:21], off
	global_load_b128 v[20:23], v[20:21], off offset:512
	v_add_co_u32 v24, vcc_lo, v98, s78
	v_add_co_ci_u32_e32 v25, vcc_lo, s79, v99, vcc_lo
	global_load_b32 v115, v34, s[76:77]
	s_and_not1_b32 vcc_lo, exec_lo, s39
	s_waitcnt vmcnt(2)
	ds_store_b128 v35, v[16:19]
	s_waitcnt vmcnt(1)
	ds_store_b128 v36, v[20:23] offset:512
	; wave barrier
	s_clause 0x1
	global_load_b128 v[16:19], v[24:25], off
	global_load_b128 v[20:23], v[24:25], off offset:512
	ds_load_b128 v[28:31], v37
	ds_load_b128 v[24:27], v37 offset:16
	s_waitcnt vmcnt(1)
	ds_store_b128 v35, v[16:19] offset:4224
	s_waitcnt vmcnt(0)
	ds_store_b128 v38, v[20:23] offset:512
	; wave barrier
	ds_load_b128 v[20:23], v37 offset:4224
	ds_load_b128 v[16:19], v39 offset:16
	s_cbranch_vccnz .LBB27_57
; %bb.56:                               ;   in Loop: Header=BB27_55 Depth=2
	v_mov_b32_e32 v32, s75
	ds_load_b64 v[32:33], v32
	s_cbranch_execz .LBB27_58
	s_branch .LBB27_61
.LBB27_57:                              ;   in Loop: Header=BB27_55 Depth=2
                                        ; implicit-def: $vgpr32
.LBB27_58:                              ;   in Loop: Header=BB27_55 Depth=2
	s_waitcnt lgkmcnt(0)
	v_mov_b32_e32 v33, 0
	s_and_not1_b32 vcc_lo, exec_lo, s56
	s_cbranch_vccnz .LBB27_60
; %bb.59:                               ;   in Loop: Header=BB27_55 Depth=2
	s_mov_b32 s49, s53
	s_delay_alu instid0(SALU_CYCLE_1) | instskip(NEXT) | instid1(SALU_CYCLE_1)
	s_lshl_b64 s[76:77], s[48:49], 1
	s_add_u32 s76, s64, s76
	s_addc_u32 s77, s65, s77
	global_load_u16 v32, v34, s[76:77]
	s_waitcnt vmcnt(0)
	v_lshlrev_b32_e32 v33, 16, v32
.LBB27_60:                              ;   in Loop: Header=BB27_55 Depth=2
	v_mov_b32_e32 v32, 1.0
.LBB27_61:                              ;   in Loop: Header=BB27_55 Depth=2
	s_waitcnt lgkmcnt(5)
	v_dual_mul_f32 v137, 0x3fb8aa3b, v115 :: v_dual_lshlrev_b32 v116, 16, v29
	v_lshlrev_b32_e32 v115, 16, v28
	v_and_b32_e32 v28, 0xffff0000, v28
	v_and_b32_e32 v119, 0xffff0000, v29
	s_delay_alu instid0(VALU_DEP_4) | instskip(SKIP_3) | instid1(VALU_DEP_3)
	v_dual_mul_f32 v29, v137, v63 :: v_dual_and_b32 v124, 0xffff0000, v30
	v_mul_f32_e32 v118, v137, v66
	s_waitcnt lgkmcnt(4)
	v_dual_mul_f32 v115, v114, v115 :: v_dual_lshlrev_b32 v130, 16, v24
	v_cmp_gt_f32_e32 vcc_lo, 0xc2fc0000, v29
	v_dual_mul_f32 v131, v137, v73 :: v_dual_lshlrev_b32 v134, 16, v26
	s_delay_alu instid0(VALU_DEP_3)
	v_mul_f32_e32 v130, v106, v130
	v_mul_f32_e32 v142, v137, v94
	v_cndmask_b32_e64 v29, 0, 0x42800000, vcc_lo
	v_lshlrev_b32_e32 v122, 16, v30
	v_mul_f32_e32 v30, v137, v64
	v_cndmask_b32_e64 v117, 1.0, 0x1f800000, vcc_lo
	v_mul_f32_e32 v28, v113, v28
	v_dual_fmac_f32 v29, v137, v63 :: v_dual_mul_f32 v116, v112, v116
	s_delay_alu instid0(VALU_DEP_4) | instskip(NEXT) | instid1(VALU_DEP_3)
	v_cmp_gt_f32_e64 s31, 0xc2fc0000, v30
	v_cndmask_b32_e64 v28, 0, v28, s16
	s_delay_alu instid0(VALU_DEP_3) | instskip(SKIP_1) | instid1(VALU_DEP_3)
	v_exp_f32_e32 v29, v29
	v_and_b32_e32 v128, 0xffff0000, v31
	v_cndmask_b32_e64 v30, 0, 0x42800000, s31
	v_lshlrev_b32_e32 v125, 16, v31
	v_mul_f32_e32 v31, v137, v65
	v_mul_f32_e32 v124, v109, v124
	s_delay_alu instid0(VALU_DEP_4) | instskip(SKIP_1) | instid1(VALU_DEP_4)
	v_fmac_f32_e32 v30, v137, v64
	v_mul_f32_e32 v129, v137, v71
	v_cmp_gt_f32_e32 vcc_lo, 0xc2fc0000, v31
	s_delay_alu instid0(TRANS32_DEP_1)
	v_mul_f32_e32 v29, v29, v117
	v_cndmask_b32_e64 v117, 0, v115, s15
	v_exp_f32_e32 v30, v30
	v_cndmask_b32_e64 v115, 1.0, 0x1f800000, s31
	v_cndmask_b32_e64 v31, 0, 0x42800000, vcc_lo
	v_cmp_gt_f32_e64 s31, 0xc2fc0000, v118
	v_and_b32_e32 v24, 0xffff0000, v24
	v_lshlrev_b32_e32 v132, 16, v25
	v_cndmask_b32_e64 v118, 1.0, v29, s15
	v_fmac_f32_e32 v31, v137, v65
	v_cndmask_b32_e64 v120, 0, 0x42800000, s31
	v_lshlrev_b32_e32 v139, 16, v27
	v_mul_f32_e32 v29, v30, v115
	v_and_b32_e32 v27, 0xffff0000, v27
	v_exp_f32_e32 v30, v31
	v_fmac_f32_e32 v120, v137, v66
	v_mul_f32_e32 v31, v137, v67
	v_cndmask_b32_e64 v115, 1.0, 0x1f800000, vcc_lo
	v_dual_mul_f32 v140, v137, v76 :: v_dual_and_b32 v25, 0xffff0000, v25
	v_mul_f32_e32 v27, v95, v27
	v_exp_f32_e32 v123, v120
	v_cmp_gt_f32_e32 vcc_lo, 0xc2fc0000, v31
	v_cndmask_b32_e64 v120, 1.0, v29, s16
	s_delay_alu instid0(TRANS32_DEP_2)
	v_mul_f32_e32 v30, v30, v115
	v_cndmask_b32_e64 v115, 1.0, 0x1f800000, s31
	v_cndmask_b32_e64 v29, 0, v116, s17
	v_cndmask_b32_e64 v31, 0, 0x42800000, vcc_lo
	v_mul_f32_e32 v116, v137, v68
	v_and_b32_e32 v26, 0xffff0000, v26
	v_cndmask_b32_e64 v121, 1.0, v30, s17
	v_mul_f32_e32 v115, v123, v115
	v_fmac_f32_e32 v31, v137, v67
	v_cmp_gt_f32_e64 s31, 0xc2fc0000, v116
	v_dual_mul_f32 v30, v111, v119 :: v_dual_mul_f32 v119, v137, v69
	s_delay_alu instid0(VALU_DEP_4) | instskip(NEXT) | instid1(VALU_DEP_4)
	v_cndmask_b32_e64 v123, 1.0, v115, s18
	v_exp_f32_e32 v31, v31
	s_delay_alu instid0(VALU_DEP_3)
	v_cndmask_b32_e64 v116, 0, 0x42800000, s31
	v_cndmask_b32_e64 v115, 1.0, 0x1f800000, vcc_lo
	v_cmp_gt_f32_e32 vcc_lo, 0xc2fc0000, v119
	v_cndmask_b32_e64 v127, 1.0, 0x1f800000, s31
	v_dual_mul_f32 v24, v105, v24 :: v_dual_mul_f32 v139, v100, v139
	v_fmac_f32_e32 v116, v137, v68
	v_cndmask_b32_e64 v119, 0, 0x42800000, vcc_lo
	v_fma_f32 v138, v120, v117, v28
	s_delay_alu instid0(TRANS32_DEP_1)
	v_mul_f32_e32 v115, v31, v115
	v_mul_f32_e32 v31, v110, v122
	v_exp_f32_e32 v116, v116
	v_fmac_f32_e32 v119, v137, v69
	v_cndmask_b32_e64 v30, 0, v30, s18
	v_mul_f32_e32 v26, v101, v26
	v_cndmask_b32_e64 v31, 0, v31, s19
	v_dual_mul_f32 v25, v103, v25 :: v_dual_mul_f32 v134, v102, v134
	s_waitcnt_depctr 0xfff
	v_mul_f32_e32 v116, v116, v127
	v_exp_f32_e32 v119, v119
	v_mul_f32_e32 v126, v137, v70
	v_cndmask_b32_e64 v134, 0, v134, s27
	s_delay_alu instid0(VALU_DEP_3) | instskip(SKIP_1) | instid1(VALU_DEP_4)
	v_cndmask_b32_e64 v127, 1.0, v116, s20
	v_mul_f32_e32 v116, v108, v125
	v_cmp_gt_f32_e64 s33, 0xc2fc0000, v126
	v_cndmask_b32_e64 v126, 1.0, v115, s19
	v_cndmask_b32_e64 v115, 0, v124, s20
	v_cndmask_b32_e64 v124, 1.0, 0x1f800000, vcc_lo
	v_cmp_gt_f32_e32 vcc_lo, 0xc2fc0000, v129
	v_cndmask_b32_e64 v122, 0, 0x42800000, s33
	v_mul_f32_e32 v129, v107, v128
	v_cndmask_b32_e64 v116, 0, v116, s21
	v_mul_f32_e32 v119, v119, v124
	v_cndmask_b32_e64 v124, 1.0, 0x1f800000, s33
	v_fmac_f32_e32 v122, v137, v70
	v_cndmask_b32_e64 v125, 0, 0x42800000, vcc_lo
	v_cmp_gt_f32_e64 s33, 0xc2fc0000, v131
	v_cndmask_b32_e64 v128, 1.0, v119, s21
	v_cndmask_b32_e64 v119, 0, v129, s22
	v_exp_f32_e32 v122, v122
	v_fmac_f32_e32 v125, v137, v71
	v_mul_f32_e32 v131, v137, v74
	v_cndmask_b32_e64 v133, 1.0, 0x1f800000, vcc_lo
	s_delay_alu instid0(VALU_DEP_2)
	v_cmp_gt_f32_e32 vcc_lo, 0xc2fc0000, v131
	s_waitcnt_depctr 0xfff
	v_mul_f32_e32 v122, v122, v124
	v_mul_f32_e32 v124, v137, v72
	v_cndmask_b32_e64 v135, 0, 0x42800000, vcc_lo
	v_cndmask_b32_e64 v136, 1.0, 0x1f800000, vcc_lo
	s_delay_alu instid0(VALU_DEP_4) | instskip(NEXT) | instid1(VALU_DEP_4)
	v_cndmask_b32_e64 v129, 1.0, v122, s22
	v_cmp_gt_f32_e64 s31, 0xc2fc0000, v124
	v_exp_f32_e32 v122, v125
	v_cndmask_b32_e64 v125, 0, 0x42800000, s33
	s_delay_alu instid0(VALU_DEP_2)
	v_cndmask_b32_e64 v124, 0, 0x42800000, s31
	s_waitcnt_depctr 0xfff
	v_dual_fmac_f32 v124, v137, v72 :: v_dual_mul_f32 v131, v122, v133
	v_cndmask_b32_e64 v122, 0, v130, s23
	v_cndmask_b32_e64 v130, 1.0, 0x1f800000, s31
	v_cmp_gt_f32_e64 s31, 0xc2fc0000, v140
	s_delay_alu instid0(VALU_DEP_4)
	v_exp_f32_e32 v124, v124
	v_fmac_f32_e32 v125, v137, v73
	v_cndmask_b32_e64 v133, 1.0, 0x1f800000, s33
	v_cndmask_b32_e64 v131, 1.0, v131, s23
	v_cndmask_b32_e64 v140, 1.0, 0x1f800000, s31
	v_fmac_f32_e32 v135, v137, v74
	s_waitcnt_depctr 0xfff
	v_mul_f32_e32 v130, v124, v130
	v_exp_f32_e32 v125, v125
	v_exp_f32_e32 v135, v135
	v_cndmask_b32_e64 v124, 0, v24, s24
	v_mul_f32_e32 v24, v104, v132
	v_cndmask_b32_e64 v132, 1.0, v130, s24
	v_mul_f32_e32 v130, v137, v75
	s_delay_alu instid0(VALU_DEP_1) | instskip(NEXT) | instid1(TRANS32_DEP_2)
	v_cmp_gt_f32_e32 vcc_lo, 0xc2fc0000, v130
	v_mul_f32_e32 v133, v125, v133
	v_cndmask_b32_e64 v125, 0, v24, s25
	s_delay_alu instid0(TRANS32_DEP_1)
	v_mul_f32_e32 v24, v135, v136
	v_cndmask_b32_e64 v130, 0, v25, s26
	v_cndmask_b32_e64 v135, 0, 0x42800000, vcc_lo
	v_mul_f32_e32 v136, v120, v118
	v_cndmask_b32_e64 v133, 1.0, v133, s25
	v_cndmask_b32_e64 v141, 1.0, v24, s26
	v_cndmask_b32_e64 v24, 1.0, 0x1f800000, vcc_lo
	v_fmac_f32_e32 v135, v137, v75
	v_mul_f32_e32 v25, v136, v121
	v_fma_f32 v136, v138, v121, v29
	v_cndmask_b32_e64 v138, 0, 0x42800000, s31
	v_cmp_gt_f32_e64 s31, 0xc2fc0000, v142
	v_exp_f32_e32 v135, v135
	v_mul_f32_e32 v25, v25, v123
	v_fma_f32 v136, v136, v123, v30
	v_fmac_f32_e32 v138, v137, v76
	s_delay_alu instid0(VALU_DEP_3) | instskip(NEXT) | instid1(VALU_DEP_3)
	v_mul_f32_e32 v25, v25, v126
	v_fma_f32 v136, v136, v126, v31
	s_delay_alu instid0(VALU_DEP_3)
	v_exp_f32_e32 v138, v138
	s_delay_alu instid0(TRANS32_DEP_2) | instid1(VALU_DEP_2)
	v_dual_mul_f32 v24, v135, v24 :: v_dual_mul_f32 v25, v25, v127
	s_delay_alu instid0(VALU_DEP_2) | instskip(NEXT) | instid1(VALU_DEP_2)
	v_fma_f32 v135, v136, v127, v115
	v_cndmask_b32_e64 v136, 1.0, v24, s27
	s_delay_alu instid0(VALU_DEP_3) | instskip(NEXT) | instid1(VALU_DEP_3)
	v_mul_f32_e32 v24, v25, v128
	v_fma_f32 v25, v135, v128, v116
	s_waitcnt_depctr 0xfff
	v_mul_f32_e32 v138, v138, v140
	v_mul_f32_e32 v24, v24, v129
	;; [unrolled: 1-line block ×3, first 2 shown]
	v_fma_f32 v25, v25, v129, v119
	s_delay_alu instid0(VALU_DEP_4) | instskip(NEXT) | instid1(VALU_DEP_4)
	v_cndmask_b32_e64 v138, 1.0, v138, s28
	v_mul_f32_e32 v24, v24, v131
	s_delay_alu instid0(VALU_DEP_4) | instskip(NEXT) | instid1(VALU_DEP_4)
	v_cmp_gt_f32_e32 vcc_lo, 0xc2fc0000, v135
	v_fma_f32 v25, v25, v131, v122
	v_cndmask_b32_e64 v135, 0, v26, s28
	v_cndmask_b32_e64 v26, 0, 0x42800000, s31
	v_mul_f32_e32 v24, v24, v132
	v_cndmask_b32_e64 v140, 0, 0x42800000, vcc_lo
	v_fma_f32 v25, v25, v132, v124
	s_delay_alu instid0(VALU_DEP_4) | instskip(NEXT) | instid1(VALU_DEP_4)
	v_fmac_f32_e32 v26, v137, v94
	v_mul_f32_e32 v24, v24, v133
	s_delay_alu instid0(VALU_DEP_4) | instskip(NEXT) | instid1(VALU_DEP_4)
	v_fmac_f32_e32 v140, v137, v77
	v_fma_f32 v25, v25, v133, v125
	v_cndmask_b32_e64 v137, 1.0, 0x1f800000, vcc_lo
	v_exp_f32_e32 v26, v26
	v_mul_f32_e32 v24, v24, v141
	v_exp_f32_e32 v140, v140
	v_fma_f32 v25, v25, v141, v130
	s_delay_alu instid0(VALU_DEP_2) | instskip(NEXT) | instid1(VALU_DEP_2)
	v_mul_f32_e32 v24, v24, v136
	v_fma_f32 v25, v25, v136, v134
	s_delay_alu instid0(VALU_DEP_2)
	v_mul_f32_e32 v24, v24, v138
	s_waitcnt_depctr 0xfff
	v_mul_f32_e32 v140, v140, v137
	v_cndmask_b32_e64 v137, 0, v139, s29
	v_cndmask_b32_e64 v139, 1.0, 0x1f800000, s31
	v_fma_f32 v25, v25, v138, v135
	s_delay_alu instid0(VALU_DEP_4) | instskip(NEXT) | instid1(VALU_DEP_3)
	v_cndmask_b32_e64 v140, 1.0, v140, s29
	v_mul_f32_e32 v26, v26, v139
	v_cndmask_b32_e64 v139, 0, v27, s30
	s_delay_alu instid0(VALU_DEP_3) | instskip(SKIP_1) | instid1(VALU_DEP_4)
	v_mul_f32_e32 v24, v24, v140
	v_fma_f32 v25, v25, v140, v137
	v_cndmask_b32_e64 v142, 1.0, v26, s30
	s_delay_alu instid0(VALU_DEP_1) | instskip(NEXT) | instid1(VALU_DEP_3)
	v_mul_f32_e32 v24, v24, v142
	v_fma_f32 v25, v25, v142, v139
	s_delay_alu instid0(VALU_DEP_2) | instskip(NEXT) | instid1(VALU_DEP_2)
	v_mov_b32_dpp v27, v24 row_shr:1 row_mask:0xf bank_mask:0xf
	v_mov_b32_dpp v26, v25 row_shr:1 row_mask:0xf bank_mask:0xf
	s_and_saveexec_b32 s31, s2
; %bb.62:                               ;   in Loop: Header=BB27_55 Depth=2
	s_delay_alu instid0(VALU_DEP_2) | instskip(NEXT) | instid1(VALU_DEP_1)
	v_mul_f32_e32 v27, v24, v27
	v_dual_fmac_f32 v25, v24, v26 :: v_dual_mov_b32 v24, v27
; %bb.63:                               ;   in Loop: Header=BB27_55 Depth=2
	s_or_b32 exec_lo, exec_lo, s31
	s_delay_alu instid0(VALU_DEP_1) | instskip(NEXT) | instid1(VALU_DEP_2)
	v_mov_b32_dpp v26, v24 row_shr:2 row_mask:0xf bank_mask:0xf
	v_mov_b32_dpp v27, v25 row_shr:2 row_mask:0xf bank_mask:0xf
	s_and_saveexec_b32 s31, s3
; %bb.64:                               ;   in Loop: Header=BB27_55 Depth=2
	s_delay_alu instid0(VALU_DEP_1) | instskip(NEXT) | instid1(VALU_DEP_3)
	v_fmac_f32_e32 v25, v24, v27
	v_mul_f32_e32 v24, v24, v26
; %bb.65:                               ;   in Loop: Header=BB27_55 Depth=2
	s_or_b32 exec_lo, exec_lo, s31
	s_delay_alu instid0(VALU_DEP_1) | instskip(NEXT) | instid1(VALU_DEP_3)
	v_mov_b32_dpp v26, v24 row_shr:4 row_mask:0xf bank_mask:0xf
	v_mov_b32_dpp v27, v25 row_shr:4 row_mask:0xf bank_mask:0xf
	s_and_saveexec_b32 s31, s4
; %bb.66:                               ;   in Loop: Header=BB27_55 Depth=2
	s_delay_alu instid0(VALU_DEP_1) | instskip(NEXT) | instid1(VALU_DEP_3)
	v_fmac_f32_e32 v25, v24, v27
	v_mul_f32_e32 v24, v24, v26
; %bb.67:                               ;   in Loop: Header=BB27_55 Depth=2
	s_or_b32 exec_lo, exec_lo, s31
	s_delay_alu instid0(VALU_DEP_1) | instskip(NEXT) | instid1(VALU_DEP_3)
	v_mov_b32_dpp v26, v24 row_shr:8 row_mask:0xf bank_mask:0xf
	v_mov_b32_dpp v27, v25 row_shr:8 row_mask:0xf bank_mask:0xf
	s_and_saveexec_b32 s31, s5
; %bb.68:                               ;   in Loop: Header=BB27_55 Depth=2
	s_delay_alu instid0(VALU_DEP_1) | instskip(NEXT) | instid1(VALU_DEP_3)
	v_fmac_f32_e32 v25, v24, v27
	v_mul_f32_e32 v24, v24, v26
; %bb.69:                               ;   in Loop: Header=BB27_55 Depth=2
	s_or_b32 exec_lo, exec_lo, s31
	ds_swizzle_b32 v27, v24 offset:swizzle(BROADCAST,32,15)
	ds_swizzle_b32 v26, v25 offset:swizzle(BROADCAST,32,15)
	s_and_saveexec_b32 s31, s6
	s_cbranch_execz .LBB27_71
; %bb.70:                               ;   in Loop: Header=BB27_55 Depth=2
	s_waitcnt lgkmcnt(1)
	v_mul_f32_e32 v27, v24, v27
	s_waitcnt lgkmcnt(0)
	s_delay_alu instid0(VALU_DEP_1)
	v_dual_fmac_f32 v25, v24, v26 :: v_dual_mov_b32 v24, v27
.LBB27_71:                              ;   in Loop: Header=BB27_55 Depth=2
	s_or_b32 exec_lo, exec_lo, s31
	s_and_saveexec_b32 s31, s7
	s_cbranch_execz .LBB27_73
; %bb.72:                               ;   in Loop: Header=BB27_55 Depth=2
	ds_store_b64 v41, v[24:25] offset:8448
.LBB27_73:                              ;   in Loop: Header=BB27_55 Depth=2
	s_or_b32 exec_lo, exec_lo, s31
	s_waitcnt lgkmcnt(0)
	s_waitcnt_vscnt null, 0x0
	s_barrier
	buffer_gl0_inv
	s_and_saveexec_b32 s31, s8
	s_cbranch_execz .LBB27_77
; %bb.74:                               ;   in Loop: Header=BB27_55 Depth=2
	ds_load_b64 v[26:27], v42 offset:8448
	s_waitcnt lgkmcnt(0)
	v_mov_b32_dpp v145, v26 row_shr:1 row_mask:0xf bank_mask:0xf
	v_mov_b32_dpp v144, v27 row_shr:1 row_mask:0xf bank_mask:0xf
	v_mov_b32_e32 v143, v26
	s_and_saveexec_b32 s33, s9
; %bb.75:                               ;   in Loop: Header=BB27_55 Depth=2
	s_delay_alu instid0(VALU_DEP_3) | instskip(NEXT) | instid1(VALU_DEP_1)
	v_mul_f32_e32 v143, v26, v145
	v_dual_fmac_f32 v27, v26, v144 :: v_dual_mov_b32 v26, v143
; %bb.76:                               ;   in Loop: Header=BB27_55 Depth=2
	s_or_b32 exec_lo, exec_lo, s33
	v_mov_b32_dpp v143, v143 row_shr:2 row_mask:0xf bank_mask:0xf
	s_delay_alu instid0(VALU_DEP_2) | instskip(NEXT) | instid1(VALU_DEP_2)
	v_mov_b32_dpp v144, v27 row_shr:2 row_mask:0xf bank_mask:0xf
	v_mul_f32_e32 v143, v26, v143
	s_delay_alu instid0(VALU_DEP_2) | instskip(NEXT) | instid1(VALU_DEP_2)
	v_fma_f32 v144, v26, v144, v27
	v_cndmask_b32_e64 v26, v26, v143, s10
	s_delay_alu instid0(VALU_DEP_2)
	v_cndmask_b32_e64 v27, v27, v144, s10
	ds_store_b64 v42, v[26:27] offset:8448
.LBB27_77:                              ;   in Loop: Header=BB27_55 Depth=2
	s_or_b32 exec_lo, exec_lo, s31
	s_waitcnt lgkmcnt(0)
	s_barrier
	buffer_gl0_inv
                                        ; implicit-def: $vgpr27
	s_and_saveexec_b32 s31, s12
	s_cbranch_execz .LBB27_79
; %bb.78:                               ;   in Loop: Header=BB27_55 Depth=2
	ds_load_b64 v[26:27], v41 offset:8440
	s_waitcnt lgkmcnt(0)
	v_mul_f32_e32 v143, v24, v26
	s_delay_alu instid0(VALU_DEP_1)
	v_dual_fmac_f32 v25, v24, v27 :: v_dual_mov_b32 v24, v143
.LBB27_79:                              ;   in Loop: Header=BB27_55 Depth=2
	s_or_b32 exec_lo, exec_lo, s31
	ds_bpermute_b32 v143, v43, v24
	ds_bpermute_b32 v144, v43, v25
	s_and_saveexec_b32 s31, s11
	s_cbranch_execz .LBB27_83
; %bb.80:                               ;   in Loop: Header=BB27_55 Depth=2
	ds_load_b64 v[24:25], v34 offset:8472
	s_and_saveexec_b32 s33, s13
	s_cbranch_execz .LBB27_82
; %bb.81:                               ;   in Loop: Header=BB27_55 Depth=2
	ds_store_b64 v34, v[32:33] offset:8472
.LBB27_82:                              ;   in Loop: Header=BB27_55 Depth=2
	s_or_b32 exec_lo, exec_lo, s33
	s_waitcnt lgkmcnt(0)
	v_fmac_f32_e32 v25, v24, v33
	s_delay_alu instid0(VALU_DEP_1)
	v_dual_mul_f32 v32, v32, v24 :: v_dual_mov_b32 v33, v25
.LBB27_83:                              ;   in Loop: Header=BB27_55 Depth=2
	s_or_b32 exec_lo, exec_lo, s31
	s_waitcnt lgkmcnt(0)
	s_barrier
	buffer_gl0_inv
	ds_load_b32 v24, v34 offset:8476
	s_and_saveexec_b32 s31, s13
	s_cbranch_execz .LBB27_54
; %bb.84:                               ;   in Loop: Header=BB27_55 Depth=2
	v_mov_b32_e32 v25, s75
	s_and_not1_b32 vcc_lo, exec_lo, s73
	ds_store_b64 v25, v[32:33]
	s_cbranch_vccnz .LBB27_54
; %bb.85:                               ;   in Loop: Header=BB27_55 Depth=2
	v_bfe_u32 v25, v33, 16, 1
	v_cmp_o_f32_e32 vcc_lo, v33, v33
	s_mov_b32 s49, s53
	s_delay_alu instid0(SALU_CYCLE_1) | instskip(NEXT) | instid1(VALU_DEP_2)
	s_lshl_b64 s[76:77], s[48:49], 1
	v_add3_u32 v25, v33, v25, 0x7fff
	s_add_u32 s76, s64, s76
	s_addc_u32 s77, s65, s77
	s_delay_alu instid0(VALU_DEP_1) | instskip(NEXT) | instid1(VALU_DEP_1)
	v_lshrrev_b32_e32 v25, 16, v25
	v_cndmask_b32_e32 v25, 0x7fc0, v25, vcc_lo
	global_store_b16 v34, v25, s[76:77]
	s_branch .LBB27_54
.LBB27_86:
	s_nop 0
	s_sendmsg sendmsg(MSG_DEALLOC_VGPRS)
	s_endpgm
	.section	.rodata,"a",@progbits
	.p2align	6, 0x0
	.amdhsa_kernel _Z25selective_scan_fwd_kernelI32Selective_Scan_fwd_kernel_traitsILi128ELi16ELi1ELb1ELb1ELb1ELb0ELb0EN3c108BFloat16EfS2_EEv13SSMParamsBase
		.amdhsa_group_segment_fixed_size 0
		.amdhsa_private_segment_fixed_size 0
		.amdhsa_kernarg_size 248
		.amdhsa_user_sgpr_count 14
		.amdhsa_user_sgpr_dispatch_ptr 0
		.amdhsa_user_sgpr_queue_ptr 0
		.amdhsa_user_sgpr_kernarg_segment_ptr 1
		.amdhsa_user_sgpr_dispatch_id 0
		.amdhsa_user_sgpr_private_segment_size 0
		.amdhsa_wavefront_size32 1
		.amdhsa_uses_dynamic_stack 0
		.amdhsa_enable_private_segment 0
		.amdhsa_system_sgpr_workgroup_id_x 1
		.amdhsa_system_sgpr_workgroup_id_y 1
		.amdhsa_system_sgpr_workgroup_id_z 0
		.amdhsa_system_sgpr_workgroup_info 0
		.amdhsa_system_vgpr_workitem_id 0
		.amdhsa_next_free_vgpr 146
		.amdhsa_next_free_sgpr 80
		.amdhsa_reserve_vcc 1
		.amdhsa_float_round_mode_32 0
		.amdhsa_float_round_mode_16_64 0
		.amdhsa_float_denorm_mode_32 3
		.amdhsa_float_denorm_mode_16_64 3
		.amdhsa_dx10_clamp 1
		.amdhsa_ieee_mode 1
		.amdhsa_fp16_overflow 0
		.amdhsa_workgroup_processor_mode 1
		.amdhsa_memory_ordered 1
		.amdhsa_forward_progress 0
		.amdhsa_shared_vgpr_count 0
		.amdhsa_exception_fp_ieee_invalid_op 0
		.amdhsa_exception_fp_denorm_src 0
		.amdhsa_exception_fp_ieee_div_zero 0
		.amdhsa_exception_fp_ieee_overflow 0
		.amdhsa_exception_fp_ieee_underflow 0
		.amdhsa_exception_fp_ieee_inexact 0
		.amdhsa_exception_int_div_zero 0
	.end_amdhsa_kernel
	.section	.text._Z25selective_scan_fwd_kernelI32Selective_Scan_fwd_kernel_traitsILi128ELi16ELi1ELb1ELb1ELb1ELb0ELb0EN3c108BFloat16EfS2_EEv13SSMParamsBase,"axG",@progbits,_Z25selective_scan_fwd_kernelI32Selective_Scan_fwd_kernel_traitsILi128ELi16ELi1ELb1ELb1ELb1ELb0ELb0EN3c108BFloat16EfS2_EEv13SSMParamsBase,comdat
.Lfunc_end27:
	.size	_Z25selective_scan_fwd_kernelI32Selective_Scan_fwd_kernel_traitsILi128ELi16ELi1ELb1ELb1ELb1ELb0ELb0EN3c108BFloat16EfS2_EEv13SSMParamsBase, .Lfunc_end27-_Z25selective_scan_fwd_kernelI32Selective_Scan_fwd_kernel_traitsILi128ELi16ELi1ELb1ELb1ELb1ELb0ELb0EN3c108BFloat16EfS2_EEv13SSMParamsBase
                                        ; -- End function
	.section	.AMDGPU.csdata,"",@progbits
; Kernel info:
; codeLenInByte = 18424
; NumSgprs: 82
; NumVgprs: 146
; ScratchSize: 0
; MemoryBound: 1
; FloatMode: 240
; IeeeMode: 1
; LDSByteSize: 0 bytes/workgroup (compile time only)
; SGPRBlocks: 10
; VGPRBlocks: 18
; NumSGPRsForWavesPerEU: 82
; NumVGPRsForWavesPerEU: 146
; Occupancy: 9
; WaveLimiterHint : 1
; COMPUTE_PGM_RSRC2:SCRATCH_EN: 0
; COMPUTE_PGM_RSRC2:USER_SGPR: 14
; COMPUTE_PGM_RSRC2:TRAP_HANDLER: 0
; COMPUTE_PGM_RSRC2:TGID_X_EN: 1
; COMPUTE_PGM_RSRC2:TGID_Y_EN: 1
; COMPUTE_PGM_RSRC2:TGID_Z_EN: 0
; COMPUTE_PGM_RSRC2:TIDIG_COMP_CNT: 0
	.section	.text._Z25selective_scan_fwd_kernelI32Selective_Scan_fwd_kernel_traitsILi128ELi16ELi1ELb0ELb1ELb1ELb1ELb1EN3c108BFloat16EfS2_EEv13SSMParamsBase,"axG",@progbits,_Z25selective_scan_fwd_kernelI32Selective_Scan_fwd_kernel_traitsILi128ELi16ELi1ELb0ELb1ELb1ELb1ELb1EN3c108BFloat16EfS2_EEv13SSMParamsBase,comdat
	.protected	_Z25selective_scan_fwd_kernelI32Selective_Scan_fwd_kernel_traitsILi128ELi16ELi1ELb0ELb1ELb1ELb1ELb1EN3c108BFloat16EfS2_EEv13SSMParamsBase ; -- Begin function _Z25selective_scan_fwd_kernelI32Selective_Scan_fwd_kernel_traitsILi128ELi16ELi1ELb0ELb1ELb1ELb1ELb1EN3c108BFloat16EfS2_EEv13SSMParamsBase
	.globl	_Z25selective_scan_fwd_kernelI32Selective_Scan_fwd_kernel_traitsILi128ELi16ELi1ELb0ELb1ELb1ELb1ELb1EN3c108BFloat16EfS2_EEv13SSMParamsBase
	.p2align	8
	.type	_Z25selective_scan_fwd_kernelI32Selective_Scan_fwd_kernel_traitsILi128ELi16ELi1ELb0ELb1ELb1ELb1ELb1EN3c108BFloat16EfS2_EEv13SSMParamsBase,@function
_Z25selective_scan_fwd_kernelI32Selective_Scan_fwd_kernel_traitsILi128ELi16ELi1ELb0ELb1ELb1ELb1ELb1EN3c108BFloat16EfS2_EEv13SSMParamsBase: ; @_Z25selective_scan_fwd_kernelI32Selective_Scan_fwd_kernel_traitsILi128ELi16ELi1ELb0ELb1ELb1ELb1ELb1EN3c108BFloat16EfS2_EEv13SSMParamsBase
; %bb.0:
	s_clause 0x2
	s_load_b32 s11, s[0:1], 0x18
	s_load_b256 s[36:43], s[0:1], 0xc8
	s_load_b128 s[4:7], s[0:1], 0xe8
	s_mov_b32 s34, s15
	s_ashr_i32 s15, s14, 31
	s_mov_b32 s66, 0
	s_lshl_b64 s[8:9], s[14:15], 2
	s_waitcnt lgkmcnt(0)
	s_abs_i32 s10, s11
	s_add_u32 s2, s42, s8
	v_cvt_f32_u32_e32 v1, s10
	s_addc_u32 s3, s43, s9
	s_cmp_eq_u64 s[6:7], 0
	s_delay_alu instid0(VALU_DEP_1) | instskip(SKIP_2) | instid1(VALU_DEP_1)
	v_rcp_iflag_f32_e32 v1, v1
	s_waitcnt_depctr 0xfff
	v_mul_f32_e32 v1, 0x4f7ffffe, v1
	v_cvt_u32_f32_e32 v1, v1
	s_delay_alu instid0(VALU_DEP_1)
	v_readfirstlane_b32 s12, v1
	s_cbranch_scc1 .LBB28_2
; %bb.1:
	v_mov_b32_e32 v1, 0
	s_add_u32 s6, s6, s14
	s_addc_u32 s7, s7, s15
	global_load_u8 v1, v1, s[6:7]
	s_waitcnt vmcnt(0)
	v_and_b32_e32 v1, 1, v1
	s_delay_alu instid0(VALU_DEP_1)
	v_cmp_eq_u32_e64 s66, 1, v1
.LBB28_2:
	s_load_b64 s[6:7], s[0:1], 0x20
	s_cmp_eq_u64 s[4:5], 0
	s_cbranch_scc1 .LBB28_4
; %bb.3:
	s_add_u32 s4, s4, s8
	s_addc_u32 s5, s5, s9
	s_load_b32 s14, s[4:5], 0x0
	s_waitcnt lgkmcnt(0)
	s_ashr_i32 s15, s14, 31
.LBB28_4:
	s_waitcnt lgkmcnt(0)
	s_cmp_eq_u64 s[6:7], s[14:15]
	s_cbranch_scc1 .LBB28_302
; %bb.5:
	s_load_b512 s[16:31], s[0:1], 0x88
	s_load_b64 s[42:43], s[2:3], 0x0
	s_mov_b32 s67, 0
	s_mov_b32 s68, 0
	s_waitcnt lgkmcnt(0)
	s_cmp_eq_u64 s[22:23], 0
	s_cbranch_scc1 .LBB28_7
; %bb.6:
	s_ashr_i32 s35, s34, 31
	s_delay_alu instid0(SALU_CYCLE_1) | instskip(NEXT) | instid1(SALU_CYCLE_1)
	s_lshl_b64 s[2:3], s[34:35], 2
	s_add_u32 s2, s22, s2
	s_addc_u32 s3, s23, s3
	s_load_b32 s68, s[2:3], 0x0
.LBB28_7:
	s_cmp_eq_u64 s[28:29], 0
	s_cbranch_scc1 .LBB28_9
; %bb.8:
	s_ashr_i32 s35, s34, 31
	s_delay_alu instid0(SALU_CYCLE_1) | instskip(NEXT) | instid1(SALU_CYCLE_1)
	s_lshl_b64 s[2:3], s[34:35], 2
	s_add_u32 s2, s28, s2
	s_addc_u32 s3, s29, s3
	s_load_b32 s67, s[2:3], 0x0
.LBB28_9:
	s_sub_i32 s69, s43, s42
	s_delay_alu instid0(SALU_CYCLE_1)
	s_cmp_lt_i32 s69, 1
	s_cbranch_scc1 .LBB28_302
; %bb.10:
	s_sub_i32 s2, 0, s10
	s_load_b256 s[48:55], s[0:1], 0x4c
	s_mul_i32 s2, s2, s12
	s_abs_i32 s3, s34
	s_mul_hi_u32 s2, s12, s2
	s_ashr_i32 s5, s11, 31
	s_add_i32 s12, s12, s2
	s_ashr_i32 s2, s34, 31
	s_mul_hi_u32 s4, s3, s12
	s_xor_b32 s5, s2, s5
	s_mul_i32 s6, s4, s10
	s_load_b256 s[56:63], s[0:1], 0x2c
	s_sub_i32 s2, s3, s6
	s_add_i32 s3, s4, 1
	s_sub_i32 s6, s2, s10
	s_cmp_ge_u32 s2, s10
	s_mov_b32 s65, 0
	s_cselect_b32 s3, s3, s4
	s_cselect_b32 s2, s6, s2
	s_add_i32 s4, s3, 1
	s_cmp_ge_u32 s2, s10
	s_waitcnt lgkmcnt(0)
	s_mul_i32 s64, s42, s50
	s_cselect_b32 s4, s4, s3
	s_lshl_b64 s[2:3], s[64:65], 1
	s_xor_b32 s4, s4, s5
	s_mul_i32 s64, s51, s34
	s_sub_i32 s6, s4, s5
	s_add_u32 s4, s24, s2
	s_addc_u32 s5, s25, s3
	s_lshl_b64 s[2:3], s[64:65], 1
	s_mul_i32 s64, s42, s52
	s_add_u32 s63, s4, s2
	s_addc_u32 s70, s5, s3
	s_lshl_b64 s[2:3], s[64:65], 1
	s_mul_i32 s64, s53, s34
	;; [unrolled: 4-line block ×3, first 2 shown]
	s_add_u32 s71, s4, s2
	s_addc_u32 s56, s5, s3
	s_load_b64 s[4:5], s[0:1], 0x7c
	v_dual_mov_b32 v21, 0 :: v_dual_lshlrev_b32 v18, 4, v0
	s_lshl_b64 s[2:3], s[64:65], 2
	s_mul_i32 s64, s42, s58
	s_add_u32 s72, s16, s2
	v_mbcnt_lo_u32_b32 v19, -1, 0
	v_and_b32_e32 v1, 0x600, v18
	s_addc_u32 s73, s17, s3
	s_lshl_b64 s[2:3], s[64:65], 1
	s_mul_i32 s64, s6, s61
	s_add_u32 s7, s18, s2
	s_addc_u32 s8, s19, s3
	s_clause 0x3
	s_load_b128 s[16:19], s[0:1], 0x6c
	s_load_b32 s75, s[0:1], 0x84
	s_load_b32 s78, s[0:1], 0xc
	;; [unrolled: 1-line block ×3, first 2 shown]
	v_or_b32_e32 v20, v19, v1
	s_lshl_b64 s[2:3], s[64:65], 1
	s_mul_i32 s64, s42, s62
	s_add_u32 s61, s7, s2
	s_addc_u32 s62, s8, s3
	s_lshl_b64 s[2:3], s[64:65], 1
	s_mul_i32 s64, s6, s49
	v_or_b32_e32 v24, 0x60, v20
	v_and_b32_e32 v14, 0x60, v0
	s_add_u32 s7, s20, s2
	s_addc_u32 s6, s21, s3
	s_lshl_b64 s[2:3], s[64:65], 1
	s_waitcnt lgkmcnt(0)
	s_mul_i32 s64, s14, s4
	s_add_u32 s49, s7, s2
	s_addc_u32 s74, s6, s3
	s_lshl_b64 s[2:3], s[64:65], 1
	v_or_b32_e32 v26, 0xa0, v20
	v_or_b32_e32 v28, 0xe0, v20
	;; [unrolled: 1-line block ×5, first 2 shown]
	v_lshrrev_b32_e32 v2, 5, v24
	v_or_b32_e32 v36, 0x1e0, v20
	v_or_b32_e32 v16, v19, v14
	s_mul_i32 s64, s5, s34
	s_add_u32 s4, s36, s2
	s_addc_u32 s5, s37, s3
	s_lshl_b64 s[2:3], s[64:65], 1
	v_or_b32_e32 v23, 64, v20
	s_add_u32 s76, s4, s2
	v_or_b32_e32 v25, 0x80, v20
	v_or_b32_e32 v27, 0xc0, v20
	v_or_b32_e32 v29, 0x100, v20
	v_or_b32_e32 v31, 0x140, v20
	v_or_b32_e32 v33, 0x180, v20
	v_or_b32_e32 v35, 0x1c0, v20
	v_and_b32_e32 v2, 50, v2
	v_lshrrev_b32_e32 v5, 5, v26
	v_lshrrev_b32_e32 v8, 5, v28
	;; [unrolled: 1-line block ×6, first 2 shown]
	v_lshrrev_b16 v50, 1, v16
	s_addc_u32 s77, s5, s3
	s_add_i32 s2, s69, 0x7ff
	v_lshrrev_b32_e32 v3, 5, v1
	s_lshr_b32 s79, s2, 11
	s_bitcmp1_b32 s0, 0
	v_lshrrev_b32_e32 v4, 5, v23
	v_lshrrev_b32_e32 v6, 5, v25
	v_add_lshl_u32 v2, v2, v20, 1
	v_and_b32_e32 v5, 52, v5
	v_lshrrev_b32_e32 v7, 5, v27
	v_and_b32_e32 v8, 54, v8
	v_lshrrev_b32_e32 v10, 5, v29
	;; [unrolled: 2-line block ×5, first 2 shown]
	v_and_b32_e32 v51, 62, v49
	v_lshlrev_b32_e32 v16, 4, v16
	v_and_b32_e32 v52, 62, v50
	s_cselect_b32 s80, -1, 0
	s_cmp_gt_i32 s78, 0
	v_add_lshl_u32 v3, v3, v20, 1
	s_cselect_b32 s81, -1, 0
	s_add_i32 s0, 0, 0x1080
	v_add_lshl_u32 v4, v4, v20, 1
	v_add_lshl_u32 v6, v6, v20, 1
	v_add_nc_u32_e32 v39, 0, v2
	v_add_lshl_u32 v5, v5, v20, 1
	v_add_lshl_u32 v7, v7, v20, 1
	;; [unrolled: 1-line block ×12, first 2 shown]
	v_add_nc_u32_e32 v55, s0, v2
	v_and_b32_e32 v2, 15, v19
	s_and_b32 s1, s69, 0x7ff
	v_add_nc_u32_e32 v51, 0, v67
	v_add_nc_u32_e32 v53, s0, v3
	;; [unrolled: 1-line block ×15, first 2 shown]
	s_cmp_eq_u32 s1, 0
	v_add_nc_u32_e32 v68, s0, v16
	v_cmp_ne_u32_e64 s0, 0, v2
	v_cmp_lt_u32_e64 s1, 1, v2
	v_cmp_lt_u32_e64 s2, 3, v2
	;; [unrolled: 1-line block ×3, first 2 shown]
	v_add_nc_u32_e32 v2, -1, v19
	v_add_nc_u32_e32 v37, 0, v3
	v_lshrrev_b32_e32 v3, 2, v0
	s_mul_i32 s64, s42, s16
	v_add_nc_u32_e32 v41, 0, v5
	v_or_b32_e32 v5, 31, v14
	v_cmp_gt_i32_e32 vcc_lo, 0, v2
	s_cselect_b32 s82, -1, 0
	s_lshl_b64 s[12:13], s[64:65], 1
	v_and_b32_e32 v3, 24, v3
	s_add_i32 s83, s79, -1
	v_cndmask_b32_e32 v2, v2, v19, vcc_lo
	s_mul_i32 s64, s17, s34
	s_add_u32 s16, s30, s12
	s_addc_u32 s13, s31, s13
	s_lshl_b64 s[14:15], s[64:65], 1
	v_cmp_eq_u32_e64 s5, v5, v0
	v_cmp_gt_u32_e64 s6, 4, v0
	v_lshl_add_u32 v70, v0, 3, 0
	v_cmp_gt_u32_e64 s9, 32, v0
	v_cmp_lt_u32_e64 s10, 31, v0
	v_cmp_eq_u32_e64 s11, 0, v0
	s_mul_i32 s64, s42, s54
	v_lshlrev_b32_e32 v0, 1, v19
	s_add_u32 s16, s16, s14
	v_add_nc_u32_e32 v38, 0, v4
	v_and_b32_e32 v4, 16, v19
	v_add_nc_u32_e32 v69, 0, v3
	v_and_b32_e32 v3, 3, v19
	s_addc_u32 s13, s13, s15
	s_lshl_b64 s[14:15], s[64:65], 1
	s_mul_i32 s64, s55, s34
	s_add_u32 s17, s38, s14
	v_lshlrev_b32_e32 v71, 2, v2
	s_addc_u32 s20, s39, s15
	s_lshl_b64 s[14:15], s[64:65], 1
	v_add_co_u32 v2, s16, s16, v0
	s_mul_i32 s64, s42, s18
	v_cmp_ne_u32_e64 s4, 0, v4
	v_cmp_ne_u32_e64 s7, 0, v3
	v_cmp_lt_u32_e64 s8, 1, v3
	v_add_co_ci_u32_e64 v3, null, s13, 0, s16
	s_add_u32 s13, s17, s14
	v_lshlrev_b32_e32 v4, 1, v1
	s_addc_u32 s16, s20, s15
	s_lshl_b64 s[14:15], s[64:65], 1
	s_mul_i32 s64, s19, s34
	s_add_u32 s17, s40, s14
	s_addc_u32 s18, s41, s15
	s_lshl_b64 s[14:15], s[64:65], 1
	v_add_co_u32 v72, vcc_lo, v2, v4
	v_add_co_u32 v2, s13, s13, v0
	s_add_u32 s14, s17, s14
	v_add_co_ci_u32_e32 v73, vcc_lo, 0, v3, vcc_lo
	v_add_co_ci_u32_e64 v3, null, s16, 0, s13
	s_addc_u32 s15, s18, s15
	v_add_co_u32 v0, s13, s14, v0
	s_delay_alu instid0(VALU_DEP_1) | instskip(SKIP_2) | instid1(VALU_DEP_4)
	v_add_co_ci_u32_e64 v5, null, s15, 0, s13
	v_add_co_u32 v74, vcc_lo, v2, v4
	v_add_co_ci_u32_e32 v75, vcc_lo, 0, v3, vcc_lo
	v_add_co_u32 v76, vcc_lo, v0, v4
	v_or_b32_e32 v22, 32, v20
	v_add_nc_u32_e32 v40, 0, v6
	v_add_nc_u32_e32 v42, 0, v7
	;; [unrolled: 1-line block ×11, first 2 shown]
	v_cmp_eq_u32_e64 s12, 0, v19
	v_add_co_ci_u32_e32 v77, vcc_lo, 0, v5, vcc_lo
	v_or_b32_e32 v78, 1, v18
	v_or_b32_e32 v79, 2, v18
	;; [unrolled: 1-line block ×15, first 2 shown]
	v_lshlrev_b32_e32 v93, 1, v1
	s_mov_b32 s84, 0x3e9b6dac
	s_add_i32 s85, 0, 0x2120
	s_mov_b32 s86, 0
	s_branch .LBB28_12
.LBB28_11:                              ;   in Loop: Header=BB28_12 Depth=1
	s_or_b32 exec_lo, exec_lo, s13
	s_add_u32 s71, s71, 0x1000
	s_addc_u32 s56, s56, 0
	s_add_u32 s63, s63, 0x1000
	s_addc_u32 s70, s70, 0
	;; [unrolled: 2-line block ×4, first 2 shown]
	s_add_i32 s86, s86, 1
	s_delay_alu instid0(SALU_CYCLE_1)
	s_cmp_lg_u32 s86, s79
	s_cbranch_scc0 .LBB28_302
.LBB28_12:                              ; =>This Loop Header: Depth=1
                                        ;     Child Loop BB28_109 Depth 2
	s_waitcnt lgkmcnt(14)
	v_lshlrev_b32_e32 v16, 1, v19
	s_lshl_b32 s50, s86, 11
	s_waitcnt lgkmcnt(0)
	v_mov_b32_e32 v2, 0
	s_sub_i32 s41, s69, s50
	v_add_co_u32 v0, s13, s63, v16
	s_delay_alu instid0(VALU_DEP_1) | instskip(SKIP_1) | instid1(VALU_DEP_3)
	v_add_co_ci_u32_e64 v1, null, s70, 0, s13
	v_cmp_gt_u32_e64 s13, s41, v20
	v_add_co_u32 v0, vcc_lo, v0, v93
	s_delay_alu instid0(VALU_DEP_3)
	v_add_co_ci_u32_e32 v1, vcc_lo, 0, v1, vcc_lo
	s_waitcnt_vscnt null, 0x0
	s_barrier
	buffer_gl0_inv
	s_and_saveexec_b32 s14, s13
	s_cbranch_execz .LBB28_14
; %bb.13:                               ;   in Loop: Header=BB28_12 Depth=1
	global_load_u16 v2, v[0:1], off
.LBB28_14:                              ;   in Loop: Header=BB28_12 Depth=1
	s_or_b32 exec_lo, exec_lo, s14
	v_cmp_gt_u32_e64 s14, s41, v22
	v_dual_mov_b32 v3, 0 :: v_dual_mov_b32 v4, 0
	s_delay_alu instid0(VALU_DEP_2)
	s_and_saveexec_b32 s15, s14
	s_cbranch_execz .LBB28_16
; %bb.15:                               ;   in Loop: Header=BB28_12 Depth=1
	global_load_u16 v4, v[0:1], off offset:64
.LBB28_16:                              ;   in Loop: Header=BB28_12 Depth=1
	s_or_b32 exec_lo, exec_lo, s15
	v_cmp_gt_u32_e64 s15, s41, v23
	s_delay_alu instid0(VALU_DEP_1)
	s_and_saveexec_b32 s16, s15
	s_cbranch_execz .LBB28_18
; %bb.17:                               ;   in Loop: Header=BB28_12 Depth=1
	global_load_u16 v3, v[0:1], off offset:128
.LBB28_18:                              ;   in Loop: Header=BB28_12 Depth=1
	s_or_b32 exec_lo, exec_lo, s16
	v_cmp_gt_u32_e64 s16, s41, v24
	v_dual_mov_b32 v5, 0 :: v_dual_mov_b32 v6, 0
	s_delay_alu instid0(VALU_DEP_2)
	s_and_saveexec_b32 s17, s16
	s_cbranch_execz .LBB28_20
; %bb.19:                               ;   in Loop: Header=BB28_12 Depth=1
	global_load_u16 v6, v[0:1], off offset:192
.LBB28_20:                              ;   in Loop: Header=BB28_12 Depth=1
	s_or_b32 exec_lo, exec_lo, s17
	v_cmp_gt_u32_e64 s17, s41, v25
	s_delay_alu instid0(VALU_DEP_1)
	s_and_saveexec_b32 s18, s17
	s_cbranch_execz .LBB28_22
; %bb.21:                               ;   in Loop: Header=BB28_12 Depth=1
	global_load_u16 v5, v[0:1], off offset:256
.LBB28_22:                              ;   in Loop: Header=BB28_12 Depth=1
	;; [unrolled: 17-line block ×3, first 2 shown]
	s_or_b32 exec_lo, exec_lo, s20
	v_cmp_gt_u32_e64 s20, s41, v28
	v_mov_b32_e32 v9, 0
	v_mov_b32_e32 v11, 0
	s_delay_alu instid0(VALU_DEP_3)
	s_and_saveexec_b32 s21, s20
	s_cbranch_execz .LBB28_28
; %bb.27:                               ;   in Loop: Header=BB28_12 Depth=1
	global_load_u16 v11, v[0:1], off offset:448
.LBB28_28:                              ;   in Loop: Header=BB28_12 Depth=1
	s_or_b32 exec_lo, exec_lo, s21
	v_cmp_gt_u32_e64 s21, s41, v29
	s_delay_alu instid0(VALU_DEP_1)
	s_and_saveexec_b32 s22, s21
	s_cbranch_execz .LBB28_30
; %bb.29:                               ;   in Loop: Header=BB28_12 Depth=1
	global_load_u16 v9, v[0:1], off offset:512
.LBB28_30:                              ;   in Loop: Header=BB28_12 Depth=1
	s_or_b32 exec_lo, exec_lo, s22
	v_cmp_gt_u32_e64 s22, s41, v30
	v_dual_mov_b32 v12, 0 :: v_dual_mov_b32 v13, 0
	s_delay_alu instid0(VALU_DEP_2)
	s_and_saveexec_b32 s23, s22
	s_cbranch_execz .LBB28_32
; %bb.31:                               ;   in Loop: Header=BB28_12 Depth=1
	global_load_u16 v13, v[0:1], off offset:576
.LBB28_32:                              ;   in Loop: Header=BB28_12 Depth=1
	s_or_b32 exec_lo, exec_lo, s23
	v_cmp_gt_u32_e64 s23, s41, v31
	s_delay_alu instid0(VALU_DEP_1)
	s_and_saveexec_b32 s24, s23
	s_cbranch_execz .LBB28_34
; %bb.33:                               ;   in Loop: Header=BB28_12 Depth=1
	global_load_u16 v12, v[0:1], off offset:640
.LBB28_34:                              ;   in Loop: Header=BB28_12 Depth=1
	s_or_b32 exec_lo, exec_lo, s24
	v_cmp_gt_u32_e64 s24, s41, v32
	v_dual_mov_b32 v14, 0 :: v_dual_mov_b32 v15, 0
	s_delay_alu instid0(VALU_DEP_2)
	;; [unrolled: 17-line block ×4, first 2 shown]
	s_and_saveexec_b32 s29, s28
	s_cbranch_execz .LBB28_44
; %bb.43:                               ;   in Loop: Header=BB28_12 Depth=1
	global_load_u16 v95, v[0:1], off offset:960
.LBB28_44:                              ;   in Loop: Header=BB28_12 Depth=1
	s_or_b32 exec_lo, exec_lo, s29
	s_waitcnt vmcnt(0)
	ds_store_b16 v37, v2
	ds_store_b16 v37, v4 offset:64
	ds_store_b16 v38, v3 offset:128
	;; [unrolled: 1-line block ×15, first 2 shown]
	; wave barrier
	ds_load_b128 v[0:3], v52
	ds_load_b128 v[4:7], v52 offset:16
	v_add_co_u32 v8, s29, s71, v16
	s_delay_alu instid0(VALU_DEP_1) | instskip(SKIP_1) | instid1(VALU_DEP_2)
	v_add_co_ci_u32_e64 v9, null, s56, 0, s29
	s_waitcnt lgkmcnt(0)
	v_add_co_u32 v8, vcc_lo, v8, v93
	s_delay_alu instid0(VALU_DEP_2)
	v_add_co_ci_u32_e32 v9, vcc_lo, 0, v9, vcc_lo
	s_barrier
	buffer_gl0_inv
	s_and_saveexec_b32 s29, s13
	s_cbranch_execz .LBB28_46
; %bb.45:                               ;   in Loop: Header=BB28_12 Depth=1
	global_load_u16 v10, v[8:9], off
.LBB28_46:                              ;   in Loop: Header=BB28_12 Depth=1
	s_or_b32 exec_lo, exec_lo, s29
	v_dual_mov_b32 v11, 0 :: v_dual_mov_b32 v12, 0
	s_and_saveexec_b32 s29, s14
	s_cbranch_execz .LBB28_48
; %bb.47:                               ;   in Loop: Header=BB28_12 Depth=1
	global_load_u16 v12, v[8:9], off offset:64
.LBB28_48:                              ;   in Loop: Header=BB28_12 Depth=1
	s_or_b32 exec_lo, exec_lo, s29
	s_and_saveexec_b32 s29, s15
	s_cbranch_execz .LBB28_50
; %bb.49:                               ;   in Loop: Header=BB28_12 Depth=1
	global_load_u16 v11, v[8:9], off offset:128
.LBB28_50:                              ;   in Loop: Header=BB28_12 Depth=1
	s_or_b32 exec_lo, exec_lo, s29
	v_dual_mov_b32 v13, 0 :: v_dual_mov_b32 v14, 0
	s_and_saveexec_b32 s29, s16
	s_cbranch_execz .LBB28_52
; %bb.51:                               ;   in Loop: Header=BB28_12 Depth=1
	global_load_u16 v14, v[8:9], off offset:192
.LBB28_52:                              ;   in Loop: Header=BB28_12 Depth=1
	s_or_b32 exec_lo, exec_lo, s29
	s_and_saveexec_b32 s29, s17
	s_cbranch_execz .LBB28_54
; %bb.53:                               ;   in Loop: Header=BB28_12 Depth=1
	global_load_u16 v13, v[8:9], off offset:256
.LBB28_54:                              ;   in Loop: Header=BB28_12 Depth=1
	s_or_b32 exec_lo, exec_lo, s29
	v_mov_b32_e32 v15, 0
	v_mov_b32_e32 v17, 0
	s_and_saveexec_b32 s29, s18
	s_cbranch_execz .LBB28_56
; %bb.55:                               ;   in Loop: Header=BB28_12 Depth=1
	global_load_u16 v17, v[8:9], off offset:320
.LBB28_56:                              ;   in Loop: Header=BB28_12 Depth=1
	s_or_b32 exec_lo, exec_lo, s29
	s_and_saveexec_b32 s29, s19
	s_cbranch_execz .LBB28_58
; %bb.57:                               ;   in Loop: Header=BB28_12 Depth=1
	global_load_u16 v15, v[8:9], off offset:384
.LBB28_58:                              ;   in Loop: Header=BB28_12 Depth=1
	s_or_b32 exec_lo, exec_lo, s29
	v_dual_mov_b32 v94, 0 :: v_dual_mov_b32 v95, 0
	s_and_saveexec_b32 s29, s20
	s_cbranch_execz .LBB28_60
; %bb.59:                               ;   in Loop: Header=BB28_12 Depth=1
	global_load_u16 v95, v[8:9], off offset:448
.LBB28_60:                              ;   in Loop: Header=BB28_12 Depth=1
	s_or_b32 exec_lo, exec_lo, s29
	s_and_saveexec_b32 s29, s21
	s_cbranch_execz .LBB28_62
; %bb.61:                               ;   in Loop: Header=BB28_12 Depth=1
	global_load_u16 v94, v[8:9], off offset:512
.LBB28_62:                              ;   in Loop: Header=BB28_12 Depth=1
	s_or_b32 exec_lo, exec_lo, s29
	v_dual_mov_b32 v96, 0 :: v_dual_mov_b32 v97, 0
	;; [unrolled: 13-line block ×4, first 2 shown]
	s_and_saveexec_b32 s29, s26
	s_cbranch_execnz .LBB28_269
; %bb.71:                               ;   in Loop: Header=BB28_12 Depth=1
	s_or_b32 exec_lo, exec_lo, s29
	s_and_saveexec_b32 s29, s27
	s_cbranch_execnz .LBB28_270
.LBB28_72:                              ;   in Loop: Header=BB28_12 Depth=1
	s_or_b32 exec_lo, exec_lo, s29
	v_mov_b32_e32 v102, 0
	s_and_saveexec_b32 s29, s28
	s_cbranch_execz .LBB28_74
.LBB28_73:                              ;   in Loop: Header=BB28_12 Depth=1
	global_load_u16 v102, v[8:9], off offset:960
.LBB28_74:                              ;   in Loop: Header=BB28_12 Depth=1
	s_or_b32 exec_lo, exec_lo, s29
	s_waitcnt vmcnt(0)
	ds_store_b16 v37, v10
	ds_store_b16 v37, v12 offset:64
	ds_store_b16 v38, v11 offset:128
	;; [unrolled: 1-line block ×15, first 2 shown]
	; wave barrier
	ds_load_b128 v[12:15], v52
	ds_load_b128 v[8:11], v52 offset:16
	s_waitcnt lgkmcnt(1)
	v_lshlrev_b32_e32 v17, 16, v12
	s_delay_alu instid0(VALU_DEP_1) | instskip(NEXT) | instid1(VALU_DEP_1)
	v_add_f32_e32 v94, s67, v17
	v_cmp_ge_f32_e32 vcc_lo, 0x41a00000, v94
	s_and_b32 s29, s80, vcc_lo
	s_delay_alu instid0(SALU_CYCLE_1)
	s_and_saveexec_b32 s30, s29
	s_cbranch_execz .LBB28_76
; %bb.75:                               ;   in Loop: Header=BB28_12 Depth=1
	v_mul_f32_e32 v17, 0x3fb8aa3b, v94
	v_cmp_ngt_f32_e32 vcc_lo, 0xc2ce8ed0, v94
	s_delay_alu instid0(VALU_DEP_2) | instskip(SKIP_1) | instid1(VALU_DEP_1)
	v_rndne_f32_e32 v95, v17
	v_fma_f32 v96, 0x3fb8aa3b, v94, -v17
	v_dual_sub_f32 v17, v17, v95 :: v_dual_fmac_f32 v96, 0x32a5705f, v94
	v_cvt_i32_f32_e32 v95, v95
	s_delay_alu instid0(VALU_DEP_2) | instskip(NEXT) | instid1(VALU_DEP_1)
	v_add_f32_e32 v17, v17, v96
	v_exp_f32_e32 v17, v17
	s_waitcnt_depctr 0xfff
	v_ldexp_f32 v17, v17, v95
	s_delay_alu instid0(VALU_DEP_1) | instskip(SKIP_1) | instid1(VALU_DEP_2)
	v_cndmask_b32_e32 v17, 0, v17, vcc_lo
	v_cmp_nlt_f32_e32 vcc_lo, 0x42b17218, v94
	v_cndmask_b32_e32 v17, 0x7f800000, v17, vcc_lo
	s_delay_alu instid0(VALU_DEP_1) | instskip(NEXT) | instid1(VALU_DEP_1)
	v_add_f32_e32 v96, 1.0, v17
	v_cvt_f64_f32_e32 v[94:95], v96
	s_delay_alu instid0(VALU_DEP_1) | instskip(SKIP_1) | instid1(VALU_DEP_1)
	v_frexp_exp_i32_f64_e32 v94, v[94:95]
	v_frexp_mant_f32_e32 v95, v96
	v_cmp_gt_f32_e32 vcc_lo, 0x3f2aaaab, v95
	v_add_f32_e32 v95, -1.0, v96
	s_delay_alu instid0(VALU_DEP_1) | instskip(NEXT) | instid1(VALU_DEP_1)
	v_dual_sub_f32 v98, v95, v96 :: v_dual_sub_f32 v95, v17, v95
	v_add_f32_e32 v98, 1.0, v98
	v_subrev_co_ci_u32_e32 v94, vcc_lo, 0, v94, vcc_lo
	s_delay_alu instid0(VALU_DEP_1) | instskip(SKIP_1) | instid1(VALU_DEP_2)
	v_sub_nc_u32_e32 v97, 0, v94
	v_cvt_f32_i32_e32 v94, v94
	v_ldexp_f32 v96, v96, v97
	v_add_f32_e32 v95, v95, v98
	s_delay_alu instid0(VALU_DEP_1) | instskip(NEXT) | instid1(VALU_DEP_3)
	v_ldexp_f32 v95, v95, v97
	v_add_f32_e32 v99, 1.0, v96
	s_delay_alu instid0(VALU_DEP_1) | instskip(NEXT) | instid1(VALU_DEP_1)
	v_add_f32_e32 v98, -1.0, v99
	v_sub_f32_e32 v98, v96, v98
	v_cmp_eq_f32_e32 vcc_lo, 0x7f800000, v17
	v_cmp_gt_f32_e64 s29, 0x33800000, v17
	s_delay_alu instid0(VALU_DEP_3) | instskip(NEXT) | instid1(VALU_DEP_2)
	v_dual_add_f32 v98, v95, v98 :: v_dual_add_f32 v97, -1.0, v96
	s_or_b32 vcc_lo, s29, vcc_lo
	s_delay_alu instid0(VALU_DEP_1) | instskip(NEXT) | instid1(VALU_DEP_1)
	v_add_f32_e32 v100, 1.0, v97
	v_sub_f32_e32 v96, v96, v100
	s_delay_alu instid0(VALU_DEP_3) | instskip(NEXT) | instid1(VALU_DEP_1)
	v_add_f32_e32 v100, v99, v98
	v_sub_f32_e32 v99, v99, v100
	s_delay_alu instid0(VALU_DEP_3) | instskip(SKIP_1) | instid1(VALU_DEP_2)
	v_add_f32_e32 v95, v95, v96
	v_rcp_f32_e32 v96, v100
	v_add_f32_e32 v98, v98, v99
	s_delay_alu instid0(VALU_DEP_2) | instskip(NEXT) | instid1(VALU_DEP_1)
	v_add_f32_e32 v101, v97, v95
	v_sub_f32_e32 v97, v97, v101
	s_waitcnt_depctr 0xfff
	v_dual_mul_f32 v102, v101, v96 :: v_dual_add_f32 v95, v95, v97
	s_delay_alu instid0(VALU_DEP_1) | instskip(NEXT) | instid1(VALU_DEP_1)
	v_mul_f32_e32 v103, v100, v102
	v_fma_f32 v99, v102, v100, -v103
	s_delay_alu instid0(VALU_DEP_1) | instskip(NEXT) | instid1(VALU_DEP_1)
	v_fmac_f32_e32 v99, v102, v98
	v_add_f32_e32 v104, v103, v99
	s_delay_alu instid0(VALU_DEP_1) | instskip(NEXT) | instid1(VALU_DEP_1)
	v_sub_f32_e32 v105, v101, v104
	v_sub_f32_e32 v101, v101, v105
	;; [unrolled: 1-line block ×3, first 2 shown]
	s_delay_alu instid0(VALU_DEP_2) | instskip(NEXT) | instid1(VALU_DEP_2)
	v_sub_f32_e32 v101, v101, v104
	v_sub_f32_e32 v97, v97, v99
	s_delay_alu instid0(VALU_DEP_2) | instskip(NEXT) | instid1(VALU_DEP_1)
	v_add_f32_e32 v95, v95, v101
	v_add_f32_e32 v95, v97, v95
	s_delay_alu instid0(VALU_DEP_1) | instskip(NEXT) | instid1(VALU_DEP_1)
	v_add_f32_e32 v97, v105, v95
	v_mul_f32_e32 v99, v96, v97
	s_delay_alu instid0(VALU_DEP_1) | instskip(NEXT) | instid1(VALU_DEP_1)
	v_dual_sub_f32 v104, v105, v97 :: v_dual_mul_f32 v101, v100, v99
	v_add_f32_e32 v95, v95, v104
	s_delay_alu instid0(VALU_DEP_2) | instskip(NEXT) | instid1(VALU_DEP_1)
	v_fma_f32 v100, v99, v100, -v101
	v_fmac_f32_e32 v100, v99, v98
	s_delay_alu instid0(VALU_DEP_1) | instskip(NEXT) | instid1(VALU_DEP_1)
	v_add_f32_e32 v98, v101, v100
	v_sub_f32_e32 v103, v97, v98
	v_sub_f32_e32 v101, v98, v101
	s_delay_alu instid0(VALU_DEP_2) | instskip(NEXT) | instid1(VALU_DEP_1)
	v_sub_f32_e32 v97, v97, v103
	v_sub_f32_e32 v97, v97, v98
	s_delay_alu instid0(VALU_DEP_1) | instskip(SKIP_1) | instid1(VALU_DEP_1)
	v_dual_sub_f32 v98, v101, v100 :: v_dual_add_f32 v95, v95, v97
	v_add_f32_e32 v97, v102, v99
	v_dual_add_f32 v95, v98, v95 :: v_dual_sub_f32 v98, v97, v102
	s_delay_alu instid0(VALU_DEP_1) | instskip(NEXT) | instid1(VALU_DEP_1)
	v_add_f32_e32 v95, v103, v95
	v_dual_sub_f32 v98, v99, v98 :: v_dual_mul_f32 v95, v96, v95
	s_delay_alu instid0(VALU_DEP_1) | instskip(NEXT) | instid1(VALU_DEP_1)
	v_add_f32_e32 v95, v98, v95
	v_add_f32_e32 v96, v97, v95
	s_delay_alu instid0(VALU_DEP_1) | instskip(NEXT) | instid1(VALU_DEP_1)
	v_mul_f32_e32 v98, v96, v96
	v_fmaak_f32 v99, s84, v98, 0x3ecc95a3
	v_mul_f32_e32 v100, v96, v98
	s_delay_alu instid0(VALU_DEP_2) | instskip(SKIP_2) | instid1(VALU_DEP_3)
	v_fmaak_f32 v98, v98, v99, 0x3f2aaada
	v_ldexp_f32 v99, v96, 1
	v_sub_f32_e32 v96, v96, v97
	v_mul_f32_e32 v98, v100, v98
	s_delay_alu instid0(VALU_DEP_2) | instskip(NEXT) | instid1(VALU_DEP_2)
	v_dual_mul_f32 v100, 0x3f317218, v94 :: v_dual_sub_f32 v95, v95, v96
	v_add_f32_e32 v97, v99, v98
	s_delay_alu instid0(VALU_DEP_2) | instskip(NEXT) | instid1(VALU_DEP_2)
	v_ldexp_f32 v95, v95, 1
	v_sub_f32_e32 v96, v97, v99
	s_delay_alu instid0(VALU_DEP_4) | instskip(NEXT) | instid1(VALU_DEP_1)
	v_fma_f32 v99, 0x3f317218, v94, -v100
	v_dual_sub_f32 v96, v98, v96 :: v_dual_fmac_f32 v99, 0xb102e308, v94
	s_delay_alu instid0(VALU_DEP_1) | instskip(NEXT) | instid1(VALU_DEP_1)
	v_dual_add_f32 v94, v95, v96 :: v_dual_add_f32 v95, v100, v99
	v_add_f32_e32 v96, v97, v94
	s_delay_alu instid0(VALU_DEP_2) | instskip(NEXT) | instid1(VALU_DEP_2)
	v_sub_f32_e32 v100, v95, v100
	v_dual_add_f32 v98, v95, v96 :: v_dual_sub_f32 v97, v96, v97
	s_delay_alu instid0(VALU_DEP_2) | instskip(NEXT) | instid1(VALU_DEP_2)
	v_sub_f32_e32 v99, v99, v100
	v_sub_f32_e32 v101, v98, v95
	s_delay_alu instid0(VALU_DEP_3) | instskip(NEXT) | instid1(VALU_DEP_2)
	v_sub_f32_e32 v94, v94, v97
	v_sub_f32_e32 v102, v98, v101
	s_delay_alu instid0(VALU_DEP_2) | instskip(NEXT) | instid1(VALU_DEP_2)
	v_dual_sub_f32 v96, v96, v101 :: v_dual_add_f32 v97, v99, v94
	v_sub_f32_e32 v95, v95, v102
	s_delay_alu instid0(VALU_DEP_1) | instskip(NEXT) | instid1(VALU_DEP_3)
	v_add_f32_e32 v95, v96, v95
	v_sub_f32_e32 v96, v97, v99
	s_delay_alu instid0(VALU_DEP_2) | instskip(NEXT) | instid1(VALU_DEP_2)
	v_add_f32_e32 v95, v97, v95
	v_sub_f32_e32 v97, v97, v96
	v_sub_f32_e32 v94, v94, v96
	s_delay_alu instid0(VALU_DEP_2) | instskip(NEXT) | instid1(VALU_DEP_1)
	v_dual_add_f32 v100, v98, v95 :: v_dual_sub_f32 v97, v99, v97
	v_sub_f32_e32 v96, v100, v98
	s_delay_alu instid0(VALU_DEP_1) | instskip(NEXT) | instid1(VALU_DEP_1)
	v_dual_add_f32 v94, v94, v97 :: v_dual_sub_f32 v95, v95, v96
	v_add_f32_e32 v94, v94, v95
	s_delay_alu instid0(VALU_DEP_1) | instskip(NEXT) | instid1(VALU_DEP_1)
	v_add_f32_e32 v94, v100, v94
	v_cndmask_b32_e32 v94, v94, v17, vcc_lo
.LBB28_76:                              ;   in Loop: Header=BB28_12 Depth=1
	s_or_b32 exec_lo, exec_lo, s30
	v_and_b32_e32 v12, 0xffff0000, v12
	s_delay_alu instid0(VALU_DEP_1) | instskip(NEXT) | instid1(VALU_DEP_1)
	v_add_f32_e32 v95, s67, v12
	v_cmp_ge_f32_e32 vcc_lo, 0x41a00000, v95
	s_and_b32 s29, s80, vcc_lo
	s_delay_alu instid0(SALU_CYCLE_1)
	s_and_saveexec_b32 s30, s29
	s_cbranch_execz .LBB28_78
; %bb.77:                               ;   in Loop: Header=BB28_12 Depth=1
	v_mul_f32_e32 v12, 0x3fb8aa3b, v95
	v_cmp_ngt_f32_e32 vcc_lo, 0xc2ce8ed0, v95
	s_delay_alu instid0(VALU_DEP_2) | instskip(SKIP_1) | instid1(VALU_DEP_2)
	v_rndne_f32_e32 v17, v12
	v_fma_f32 v96, 0x3fb8aa3b, v95, -v12
	v_sub_f32_e32 v12, v12, v17
	s_delay_alu instid0(VALU_DEP_2) | instskip(SKIP_1) | instid1(VALU_DEP_2)
	v_fmac_f32_e32 v96, 0x32a5705f, v95
	v_cvt_i32_f32_e32 v17, v17
	v_add_f32_e32 v12, v12, v96
	s_delay_alu instid0(VALU_DEP_1) | instskip(SKIP_2) | instid1(VALU_DEP_1)
	v_exp_f32_e32 v12, v12
	s_waitcnt_depctr 0xfff
	v_ldexp_f32 v12, v12, v17
	v_cndmask_b32_e32 v12, 0, v12, vcc_lo
	v_cmp_nlt_f32_e32 vcc_lo, 0x42b17218, v95
	s_delay_alu instid0(VALU_DEP_2) | instskip(NEXT) | instid1(VALU_DEP_1)
	v_cndmask_b32_e32 v12, 0x7f800000, v12, vcc_lo
	v_add_f32_e32 v17, 1.0, v12
	s_delay_alu instid0(VALU_DEP_1) | instskip(NEXT) | instid1(VALU_DEP_1)
	v_cvt_f64_f32_e32 v[95:96], v17
	v_frexp_exp_i32_f64_e32 v95, v[95:96]
	v_frexp_mant_f32_e32 v96, v17
	s_delay_alu instid0(VALU_DEP_1) | instskip(SKIP_1) | instid1(VALU_DEP_1)
	v_cmp_gt_f32_e32 vcc_lo, 0x3f2aaaab, v96
	v_add_f32_e32 v96, -1.0, v17
	v_sub_f32_e32 v98, v96, v17
	v_sub_f32_e32 v96, v12, v96
	s_delay_alu instid0(VALU_DEP_2) | instskip(NEXT) | instid1(VALU_DEP_1)
	v_add_f32_e32 v98, 1.0, v98
	v_add_f32_e32 v96, v96, v98
	v_subrev_co_ci_u32_e32 v95, vcc_lo, 0, v95, vcc_lo
	s_delay_alu instid0(VALU_DEP_1) | instskip(SKIP_1) | instid1(VALU_DEP_2)
	v_sub_nc_u32_e32 v97, 0, v95
	v_cvt_f32_i32_e32 v95, v95
	v_ldexp_f32 v17, v17, v97
	v_ldexp_f32 v96, v96, v97
	s_delay_alu instid0(VALU_DEP_2) | instskip(NEXT) | instid1(VALU_DEP_1)
	v_add_f32_e32 v99, 1.0, v17
	v_dual_add_f32 v97, -1.0, v17 :: v_dual_add_f32 v98, -1.0, v99
	s_delay_alu instid0(VALU_DEP_1) | instskip(NEXT) | instid1(VALU_DEP_2)
	v_add_f32_e32 v100, 1.0, v97
	v_sub_f32_e32 v98, v17, v98
	s_delay_alu instid0(VALU_DEP_2) | instskip(NEXT) | instid1(VALU_DEP_1)
	v_sub_f32_e32 v17, v17, v100
	v_add_f32_e32 v17, v96, v17
	s_delay_alu instid0(VALU_DEP_1) | instskip(SKIP_2) | instid1(VALU_DEP_3)
	v_add_f32_e32 v101, v97, v17
	v_cmp_eq_f32_e32 vcc_lo, 0x7f800000, v12
	v_cmp_gt_f32_e64 s29, 0x33800000, v12
	v_dual_sub_f32 v97, v97, v101 :: v_dual_add_f32 v98, v96, v98
	s_delay_alu instid0(VALU_DEP_2) | instskip(NEXT) | instid1(VALU_DEP_1)
	s_or_b32 vcc_lo, s29, vcc_lo
	v_dual_add_f32 v17, v17, v97 :: v_dual_add_f32 v100, v99, v98
	s_delay_alu instid0(VALU_DEP_1) | instskip(SKIP_1) | instid1(VALU_DEP_1)
	v_rcp_f32_e32 v96, v100
	v_sub_f32_e32 v99, v99, v100
	v_add_f32_e32 v98, v98, v99
	s_waitcnt_depctr 0xfff
	v_mul_f32_e32 v102, v101, v96
	s_delay_alu instid0(VALU_DEP_1) | instskip(NEXT) | instid1(VALU_DEP_1)
	v_mul_f32_e32 v103, v100, v102
	v_fma_f32 v99, v102, v100, -v103
	s_delay_alu instid0(VALU_DEP_1) | instskip(NEXT) | instid1(VALU_DEP_1)
	v_fmac_f32_e32 v99, v102, v98
	v_add_f32_e32 v104, v103, v99
	s_delay_alu instid0(VALU_DEP_1) | instskip(SKIP_1) | instid1(VALU_DEP_2)
	v_sub_f32_e32 v105, v101, v104
	v_sub_f32_e32 v97, v104, v103
	;; [unrolled: 1-line block ×3, first 2 shown]
	s_delay_alu instid0(VALU_DEP_2) | instskip(NEXT) | instid1(VALU_DEP_2)
	v_sub_f32_e32 v97, v97, v99
	v_sub_f32_e32 v101, v101, v104
	s_delay_alu instid0(VALU_DEP_1) | instskip(NEXT) | instid1(VALU_DEP_1)
	v_add_f32_e32 v17, v17, v101
	v_add_f32_e32 v17, v97, v17
	s_delay_alu instid0(VALU_DEP_1) | instskip(NEXT) | instid1(VALU_DEP_1)
	v_add_f32_e32 v97, v105, v17
	v_mul_f32_e32 v99, v96, v97
	s_delay_alu instid0(VALU_DEP_1) | instskip(NEXT) | instid1(VALU_DEP_1)
	v_mul_f32_e32 v101, v100, v99
	v_fma_f32 v100, v99, v100, -v101
	s_delay_alu instid0(VALU_DEP_1) | instskip(SKIP_1) | instid1(VALU_DEP_2)
	v_fmac_f32_e32 v100, v99, v98
	v_sub_f32_e32 v104, v105, v97
	v_add_f32_e32 v98, v101, v100
	s_delay_alu instid0(VALU_DEP_2) | instskip(NEXT) | instid1(VALU_DEP_2)
	v_add_f32_e32 v17, v17, v104
	v_sub_f32_e32 v103, v97, v98
	s_delay_alu instid0(VALU_DEP_1) | instskip(NEXT) | instid1(VALU_DEP_1)
	v_sub_f32_e32 v97, v97, v103
	v_sub_f32_e32 v97, v97, v98
	s_delay_alu instid0(VALU_DEP_1) | instskip(SKIP_2) | instid1(VALU_DEP_1)
	v_add_f32_e32 v17, v17, v97
	v_add_f32_e32 v97, v102, v99
	v_sub_f32_e32 v101, v98, v101
	v_sub_f32_e32 v98, v101, v100
	s_delay_alu instid0(VALU_DEP_1) | instskip(NEXT) | instid1(VALU_DEP_1)
	v_dual_add_f32 v17, v98, v17 :: v_dual_sub_f32 v98, v97, v102
	v_add_f32_e32 v17, v103, v17
	s_delay_alu instid0(VALU_DEP_1) | instskip(NEXT) | instid1(VALU_DEP_1)
	v_dual_sub_f32 v98, v99, v98 :: v_dual_mul_f32 v17, v96, v17
	v_add_f32_e32 v17, v98, v17
	s_delay_alu instid0(VALU_DEP_1) | instskip(NEXT) | instid1(VALU_DEP_1)
	v_add_f32_e32 v96, v97, v17
	v_mul_f32_e32 v98, v96, v96
	s_delay_alu instid0(VALU_DEP_1) | instskip(SKIP_1) | instid1(VALU_DEP_2)
	v_fmaak_f32 v99, s84, v98, 0x3ecc95a3
	v_mul_f32_e32 v100, v96, v98
	v_fmaak_f32 v98, v98, v99, 0x3f2aaada
	v_ldexp_f32 v99, v96, 1
	s_delay_alu instid0(VALU_DEP_2) | instskip(SKIP_1) | instid1(VALU_DEP_2)
	v_mul_f32_e32 v98, v100, v98
	v_sub_f32_e32 v96, v96, v97
	v_dual_mul_f32 v100, 0x3f317218, v95 :: v_dual_add_f32 v97, v99, v98
	s_delay_alu instid0(VALU_DEP_2) | instskip(NEXT) | instid1(VALU_DEP_2)
	v_sub_f32_e32 v17, v17, v96
	v_sub_f32_e32 v96, v97, v99
	s_delay_alu instid0(VALU_DEP_3) | instskip(NEXT) | instid1(VALU_DEP_3)
	v_fma_f32 v99, 0x3f317218, v95, -v100
	v_ldexp_f32 v17, v17, 1
	s_delay_alu instid0(VALU_DEP_2) | instskip(NEXT) | instid1(VALU_DEP_1)
	v_dual_sub_f32 v96, v98, v96 :: v_dual_fmac_f32 v99, 0xb102e308, v95
	v_add_f32_e32 v17, v17, v96
	s_delay_alu instid0(VALU_DEP_1) | instskip(NEXT) | instid1(VALU_DEP_1)
	v_dual_add_f32 v95, v100, v99 :: v_dual_add_f32 v96, v97, v17
	v_sub_f32_e32 v100, v95, v100
	s_delay_alu instid0(VALU_DEP_2) | instskip(NEXT) | instid1(VALU_DEP_2)
	v_dual_add_f32 v98, v95, v96 :: v_dual_sub_f32 v97, v96, v97
	v_sub_f32_e32 v99, v99, v100
	s_delay_alu instid0(VALU_DEP_2) | instskip(NEXT) | instid1(VALU_DEP_1)
	v_sub_f32_e32 v101, v98, v95
	v_sub_f32_e32 v102, v98, v101
	;; [unrolled: 1-line block ×4, first 2 shown]
	s_delay_alu instid0(VALU_DEP_1) | instskip(NEXT) | instid1(VALU_DEP_4)
	v_add_f32_e32 v97, v99, v17
	v_sub_f32_e32 v95, v95, v102
	s_delay_alu instid0(VALU_DEP_1) | instskip(NEXT) | instid1(VALU_DEP_3)
	v_add_f32_e32 v95, v96, v95
	v_sub_f32_e32 v96, v97, v99
	s_delay_alu instid0(VALU_DEP_2) | instskip(NEXT) | instid1(VALU_DEP_2)
	v_add_f32_e32 v95, v97, v95
	v_sub_f32_e32 v97, v97, v96
	s_delay_alu instid0(VALU_DEP_2) | instskip(NEXT) | instid1(VALU_DEP_1)
	v_dual_sub_f32 v17, v17, v96 :: v_dual_add_f32 v100, v98, v95
	v_dual_sub_f32 v96, v100, v98 :: v_dual_sub_f32 v97, v99, v97
	s_delay_alu instid0(VALU_DEP_1) | instskip(NEXT) | instid1(VALU_DEP_2)
	v_sub_f32_e32 v95, v95, v96
	v_add_f32_e32 v17, v17, v97
	s_delay_alu instid0(VALU_DEP_1) | instskip(NEXT) | instid1(VALU_DEP_1)
	v_add_f32_e32 v17, v17, v95
	v_add_f32_e32 v17, v100, v17
	s_delay_alu instid0(VALU_DEP_1)
	v_cndmask_b32_e32 v95, v17, v12, vcc_lo
.LBB28_78:                              ;   in Loop: Header=BB28_12 Depth=1
	s_or_b32 exec_lo, exec_lo, s30
	v_lshlrev_b32_e32 v12, 16, v13
	s_delay_alu instid0(VALU_DEP_1) | instskip(NEXT) | instid1(VALU_DEP_1)
	v_add_f32_e32 v96, s67, v12
	v_cmp_ge_f32_e32 vcc_lo, 0x41a00000, v96
	s_and_b32 s29, s80, vcc_lo
	s_delay_alu instid0(SALU_CYCLE_1)
	s_and_saveexec_b32 s30, s29
	s_cbranch_execz .LBB28_80
; %bb.79:                               ;   in Loop: Header=BB28_12 Depth=1
	v_mul_f32_e32 v12, 0x3fb8aa3b, v96
	v_cmp_ngt_f32_e32 vcc_lo, 0xc2ce8ed0, v96
	s_delay_alu instid0(VALU_DEP_2) | instskip(SKIP_1) | instid1(VALU_DEP_1)
	v_rndne_f32_e32 v17, v12
	v_fma_f32 v97, 0x3fb8aa3b, v96, -v12
	v_dual_sub_f32 v12, v12, v17 :: v_dual_fmac_f32 v97, 0x32a5705f, v96
	v_cvt_i32_f32_e32 v17, v17
	s_delay_alu instid0(VALU_DEP_2) | instskip(NEXT) | instid1(VALU_DEP_1)
	v_add_f32_e32 v12, v12, v97
	v_exp_f32_e32 v12, v12
	s_waitcnt_depctr 0xfff
	v_ldexp_f32 v12, v12, v17
	s_delay_alu instid0(VALU_DEP_1) | instskip(SKIP_1) | instid1(VALU_DEP_2)
	v_cndmask_b32_e32 v12, 0, v12, vcc_lo
	v_cmp_nlt_f32_e32 vcc_lo, 0x42b17218, v96
	v_cndmask_b32_e32 v12, 0x7f800000, v12, vcc_lo
	s_delay_alu instid0(VALU_DEP_1) | instskip(NEXT) | instid1(VALU_DEP_1)
	v_add_f32_e32 v17, 1.0, v12
	v_cvt_f64_f32_e32 v[96:97], v17
	s_delay_alu instid0(VALU_DEP_1) | instskip(SKIP_1) | instid1(VALU_DEP_1)
	v_frexp_exp_i32_f64_e32 v96, v[96:97]
	v_frexp_mant_f32_e32 v97, v17
	v_cmp_gt_f32_e32 vcc_lo, 0x3f2aaaab, v97
	v_add_f32_e32 v97, -1.0, v17
	s_delay_alu instid0(VALU_DEP_1) | instskip(SKIP_1) | instid1(VALU_DEP_2)
	v_sub_f32_e32 v99, v97, v17
	v_sub_f32_e32 v97, v12, v97
	v_add_f32_e32 v99, 1.0, v99
	s_delay_alu instid0(VALU_DEP_1) | instskip(SKIP_3) | instid1(VALU_DEP_2)
	v_add_f32_e32 v97, v97, v99
	v_cmp_gt_f32_e64 s29, 0x33800000, v12
	v_subrev_co_ci_u32_e32 v96, vcc_lo, 0, v96, vcc_lo
	v_cmp_eq_f32_e32 vcc_lo, 0x7f800000, v12
	v_sub_nc_u32_e32 v98, 0, v96
	v_cvt_f32_i32_e32 v96, v96
	s_or_b32 vcc_lo, s29, vcc_lo
	s_delay_alu instid0(VALU_DEP_2) | instskip(SKIP_1) | instid1(VALU_DEP_2)
	v_ldexp_f32 v17, v17, v98
	v_ldexp_f32 v97, v97, v98
	v_add_f32_e32 v100, 1.0, v17
	s_delay_alu instid0(VALU_DEP_1) | instskip(NEXT) | instid1(VALU_DEP_1)
	v_dual_add_f32 v98, -1.0, v17 :: v_dual_add_f32 v99, -1.0, v100
	v_add_f32_e32 v101, 1.0, v98
	s_delay_alu instid0(VALU_DEP_2) | instskip(NEXT) | instid1(VALU_DEP_2)
	v_sub_f32_e32 v99, v17, v99
	v_sub_f32_e32 v17, v17, v101
	s_delay_alu instid0(VALU_DEP_1) | instskip(NEXT) | instid1(VALU_DEP_1)
	v_add_f32_e32 v17, v97, v17
	v_dual_add_f32 v102, v98, v17 :: v_dual_add_f32 v99, v97, v99
	s_delay_alu instid0(VALU_DEP_1) | instskip(NEXT) | instid1(VALU_DEP_1)
	v_dual_sub_f32 v98, v98, v102 :: v_dual_add_f32 v101, v100, v99
	v_rcp_f32_e32 v97, v101
	v_sub_f32_e32 v100, v100, v101
	s_delay_alu instid0(VALU_DEP_1) | instskip(SKIP_2) | instid1(VALU_DEP_1)
	v_add_f32_e32 v99, v99, v100
	s_waitcnt_depctr 0xfff
	v_mul_f32_e32 v103, v102, v97
	v_mul_f32_e32 v104, v101, v103
	s_delay_alu instid0(VALU_DEP_1) | instskip(NEXT) | instid1(VALU_DEP_1)
	v_fma_f32 v100, v103, v101, -v104
	v_fmac_f32_e32 v100, v103, v99
	s_delay_alu instid0(VALU_DEP_1) | instskip(NEXT) | instid1(VALU_DEP_1)
	v_add_f32_e32 v105, v104, v100
	v_sub_f32_e32 v106, v102, v105
	s_delay_alu instid0(VALU_DEP_1) | instskip(SKIP_2) | instid1(VALU_DEP_3)
	v_sub_f32_e32 v102, v102, v106
	v_add_f32_e32 v17, v17, v98
	v_sub_f32_e32 v98, v105, v104
	v_sub_f32_e32 v102, v102, v105
	s_delay_alu instid0(VALU_DEP_1) | instskip(NEXT) | instid1(VALU_DEP_1)
	v_dual_sub_f32 v98, v98, v100 :: v_dual_add_f32 v17, v17, v102
	v_add_f32_e32 v17, v98, v17
	s_delay_alu instid0(VALU_DEP_1) | instskip(NEXT) | instid1(VALU_DEP_1)
	v_add_f32_e32 v98, v106, v17
	v_mul_f32_e32 v100, v97, v98
	s_delay_alu instid0(VALU_DEP_1) | instskip(NEXT) | instid1(VALU_DEP_1)
	v_dual_sub_f32 v105, v106, v98 :: v_dual_mul_f32 v102, v101, v100
	v_add_f32_e32 v17, v17, v105
	s_delay_alu instid0(VALU_DEP_2) | instskip(NEXT) | instid1(VALU_DEP_1)
	v_fma_f32 v101, v100, v101, -v102
	v_fmac_f32_e32 v101, v100, v99
	s_delay_alu instid0(VALU_DEP_1) | instskip(NEXT) | instid1(VALU_DEP_1)
	v_add_f32_e32 v99, v102, v101
	v_sub_f32_e32 v104, v98, v99
	s_delay_alu instid0(VALU_DEP_1) | instskip(NEXT) | instid1(VALU_DEP_1)
	v_sub_f32_e32 v98, v98, v104
	v_sub_f32_e32 v98, v98, v99
	s_delay_alu instid0(VALU_DEP_1) | instskip(SKIP_1) | instid1(VALU_DEP_1)
	v_dual_add_f32 v17, v17, v98 :: v_dual_add_f32 v98, v103, v100
	v_sub_f32_e32 v102, v99, v102
	v_sub_f32_e32 v99, v102, v101
	s_delay_alu instid0(VALU_DEP_1) | instskip(NEXT) | instid1(VALU_DEP_4)
	v_add_f32_e32 v17, v99, v17
	v_sub_f32_e32 v99, v98, v103
	s_delay_alu instid0(VALU_DEP_2) | instskip(NEXT) | instid1(VALU_DEP_2)
	v_add_f32_e32 v17, v104, v17
	v_sub_f32_e32 v99, v100, v99
	s_delay_alu instid0(VALU_DEP_2) | instskip(NEXT) | instid1(VALU_DEP_1)
	v_mul_f32_e32 v17, v97, v17
	v_add_f32_e32 v17, v99, v17
	s_delay_alu instid0(VALU_DEP_1) | instskip(NEXT) | instid1(VALU_DEP_1)
	v_add_f32_e32 v97, v98, v17
	v_mul_f32_e32 v99, v97, v97
	s_delay_alu instid0(VALU_DEP_1) | instskip(SKIP_1) | instid1(VALU_DEP_2)
	v_fmaak_f32 v100, s84, v99, 0x3ecc95a3
	v_mul_f32_e32 v101, v97, v99
	v_fmaak_f32 v99, v99, v100, 0x3f2aaada
	v_ldexp_f32 v100, v97, 1
	v_sub_f32_e32 v97, v97, v98
	s_delay_alu instid0(VALU_DEP_3) | instskip(SKIP_1) | instid1(VALU_DEP_2)
	v_mul_f32_e32 v99, v101, v99
	v_mul_f32_e32 v101, 0x3f317218, v96
	v_dual_sub_f32 v17, v17, v97 :: v_dual_add_f32 v98, v100, v99
	s_delay_alu instid0(VALU_DEP_1) | instskip(NEXT) | instid1(VALU_DEP_2)
	v_ldexp_f32 v17, v17, 1
	v_sub_f32_e32 v97, v98, v100
	s_delay_alu instid0(VALU_DEP_4) | instskip(NEXT) | instid1(VALU_DEP_1)
	v_fma_f32 v100, 0x3f317218, v96, -v101
	v_dual_sub_f32 v97, v99, v97 :: v_dual_fmac_f32 v100, 0xb102e308, v96
	s_delay_alu instid0(VALU_DEP_1) | instskip(NEXT) | instid1(VALU_DEP_1)
	v_add_f32_e32 v17, v17, v97
	v_dual_add_f32 v96, v101, v100 :: v_dual_add_f32 v97, v98, v17
	s_delay_alu instid0(VALU_DEP_1) | instskip(NEXT) | instid1(VALU_DEP_2)
	v_sub_f32_e32 v101, v96, v101
	v_dual_add_f32 v99, v96, v97 :: v_dual_sub_f32 v98, v97, v98
	s_delay_alu instid0(VALU_DEP_2) | instskip(NEXT) | instid1(VALU_DEP_2)
	v_sub_f32_e32 v100, v100, v101
	v_dual_sub_f32 v102, v99, v96 :: v_dual_sub_f32 v17, v17, v98
	s_delay_alu instid0(VALU_DEP_1) | instskip(NEXT) | instid1(VALU_DEP_2)
	v_sub_f32_e32 v103, v99, v102
	v_dual_sub_f32 v97, v97, v102 :: v_dual_add_f32 v98, v100, v17
	s_delay_alu instid0(VALU_DEP_2) | instskip(NEXT) | instid1(VALU_DEP_1)
	v_sub_f32_e32 v96, v96, v103
	v_add_f32_e32 v96, v97, v96
	s_delay_alu instid0(VALU_DEP_3) | instskip(NEXT) | instid1(VALU_DEP_2)
	v_sub_f32_e32 v97, v98, v100
	v_add_f32_e32 v96, v98, v96
	s_delay_alu instid0(VALU_DEP_2) | instskip(SKIP_1) | instid1(VALU_DEP_2)
	v_sub_f32_e32 v98, v98, v97
	v_sub_f32_e32 v17, v17, v97
	v_dual_add_f32 v101, v99, v96 :: v_dual_sub_f32 v98, v100, v98
	s_delay_alu instid0(VALU_DEP_1) | instskip(NEXT) | instid1(VALU_DEP_1)
	v_sub_f32_e32 v97, v101, v99
	v_dual_add_f32 v17, v17, v98 :: v_dual_sub_f32 v96, v96, v97
	s_delay_alu instid0(VALU_DEP_1) | instskip(NEXT) | instid1(VALU_DEP_1)
	v_add_f32_e32 v17, v17, v96
	v_add_f32_e32 v17, v101, v17
	s_delay_alu instid0(VALU_DEP_1)
	v_cndmask_b32_e32 v96, v17, v12, vcc_lo
.LBB28_80:                              ;   in Loop: Header=BB28_12 Depth=1
	s_or_b32 exec_lo, exec_lo, s30
	v_and_b32_e32 v12, 0xffff0000, v13
	s_delay_alu instid0(VALU_DEP_1) | instskip(NEXT) | instid1(VALU_DEP_1)
	v_add_f32_e32 v97, s67, v12
	v_cmp_ge_f32_e32 vcc_lo, 0x41a00000, v97
	s_and_b32 s29, s80, vcc_lo
	s_delay_alu instid0(SALU_CYCLE_1)
	s_and_saveexec_b32 s30, s29
	s_cbranch_execz .LBB28_82
; %bb.81:                               ;   in Loop: Header=BB28_12 Depth=1
	v_mul_f32_e32 v12, 0x3fb8aa3b, v97
	v_cmp_ngt_f32_e32 vcc_lo, 0xc2ce8ed0, v97
	s_delay_alu instid0(VALU_DEP_2) | instskip(SKIP_1) | instid1(VALU_DEP_2)
	v_rndne_f32_e32 v13, v12
	v_fma_f32 v17, 0x3fb8aa3b, v97, -v12
	v_sub_f32_e32 v12, v12, v13
	s_delay_alu instid0(VALU_DEP_2) | instskip(SKIP_1) | instid1(VALU_DEP_2)
	v_fmac_f32_e32 v17, 0x32a5705f, v97
	v_cvt_i32_f32_e32 v13, v13
	v_add_f32_e32 v12, v12, v17
	s_delay_alu instid0(VALU_DEP_1) | instskip(SKIP_2) | instid1(VALU_DEP_1)
	v_exp_f32_e32 v12, v12
	s_waitcnt_depctr 0xfff
	v_ldexp_f32 v12, v12, v13
	v_cndmask_b32_e32 v12, 0, v12, vcc_lo
	v_cmp_nlt_f32_e32 vcc_lo, 0x42b17218, v97
	s_delay_alu instid0(VALU_DEP_2) | instskip(NEXT) | instid1(VALU_DEP_1)
	v_cndmask_b32_e32 v17, 0x7f800000, v12, vcc_lo
	v_add_f32_e32 v97, 1.0, v17
	s_delay_alu instid0(VALU_DEP_1) | instskip(NEXT) | instid1(VALU_DEP_1)
	v_cvt_f64_f32_e32 v[12:13], v97
	v_frexp_exp_i32_f64_e32 v12, v[12:13]
	v_frexp_mant_f32_e32 v13, v97
	s_delay_alu instid0(VALU_DEP_1) | instskip(SKIP_1) | instid1(VALU_DEP_1)
	v_cmp_gt_f32_e32 vcc_lo, 0x3f2aaaab, v13
	v_add_f32_e32 v13, -1.0, v97
	v_sub_f32_e32 v99, v13, v97
	s_delay_alu instid0(VALU_DEP_1) | instskip(SKIP_1) | instid1(VALU_DEP_1)
	v_add_f32_e32 v99, 1.0, v99
	v_subrev_co_ci_u32_e32 v12, vcc_lo, 0, v12, vcc_lo
	v_sub_nc_u32_e32 v98, 0, v12
	v_cvt_f32_i32_e32 v12, v12
	s_delay_alu instid0(VALU_DEP_2) | instskip(NEXT) | instid1(VALU_DEP_1)
	v_ldexp_f32 v97, v97, v98
	v_add_f32_e32 v100, 1.0, v97
	v_sub_f32_e32 v13, v17, v13
	v_cmp_eq_f32_e32 vcc_lo, 0x7f800000, v17
	v_cmp_gt_f32_e64 s29, 0x33800000, v17
	s_delay_alu instid0(VALU_DEP_3) | instskip(SKIP_1) | instid1(VALU_DEP_3)
	v_add_f32_e32 v13, v13, v99
	v_add_f32_e32 v99, -1.0, v100
	s_or_b32 vcc_lo, s29, vcc_lo
	s_delay_alu instid0(VALU_DEP_2) | instskip(NEXT) | instid1(VALU_DEP_2)
	v_ldexp_f32 v13, v13, v98
	v_dual_add_f32 v98, -1.0, v97 :: v_dual_sub_f32 v99, v97, v99
	s_delay_alu instid0(VALU_DEP_1) | instskip(NEXT) | instid1(VALU_DEP_2)
	v_add_f32_e32 v101, 1.0, v98
	v_add_f32_e32 v99, v13, v99
	s_delay_alu instid0(VALU_DEP_2) | instskip(NEXT) | instid1(VALU_DEP_1)
	v_sub_f32_e32 v97, v97, v101
	v_add_f32_e32 v13, v13, v97
	s_delay_alu instid0(VALU_DEP_1) | instskip(NEXT) | instid1(VALU_DEP_1)
	v_dual_add_f32 v102, v98, v13 :: v_dual_add_f32 v101, v100, v99
	v_sub_f32_e32 v98, v98, v102
	s_delay_alu instid0(VALU_DEP_2) | instskip(NEXT) | instid1(VALU_DEP_1)
	v_rcp_f32_e32 v97, v101
	v_dual_sub_f32 v100, v100, v101 :: v_dual_add_f32 v13, v13, v98
	s_delay_alu instid0(VALU_DEP_1) | instskip(SKIP_2) | instid1(VALU_DEP_1)
	v_add_f32_e32 v99, v99, v100
	s_waitcnt_depctr 0xfff
	v_mul_f32_e32 v103, v102, v97
	v_mul_f32_e32 v104, v101, v103
	s_delay_alu instid0(VALU_DEP_1) | instskip(NEXT) | instid1(VALU_DEP_1)
	v_fma_f32 v100, v103, v101, -v104
	v_fmac_f32_e32 v100, v103, v99
	s_delay_alu instid0(VALU_DEP_1) | instskip(NEXT) | instid1(VALU_DEP_1)
	v_add_f32_e32 v105, v104, v100
	v_sub_f32_e32 v106, v102, v105
	v_sub_f32_e32 v98, v105, v104
	s_delay_alu instid0(VALU_DEP_2) | instskip(NEXT) | instid1(VALU_DEP_2)
	v_sub_f32_e32 v102, v102, v106
	v_sub_f32_e32 v98, v98, v100
	s_delay_alu instid0(VALU_DEP_2) | instskip(NEXT) | instid1(VALU_DEP_1)
	v_sub_f32_e32 v102, v102, v105
	v_add_f32_e32 v13, v13, v102
	s_delay_alu instid0(VALU_DEP_1) | instskip(NEXT) | instid1(VALU_DEP_1)
	v_add_f32_e32 v13, v98, v13
	v_add_f32_e32 v98, v106, v13
	s_delay_alu instid0(VALU_DEP_1) | instskip(NEXT) | instid1(VALU_DEP_1)
	v_mul_f32_e32 v100, v97, v98
	v_dual_sub_f32 v105, v106, v98 :: v_dual_mul_f32 v102, v101, v100
	s_delay_alu instid0(VALU_DEP_1) | instskip(NEXT) | instid1(VALU_DEP_1)
	v_fma_f32 v101, v100, v101, -v102
	v_fmac_f32_e32 v101, v100, v99
	s_delay_alu instid0(VALU_DEP_1) | instskip(NEXT) | instid1(VALU_DEP_1)
	v_add_f32_e32 v99, v102, v101
	v_dual_add_f32 v13, v13, v105 :: v_dual_sub_f32 v104, v98, v99
	s_delay_alu instid0(VALU_DEP_1) | instskip(NEXT) | instid1(VALU_DEP_1)
	v_sub_f32_e32 v98, v98, v104
	v_sub_f32_e32 v98, v98, v99
	s_delay_alu instid0(VALU_DEP_1) | instskip(SKIP_1) | instid1(VALU_DEP_1)
	v_dual_add_f32 v13, v13, v98 :: v_dual_add_f32 v98, v103, v100
	v_sub_f32_e32 v102, v99, v102
	v_sub_f32_e32 v99, v102, v101
	s_delay_alu instid0(VALU_DEP_1) | instskip(NEXT) | instid1(VALU_DEP_4)
	v_add_f32_e32 v13, v99, v13
	v_sub_f32_e32 v99, v98, v103
	s_delay_alu instid0(VALU_DEP_2) | instskip(NEXT) | instid1(VALU_DEP_2)
	v_add_f32_e32 v13, v104, v13
	v_sub_f32_e32 v99, v100, v99
	s_delay_alu instid0(VALU_DEP_2) | instskip(NEXT) | instid1(VALU_DEP_1)
	v_mul_f32_e32 v13, v97, v13
	v_add_f32_e32 v13, v99, v13
	s_delay_alu instid0(VALU_DEP_1) | instskip(NEXT) | instid1(VALU_DEP_1)
	v_add_f32_e32 v97, v98, v13
	v_mul_f32_e32 v99, v97, v97
	s_delay_alu instid0(VALU_DEP_1) | instskip(SKIP_1) | instid1(VALU_DEP_2)
	v_fmaak_f32 v100, s84, v99, 0x3ecc95a3
	v_mul_f32_e32 v101, v97, v99
	v_fmaak_f32 v99, v99, v100, 0x3f2aaada
	v_ldexp_f32 v100, v97, 1
	v_sub_f32_e32 v97, v97, v98
	s_delay_alu instid0(VALU_DEP_3) | instskip(SKIP_1) | instid1(VALU_DEP_2)
	v_mul_f32_e32 v99, v101, v99
	v_mul_f32_e32 v101, 0x3f317218, v12
	v_dual_sub_f32 v13, v13, v97 :: v_dual_add_f32 v98, v100, v99
	s_delay_alu instid0(VALU_DEP_1) | instskip(NEXT) | instid1(VALU_DEP_2)
	v_ldexp_f32 v13, v13, 1
	v_sub_f32_e32 v97, v98, v100
	s_delay_alu instid0(VALU_DEP_4) | instskip(NEXT) | instid1(VALU_DEP_1)
	v_fma_f32 v100, 0x3f317218, v12, -v101
	v_dual_sub_f32 v97, v99, v97 :: v_dual_fmac_f32 v100, 0xb102e308, v12
	s_delay_alu instid0(VALU_DEP_1) | instskip(NEXT) | instid1(VALU_DEP_2)
	v_add_f32_e32 v12, v13, v97
	v_add_f32_e32 v13, v101, v100
	s_delay_alu instid0(VALU_DEP_2) | instskip(NEXT) | instid1(VALU_DEP_2)
	v_add_f32_e32 v97, v98, v12
	v_sub_f32_e32 v101, v13, v101
	s_delay_alu instid0(VALU_DEP_2) | instskip(SKIP_1) | instid1(VALU_DEP_3)
	v_add_f32_e32 v99, v13, v97
	v_sub_f32_e32 v98, v97, v98
	v_sub_f32_e32 v100, v100, v101
	s_delay_alu instid0(VALU_DEP_3) | instskip(NEXT) | instid1(VALU_DEP_3)
	v_sub_f32_e32 v102, v99, v13
	v_sub_f32_e32 v12, v12, v98
	s_delay_alu instid0(VALU_DEP_2) | instskip(NEXT) | instid1(VALU_DEP_2)
	v_sub_f32_e32 v103, v99, v102
	v_dual_sub_f32 v97, v97, v102 :: v_dual_add_f32 v98, v100, v12
	s_delay_alu instid0(VALU_DEP_2) | instskip(NEXT) | instid1(VALU_DEP_1)
	v_sub_f32_e32 v13, v13, v103
	v_add_f32_e32 v13, v97, v13
	s_delay_alu instid0(VALU_DEP_3) | instskip(NEXT) | instid1(VALU_DEP_2)
	v_sub_f32_e32 v97, v98, v100
	v_add_f32_e32 v13, v98, v13
	s_delay_alu instid0(VALU_DEP_2) | instskip(SKIP_1) | instid1(VALU_DEP_1)
	v_sub_f32_e32 v12, v12, v97
	v_sub_f32_e32 v98, v98, v97
	v_dual_add_f32 v101, v99, v13 :: v_dual_sub_f32 v98, v100, v98
	s_delay_alu instid0(VALU_DEP_1) | instskip(NEXT) | instid1(VALU_DEP_1)
	v_dual_sub_f32 v97, v101, v99 :: v_dual_add_f32 v12, v12, v98
	v_sub_f32_e32 v13, v13, v97
	s_delay_alu instid0(VALU_DEP_1) | instskip(NEXT) | instid1(VALU_DEP_1)
	v_add_f32_e32 v12, v12, v13
	v_add_f32_e32 v12, v101, v12
	s_delay_alu instid0(VALU_DEP_1)
	v_cndmask_b32_e32 v97, v12, v17, vcc_lo
.LBB28_82:                              ;   in Loop: Header=BB28_12 Depth=1
	s_or_b32 exec_lo, exec_lo, s30
	v_lshlrev_b32_e32 v12, 16, v14
	s_delay_alu instid0(VALU_DEP_1) | instskip(NEXT) | instid1(VALU_DEP_1)
	v_add_f32_e32 v98, s67, v12
	v_cmp_ge_f32_e32 vcc_lo, 0x41a00000, v98
	s_and_b32 s29, s80, vcc_lo
	s_delay_alu instid0(SALU_CYCLE_1)
	s_and_saveexec_b32 s30, s29
	s_cbranch_execz .LBB28_84
; %bb.83:                               ;   in Loop: Header=BB28_12 Depth=1
	v_mul_f32_e32 v12, 0x3fb8aa3b, v98
	v_cmp_ngt_f32_e32 vcc_lo, 0xc2ce8ed0, v98
	s_delay_alu instid0(VALU_DEP_2) | instskip(SKIP_1) | instid1(VALU_DEP_1)
	v_rndne_f32_e32 v13, v12
	v_fma_f32 v17, 0x3fb8aa3b, v98, -v12
	v_dual_sub_f32 v12, v12, v13 :: v_dual_fmac_f32 v17, 0x32a5705f, v98
	v_cvt_i32_f32_e32 v13, v13
	s_delay_alu instid0(VALU_DEP_2) | instskip(NEXT) | instid1(VALU_DEP_1)
	v_add_f32_e32 v12, v12, v17
	v_exp_f32_e32 v12, v12
	s_waitcnt_depctr 0xfff
	v_ldexp_f32 v12, v12, v13
	s_delay_alu instid0(VALU_DEP_1) | instskip(SKIP_1) | instid1(VALU_DEP_2)
	v_cndmask_b32_e32 v12, 0, v12, vcc_lo
	v_cmp_nlt_f32_e32 vcc_lo, 0x42b17218, v98
	v_cndmask_b32_e32 v17, 0x7f800000, v12, vcc_lo
	s_delay_alu instid0(VALU_DEP_1) | instskip(NEXT) | instid1(VALU_DEP_1)
	v_add_f32_e32 v98, 1.0, v17
	v_cvt_f64_f32_e32 v[12:13], v98
	s_delay_alu instid0(VALU_DEP_1) | instskip(SKIP_1) | instid1(VALU_DEP_1)
	v_frexp_exp_i32_f64_e32 v12, v[12:13]
	v_frexp_mant_f32_e32 v13, v98
	v_cmp_gt_f32_e32 vcc_lo, 0x3f2aaaab, v13
	v_add_f32_e32 v13, -1.0, v98
	s_delay_alu instid0(VALU_DEP_1) | instskip(SKIP_2) | instid1(VALU_DEP_3)
	v_sub_f32_e32 v100, v13, v98
	v_sub_f32_e32 v13, v17, v13
	v_cmp_gt_f32_e64 s29, 0x33800000, v17
	v_add_f32_e32 v100, 1.0, v100
	s_delay_alu instid0(VALU_DEP_1) | instskip(SKIP_2) | instid1(VALU_DEP_2)
	v_add_f32_e32 v13, v13, v100
	v_subrev_co_ci_u32_e32 v12, vcc_lo, 0, v12, vcc_lo
	v_cmp_eq_f32_e32 vcc_lo, 0x7f800000, v17
	v_sub_nc_u32_e32 v99, 0, v12
	v_cvt_f32_i32_e32 v12, v12
	s_or_b32 vcc_lo, s29, vcc_lo
	s_delay_alu instid0(VALU_DEP_2) | instskip(SKIP_1) | instid1(VALU_DEP_2)
	v_ldexp_f32 v98, v98, v99
	v_ldexp_f32 v13, v13, v99
	v_add_f32_e32 v99, -1.0, v98
	s_delay_alu instid0(VALU_DEP_1) | instskip(NEXT) | instid1(VALU_DEP_1)
	v_dual_add_f32 v101, 1.0, v98 :: v_dual_add_f32 v102, 1.0, v99
	v_add_f32_e32 v100, -1.0, v101
	s_delay_alu instid0(VALU_DEP_1) | instskip(NEXT) | instid1(VALU_DEP_3)
	v_sub_f32_e32 v100, v98, v100
	v_sub_f32_e32 v98, v98, v102
	s_delay_alu instid0(VALU_DEP_2) | instskip(NEXT) | instid1(VALU_DEP_2)
	v_add_f32_e32 v100, v13, v100
	v_add_f32_e32 v13, v13, v98
	s_delay_alu instid0(VALU_DEP_1) | instskip(NEXT) | instid1(VALU_DEP_1)
	v_dual_add_f32 v103, v99, v13 :: v_dual_add_f32 v102, v101, v100
	v_sub_f32_e32 v99, v99, v103
	s_delay_alu instid0(VALU_DEP_2) | instskip(SKIP_1) | instid1(VALU_DEP_1)
	v_rcp_f32_e32 v98, v102
	v_sub_f32_e32 v101, v101, v102
	v_dual_add_f32 v13, v13, v99 :: v_dual_add_f32 v100, v100, v101
	s_waitcnt_depctr 0xfff
	v_mul_f32_e32 v104, v103, v98
	s_delay_alu instid0(VALU_DEP_1) | instskip(NEXT) | instid1(VALU_DEP_1)
	v_mul_f32_e32 v105, v102, v104
	v_fma_f32 v101, v104, v102, -v105
	s_delay_alu instid0(VALU_DEP_1) | instskip(NEXT) | instid1(VALU_DEP_1)
	v_fmac_f32_e32 v101, v104, v100
	v_add_f32_e32 v106, v105, v101
	s_delay_alu instid0(VALU_DEP_1) | instskip(SKIP_1) | instid1(VALU_DEP_2)
	v_sub_f32_e32 v107, v103, v106
	v_sub_f32_e32 v99, v106, v105
	;; [unrolled: 1-line block ×3, first 2 shown]
	s_delay_alu instid0(VALU_DEP_2) | instskip(NEXT) | instid1(VALU_DEP_2)
	v_sub_f32_e32 v99, v99, v101
	v_sub_f32_e32 v103, v103, v106
	s_delay_alu instid0(VALU_DEP_1) | instskip(NEXT) | instid1(VALU_DEP_1)
	v_add_f32_e32 v13, v13, v103
	v_add_f32_e32 v13, v99, v13
	s_delay_alu instid0(VALU_DEP_1) | instskip(NEXT) | instid1(VALU_DEP_1)
	v_add_f32_e32 v99, v107, v13
	v_mul_f32_e32 v101, v98, v99
	s_delay_alu instid0(VALU_DEP_1) | instskip(NEXT) | instid1(VALU_DEP_1)
	v_dual_sub_f32 v106, v107, v99 :: v_dual_mul_f32 v103, v102, v101
	v_add_f32_e32 v13, v13, v106
	s_delay_alu instid0(VALU_DEP_2) | instskip(NEXT) | instid1(VALU_DEP_1)
	v_fma_f32 v102, v101, v102, -v103
	v_fmac_f32_e32 v102, v101, v100
	s_delay_alu instid0(VALU_DEP_1) | instskip(NEXT) | instid1(VALU_DEP_1)
	v_add_f32_e32 v100, v103, v102
	v_sub_f32_e32 v105, v99, v100
	s_delay_alu instid0(VALU_DEP_1) | instskip(NEXT) | instid1(VALU_DEP_1)
	v_sub_f32_e32 v99, v99, v105
	v_sub_f32_e32 v99, v99, v100
	s_delay_alu instid0(VALU_DEP_1) | instskip(SKIP_2) | instid1(VALU_DEP_1)
	v_add_f32_e32 v13, v13, v99
	v_add_f32_e32 v99, v104, v101
	v_sub_f32_e32 v103, v100, v103
	v_sub_f32_e32 v100, v103, v102
	s_delay_alu instid0(VALU_DEP_1) | instskip(NEXT) | instid1(VALU_DEP_1)
	v_dual_add_f32 v13, v100, v13 :: v_dual_sub_f32 v100, v99, v104
	v_add_f32_e32 v13, v105, v13
	s_delay_alu instid0(VALU_DEP_1) | instskip(NEXT) | instid1(VALU_DEP_1)
	v_dual_sub_f32 v100, v101, v100 :: v_dual_mul_f32 v13, v98, v13
	v_add_f32_e32 v13, v100, v13
	s_delay_alu instid0(VALU_DEP_1) | instskip(NEXT) | instid1(VALU_DEP_1)
	v_add_f32_e32 v98, v99, v13
	v_mul_f32_e32 v100, v98, v98
	s_delay_alu instid0(VALU_DEP_1) | instskip(SKIP_1) | instid1(VALU_DEP_2)
	v_fmaak_f32 v101, s84, v100, 0x3ecc95a3
	v_mul_f32_e32 v102, v98, v100
	v_fmaak_f32 v100, v100, v101, 0x3f2aaada
	v_ldexp_f32 v101, v98, 1
	v_sub_f32_e32 v98, v98, v99
	s_delay_alu instid0(VALU_DEP_3) | instskip(NEXT) | instid1(VALU_DEP_2)
	v_mul_f32_e32 v100, v102, v100
	v_dual_mul_f32 v102, 0x3f317218, v12 :: v_dual_sub_f32 v13, v13, v98
	s_delay_alu instid0(VALU_DEP_2) | instskip(NEXT) | instid1(VALU_DEP_2)
	v_add_f32_e32 v99, v101, v100
	v_ldexp_f32 v13, v13, 1
	s_delay_alu instid0(VALU_DEP_2) | instskip(NEXT) | instid1(VALU_DEP_4)
	v_sub_f32_e32 v98, v99, v101
	v_fma_f32 v101, 0x3f317218, v12, -v102
	s_delay_alu instid0(VALU_DEP_1) | instskip(NEXT) | instid1(VALU_DEP_1)
	v_dual_sub_f32 v98, v100, v98 :: v_dual_fmac_f32 v101, 0xb102e308, v12
	v_add_f32_e32 v12, v13, v98
	s_delay_alu instid0(VALU_DEP_1) | instskip(NEXT) | instid1(VALU_DEP_1)
	v_add_f32_e32 v98, v99, v12
	v_sub_f32_e32 v99, v98, v99
	s_delay_alu instid0(VALU_DEP_1) | instskip(NEXT) | instid1(VALU_DEP_1)
	v_dual_sub_f32 v12, v12, v99 :: v_dual_add_f32 v13, v102, v101
	v_add_f32_e32 v100, v13, v98
	s_delay_alu instid0(VALU_DEP_1) | instskip(NEXT) | instid1(VALU_DEP_1)
	v_dual_sub_f32 v102, v13, v102 :: v_dual_sub_f32 v103, v100, v13
	v_dual_sub_f32 v101, v101, v102 :: v_dual_sub_f32 v104, v100, v103
	s_delay_alu instid0(VALU_DEP_1) | instskip(NEXT) | instid1(VALU_DEP_2)
	v_dual_sub_f32 v98, v98, v103 :: v_dual_add_f32 v99, v101, v12
	v_sub_f32_e32 v13, v13, v104
	s_delay_alu instid0(VALU_DEP_1) | instskip(NEXT) | instid1(VALU_DEP_3)
	v_add_f32_e32 v13, v98, v13
	v_sub_f32_e32 v98, v99, v101
	s_delay_alu instid0(VALU_DEP_2) | instskip(NEXT) | instid1(VALU_DEP_2)
	v_add_f32_e32 v13, v99, v13
	v_sub_f32_e32 v99, v99, v98
	v_sub_f32_e32 v12, v12, v98
	s_delay_alu instid0(VALU_DEP_2) | instskip(NEXT) | instid1(VALU_DEP_1)
	v_dual_add_f32 v102, v100, v13 :: v_dual_sub_f32 v99, v101, v99
	v_sub_f32_e32 v98, v102, v100
	s_delay_alu instid0(VALU_DEP_1) | instskip(NEXT) | instid1(VALU_DEP_1)
	v_dual_add_f32 v12, v12, v99 :: v_dual_sub_f32 v13, v13, v98
	v_add_f32_e32 v12, v12, v13
	s_delay_alu instid0(VALU_DEP_1) | instskip(NEXT) | instid1(VALU_DEP_1)
	v_add_f32_e32 v12, v102, v12
	v_cndmask_b32_e32 v98, v12, v17, vcc_lo
.LBB28_84:                              ;   in Loop: Header=BB28_12 Depth=1
	s_or_b32 exec_lo, exec_lo, s30
	v_and_b32_e32 v12, 0xffff0000, v14
	s_delay_alu instid0(VALU_DEP_1) | instskip(NEXT) | instid1(VALU_DEP_1)
	v_add_f32_e32 v99, s67, v12
	v_cmp_ge_f32_e32 vcc_lo, 0x41a00000, v99
	s_and_b32 s29, s80, vcc_lo
	s_delay_alu instid0(SALU_CYCLE_1)
	s_and_saveexec_b32 s30, s29
	s_cbranch_execz .LBB28_86
; %bb.85:                               ;   in Loop: Header=BB28_12 Depth=1
	v_mul_f32_e32 v12, 0x3fb8aa3b, v99
	v_cmp_ngt_f32_e32 vcc_lo, 0xc2ce8ed0, v99
	s_delay_alu instid0(VALU_DEP_2) | instskip(SKIP_1) | instid1(VALU_DEP_2)
	v_rndne_f32_e32 v13, v12
	v_fma_f32 v14, 0x3fb8aa3b, v99, -v12
	v_sub_f32_e32 v12, v12, v13
	s_delay_alu instid0(VALU_DEP_2) | instskip(SKIP_1) | instid1(VALU_DEP_2)
	v_fmac_f32_e32 v14, 0x32a5705f, v99
	v_cvt_i32_f32_e32 v13, v13
	v_add_f32_e32 v12, v12, v14
	s_delay_alu instid0(VALU_DEP_1) | instskip(SKIP_2) | instid1(VALU_DEP_1)
	v_exp_f32_e32 v12, v12
	s_waitcnt_depctr 0xfff
	v_ldexp_f32 v12, v12, v13
	v_cndmask_b32_e32 v12, 0, v12, vcc_lo
	v_cmp_nlt_f32_e32 vcc_lo, 0x42b17218, v99
	s_delay_alu instid0(VALU_DEP_2) | instskip(NEXT) | instid1(VALU_DEP_1)
	v_cndmask_b32_e32 v14, 0x7f800000, v12, vcc_lo
	v_add_f32_e32 v17, 1.0, v14
	s_delay_alu instid0(VALU_DEP_1) | instskip(NEXT) | instid1(VALU_DEP_1)
	v_cvt_f64_f32_e32 v[12:13], v17
	v_frexp_exp_i32_f64_e32 v12, v[12:13]
	v_frexp_mant_f32_e32 v13, v17
	s_delay_alu instid0(VALU_DEP_1) | instskip(SKIP_1) | instid1(VALU_DEP_1)
	v_cmp_gt_f32_e32 vcc_lo, 0x3f2aaaab, v13
	v_add_f32_e32 v13, -1.0, v17
	v_sub_f32_e32 v100, v13, v17
	v_sub_f32_e32 v13, v14, v13
	v_subrev_co_ci_u32_e32 v12, vcc_lo, 0, v12, vcc_lo
	s_delay_alu instid0(VALU_DEP_1) | instskip(SKIP_1) | instid1(VALU_DEP_2)
	v_sub_nc_u32_e32 v99, 0, v12
	v_cvt_f32_i32_e32 v12, v12
	v_ldexp_f32 v17, v17, v99
	s_delay_alu instid0(VALU_DEP_1) | instskip(NEXT) | instid1(VALU_DEP_1)
	v_dual_add_f32 v100, 1.0, v100 :: v_dual_add_f32 v101, 1.0, v17
	v_dual_add_f32 v13, v13, v100 :: v_dual_add_f32 v100, -1.0, v101
	s_delay_alu instid0(VALU_DEP_1) | instskip(SKIP_4) | instid1(VALU_DEP_4)
	v_ldexp_f32 v13, v13, v99
	v_add_f32_e32 v99, -1.0, v17
	v_cmp_eq_f32_e32 vcc_lo, 0x7f800000, v14
	v_cmp_gt_f32_e64 s29, 0x33800000, v14
	v_sub_f32_e32 v100, v17, v100
	v_add_f32_e32 v102, 1.0, v99
	s_delay_alu instid0(VALU_DEP_3) | instskip(NEXT) | instid1(VALU_DEP_2)
	s_or_b32 vcc_lo, s29, vcc_lo
	v_add_f32_e32 v100, v13, v100
	s_delay_alu instid0(VALU_DEP_2) | instskip(NEXT) | instid1(VALU_DEP_1)
	v_sub_f32_e32 v17, v17, v102
	v_add_f32_e32 v13, v13, v17
	s_delay_alu instid0(VALU_DEP_1) | instskip(NEXT) | instid1(VALU_DEP_1)
	v_dual_add_f32 v103, v99, v13 :: v_dual_add_f32 v102, v101, v100
	v_sub_f32_e32 v99, v99, v103
	s_delay_alu instid0(VALU_DEP_2) | instskip(SKIP_1) | instid1(VALU_DEP_1)
	v_rcp_f32_e32 v17, v102
	v_sub_f32_e32 v101, v101, v102
	v_dual_add_f32 v13, v13, v99 :: v_dual_add_f32 v100, v100, v101
	s_waitcnt_depctr 0xfff
	v_mul_f32_e32 v104, v103, v17
	s_delay_alu instid0(VALU_DEP_1) | instskip(NEXT) | instid1(VALU_DEP_1)
	v_mul_f32_e32 v105, v102, v104
	v_fma_f32 v101, v104, v102, -v105
	s_delay_alu instid0(VALU_DEP_1) | instskip(NEXT) | instid1(VALU_DEP_1)
	v_fmac_f32_e32 v101, v104, v100
	v_add_f32_e32 v106, v105, v101
	s_delay_alu instid0(VALU_DEP_1) | instskip(NEXT) | instid1(VALU_DEP_1)
	v_sub_f32_e32 v107, v103, v106
	v_sub_f32_e32 v103, v103, v107
	;; [unrolled: 1-line block ×3, first 2 shown]
	s_delay_alu instid0(VALU_DEP_2) | instskip(NEXT) | instid1(VALU_DEP_2)
	v_sub_f32_e32 v103, v103, v106
	v_sub_f32_e32 v99, v99, v101
	s_delay_alu instid0(VALU_DEP_2) | instskip(NEXT) | instid1(VALU_DEP_1)
	v_add_f32_e32 v13, v13, v103
	v_add_f32_e32 v13, v99, v13
	s_delay_alu instid0(VALU_DEP_1) | instskip(NEXT) | instid1(VALU_DEP_1)
	v_add_f32_e32 v99, v107, v13
	v_mul_f32_e32 v101, v17, v99
	s_delay_alu instid0(VALU_DEP_1) | instskip(NEXT) | instid1(VALU_DEP_1)
	v_dual_sub_f32 v106, v107, v99 :: v_dual_mul_f32 v103, v102, v101
	v_add_f32_e32 v13, v13, v106
	s_delay_alu instid0(VALU_DEP_2) | instskip(NEXT) | instid1(VALU_DEP_1)
	v_fma_f32 v102, v101, v102, -v103
	v_fmac_f32_e32 v102, v101, v100
	s_delay_alu instid0(VALU_DEP_1) | instskip(NEXT) | instid1(VALU_DEP_1)
	v_add_f32_e32 v100, v103, v102
	v_sub_f32_e32 v105, v99, v100
	v_sub_f32_e32 v103, v100, v103
	s_delay_alu instid0(VALU_DEP_2) | instskip(NEXT) | instid1(VALU_DEP_1)
	v_sub_f32_e32 v99, v99, v105
	v_sub_f32_e32 v99, v99, v100
	s_delay_alu instid0(VALU_DEP_1) | instskip(SKIP_1) | instid1(VALU_DEP_1)
	v_dual_sub_f32 v100, v103, v102 :: v_dual_add_f32 v13, v13, v99
	v_add_f32_e32 v99, v104, v101
	v_dual_add_f32 v13, v100, v13 :: v_dual_sub_f32 v100, v99, v104
	s_delay_alu instid0(VALU_DEP_1) | instskip(NEXT) | instid1(VALU_DEP_2)
	v_add_f32_e32 v13, v105, v13
	v_sub_f32_e32 v100, v101, v100
	s_delay_alu instid0(VALU_DEP_2) | instskip(NEXT) | instid1(VALU_DEP_1)
	v_mul_f32_e32 v13, v17, v13
	v_add_f32_e32 v13, v100, v13
	s_delay_alu instid0(VALU_DEP_1) | instskip(NEXT) | instid1(VALU_DEP_1)
	v_add_f32_e32 v17, v99, v13
	v_mul_f32_e32 v100, v17, v17
	s_delay_alu instid0(VALU_DEP_1) | instskip(SKIP_1) | instid1(VALU_DEP_2)
	v_fmaak_f32 v101, s84, v100, 0x3ecc95a3
	v_mul_f32_e32 v102, v17, v100
	v_fmaak_f32 v100, v100, v101, 0x3f2aaada
	v_ldexp_f32 v101, v17, 1
	s_delay_alu instid0(VALU_DEP_2) | instskip(NEXT) | instid1(VALU_DEP_1)
	v_dual_sub_f32 v17, v17, v99 :: v_dual_mul_f32 v100, v102, v100
	v_dual_mul_f32 v102, 0x3f317218, v12 :: v_dual_sub_f32 v13, v13, v17
	s_delay_alu instid0(VALU_DEP_2) | instskip(NEXT) | instid1(VALU_DEP_2)
	v_add_f32_e32 v99, v101, v100
	v_ldexp_f32 v13, v13, 1
	s_delay_alu instid0(VALU_DEP_2) | instskip(NEXT) | instid1(VALU_DEP_4)
	v_sub_f32_e32 v17, v99, v101
	v_fma_f32 v101, 0x3f317218, v12, -v102
	s_delay_alu instid0(VALU_DEP_2) | instskip(NEXT) | instid1(VALU_DEP_1)
	v_sub_f32_e32 v17, v100, v17
	v_dual_fmac_f32 v101, 0xb102e308, v12 :: v_dual_add_f32 v12, v13, v17
	s_delay_alu instid0(VALU_DEP_1) | instskip(NEXT) | instid1(VALU_DEP_1)
	v_add_f32_e32 v13, v102, v101
	v_dual_add_f32 v17, v99, v12 :: v_dual_sub_f32 v102, v13, v102
	s_delay_alu instid0(VALU_DEP_1) | instskip(SKIP_1) | instid1(VALU_DEP_3)
	v_add_f32_e32 v100, v13, v17
	v_sub_f32_e32 v99, v17, v99
	v_sub_f32_e32 v101, v101, v102
	s_delay_alu instid0(VALU_DEP_3) | instskip(NEXT) | instid1(VALU_DEP_3)
	v_sub_f32_e32 v103, v100, v13
	v_sub_f32_e32 v12, v12, v99
	s_delay_alu instid0(VALU_DEP_2) | instskip(SKIP_1) | instid1(VALU_DEP_3)
	v_sub_f32_e32 v104, v100, v103
	v_sub_f32_e32 v17, v17, v103
	v_add_f32_e32 v99, v101, v12
	s_delay_alu instid0(VALU_DEP_3) | instskip(NEXT) | instid1(VALU_DEP_1)
	v_sub_f32_e32 v13, v13, v104
	v_add_f32_e32 v13, v17, v13
	s_delay_alu instid0(VALU_DEP_3) | instskip(NEXT) | instid1(VALU_DEP_2)
	v_sub_f32_e32 v17, v99, v101
	v_add_f32_e32 v13, v99, v13
	s_delay_alu instid0(VALU_DEP_2) | instskip(SKIP_1) | instid1(VALU_DEP_2)
	v_sub_f32_e32 v99, v99, v17
	v_sub_f32_e32 v12, v12, v17
	v_dual_add_f32 v102, v100, v13 :: v_dual_sub_f32 v99, v101, v99
	s_delay_alu instid0(VALU_DEP_1) | instskip(NEXT) | instid1(VALU_DEP_1)
	v_dual_sub_f32 v17, v102, v100 :: v_dual_add_f32 v12, v12, v99
	v_sub_f32_e32 v13, v13, v17
	s_delay_alu instid0(VALU_DEP_1) | instskip(NEXT) | instid1(VALU_DEP_1)
	v_add_f32_e32 v12, v12, v13
	v_add_f32_e32 v12, v102, v12
	s_delay_alu instid0(VALU_DEP_1)
	v_cndmask_b32_e32 v99, v12, v14, vcc_lo
.LBB28_86:                              ;   in Loop: Header=BB28_12 Depth=1
	s_or_b32 exec_lo, exec_lo, s30
	v_lshlrev_b32_e32 v12, 16, v15
	s_delay_alu instid0(VALU_DEP_1) | instskip(NEXT) | instid1(VALU_DEP_1)
	v_add_f32_e32 v100, s67, v12
	v_cmp_ge_f32_e32 vcc_lo, 0x41a00000, v100
	s_and_b32 s29, s80, vcc_lo
	s_delay_alu instid0(SALU_CYCLE_1)
	s_and_saveexec_b32 s30, s29
	s_cbranch_execz .LBB28_88
; %bb.87:                               ;   in Loop: Header=BB28_12 Depth=1
	v_mul_f32_e32 v12, 0x3fb8aa3b, v100
	v_cmp_ngt_f32_e32 vcc_lo, 0xc2ce8ed0, v100
	s_delay_alu instid0(VALU_DEP_2) | instskip(SKIP_1) | instid1(VALU_DEP_2)
	v_rndne_f32_e32 v13, v12
	v_fma_f32 v14, 0x3fb8aa3b, v100, -v12
	v_sub_f32_e32 v12, v12, v13
	s_delay_alu instid0(VALU_DEP_2) | instskip(SKIP_1) | instid1(VALU_DEP_2)
	v_fmac_f32_e32 v14, 0x32a5705f, v100
	v_cvt_i32_f32_e32 v13, v13
	v_add_f32_e32 v12, v12, v14
	s_delay_alu instid0(VALU_DEP_1) | instskip(SKIP_2) | instid1(VALU_DEP_1)
	v_exp_f32_e32 v12, v12
	s_waitcnt_depctr 0xfff
	v_ldexp_f32 v12, v12, v13
	v_cndmask_b32_e32 v12, 0, v12, vcc_lo
	v_cmp_nlt_f32_e32 vcc_lo, 0x42b17218, v100
	s_delay_alu instid0(VALU_DEP_2) | instskip(NEXT) | instid1(VALU_DEP_1)
	v_cndmask_b32_e32 v14, 0x7f800000, v12, vcc_lo
	v_add_f32_e32 v17, 1.0, v14
	s_delay_alu instid0(VALU_DEP_1) | instskip(NEXT) | instid1(VALU_DEP_1)
	v_cvt_f64_f32_e32 v[12:13], v17
	v_frexp_exp_i32_f64_e32 v12, v[12:13]
	v_frexp_mant_f32_e32 v13, v17
	s_delay_alu instid0(VALU_DEP_1) | instskip(SKIP_1) | instid1(VALU_DEP_1)
	v_cmp_gt_f32_e32 vcc_lo, 0x3f2aaaab, v13
	v_add_f32_e32 v13, -1.0, v17
	v_sub_f32_e32 v101, v13, v17
	s_delay_alu instid0(VALU_DEP_1) | instskip(SKIP_2) | instid1(VALU_DEP_2)
	v_add_f32_e32 v101, 1.0, v101
	v_sub_f32_e32 v13, v14, v13
	v_cmp_gt_f32_e64 s29, 0x33800000, v14
	v_add_f32_e32 v13, v13, v101
	v_subrev_co_ci_u32_e32 v12, vcc_lo, 0, v12, vcc_lo
	v_cmp_eq_f32_e32 vcc_lo, 0x7f800000, v14
	s_delay_alu instid0(VALU_DEP_2) | instskip(SKIP_2) | instid1(VALU_DEP_2)
	v_sub_nc_u32_e32 v100, 0, v12
	v_cvt_f32_i32_e32 v12, v12
	s_or_b32 vcc_lo, s29, vcc_lo
	v_ldexp_f32 v17, v17, v100
	v_ldexp_f32 v13, v13, v100
	s_delay_alu instid0(VALU_DEP_2) | instskip(NEXT) | instid1(VALU_DEP_1)
	v_add_f32_e32 v100, -1.0, v17
	v_dual_add_f32 v102, 1.0, v17 :: v_dual_add_f32 v103, 1.0, v100
	s_delay_alu instid0(VALU_DEP_1) | instskip(NEXT) | instid1(VALU_DEP_1)
	v_add_f32_e32 v101, -1.0, v102
	v_sub_f32_e32 v101, v17, v101
	s_delay_alu instid0(VALU_DEP_3) | instskip(NEXT) | instid1(VALU_DEP_2)
	v_sub_f32_e32 v17, v17, v103
	v_add_f32_e32 v101, v13, v101
	s_delay_alu instid0(VALU_DEP_2) | instskip(NEXT) | instid1(VALU_DEP_1)
	v_add_f32_e32 v13, v13, v17
	v_add_f32_e32 v104, v100, v13
	s_delay_alu instid0(VALU_DEP_1) | instskip(NEXT) | instid1(VALU_DEP_1)
	v_dual_sub_f32 v100, v100, v104 :: v_dual_add_f32 v103, v102, v101
	v_add_f32_e32 v13, v13, v100
	s_delay_alu instid0(VALU_DEP_2) | instskip(SKIP_1) | instid1(VALU_DEP_1)
	v_rcp_f32_e32 v17, v103
	v_sub_f32_e32 v102, v102, v103
	v_add_f32_e32 v101, v101, v102
	s_waitcnt_depctr 0xfff
	v_mul_f32_e32 v105, v104, v17
	s_delay_alu instid0(VALU_DEP_1) | instskip(NEXT) | instid1(VALU_DEP_1)
	v_mul_f32_e32 v106, v103, v105
	v_fma_f32 v102, v105, v103, -v106
	s_delay_alu instid0(VALU_DEP_1) | instskip(NEXT) | instid1(VALU_DEP_1)
	v_fmac_f32_e32 v102, v105, v101
	v_add_f32_e32 v107, v106, v102
	s_delay_alu instid0(VALU_DEP_1) | instskip(SKIP_1) | instid1(VALU_DEP_2)
	v_sub_f32_e32 v108, v104, v107
	v_sub_f32_e32 v100, v107, v106
	;; [unrolled: 1-line block ×3, first 2 shown]
	s_delay_alu instid0(VALU_DEP_1) | instskip(NEXT) | instid1(VALU_DEP_1)
	v_sub_f32_e32 v104, v104, v107
	v_dual_sub_f32 v100, v100, v102 :: v_dual_add_f32 v13, v13, v104
	s_delay_alu instid0(VALU_DEP_1) | instskip(NEXT) | instid1(VALU_DEP_1)
	v_add_f32_e32 v13, v100, v13
	v_add_f32_e32 v100, v108, v13
	s_delay_alu instid0(VALU_DEP_1) | instskip(NEXT) | instid1(VALU_DEP_1)
	v_mul_f32_e32 v102, v17, v100
	v_dual_sub_f32 v107, v108, v100 :: v_dual_mul_f32 v104, v103, v102
	s_delay_alu instid0(VALU_DEP_1) | instskip(NEXT) | instid1(VALU_DEP_2)
	v_add_f32_e32 v13, v13, v107
	v_fma_f32 v103, v102, v103, -v104
	s_delay_alu instid0(VALU_DEP_1) | instskip(NEXT) | instid1(VALU_DEP_1)
	v_fmac_f32_e32 v103, v102, v101
	v_add_f32_e32 v101, v104, v103
	s_delay_alu instid0(VALU_DEP_1) | instskip(NEXT) | instid1(VALU_DEP_1)
	v_sub_f32_e32 v106, v100, v101
	v_sub_f32_e32 v100, v100, v106
	s_delay_alu instid0(VALU_DEP_1) | instskip(NEXT) | instid1(VALU_DEP_1)
	v_sub_f32_e32 v100, v100, v101
	v_add_f32_e32 v13, v13, v100
	v_add_f32_e32 v100, v105, v102
	v_sub_f32_e32 v104, v101, v104
	s_delay_alu instid0(VALU_DEP_1) | instskip(NEXT) | instid1(VALU_DEP_1)
	v_sub_f32_e32 v101, v104, v103
	v_add_f32_e32 v13, v101, v13
	s_delay_alu instid0(VALU_DEP_4) | instskip(NEXT) | instid1(VALU_DEP_2)
	v_sub_f32_e32 v101, v100, v105
	v_add_f32_e32 v13, v106, v13
	s_delay_alu instid0(VALU_DEP_2) | instskip(NEXT) | instid1(VALU_DEP_2)
	v_sub_f32_e32 v101, v102, v101
	v_mul_f32_e32 v13, v17, v13
	s_delay_alu instid0(VALU_DEP_1) | instskip(NEXT) | instid1(VALU_DEP_1)
	v_add_f32_e32 v13, v101, v13
	v_add_f32_e32 v17, v100, v13
	s_delay_alu instid0(VALU_DEP_1) | instskip(NEXT) | instid1(VALU_DEP_1)
	v_mul_f32_e32 v101, v17, v17
	v_fmaak_f32 v102, s84, v101, 0x3ecc95a3
	v_mul_f32_e32 v103, v17, v101
	s_delay_alu instid0(VALU_DEP_2) | instskip(SKIP_1) | instid1(VALU_DEP_2)
	v_fmaak_f32 v101, v101, v102, 0x3f2aaada
	v_ldexp_f32 v102, v17, 1
	v_mul_f32_e32 v101, v103, v101
	s_delay_alu instid0(VALU_DEP_1) | instskip(NEXT) | instid1(VALU_DEP_1)
	v_dual_sub_f32 v17, v17, v100 :: v_dual_add_f32 v100, v102, v101
	v_sub_f32_e32 v13, v13, v17
	s_delay_alu instid0(VALU_DEP_2) | instskip(NEXT) | instid1(VALU_DEP_2)
	v_sub_f32_e32 v17, v100, v102
	v_ldexp_f32 v13, v13, 1
	s_delay_alu instid0(VALU_DEP_2) | instskip(SKIP_1) | instid1(VALU_DEP_1)
	v_sub_f32_e32 v17, v101, v17
	v_mul_f32_e32 v103, 0x3f317218, v12
	v_fma_f32 v102, 0x3f317218, v12, -v103
	s_delay_alu instid0(VALU_DEP_1) | instskip(NEXT) | instid1(VALU_DEP_1)
	v_fmac_f32_e32 v102, 0xb102e308, v12
	v_dual_add_f32 v12, v13, v17 :: v_dual_add_f32 v13, v103, v102
	s_delay_alu instid0(VALU_DEP_1) | instskip(NEXT) | instid1(VALU_DEP_1)
	v_add_f32_e32 v17, v100, v12
	v_add_f32_e32 v101, v13, v17
	v_sub_f32_e32 v100, v17, v100
	s_delay_alu instid0(VALU_DEP_2) | instskip(NEXT) | instid1(VALU_DEP_2)
	v_sub_f32_e32 v104, v101, v13
	v_dual_sub_f32 v12, v12, v100 :: v_dual_sub_f32 v103, v13, v103
	s_delay_alu instid0(VALU_DEP_2) | instskip(NEXT) | instid1(VALU_DEP_2)
	v_sub_f32_e32 v105, v101, v104
	v_dual_sub_f32 v17, v17, v104 :: v_dual_sub_f32 v102, v102, v103
	s_delay_alu instid0(VALU_DEP_1) | instskip(NEXT) | instid1(VALU_DEP_1)
	v_dual_sub_f32 v13, v13, v105 :: v_dual_add_f32 v100, v102, v12
	v_add_f32_e32 v13, v17, v13
	s_delay_alu instid0(VALU_DEP_2) | instskip(NEXT) | instid1(VALU_DEP_2)
	v_sub_f32_e32 v17, v100, v102
	v_add_f32_e32 v13, v100, v13
	s_delay_alu instid0(VALU_DEP_2) | instskip(SKIP_1) | instid1(VALU_DEP_2)
	v_sub_f32_e32 v100, v100, v17
	v_sub_f32_e32 v12, v12, v17
	v_dual_add_f32 v103, v101, v13 :: v_dual_sub_f32 v100, v102, v100
	s_delay_alu instid0(VALU_DEP_1) | instskip(NEXT) | instid1(VALU_DEP_1)
	v_dual_sub_f32 v17, v103, v101 :: v_dual_add_f32 v12, v12, v100
	v_sub_f32_e32 v13, v13, v17
	s_delay_alu instid0(VALU_DEP_1) | instskip(NEXT) | instid1(VALU_DEP_1)
	v_add_f32_e32 v12, v12, v13
	v_add_f32_e32 v12, v103, v12
	s_delay_alu instid0(VALU_DEP_1)
	v_cndmask_b32_e32 v100, v12, v14, vcc_lo
.LBB28_88:                              ;   in Loop: Header=BB28_12 Depth=1
	s_or_b32 exec_lo, exec_lo, s30
	v_and_b32_e32 v12, 0xffff0000, v15
	s_delay_alu instid0(VALU_DEP_1) | instskip(NEXT) | instid1(VALU_DEP_1)
	v_add_f32_e32 v105, s67, v12
	v_cmp_ge_f32_e32 vcc_lo, 0x41a00000, v105
	s_and_b32 s29, s80, vcc_lo
	s_delay_alu instid0(SALU_CYCLE_1)
	s_and_saveexec_b32 s30, s29
	s_cbranch_execz .LBB28_90
; %bb.89:                               ;   in Loop: Header=BB28_12 Depth=1
	v_mul_f32_e32 v12, 0x3fb8aa3b, v105
	v_cmp_ngt_f32_e32 vcc_lo, 0xc2ce8ed0, v105
	s_delay_alu instid0(VALU_DEP_2) | instskip(SKIP_1) | instid1(VALU_DEP_2)
	v_rndne_f32_e32 v13, v12
	v_fma_f32 v14, 0x3fb8aa3b, v105, -v12
	v_sub_f32_e32 v12, v12, v13
	s_delay_alu instid0(VALU_DEP_2) | instskip(SKIP_1) | instid1(VALU_DEP_2)
	v_fmac_f32_e32 v14, 0x32a5705f, v105
	v_cvt_i32_f32_e32 v13, v13
	v_add_f32_e32 v12, v12, v14
	s_delay_alu instid0(VALU_DEP_1) | instskip(SKIP_2) | instid1(VALU_DEP_1)
	v_exp_f32_e32 v12, v12
	s_waitcnt_depctr 0xfff
	v_ldexp_f32 v12, v12, v13
	v_cndmask_b32_e32 v12, 0, v12, vcc_lo
	v_cmp_nlt_f32_e32 vcc_lo, 0x42b17218, v105
	s_delay_alu instid0(VALU_DEP_2) | instskip(NEXT) | instid1(VALU_DEP_1)
	v_cndmask_b32_e32 v14, 0x7f800000, v12, vcc_lo
	v_add_f32_e32 v15, 1.0, v14
	s_delay_alu instid0(VALU_DEP_1) | instskip(NEXT) | instid1(VALU_DEP_1)
	v_cvt_f64_f32_e32 v[12:13], v15
	v_frexp_exp_i32_f64_e32 v12, v[12:13]
	v_frexp_mant_f32_e32 v13, v15
	s_delay_alu instid0(VALU_DEP_1) | instskip(SKIP_1) | instid1(VALU_DEP_1)
	v_cmp_gt_f32_e32 vcc_lo, 0x3f2aaaab, v13
	v_add_f32_e32 v13, -1.0, v15
	v_sub_f32_e32 v101, v13, v15
	v_sub_f32_e32 v13, v14, v13
	s_delay_alu instid0(VALU_DEP_2) | instskip(NEXT) | instid1(VALU_DEP_1)
	v_add_f32_e32 v101, 1.0, v101
	v_add_f32_e32 v13, v13, v101
	v_cmp_gt_f32_e64 s29, 0x33800000, v14
	v_subrev_co_ci_u32_e32 v12, vcc_lo, 0, v12, vcc_lo
	v_cmp_eq_f32_e32 vcc_lo, 0x7f800000, v14
	s_delay_alu instid0(VALU_DEP_2) | instskip(SKIP_2) | instid1(VALU_DEP_2)
	v_sub_nc_u32_e32 v17, 0, v12
	v_cvt_f32_i32_e32 v12, v12
	s_or_b32 vcc_lo, s29, vcc_lo
	v_ldexp_f32 v15, v15, v17
	v_ldexp_f32 v13, v13, v17
	s_delay_alu instid0(VALU_DEP_2) | instskip(SKIP_1) | instid1(VALU_DEP_2)
	v_add_f32_e32 v102, 1.0, v15
	v_add_f32_e32 v17, -1.0, v15
	v_add_f32_e32 v101, -1.0, v102
	s_delay_alu instid0(VALU_DEP_2) | instskip(NEXT) | instid1(VALU_DEP_2)
	v_add_f32_e32 v103, 1.0, v17
	v_sub_f32_e32 v101, v15, v101
	s_delay_alu instid0(VALU_DEP_2) | instskip(NEXT) | instid1(VALU_DEP_2)
	v_sub_f32_e32 v15, v15, v103
	v_add_f32_e32 v101, v13, v101
	s_delay_alu instid0(VALU_DEP_2) | instskip(NEXT) | instid1(VALU_DEP_1)
	v_add_f32_e32 v13, v13, v15
	v_add_f32_e32 v104, v17, v13
	s_delay_alu instid0(VALU_DEP_3) | instskip(NEXT) | instid1(VALU_DEP_1)
	v_add_f32_e32 v103, v102, v101
	v_rcp_f32_e32 v15, v103
	v_sub_f32_e32 v102, v102, v103
	s_delay_alu instid0(VALU_DEP_1) | instskip(SKIP_2) | instid1(VALU_DEP_1)
	v_add_f32_e32 v101, v101, v102
	s_waitcnt_depctr 0xfff
	v_mul_f32_e32 v105, v104, v15
	v_dual_mul_f32 v106, v103, v105 :: v_dual_sub_f32 v17, v17, v104
	s_delay_alu instid0(VALU_DEP_1) | instskip(NEXT) | instid1(VALU_DEP_2)
	v_fma_f32 v102, v105, v103, -v106
	v_add_f32_e32 v13, v13, v17
	s_delay_alu instid0(VALU_DEP_2) | instskip(NEXT) | instid1(VALU_DEP_1)
	v_fmac_f32_e32 v102, v105, v101
	v_add_f32_e32 v107, v106, v102
	s_delay_alu instid0(VALU_DEP_1) | instskip(NEXT) | instid1(VALU_DEP_1)
	v_dual_sub_f32 v108, v104, v107 :: v_dual_sub_f32 v17, v107, v106
	v_dual_sub_f32 v104, v104, v108 :: v_dual_sub_f32 v17, v17, v102
	s_delay_alu instid0(VALU_DEP_1) | instskip(NEXT) | instid1(VALU_DEP_1)
	v_sub_f32_e32 v104, v104, v107
	v_add_f32_e32 v13, v13, v104
	s_delay_alu instid0(VALU_DEP_1) | instskip(NEXT) | instid1(VALU_DEP_1)
	v_add_f32_e32 v13, v17, v13
	v_add_f32_e32 v17, v108, v13
	s_delay_alu instid0(VALU_DEP_1) | instskip(NEXT) | instid1(VALU_DEP_1)
	v_mul_f32_e32 v102, v15, v17
	v_dual_sub_f32 v107, v108, v17 :: v_dual_mul_f32 v104, v103, v102
	s_delay_alu instid0(VALU_DEP_1) | instskip(NEXT) | instid1(VALU_DEP_2)
	v_add_f32_e32 v13, v13, v107
	v_fma_f32 v103, v102, v103, -v104
	s_delay_alu instid0(VALU_DEP_1) | instskip(NEXT) | instid1(VALU_DEP_1)
	v_fmac_f32_e32 v103, v102, v101
	v_add_f32_e32 v101, v104, v103
	s_delay_alu instid0(VALU_DEP_1) | instskip(SKIP_1) | instid1(VALU_DEP_2)
	v_sub_f32_e32 v106, v17, v101
	v_sub_f32_e32 v104, v101, v104
	;; [unrolled: 1-line block ×3, first 2 shown]
	s_delay_alu instid0(VALU_DEP_1) | instskip(NEXT) | instid1(VALU_DEP_3)
	v_sub_f32_e32 v17, v17, v101
	v_sub_f32_e32 v101, v104, v103
	s_delay_alu instid0(VALU_DEP_2) | instskip(SKIP_1) | instid1(VALU_DEP_2)
	v_add_f32_e32 v13, v13, v17
	v_add_f32_e32 v17, v105, v102
	;; [unrolled: 1-line block ×3, first 2 shown]
	s_delay_alu instid0(VALU_DEP_2) | instskip(NEXT) | instid1(VALU_DEP_2)
	v_sub_f32_e32 v101, v17, v105
	v_add_f32_e32 v13, v106, v13
	s_delay_alu instid0(VALU_DEP_2) | instskip(NEXT) | instid1(VALU_DEP_2)
	v_sub_f32_e32 v101, v102, v101
	v_mul_f32_e32 v13, v15, v13
	s_delay_alu instid0(VALU_DEP_1) | instskip(NEXT) | instid1(VALU_DEP_1)
	v_add_f32_e32 v13, v101, v13
	v_add_f32_e32 v15, v17, v13
	s_delay_alu instid0(VALU_DEP_1) | instskip(NEXT) | instid1(VALU_DEP_1)
	v_mul_f32_e32 v101, v15, v15
	v_fmaak_f32 v102, s84, v101, 0x3ecc95a3
	v_mul_f32_e32 v103, v15, v101
	s_delay_alu instid0(VALU_DEP_2) | instskip(SKIP_2) | instid1(VALU_DEP_3)
	v_fmaak_f32 v101, v101, v102, 0x3f2aaada
	v_ldexp_f32 v102, v15, 1
	v_sub_f32_e32 v15, v15, v17
	v_mul_f32_e32 v101, v103, v101
	v_mul_f32_e32 v103, 0x3f317218, v12
	s_delay_alu instid0(VALU_DEP_3) | instskip(NEXT) | instid1(VALU_DEP_3)
	v_sub_f32_e32 v13, v13, v15
	v_add_f32_e32 v17, v102, v101
	s_delay_alu instid0(VALU_DEP_2) | instskip(NEXT) | instid1(VALU_DEP_2)
	v_ldexp_f32 v13, v13, 1
	v_sub_f32_e32 v15, v17, v102
	v_fma_f32 v102, 0x3f317218, v12, -v103
	s_delay_alu instid0(VALU_DEP_1) | instskip(NEXT) | instid1(VALU_DEP_1)
	v_dual_sub_f32 v15, v101, v15 :: v_dual_fmac_f32 v102, 0xb102e308, v12
	v_dual_add_f32 v12, v13, v15 :: v_dual_add_f32 v13, v103, v102
	s_delay_alu instid0(VALU_DEP_1) | instskip(NEXT) | instid1(VALU_DEP_1)
	v_add_f32_e32 v15, v17, v12
	v_add_f32_e32 v101, v13, v15
	v_sub_f32_e32 v17, v15, v17
	s_delay_alu instid0(VALU_DEP_2) | instskip(NEXT) | instid1(VALU_DEP_2)
	v_sub_f32_e32 v104, v101, v13
	v_dual_sub_f32 v103, v13, v103 :: v_dual_sub_f32 v12, v12, v17
	s_delay_alu instid0(VALU_DEP_1) | instskip(SKIP_1) | instid1(VALU_DEP_2)
	v_dual_sub_f32 v105, v101, v104 :: v_dual_sub_f32 v102, v102, v103
	v_sub_f32_e32 v15, v15, v104
	v_sub_f32_e32 v13, v13, v105
	s_delay_alu instid0(VALU_DEP_3) | instskip(NEXT) | instid1(VALU_DEP_2)
	v_add_f32_e32 v17, v102, v12
	v_add_f32_e32 v13, v15, v13
	s_delay_alu instid0(VALU_DEP_2) | instskip(NEXT) | instid1(VALU_DEP_2)
	v_sub_f32_e32 v15, v17, v102
	v_add_f32_e32 v13, v17, v13
	s_delay_alu instid0(VALU_DEP_2) | instskip(NEXT) | instid1(VALU_DEP_2)
	v_sub_f32_e32 v17, v17, v15
	v_dual_sub_f32 v12, v12, v15 :: v_dual_add_f32 v103, v101, v13
	s_delay_alu instid0(VALU_DEP_2) | instskip(NEXT) | instid1(VALU_DEP_2)
	v_sub_f32_e32 v17, v102, v17
	v_sub_f32_e32 v15, v103, v101
	s_delay_alu instid0(VALU_DEP_1) | instskip(NEXT) | instid1(VALU_DEP_1)
	v_dual_add_f32 v12, v12, v17 :: v_dual_sub_f32 v13, v13, v15
	v_add_f32_e32 v12, v12, v13
	s_delay_alu instid0(VALU_DEP_1) | instskip(NEXT) | instid1(VALU_DEP_1)
	v_add_f32_e32 v12, v103, v12
	v_cndmask_b32_e32 v105, v12, v14, vcc_lo
.LBB28_90:                              ;   in Loop: Header=BB28_12 Depth=1
	s_or_b32 exec_lo, exec_lo, s30
	s_waitcnt lgkmcnt(0)
	v_lshlrev_b32_e32 v12, 16, v8
	s_delay_alu instid0(VALU_DEP_1) | instskip(NEXT) | instid1(VALU_DEP_1)
	v_add_f32_e32 v108, s67, v12
	v_cmp_ge_f32_e32 vcc_lo, 0x41a00000, v108
	s_and_b32 s29, s80, vcc_lo
	s_delay_alu instid0(SALU_CYCLE_1)
	s_and_saveexec_b32 s30, s29
	s_cbranch_execz .LBB28_92
; %bb.91:                               ;   in Loop: Header=BB28_12 Depth=1
	v_mul_f32_e32 v12, 0x3fb8aa3b, v108
	v_cmp_ngt_f32_e32 vcc_lo, 0xc2ce8ed0, v108
	s_delay_alu instid0(VALU_DEP_2) | instskip(SKIP_1) | instid1(VALU_DEP_2)
	v_rndne_f32_e32 v13, v12
	v_fma_f32 v14, 0x3fb8aa3b, v108, -v12
	v_sub_f32_e32 v12, v12, v13
	s_delay_alu instid0(VALU_DEP_2) | instskip(SKIP_1) | instid1(VALU_DEP_2)
	v_fmac_f32_e32 v14, 0x32a5705f, v108
	v_cvt_i32_f32_e32 v13, v13
	v_add_f32_e32 v12, v12, v14
	s_delay_alu instid0(VALU_DEP_1) | instskip(SKIP_2) | instid1(VALU_DEP_1)
	v_exp_f32_e32 v12, v12
	s_waitcnt_depctr 0xfff
	v_ldexp_f32 v12, v12, v13
	v_cndmask_b32_e32 v12, 0, v12, vcc_lo
	v_cmp_nlt_f32_e32 vcc_lo, 0x42b17218, v108
	s_delay_alu instid0(VALU_DEP_2) | instskip(NEXT) | instid1(VALU_DEP_1)
	v_cndmask_b32_e32 v14, 0x7f800000, v12, vcc_lo
	v_add_f32_e32 v15, 1.0, v14
	s_delay_alu instid0(VALU_DEP_1) | instskip(NEXT) | instid1(VALU_DEP_1)
	v_cvt_f64_f32_e32 v[12:13], v15
	v_frexp_exp_i32_f64_e32 v12, v[12:13]
	v_frexp_mant_f32_e32 v13, v15
	s_delay_alu instid0(VALU_DEP_1) | instskip(SKIP_1) | instid1(VALU_DEP_1)
	v_cmp_gt_f32_e32 vcc_lo, 0x3f2aaaab, v13
	v_add_f32_e32 v13, -1.0, v15
	v_sub_f32_e32 v101, v13, v15
	v_sub_f32_e32 v13, v14, v13
	s_delay_alu instid0(VALU_DEP_2) | instskip(NEXT) | instid1(VALU_DEP_1)
	v_add_f32_e32 v101, 1.0, v101
	v_add_f32_e32 v13, v13, v101
	v_cmp_gt_f32_e64 s29, 0x33800000, v14
	v_subrev_co_ci_u32_e32 v12, vcc_lo, 0, v12, vcc_lo
	v_cmp_eq_f32_e32 vcc_lo, 0x7f800000, v14
	s_delay_alu instid0(VALU_DEP_2) | instskip(SKIP_2) | instid1(VALU_DEP_2)
	v_sub_nc_u32_e32 v17, 0, v12
	v_cvt_f32_i32_e32 v12, v12
	s_or_b32 vcc_lo, s29, vcc_lo
	v_ldexp_f32 v15, v15, v17
	v_ldexp_f32 v13, v13, v17
	s_delay_alu instid0(VALU_DEP_2) | instskip(SKIP_1) | instid1(VALU_DEP_2)
	v_add_f32_e32 v102, 1.0, v15
	v_add_f32_e32 v17, -1.0, v15
	v_add_f32_e32 v101, -1.0, v102
	s_delay_alu instid0(VALU_DEP_2) | instskip(NEXT) | instid1(VALU_DEP_2)
	v_add_f32_e32 v103, 1.0, v17
	v_sub_f32_e32 v101, v15, v101
	s_delay_alu instid0(VALU_DEP_2) | instskip(NEXT) | instid1(VALU_DEP_2)
	v_sub_f32_e32 v15, v15, v103
	v_add_f32_e32 v101, v13, v101
	s_delay_alu instid0(VALU_DEP_2) | instskip(NEXT) | instid1(VALU_DEP_2)
	v_add_f32_e32 v13, v13, v15
	v_add_f32_e32 v103, v102, v101
	s_delay_alu instid0(VALU_DEP_2) | instskip(NEXT) | instid1(VALU_DEP_2)
	v_add_f32_e32 v104, v17, v13
	v_rcp_f32_e32 v15, v103
	v_sub_f32_e32 v102, v102, v103
	s_waitcnt_depctr 0xfff
	v_dual_add_f32 v101, v101, v102 :: v_dual_mul_f32 v106, v104, v15
	s_delay_alu instid0(VALU_DEP_1) | instskip(NEXT) | instid1(VALU_DEP_1)
	v_mul_f32_e32 v107, v103, v106
	v_fma_f32 v102, v106, v103, -v107
	s_delay_alu instid0(VALU_DEP_1) | instskip(NEXT) | instid1(VALU_DEP_1)
	v_dual_fmac_f32 v102, v106, v101 :: v_dual_sub_f32 v17, v17, v104
	v_add_f32_e32 v108, v107, v102
	s_delay_alu instid0(VALU_DEP_1) | instskip(NEXT) | instid1(VALU_DEP_1)
	v_sub_f32_e32 v109, v104, v108
	v_sub_f32_e32 v104, v104, v109
	s_delay_alu instid0(VALU_DEP_1) | instskip(SKIP_1) | instid1(VALU_DEP_2)
	v_dual_sub_f32 v104, v104, v108 :: v_dual_add_f32 v13, v13, v17
	v_sub_f32_e32 v17, v108, v107
	v_add_f32_e32 v13, v13, v104
	s_delay_alu instid0(VALU_DEP_2) | instskip(NEXT) | instid1(VALU_DEP_1)
	v_sub_f32_e32 v17, v17, v102
	v_add_f32_e32 v13, v17, v13
	s_delay_alu instid0(VALU_DEP_1) | instskip(NEXT) | instid1(VALU_DEP_1)
	v_add_f32_e32 v17, v109, v13
	v_mul_f32_e32 v102, v15, v17
	s_delay_alu instid0(VALU_DEP_1) | instskip(SKIP_1) | instid1(VALU_DEP_2)
	v_mul_f32_e32 v104, v103, v102
	v_sub_f32_e32 v108, v109, v17
	v_fma_f32 v103, v102, v103, -v104
	s_delay_alu instid0(VALU_DEP_2) | instskip(NEXT) | instid1(VALU_DEP_2)
	v_add_f32_e32 v13, v13, v108
	v_fmac_f32_e32 v103, v102, v101
	s_delay_alu instid0(VALU_DEP_1) | instskip(NEXT) | instid1(VALU_DEP_1)
	v_add_f32_e32 v101, v104, v103
	v_sub_f32_e32 v107, v17, v101
	v_sub_f32_e32 v104, v101, v104
	s_delay_alu instid0(VALU_DEP_2) | instskip(NEXT) | instid1(VALU_DEP_1)
	v_sub_f32_e32 v17, v17, v107
	v_sub_f32_e32 v17, v17, v101
	s_delay_alu instid0(VALU_DEP_3) | instskip(NEXT) | instid1(VALU_DEP_2)
	v_sub_f32_e32 v101, v104, v103
	v_add_f32_e32 v13, v13, v17
	v_add_f32_e32 v17, v106, v102
	s_delay_alu instid0(VALU_DEP_2) | instskip(NEXT) | instid1(VALU_DEP_2)
	v_add_f32_e32 v13, v101, v13
	v_sub_f32_e32 v101, v17, v106
	s_delay_alu instid0(VALU_DEP_2) | instskip(NEXT) | instid1(VALU_DEP_2)
	v_add_f32_e32 v13, v107, v13
	v_sub_f32_e32 v101, v102, v101
	s_delay_alu instid0(VALU_DEP_2) | instskip(NEXT) | instid1(VALU_DEP_1)
	v_mul_f32_e32 v13, v15, v13
	v_add_f32_e32 v13, v101, v13
	s_delay_alu instid0(VALU_DEP_1) | instskip(NEXT) | instid1(VALU_DEP_1)
	v_add_f32_e32 v15, v17, v13
	v_mul_f32_e32 v101, v15, v15
	s_delay_alu instid0(VALU_DEP_1) | instskip(SKIP_1) | instid1(VALU_DEP_2)
	v_fmaak_f32 v102, s84, v101, 0x3ecc95a3
	v_mul_f32_e32 v103, v15, v101
	v_fmaak_f32 v101, v101, v102, 0x3f2aaada
	v_ldexp_f32 v102, v15, 1
	v_sub_f32_e32 v15, v15, v17
	s_delay_alu instid0(VALU_DEP_3) | instskip(SKIP_1) | instid1(VALU_DEP_3)
	v_mul_f32_e32 v101, v103, v101
	v_mul_f32_e32 v103, 0x3f317218, v12
	v_sub_f32_e32 v13, v13, v15
	s_delay_alu instid0(VALU_DEP_3) | instskip(NEXT) | instid1(VALU_DEP_2)
	v_add_f32_e32 v17, v102, v101
	v_ldexp_f32 v13, v13, 1
	s_delay_alu instid0(VALU_DEP_2) | instskip(SKIP_1) | instid1(VALU_DEP_1)
	v_sub_f32_e32 v15, v17, v102
	v_fma_f32 v102, 0x3f317218, v12, -v103
	v_dual_sub_f32 v15, v101, v15 :: v_dual_fmac_f32 v102, 0xb102e308, v12
	s_delay_alu instid0(VALU_DEP_1) | instskip(NEXT) | instid1(VALU_DEP_1)
	v_dual_add_f32 v12, v13, v15 :: v_dual_add_f32 v13, v103, v102
	v_add_f32_e32 v15, v17, v12
	s_delay_alu instid0(VALU_DEP_2) | instskip(NEXT) | instid1(VALU_DEP_2)
	v_sub_f32_e32 v103, v13, v103
	v_add_f32_e32 v101, v13, v15
	s_delay_alu instid0(VALU_DEP_2) | instskip(NEXT) | instid1(VALU_DEP_2)
	v_dual_sub_f32 v17, v15, v17 :: v_dual_sub_f32 v102, v102, v103
	v_sub_f32_e32 v104, v101, v13
	s_delay_alu instid0(VALU_DEP_2) | instskip(NEXT) | instid1(VALU_DEP_2)
	v_sub_f32_e32 v12, v12, v17
	v_sub_f32_e32 v106, v101, v104
	;; [unrolled: 1-line block ×3, first 2 shown]
	s_delay_alu instid0(VALU_DEP_3) | instskip(NEXT) | instid1(VALU_DEP_3)
	v_add_f32_e32 v17, v102, v12
	v_sub_f32_e32 v13, v13, v106
	s_delay_alu instid0(VALU_DEP_1) | instskip(NEXT) | instid1(VALU_DEP_3)
	v_add_f32_e32 v13, v15, v13
	v_sub_f32_e32 v15, v17, v102
	s_delay_alu instid0(VALU_DEP_2) | instskip(NEXT) | instid1(VALU_DEP_2)
	v_add_f32_e32 v13, v17, v13
	v_sub_f32_e32 v17, v17, v15
	s_delay_alu instid0(VALU_DEP_2) | instskip(NEXT) | instid1(VALU_DEP_2)
	v_dual_sub_f32 v12, v12, v15 :: v_dual_add_f32 v103, v101, v13
	v_sub_f32_e32 v17, v102, v17
	s_delay_alu instid0(VALU_DEP_2) | instskip(NEXT) | instid1(VALU_DEP_1)
	v_sub_f32_e32 v15, v103, v101
	v_dual_add_f32 v12, v12, v17 :: v_dual_sub_f32 v13, v13, v15
	s_delay_alu instid0(VALU_DEP_1) | instskip(NEXT) | instid1(VALU_DEP_1)
	v_add_f32_e32 v12, v12, v13
	v_add_f32_e32 v12, v103, v12
	s_delay_alu instid0(VALU_DEP_1)
	v_cndmask_b32_e32 v108, v12, v14, vcc_lo
.LBB28_92:                              ;   in Loop: Header=BB28_12 Depth=1
	s_or_b32 exec_lo, exec_lo, s30
	v_and_b32_e32 v8, 0xffff0000, v8
	s_delay_alu instid0(VALU_DEP_1) | instskip(NEXT) | instid1(VALU_DEP_1)
	v_add_f32_e32 v113, s67, v8
	v_cmp_ge_f32_e32 vcc_lo, 0x41a00000, v113
	s_and_b32 s29, s80, vcc_lo
	s_delay_alu instid0(SALU_CYCLE_1)
	s_and_saveexec_b32 s30, s29
	s_cbranch_execz .LBB28_94
; %bb.93:                               ;   in Loop: Header=BB28_12 Depth=1
	v_mul_f32_e32 v8, 0x3fb8aa3b, v113
	v_cmp_ngt_f32_e32 vcc_lo, 0xc2ce8ed0, v113
	s_delay_alu instid0(VALU_DEP_2) | instskip(SKIP_1) | instid1(VALU_DEP_1)
	v_rndne_f32_e32 v12, v8
	v_fma_f32 v13, 0x3fb8aa3b, v113, -v8
	v_dual_sub_f32 v8, v8, v12 :: v_dual_fmac_f32 v13, 0x32a5705f, v113
	v_cvt_i32_f32_e32 v12, v12
	s_delay_alu instid0(VALU_DEP_2) | instskip(NEXT) | instid1(VALU_DEP_1)
	v_add_f32_e32 v8, v8, v13
	v_exp_f32_e32 v8, v8
	s_waitcnt_depctr 0xfff
	v_ldexp_f32 v8, v8, v12
	s_delay_alu instid0(VALU_DEP_1) | instskip(SKIP_1) | instid1(VALU_DEP_2)
	v_cndmask_b32_e32 v8, 0, v8, vcc_lo
	v_cmp_nlt_f32_e32 vcc_lo, 0x42b17218, v113
	v_cndmask_b32_e32 v8, 0x7f800000, v8, vcc_lo
	s_delay_alu instid0(VALU_DEP_1) | instskip(NEXT) | instid1(VALU_DEP_1)
	v_add_f32_e32 v14, 1.0, v8
	v_cvt_f64_f32_e32 v[12:13], v14
	s_delay_alu instid0(VALU_DEP_1) | instskip(SKIP_1) | instid1(VALU_DEP_1)
	v_frexp_exp_i32_f64_e32 v12, v[12:13]
	v_frexp_mant_f32_e32 v13, v14
	v_cmp_gt_f32_e32 vcc_lo, 0x3f2aaaab, v13
	v_add_f32_e32 v13, -1.0, v14
	s_delay_alu instid0(VALU_DEP_1) | instskip(NEXT) | instid1(VALU_DEP_1)
	v_sub_f32_e32 v17, v13, v14
	v_add_f32_e32 v17, 1.0, v17
	v_subrev_co_ci_u32_e32 v12, vcc_lo, 0, v12, vcc_lo
	s_delay_alu instid0(VALU_DEP_1) | instskip(SKIP_1) | instid1(VALU_DEP_2)
	v_sub_nc_u32_e32 v15, 0, v12
	v_cvt_f32_i32_e32 v12, v12
	v_ldexp_f32 v14, v14, v15
	s_delay_alu instid0(VALU_DEP_1) | instskip(SKIP_3) | instid1(VALU_DEP_3)
	v_add_f32_e32 v101, 1.0, v14
	v_sub_f32_e32 v13, v8, v13
	v_cmp_eq_f32_e32 vcc_lo, 0x7f800000, v8
	v_cmp_gt_f32_e64 s29, 0x33800000, v8
	v_add_f32_e32 v13, v13, v17
	s_delay_alu instid0(VALU_DEP_2) | instskip(NEXT) | instid1(VALU_DEP_1)
	s_or_b32 vcc_lo, s29, vcc_lo
	v_ldexp_f32 v13, v13, v15
	v_add_f32_e32 v15, -1.0, v14
	s_delay_alu instid0(VALU_DEP_1) | instskip(NEXT) | instid1(VALU_DEP_1)
	v_dual_add_f32 v102, 1.0, v15 :: v_dual_add_f32 v17, -1.0, v101
	v_sub_f32_e32 v17, v14, v17
	s_delay_alu instid0(VALU_DEP_1) | instskip(NEXT) | instid1(VALU_DEP_1)
	v_dual_sub_f32 v14, v14, v102 :: v_dual_add_f32 v17, v13, v17
	v_add_f32_e32 v13, v13, v14
	s_delay_alu instid0(VALU_DEP_2) | instskip(NEXT) | instid1(VALU_DEP_2)
	v_add_f32_e32 v102, v101, v17
	v_add_f32_e32 v103, v15, v13
	s_delay_alu instid0(VALU_DEP_2) | instskip(SKIP_1) | instid1(VALU_DEP_2)
	v_rcp_f32_e32 v14, v102
	v_sub_f32_e32 v101, v101, v102
	v_sub_f32_e32 v15, v15, v103
	s_waitcnt_depctr 0xfff
	v_dual_add_f32 v13, v13, v15 :: v_dual_mul_f32 v104, v103, v14
	s_delay_alu instid0(VALU_DEP_1) | instskip(NEXT) | instid1(VALU_DEP_1)
	v_dual_mul_f32 v106, v102, v104 :: v_dual_add_f32 v17, v17, v101
	v_fma_f32 v101, v104, v102, -v106
	s_delay_alu instid0(VALU_DEP_1) | instskip(NEXT) | instid1(VALU_DEP_1)
	v_fmac_f32_e32 v101, v104, v17
	v_add_f32_e32 v107, v106, v101
	s_delay_alu instid0(VALU_DEP_1) | instskip(SKIP_1) | instid1(VALU_DEP_2)
	v_sub_f32_e32 v109, v103, v107
	v_sub_f32_e32 v15, v107, v106
	v_sub_f32_e32 v103, v103, v109
	s_delay_alu instid0(VALU_DEP_2) | instskip(NEXT) | instid1(VALU_DEP_2)
	v_sub_f32_e32 v15, v15, v101
	v_sub_f32_e32 v103, v103, v107
	s_delay_alu instid0(VALU_DEP_1) | instskip(NEXT) | instid1(VALU_DEP_1)
	v_add_f32_e32 v13, v13, v103
	v_add_f32_e32 v13, v15, v13
	s_delay_alu instid0(VALU_DEP_1) | instskip(NEXT) | instid1(VALU_DEP_1)
	v_add_f32_e32 v15, v109, v13
	v_mul_f32_e32 v101, v14, v15
	s_delay_alu instid0(VALU_DEP_1) | instskip(NEXT) | instid1(VALU_DEP_1)
	v_mul_f32_e32 v103, v102, v101
	v_fma_f32 v102, v101, v102, -v103
	s_delay_alu instid0(VALU_DEP_1) | instskip(SKIP_1) | instid1(VALU_DEP_2)
	v_fmac_f32_e32 v102, v101, v17
	v_sub_f32_e32 v107, v109, v15
	v_add_f32_e32 v17, v103, v102
	s_delay_alu instid0(VALU_DEP_1) | instskip(SKIP_1) | instid1(VALU_DEP_2)
	v_dual_add_f32 v13, v13, v107 :: v_dual_sub_f32 v106, v15, v17
	v_sub_f32_e32 v103, v17, v103
	v_sub_f32_e32 v15, v15, v106
	s_delay_alu instid0(VALU_DEP_1) | instskip(NEXT) | instid1(VALU_DEP_3)
	v_sub_f32_e32 v15, v15, v17
	v_sub_f32_e32 v17, v103, v102
	s_delay_alu instid0(VALU_DEP_2) | instskip(SKIP_1) | instid1(VALU_DEP_2)
	v_add_f32_e32 v13, v13, v15
	v_add_f32_e32 v15, v104, v101
	;; [unrolled: 1-line block ×3, first 2 shown]
	s_delay_alu instid0(VALU_DEP_2) | instskip(NEXT) | instid1(VALU_DEP_2)
	v_sub_f32_e32 v17, v15, v104
	v_add_f32_e32 v13, v106, v13
	s_delay_alu instid0(VALU_DEP_2) | instskip(NEXT) | instid1(VALU_DEP_2)
	v_sub_f32_e32 v17, v101, v17
	v_mul_f32_e32 v13, v14, v13
	s_delay_alu instid0(VALU_DEP_1) | instskip(NEXT) | instid1(VALU_DEP_1)
	v_add_f32_e32 v13, v17, v13
	v_add_f32_e32 v14, v15, v13
	s_delay_alu instid0(VALU_DEP_1) | instskip(NEXT) | instid1(VALU_DEP_1)
	v_mul_f32_e32 v17, v14, v14
	v_fmaak_f32 v101, s84, v17, 0x3ecc95a3
	v_mul_f32_e32 v102, v14, v17
	s_delay_alu instid0(VALU_DEP_2) | instskip(SKIP_2) | instid1(VALU_DEP_3)
	v_fmaak_f32 v17, v17, v101, 0x3f2aaada
	v_ldexp_f32 v101, v14, 1
	v_sub_f32_e32 v14, v14, v15
	v_dual_mul_f32 v17, v102, v17 :: v_dual_mul_f32 v102, 0x3f317218, v12
	s_delay_alu instid0(VALU_DEP_2) | instskip(NEXT) | instid1(VALU_DEP_2)
	v_sub_f32_e32 v13, v13, v14
	v_add_f32_e32 v15, v101, v17
	s_delay_alu instid0(VALU_DEP_2) | instskip(NEXT) | instid1(VALU_DEP_2)
	v_ldexp_f32 v13, v13, 1
	v_sub_f32_e32 v14, v15, v101
	v_fma_f32 v101, 0x3f317218, v12, -v102
	s_delay_alu instid0(VALU_DEP_1) | instskip(NEXT) | instid1(VALU_DEP_1)
	v_dual_sub_f32 v14, v17, v14 :: v_dual_fmac_f32 v101, 0xb102e308, v12
	v_dual_add_f32 v12, v13, v14 :: v_dual_add_f32 v13, v102, v101
	s_delay_alu instid0(VALU_DEP_1) | instskip(NEXT) | instid1(VALU_DEP_2)
	v_add_f32_e32 v14, v15, v12
	v_sub_f32_e32 v102, v13, v102
	s_delay_alu instid0(VALU_DEP_2) | instskip(SKIP_1) | instid1(VALU_DEP_3)
	v_add_f32_e32 v17, v13, v14
	v_sub_f32_e32 v15, v14, v15
	v_sub_f32_e32 v101, v101, v102
	s_delay_alu instid0(VALU_DEP_2) | instskip(NEXT) | instid1(VALU_DEP_1)
	v_dual_sub_f32 v103, v17, v13 :: v_dual_sub_f32 v12, v12, v15
	v_sub_f32_e32 v104, v17, v103
	s_delay_alu instid0(VALU_DEP_2) | instskip(NEXT) | instid1(VALU_DEP_2)
	v_dual_sub_f32 v14, v14, v103 :: v_dual_add_f32 v15, v101, v12
	v_sub_f32_e32 v13, v13, v104
	s_delay_alu instid0(VALU_DEP_1) | instskip(NEXT) | instid1(VALU_DEP_3)
	v_add_f32_e32 v13, v14, v13
	v_sub_f32_e32 v14, v15, v101
	s_delay_alu instid0(VALU_DEP_2) | instskip(NEXT) | instid1(VALU_DEP_2)
	v_add_f32_e32 v13, v15, v13
	v_sub_f32_e32 v15, v15, v14
	v_sub_f32_e32 v12, v12, v14
	s_delay_alu instid0(VALU_DEP_3) | instskip(NEXT) | instid1(VALU_DEP_1)
	v_add_f32_e32 v102, v17, v13
	v_dual_sub_f32 v15, v101, v15 :: v_dual_sub_f32 v14, v102, v17
	s_delay_alu instid0(VALU_DEP_1) | instskip(NEXT) | instid1(VALU_DEP_1)
	v_dual_add_f32 v12, v12, v15 :: v_dual_sub_f32 v13, v13, v14
	v_add_f32_e32 v12, v12, v13
	s_delay_alu instid0(VALU_DEP_1) | instskip(NEXT) | instid1(VALU_DEP_1)
	v_add_f32_e32 v12, v102, v12
	v_cndmask_b32_e32 v113, v12, v8, vcc_lo
.LBB28_94:                              ;   in Loop: Header=BB28_12 Depth=1
	s_or_b32 exec_lo, exec_lo, s30
	v_lshlrev_b32_e32 v8, 16, v9
	s_delay_alu instid0(VALU_DEP_1) | instskip(NEXT) | instid1(VALU_DEP_1)
	v_add_f32_e32 v116, s67, v8
	v_cmp_ge_f32_e32 vcc_lo, 0x41a00000, v116
	s_and_b32 s29, s80, vcc_lo
	s_delay_alu instid0(SALU_CYCLE_1)
	s_and_saveexec_b32 s30, s29
	s_cbranch_execz .LBB28_96
; %bb.95:                               ;   in Loop: Header=BB28_12 Depth=1
	v_mul_f32_e32 v8, 0x3fb8aa3b, v116
	v_cmp_ngt_f32_e32 vcc_lo, 0xc2ce8ed0, v116
	s_delay_alu instid0(VALU_DEP_2) | instskip(SKIP_1) | instid1(VALU_DEP_2)
	v_rndne_f32_e32 v12, v8
	v_fma_f32 v13, 0x3fb8aa3b, v116, -v8
	v_sub_f32_e32 v8, v8, v12
	s_delay_alu instid0(VALU_DEP_2) | instskip(SKIP_1) | instid1(VALU_DEP_2)
	v_fmac_f32_e32 v13, 0x32a5705f, v116
	v_cvt_i32_f32_e32 v12, v12
	v_add_f32_e32 v8, v8, v13
	s_delay_alu instid0(VALU_DEP_1) | instskip(SKIP_2) | instid1(VALU_DEP_1)
	v_exp_f32_e32 v8, v8
	s_waitcnt_depctr 0xfff
	v_ldexp_f32 v8, v8, v12
	v_cndmask_b32_e32 v8, 0, v8, vcc_lo
	v_cmp_nlt_f32_e32 vcc_lo, 0x42b17218, v116
	s_delay_alu instid0(VALU_DEP_2) | instskip(NEXT) | instid1(VALU_DEP_1)
	v_cndmask_b32_e32 v8, 0x7f800000, v8, vcc_lo
	v_add_f32_e32 v14, 1.0, v8
	s_delay_alu instid0(VALU_DEP_1) | instskip(NEXT) | instid1(VALU_DEP_1)
	v_cvt_f64_f32_e32 v[12:13], v14
	v_frexp_exp_i32_f64_e32 v12, v[12:13]
	v_frexp_mant_f32_e32 v13, v14
	s_delay_alu instid0(VALU_DEP_1) | instskip(SKIP_1) | instid1(VALU_DEP_1)
	v_cmp_gt_f32_e32 vcc_lo, 0x3f2aaaab, v13
	v_add_f32_e32 v13, -1.0, v14
	v_sub_f32_e32 v17, v13, v14
	v_sub_f32_e32 v13, v8, v13
	s_delay_alu instid0(VALU_DEP_2) | instskip(NEXT) | instid1(VALU_DEP_1)
	v_add_f32_e32 v17, 1.0, v17
	v_add_f32_e32 v13, v13, v17
	v_cmp_gt_f32_e64 s29, 0x33800000, v8
	v_subrev_co_ci_u32_e32 v12, vcc_lo, 0, v12, vcc_lo
	v_cmp_eq_f32_e32 vcc_lo, 0x7f800000, v8
	s_delay_alu instid0(VALU_DEP_2) | instskip(SKIP_2) | instid1(VALU_DEP_2)
	v_sub_nc_u32_e32 v15, 0, v12
	v_cvt_f32_i32_e32 v12, v12
	s_or_b32 vcc_lo, s29, vcc_lo
	v_ldexp_f32 v14, v14, v15
	v_ldexp_f32 v13, v13, v15
	s_delay_alu instid0(VALU_DEP_2) | instskip(SKIP_1) | instid1(VALU_DEP_1)
	v_add_f32_e32 v101, 1.0, v14
	v_add_f32_e32 v15, -1.0, v14
	v_dual_add_f32 v102, 1.0, v15 :: v_dual_add_f32 v17, -1.0, v101
	s_delay_alu instid0(VALU_DEP_1) | instskip(NEXT) | instid1(VALU_DEP_1)
	v_sub_f32_e32 v17, v14, v17
	v_dual_sub_f32 v14, v14, v102 :: v_dual_add_f32 v17, v13, v17
	s_delay_alu instid0(VALU_DEP_1) | instskip(NEXT) | instid1(VALU_DEP_2)
	v_add_f32_e32 v13, v13, v14
	v_add_f32_e32 v102, v101, v17
	s_delay_alu instid0(VALU_DEP_2) | instskip(NEXT) | instid1(VALU_DEP_2)
	v_add_f32_e32 v103, v15, v13
	v_rcp_f32_e32 v14, v102
	v_sub_f32_e32 v101, v101, v102
	s_delay_alu instid0(VALU_DEP_2) | instskip(SKIP_2) | instid1(VALU_DEP_1)
	v_sub_f32_e32 v15, v15, v103
	s_waitcnt_depctr 0xfff
	v_dual_add_f32 v13, v13, v15 :: v_dual_mul_f32 v104, v103, v14
	v_dual_mul_f32 v106, v102, v104 :: v_dual_add_f32 v17, v17, v101
	s_delay_alu instid0(VALU_DEP_1) | instskip(NEXT) | instid1(VALU_DEP_1)
	v_fma_f32 v101, v104, v102, -v106
	v_fmac_f32_e32 v101, v104, v17
	s_delay_alu instid0(VALU_DEP_1) | instskip(NEXT) | instid1(VALU_DEP_1)
	v_add_f32_e32 v107, v106, v101
	v_sub_f32_e32 v109, v103, v107
	v_sub_f32_e32 v15, v107, v106
	s_delay_alu instid0(VALU_DEP_2) | instskip(NEXT) | instid1(VALU_DEP_2)
	v_sub_f32_e32 v103, v103, v109
	v_sub_f32_e32 v15, v15, v101
	s_delay_alu instid0(VALU_DEP_2) | instskip(NEXT) | instid1(VALU_DEP_1)
	v_sub_f32_e32 v103, v103, v107
	v_add_f32_e32 v13, v13, v103
	s_delay_alu instid0(VALU_DEP_1) | instskip(NEXT) | instid1(VALU_DEP_1)
	v_add_f32_e32 v13, v15, v13
	v_add_f32_e32 v15, v109, v13
	s_delay_alu instid0(VALU_DEP_1) | instskip(NEXT) | instid1(VALU_DEP_1)
	v_mul_f32_e32 v101, v14, v15
	v_mul_f32_e32 v103, v102, v101
	s_delay_alu instid0(VALU_DEP_1) | instskip(NEXT) | instid1(VALU_DEP_1)
	v_fma_f32 v102, v101, v102, -v103
	v_fmac_f32_e32 v102, v101, v17
	v_sub_f32_e32 v107, v109, v15
	s_delay_alu instid0(VALU_DEP_2) | instskip(NEXT) | instid1(VALU_DEP_1)
	v_add_f32_e32 v17, v103, v102
	v_dual_add_f32 v13, v13, v107 :: v_dual_sub_f32 v106, v15, v17
	v_sub_f32_e32 v103, v17, v103
	s_delay_alu instid0(VALU_DEP_2) | instskip(NEXT) | instid1(VALU_DEP_1)
	v_sub_f32_e32 v15, v15, v106
	v_sub_f32_e32 v15, v15, v17
	s_delay_alu instid0(VALU_DEP_3) | instskip(NEXT) | instid1(VALU_DEP_2)
	v_sub_f32_e32 v17, v103, v102
	v_add_f32_e32 v13, v13, v15
	v_add_f32_e32 v15, v104, v101
	s_delay_alu instid0(VALU_DEP_2) | instskip(NEXT) | instid1(VALU_DEP_2)
	v_add_f32_e32 v13, v17, v13
	v_sub_f32_e32 v17, v15, v104
	s_delay_alu instid0(VALU_DEP_2) | instskip(NEXT) | instid1(VALU_DEP_2)
	v_add_f32_e32 v13, v106, v13
	v_sub_f32_e32 v17, v101, v17
	s_delay_alu instid0(VALU_DEP_2) | instskip(NEXT) | instid1(VALU_DEP_1)
	v_mul_f32_e32 v13, v14, v13
	v_add_f32_e32 v13, v17, v13
	s_delay_alu instid0(VALU_DEP_1) | instskip(NEXT) | instid1(VALU_DEP_1)
	v_add_f32_e32 v14, v15, v13
	v_mul_f32_e32 v17, v14, v14
	s_delay_alu instid0(VALU_DEP_1) | instskip(SKIP_1) | instid1(VALU_DEP_2)
	v_fmaak_f32 v101, s84, v17, 0x3ecc95a3
	v_mul_f32_e32 v102, v14, v17
	v_fmaak_f32 v17, v17, v101, 0x3f2aaada
	v_ldexp_f32 v101, v14, 1
	v_sub_f32_e32 v14, v14, v15
	s_delay_alu instid0(VALU_DEP_3) | instskip(NEXT) | instid1(VALU_DEP_2)
	v_dual_mul_f32 v17, v102, v17 :: v_dual_mul_f32 v102, 0x3f317218, v12
	v_sub_f32_e32 v13, v13, v14
	s_delay_alu instid0(VALU_DEP_2) | instskip(NEXT) | instid1(VALU_DEP_2)
	v_add_f32_e32 v15, v101, v17
	v_ldexp_f32 v13, v13, 1
	s_delay_alu instid0(VALU_DEP_2) | instskip(SKIP_1) | instid1(VALU_DEP_1)
	v_sub_f32_e32 v14, v15, v101
	v_fma_f32 v101, 0x3f317218, v12, -v102
	v_dual_sub_f32 v14, v17, v14 :: v_dual_fmac_f32 v101, 0xb102e308, v12
	s_delay_alu instid0(VALU_DEP_1) | instskip(NEXT) | instid1(VALU_DEP_1)
	v_dual_add_f32 v12, v13, v14 :: v_dual_add_f32 v13, v102, v101
	v_add_f32_e32 v14, v15, v12
	s_delay_alu instid0(VALU_DEP_2) | instskip(NEXT) | instid1(VALU_DEP_2)
	v_sub_f32_e32 v102, v13, v102
	v_add_f32_e32 v17, v13, v14
	v_sub_f32_e32 v15, v14, v15
	s_delay_alu instid0(VALU_DEP_3) | instskip(NEXT) | instid1(VALU_DEP_2)
	v_sub_f32_e32 v101, v101, v102
	v_dual_sub_f32 v103, v17, v13 :: v_dual_sub_f32 v12, v12, v15
	s_delay_alu instid0(VALU_DEP_1) | instskip(NEXT) | instid1(VALU_DEP_2)
	v_sub_f32_e32 v104, v17, v103
	v_dual_sub_f32 v14, v14, v103 :: v_dual_add_f32 v15, v101, v12
	s_delay_alu instid0(VALU_DEP_2) | instskip(NEXT) | instid1(VALU_DEP_1)
	v_sub_f32_e32 v13, v13, v104
	v_add_f32_e32 v13, v14, v13
	s_delay_alu instid0(VALU_DEP_3) | instskip(NEXT) | instid1(VALU_DEP_2)
	v_sub_f32_e32 v14, v15, v101
	v_add_f32_e32 v13, v15, v13
	s_delay_alu instid0(VALU_DEP_2) | instskip(SKIP_1) | instid1(VALU_DEP_3)
	v_sub_f32_e32 v15, v15, v14
	v_sub_f32_e32 v12, v12, v14
	v_add_f32_e32 v102, v17, v13
	s_delay_alu instid0(VALU_DEP_1) | instskip(NEXT) | instid1(VALU_DEP_1)
	v_dual_sub_f32 v15, v101, v15 :: v_dual_sub_f32 v14, v102, v17
	v_dual_add_f32 v12, v12, v15 :: v_dual_sub_f32 v13, v13, v14
	s_delay_alu instid0(VALU_DEP_1) | instskip(NEXT) | instid1(VALU_DEP_1)
	v_add_f32_e32 v12, v12, v13
	v_add_f32_e32 v12, v102, v12
	s_delay_alu instid0(VALU_DEP_1)
	v_cndmask_b32_e32 v116, v12, v8, vcc_lo
.LBB28_96:                              ;   in Loop: Header=BB28_12 Depth=1
	s_or_b32 exec_lo, exec_lo, s30
	v_and_b32_e32 v8, 0xffff0000, v9
	s_delay_alu instid0(VALU_DEP_1) | instskip(NEXT) | instid1(VALU_DEP_1)
	v_add_f32_e32 v121, s67, v8
	v_cmp_ge_f32_e32 vcc_lo, 0x41a00000, v121
	s_and_b32 s29, s80, vcc_lo
	s_delay_alu instid0(SALU_CYCLE_1)
	s_and_saveexec_b32 s30, s29
	s_cbranch_execz .LBB28_98
; %bb.97:                               ;   in Loop: Header=BB28_12 Depth=1
	v_mul_f32_e32 v8, 0x3fb8aa3b, v121
	v_cmp_ngt_f32_e32 vcc_lo, 0xc2ce8ed0, v121
	s_delay_alu instid0(VALU_DEP_2) | instskip(SKIP_1) | instid1(VALU_DEP_2)
	v_rndne_f32_e32 v9, v8
	v_fma_f32 v12, 0x3fb8aa3b, v121, -v8
	v_sub_f32_e32 v8, v8, v9
	s_delay_alu instid0(VALU_DEP_2) | instskip(SKIP_1) | instid1(VALU_DEP_2)
	v_fmac_f32_e32 v12, 0x32a5705f, v121
	v_cvt_i32_f32_e32 v9, v9
	v_add_f32_e32 v8, v8, v12
	s_delay_alu instid0(VALU_DEP_1) | instskip(SKIP_2) | instid1(VALU_DEP_1)
	v_exp_f32_e32 v8, v8
	s_waitcnt_depctr 0xfff
	v_ldexp_f32 v8, v8, v9
	v_cndmask_b32_e32 v8, 0, v8, vcc_lo
	v_cmp_nlt_f32_e32 vcc_lo, 0x42b17218, v121
	s_delay_alu instid0(VALU_DEP_2) | instskip(NEXT) | instid1(VALU_DEP_1)
	v_cndmask_b32_e32 v12, 0x7f800000, v8, vcc_lo
	v_add_f32_e32 v13, 1.0, v12
	s_delay_alu instid0(VALU_DEP_1) | instskip(NEXT) | instid1(VALU_DEP_1)
	v_cvt_f64_f32_e32 v[8:9], v13
	v_frexp_exp_i32_f64_e32 v8, v[8:9]
	v_frexp_mant_f32_e32 v9, v13
	s_delay_alu instid0(VALU_DEP_1) | instskip(SKIP_1) | instid1(VALU_DEP_1)
	v_cmp_gt_f32_e32 vcc_lo, 0x3f2aaaab, v9
	v_add_f32_e32 v9, -1.0, v13
	v_sub_f32_e32 v15, v9, v13
	s_delay_alu instid0(VALU_DEP_1) | instskip(SKIP_1) | instid1(VALU_DEP_1)
	v_add_f32_e32 v15, 1.0, v15
	v_subrev_co_ci_u32_e32 v8, vcc_lo, 0, v8, vcc_lo
	v_sub_nc_u32_e32 v14, 0, v8
	v_cvt_f32_i32_e32 v8, v8
	s_delay_alu instid0(VALU_DEP_2) | instskip(NEXT) | instid1(VALU_DEP_1)
	v_ldexp_f32 v13, v13, v14
	v_add_f32_e32 v17, 1.0, v13
	v_sub_f32_e32 v9, v12, v9
	v_cmp_eq_f32_e32 vcc_lo, 0x7f800000, v12
	v_cmp_gt_f32_e64 s29, 0x33800000, v12
	s_delay_alu instid0(VALU_DEP_3) | instskip(NEXT) | instid1(VALU_DEP_2)
	v_add_f32_e32 v9, v9, v15
	s_or_b32 vcc_lo, s29, vcc_lo
	s_delay_alu instid0(VALU_DEP_1) | instskip(SKIP_2) | instid1(VALU_DEP_1)
	v_ldexp_f32 v9, v9, v14
	v_add_f32_e32 v14, -1.0, v13
	v_add_f32_e32 v15, -1.0, v17
	v_sub_f32_e32 v15, v13, v15
	s_delay_alu instid0(VALU_DEP_3) | instskip(NEXT) | instid1(VALU_DEP_2)
	v_add_f32_e32 v101, 1.0, v14
	v_add_f32_e32 v15, v9, v15
	s_delay_alu instid0(VALU_DEP_2) | instskip(NEXT) | instid1(VALU_DEP_2)
	v_sub_f32_e32 v13, v13, v101
	v_add_f32_e32 v101, v17, v15
	s_delay_alu instid0(VALU_DEP_2) | instskip(NEXT) | instid1(VALU_DEP_2)
	v_add_f32_e32 v9, v9, v13
	v_rcp_f32_e32 v13, v101
	s_delay_alu instid0(VALU_DEP_1) | instskip(NEXT) | instid1(VALU_DEP_1)
	v_add_f32_e32 v102, v14, v9
	v_dual_sub_f32 v17, v17, v101 :: v_dual_sub_f32 v14, v14, v102
	s_delay_alu instid0(VALU_DEP_1) | instskip(SKIP_2) | instid1(VALU_DEP_1)
	v_add_f32_e32 v15, v15, v17
	s_waitcnt_depctr 0xfff
	v_mul_f32_e32 v103, v102, v13
	v_mul_f32_e32 v104, v101, v103
	s_delay_alu instid0(VALU_DEP_1) | instskip(NEXT) | instid1(VALU_DEP_1)
	v_fma_f32 v17, v103, v101, -v104
	v_fmac_f32_e32 v17, v103, v15
	s_delay_alu instid0(VALU_DEP_1) | instskip(NEXT) | instid1(VALU_DEP_1)
	v_add_f32_e32 v106, v104, v17
	v_sub_f32_e32 v107, v102, v106
	s_delay_alu instid0(VALU_DEP_1) | instskip(NEXT) | instid1(VALU_DEP_1)
	v_sub_f32_e32 v102, v102, v107
	v_sub_f32_e32 v102, v102, v106
	v_dual_add_f32 v9, v9, v14 :: v_dual_sub_f32 v14, v106, v104
	s_delay_alu instid0(VALU_DEP_1) | instskip(NEXT) | instid1(VALU_DEP_1)
	v_dual_sub_f32 v14, v14, v17 :: v_dual_add_f32 v9, v9, v102
	v_add_f32_e32 v9, v14, v9
	s_delay_alu instid0(VALU_DEP_1) | instskip(NEXT) | instid1(VALU_DEP_1)
	v_add_f32_e32 v14, v107, v9
	v_mul_f32_e32 v17, v13, v14
	s_delay_alu instid0(VALU_DEP_1) | instskip(NEXT) | instid1(VALU_DEP_1)
	v_mul_f32_e32 v102, v101, v17
	v_fma_f32 v101, v17, v101, -v102
	s_delay_alu instid0(VALU_DEP_1) | instskip(NEXT) | instid1(VALU_DEP_1)
	v_dual_fmac_f32 v101, v17, v15 :: v_dual_sub_f32 v106, v107, v14
	v_add_f32_e32 v15, v102, v101
	s_delay_alu instid0(VALU_DEP_1) | instskip(SKIP_1) | instid1(VALU_DEP_2)
	v_sub_f32_e32 v104, v14, v15
	v_sub_f32_e32 v102, v15, v102
	v_dual_add_f32 v9, v9, v106 :: v_dual_sub_f32 v14, v14, v104
	s_delay_alu instid0(VALU_DEP_1) | instskip(NEXT) | instid1(VALU_DEP_3)
	v_sub_f32_e32 v14, v14, v15
	v_sub_f32_e32 v15, v102, v101
	s_delay_alu instid0(VALU_DEP_2) | instskip(NEXT) | instid1(VALU_DEP_1)
	v_dual_add_f32 v9, v9, v14 :: v_dual_add_f32 v14, v103, v17
	v_add_f32_e32 v9, v15, v9
	s_delay_alu instid0(VALU_DEP_2) | instskip(NEXT) | instid1(VALU_DEP_2)
	v_sub_f32_e32 v15, v14, v103
	v_add_f32_e32 v9, v104, v9
	s_delay_alu instid0(VALU_DEP_2) | instskip(NEXT) | instid1(VALU_DEP_2)
	v_sub_f32_e32 v15, v17, v15
	v_mul_f32_e32 v9, v13, v9
	s_delay_alu instid0(VALU_DEP_1) | instskip(NEXT) | instid1(VALU_DEP_1)
	v_add_f32_e32 v9, v15, v9
	v_add_f32_e32 v13, v14, v9
	s_delay_alu instid0(VALU_DEP_1) | instskip(NEXT) | instid1(VALU_DEP_1)
	v_mul_f32_e32 v15, v13, v13
	v_fmaak_f32 v17, s84, v15, 0x3ecc95a3
	v_mul_f32_e32 v101, v13, v15
	s_delay_alu instid0(VALU_DEP_2) | instskip(SKIP_2) | instid1(VALU_DEP_3)
	v_fmaak_f32 v15, v15, v17, 0x3f2aaada
	v_ldexp_f32 v17, v13, 1
	v_sub_f32_e32 v13, v13, v14
	v_mul_f32_e32 v15, v101, v15
	v_mul_f32_e32 v101, 0x3f317218, v8
	s_delay_alu instid0(VALU_DEP_3) | instskip(NEXT) | instid1(VALU_DEP_3)
	v_sub_f32_e32 v9, v9, v13
	v_add_f32_e32 v14, v17, v15
	s_delay_alu instid0(VALU_DEP_2) | instskip(NEXT) | instid1(VALU_DEP_2)
	v_ldexp_f32 v9, v9, 1
	v_sub_f32_e32 v13, v14, v17
	v_fma_f32 v17, 0x3f317218, v8, -v101
	s_delay_alu instid0(VALU_DEP_2) | instskip(NEXT) | instid1(VALU_DEP_1)
	v_sub_f32_e32 v13, v15, v13
	v_dual_fmac_f32 v17, 0xb102e308, v8 :: v_dual_add_f32 v8, v9, v13
	s_delay_alu instid0(VALU_DEP_1) | instskip(NEXT) | instid1(VALU_DEP_2)
	v_add_f32_e32 v9, v101, v17
	v_add_f32_e32 v13, v14, v8
	s_delay_alu instid0(VALU_DEP_2) | instskip(NEXT) | instid1(VALU_DEP_2)
	v_sub_f32_e32 v101, v9, v101
	v_add_f32_e32 v15, v9, v13
	v_sub_f32_e32 v14, v13, v14
	s_delay_alu instid0(VALU_DEP_3) | instskip(NEXT) | instid1(VALU_DEP_3)
	v_sub_f32_e32 v17, v17, v101
	v_sub_f32_e32 v102, v15, v9
	s_delay_alu instid0(VALU_DEP_3) | instskip(NEXT) | instid1(VALU_DEP_2)
	v_sub_f32_e32 v8, v8, v14
	v_sub_f32_e32 v103, v15, v102
	;; [unrolled: 1-line block ×3, first 2 shown]
	s_delay_alu instid0(VALU_DEP_3) | instskip(NEXT) | instid1(VALU_DEP_3)
	v_add_f32_e32 v14, v17, v8
	v_sub_f32_e32 v9, v9, v103
	s_delay_alu instid0(VALU_DEP_1) | instskip(NEXT) | instid1(VALU_DEP_3)
	v_add_f32_e32 v9, v13, v9
	v_sub_f32_e32 v13, v14, v17
	s_delay_alu instid0(VALU_DEP_2) | instskip(NEXT) | instid1(VALU_DEP_2)
	v_add_f32_e32 v9, v14, v9
	v_sub_f32_e32 v14, v14, v13
	v_sub_f32_e32 v8, v8, v13
	s_delay_alu instid0(VALU_DEP_2) | instskip(NEXT) | instid1(VALU_DEP_1)
	v_dual_add_f32 v101, v15, v9 :: v_dual_sub_f32 v14, v17, v14
	v_dual_sub_f32 v13, v101, v15 :: v_dual_add_f32 v8, v8, v14
	s_delay_alu instid0(VALU_DEP_1) | instskip(NEXT) | instid1(VALU_DEP_1)
	v_sub_f32_e32 v9, v9, v13
	v_add_f32_e32 v8, v8, v9
	s_delay_alu instid0(VALU_DEP_1) | instskip(NEXT) | instid1(VALU_DEP_1)
	v_add_f32_e32 v8, v101, v8
	v_cndmask_b32_e32 v121, v8, v12, vcc_lo
.LBB28_98:                              ;   in Loop: Header=BB28_12 Depth=1
	s_or_b32 exec_lo, exec_lo, s30
	v_lshlrev_b32_e32 v8, 16, v10
	s_delay_alu instid0(VALU_DEP_1) | instskip(NEXT) | instid1(VALU_DEP_1)
	v_add_f32_e32 v122, s67, v8
	v_cmp_ge_f32_e32 vcc_lo, 0x41a00000, v122
	s_and_b32 s29, s80, vcc_lo
	s_delay_alu instid0(SALU_CYCLE_1)
	s_and_saveexec_b32 s30, s29
	s_cbranch_execz .LBB28_100
; %bb.99:                               ;   in Loop: Header=BB28_12 Depth=1
	v_mul_f32_e32 v8, 0x3fb8aa3b, v122
	v_cmp_ngt_f32_e32 vcc_lo, 0xc2ce8ed0, v122
	s_delay_alu instid0(VALU_DEP_2) | instskip(SKIP_1) | instid1(VALU_DEP_2)
	v_rndne_f32_e32 v9, v8
	v_fma_f32 v12, 0x3fb8aa3b, v122, -v8
	v_sub_f32_e32 v8, v8, v9
	s_delay_alu instid0(VALU_DEP_2) | instskip(SKIP_1) | instid1(VALU_DEP_2)
	v_fmac_f32_e32 v12, 0x32a5705f, v122
	v_cvt_i32_f32_e32 v9, v9
	v_add_f32_e32 v8, v8, v12
	s_delay_alu instid0(VALU_DEP_1) | instskip(SKIP_2) | instid1(VALU_DEP_1)
	v_exp_f32_e32 v8, v8
	s_waitcnt_depctr 0xfff
	v_ldexp_f32 v8, v8, v9
	v_cndmask_b32_e32 v8, 0, v8, vcc_lo
	v_cmp_nlt_f32_e32 vcc_lo, 0x42b17218, v122
	s_delay_alu instid0(VALU_DEP_2) | instskip(NEXT) | instid1(VALU_DEP_1)
	v_cndmask_b32_e32 v12, 0x7f800000, v8, vcc_lo
	v_add_f32_e32 v13, 1.0, v12
	s_delay_alu instid0(VALU_DEP_1) | instskip(NEXT) | instid1(VALU_DEP_1)
	v_cvt_f64_f32_e32 v[8:9], v13
	v_frexp_exp_i32_f64_e32 v8, v[8:9]
	v_frexp_mant_f32_e32 v9, v13
	s_delay_alu instid0(VALU_DEP_1) | instskip(SKIP_1) | instid1(VALU_DEP_1)
	v_cmp_gt_f32_e32 vcc_lo, 0x3f2aaaab, v9
	v_add_f32_e32 v9, -1.0, v13
	v_sub_f32_e32 v15, v9, v13
	s_delay_alu instid0(VALU_DEP_1) | instskip(SKIP_1) | instid1(VALU_DEP_1)
	v_add_f32_e32 v15, 1.0, v15
	v_subrev_co_ci_u32_e32 v8, vcc_lo, 0, v8, vcc_lo
	v_sub_nc_u32_e32 v14, 0, v8
	v_cvt_f32_i32_e32 v8, v8
	s_delay_alu instid0(VALU_DEP_2) | instskip(NEXT) | instid1(VALU_DEP_1)
	v_ldexp_f32 v13, v13, v14
	v_add_f32_e32 v17, 1.0, v13
	v_sub_f32_e32 v9, v12, v9
	v_cmp_eq_f32_e32 vcc_lo, 0x7f800000, v12
	v_cmp_gt_f32_e64 s29, 0x33800000, v12
	s_delay_alu instid0(VALU_DEP_3) | instskip(SKIP_1) | instid1(VALU_DEP_3)
	v_add_f32_e32 v9, v9, v15
	v_add_f32_e32 v15, -1.0, v17
	s_or_b32 vcc_lo, s29, vcc_lo
	s_delay_alu instid0(VALU_DEP_2) | instskip(NEXT) | instid1(VALU_DEP_2)
	v_ldexp_f32 v9, v9, v14
	v_dual_add_f32 v14, -1.0, v13 :: v_dual_sub_f32 v15, v13, v15
	s_delay_alu instid0(VALU_DEP_1) | instskip(NEXT) | instid1(VALU_DEP_2)
	v_add_f32_e32 v101, 1.0, v14
	v_add_f32_e32 v15, v9, v15
	s_delay_alu instid0(VALU_DEP_2) | instskip(NEXT) | instid1(VALU_DEP_1)
	v_sub_f32_e32 v13, v13, v101
	v_add_f32_e32 v9, v9, v13
	s_delay_alu instid0(VALU_DEP_1) | instskip(NEXT) | instid1(VALU_DEP_1)
	v_add_f32_e32 v102, v14, v9
	v_dual_sub_f32 v14, v14, v102 :: v_dual_add_f32 v101, v17, v15
	s_delay_alu instid0(VALU_DEP_1) | instskip(SKIP_1) | instid1(VALU_DEP_1)
	v_rcp_f32_e32 v13, v101
	v_sub_f32_e32 v17, v17, v101
	v_add_f32_e32 v15, v15, v17
	s_waitcnt_depctr 0xfff
	v_mul_f32_e32 v103, v102, v13
	s_delay_alu instid0(VALU_DEP_1) | instskip(NEXT) | instid1(VALU_DEP_1)
	v_mul_f32_e32 v104, v101, v103
	v_fma_f32 v17, v103, v101, -v104
	s_delay_alu instid0(VALU_DEP_1) | instskip(NEXT) | instid1(VALU_DEP_1)
	v_fmac_f32_e32 v17, v103, v15
	v_add_f32_e32 v106, v104, v17
	s_delay_alu instid0(VALU_DEP_1) | instskip(NEXT) | instid1(VALU_DEP_1)
	v_sub_f32_e32 v107, v102, v106
	v_sub_f32_e32 v102, v102, v107
	s_delay_alu instid0(VALU_DEP_1) | instskip(SKIP_1) | instid1(VALU_DEP_1)
	v_sub_f32_e32 v102, v102, v106
	v_dual_add_f32 v9, v9, v14 :: v_dual_sub_f32 v14, v106, v104
	v_dual_sub_f32 v14, v14, v17 :: v_dual_add_f32 v9, v9, v102
	s_delay_alu instid0(VALU_DEP_1) | instskip(NEXT) | instid1(VALU_DEP_1)
	v_add_f32_e32 v9, v14, v9
	v_add_f32_e32 v14, v107, v9
	s_delay_alu instid0(VALU_DEP_1) | instskip(NEXT) | instid1(VALU_DEP_1)
	v_mul_f32_e32 v17, v13, v14
	v_mul_f32_e32 v102, v101, v17
	s_delay_alu instid0(VALU_DEP_1) | instskip(NEXT) | instid1(VALU_DEP_1)
	v_fma_f32 v101, v17, v101, -v102
	v_dual_fmac_f32 v101, v17, v15 :: v_dual_sub_f32 v106, v107, v14
	s_delay_alu instid0(VALU_DEP_1) | instskip(NEXT) | instid1(VALU_DEP_1)
	v_add_f32_e32 v15, v102, v101
	v_sub_f32_e32 v104, v14, v15
	v_sub_f32_e32 v102, v15, v102
	s_delay_alu instid0(VALU_DEP_2) | instskip(NEXT) | instid1(VALU_DEP_1)
	v_dual_add_f32 v9, v9, v106 :: v_dual_sub_f32 v14, v14, v104
	v_sub_f32_e32 v14, v14, v15
	s_delay_alu instid0(VALU_DEP_3) | instskip(NEXT) | instid1(VALU_DEP_2)
	v_sub_f32_e32 v15, v102, v101
	v_dual_add_f32 v9, v9, v14 :: v_dual_add_f32 v14, v103, v17
	s_delay_alu instid0(VALU_DEP_1) | instskip(NEXT) | instid1(VALU_DEP_2)
	v_add_f32_e32 v9, v15, v9
	v_sub_f32_e32 v15, v14, v103
	s_delay_alu instid0(VALU_DEP_2) | instskip(NEXT) | instid1(VALU_DEP_2)
	v_add_f32_e32 v9, v104, v9
	v_sub_f32_e32 v15, v17, v15
	s_delay_alu instid0(VALU_DEP_2) | instskip(NEXT) | instid1(VALU_DEP_1)
	v_mul_f32_e32 v9, v13, v9
	v_add_f32_e32 v9, v15, v9
	s_delay_alu instid0(VALU_DEP_1) | instskip(NEXT) | instid1(VALU_DEP_1)
	v_add_f32_e32 v13, v14, v9
	v_mul_f32_e32 v15, v13, v13
	s_delay_alu instid0(VALU_DEP_1) | instskip(SKIP_1) | instid1(VALU_DEP_2)
	v_fmaak_f32 v17, s84, v15, 0x3ecc95a3
	v_mul_f32_e32 v101, v13, v15
	v_fmaak_f32 v15, v15, v17, 0x3f2aaada
	v_ldexp_f32 v17, v13, 1
	v_sub_f32_e32 v13, v13, v14
	s_delay_alu instid0(VALU_DEP_3) | instskip(SKIP_1) | instid1(VALU_DEP_3)
	v_mul_f32_e32 v15, v101, v15
	v_mul_f32_e32 v101, 0x3f317218, v8
	v_sub_f32_e32 v9, v9, v13
	s_delay_alu instid0(VALU_DEP_3) | instskip(NEXT) | instid1(VALU_DEP_2)
	v_add_f32_e32 v14, v17, v15
	v_ldexp_f32 v9, v9, 1
	s_delay_alu instid0(VALU_DEP_2) | instskip(SKIP_1) | instid1(VALU_DEP_2)
	v_sub_f32_e32 v13, v14, v17
	v_fma_f32 v17, 0x3f317218, v8, -v101
	v_sub_f32_e32 v13, v15, v13
	s_delay_alu instid0(VALU_DEP_1) | instskip(NEXT) | instid1(VALU_DEP_1)
	v_dual_fmac_f32 v17, 0xb102e308, v8 :: v_dual_add_f32 v8, v9, v13
	v_add_f32_e32 v9, v101, v17
	s_delay_alu instid0(VALU_DEP_2) | instskip(NEXT) | instid1(VALU_DEP_2)
	v_add_f32_e32 v13, v14, v8
	v_sub_f32_e32 v101, v9, v101
	s_delay_alu instid0(VALU_DEP_2) | instskip(SKIP_1) | instid1(VALU_DEP_3)
	v_add_f32_e32 v15, v9, v13
	v_sub_f32_e32 v14, v13, v14
	v_sub_f32_e32 v17, v17, v101
	s_delay_alu instid0(VALU_DEP_3) | instskip(NEXT) | instid1(VALU_DEP_3)
	v_sub_f32_e32 v102, v15, v9
	v_sub_f32_e32 v8, v8, v14
	s_delay_alu instid0(VALU_DEP_2) | instskip(SKIP_1) | instid1(VALU_DEP_3)
	v_sub_f32_e32 v103, v15, v102
	v_sub_f32_e32 v13, v13, v102
	v_add_f32_e32 v14, v17, v8
	s_delay_alu instid0(VALU_DEP_3) | instskip(NEXT) | instid1(VALU_DEP_1)
	v_sub_f32_e32 v9, v9, v103
	v_add_f32_e32 v9, v13, v9
	s_delay_alu instid0(VALU_DEP_3) | instskip(NEXT) | instid1(VALU_DEP_2)
	v_sub_f32_e32 v13, v14, v17
	v_add_f32_e32 v9, v14, v9
	s_delay_alu instid0(VALU_DEP_2) | instskip(SKIP_1) | instid1(VALU_DEP_2)
	v_sub_f32_e32 v14, v14, v13
	v_sub_f32_e32 v8, v8, v13
	v_dual_add_f32 v101, v15, v9 :: v_dual_sub_f32 v14, v17, v14
	s_delay_alu instid0(VALU_DEP_1) | instskip(NEXT) | instid1(VALU_DEP_1)
	v_dual_sub_f32 v13, v101, v15 :: v_dual_add_f32 v8, v8, v14
	v_sub_f32_e32 v9, v9, v13
	s_delay_alu instid0(VALU_DEP_1) | instskip(NEXT) | instid1(VALU_DEP_1)
	v_add_f32_e32 v8, v8, v9
	v_add_f32_e32 v8, v101, v8
	s_delay_alu instid0(VALU_DEP_1)
	v_cndmask_b32_e32 v122, v8, v12, vcc_lo
.LBB28_100:                             ;   in Loop: Header=BB28_12 Depth=1
	s_or_b32 exec_lo, exec_lo, s30
	v_and_b32_e32 v8, 0xffff0000, v10
	s_delay_alu instid0(VALU_DEP_1) | instskip(NEXT) | instid1(VALU_DEP_1)
	v_add_f32_e32 v123, s67, v8
	v_cmp_ge_f32_e32 vcc_lo, 0x41a00000, v123
	s_and_b32 s29, s80, vcc_lo
	s_delay_alu instid0(SALU_CYCLE_1)
	s_and_saveexec_b32 s30, s29
	s_cbranch_execz .LBB28_102
; %bb.101:                              ;   in Loop: Header=BB28_12 Depth=1
	v_mul_f32_e32 v8, 0x3fb8aa3b, v123
	v_cmp_ngt_f32_e32 vcc_lo, 0xc2ce8ed0, v123
	s_delay_alu instid0(VALU_DEP_2) | instskip(SKIP_1) | instid1(VALU_DEP_2)
	v_rndne_f32_e32 v9, v8
	v_fma_f32 v10, 0x3fb8aa3b, v123, -v8
	v_sub_f32_e32 v8, v8, v9
	s_delay_alu instid0(VALU_DEP_2) | instskip(SKIP_1) | instid1(VALU_DEP_2)
	v_fmac_f32_e32 v10, 0x32a5705f, v123
	v_cvt_i32_f32_e32 v9, v9
	v_add_f32_e32 v8, v8, v10
	s_delay_alu instid0(VALU_DEP_1) | instskip(SKIP_2) | instid1(VALU_DEP_1)
	v_exp_f32_e32 v8, v8
	s_waitcnt_depctr 0xfff
	v_ldexp_f32 v8, v8, v9
	v_cndmask_b32_e32 v8, 0, v8, vcc_lo
	v_cmp_nlt_f32_e32 vcc_lo, 0x42b17218, v123
	s_delay_alu instid0(VALU_DEP_2) | instskip(NEXT) | instid1(VALU_DEP_1)
	v_cndmask_b32_e32 v10, 0x7f800000, v8, vcc_lo
	v_add_f32_e32 v12, 1.0, v10
	s_delay_alu instid0(VALU_DEP_1) | instskip(NEXT) | instid1(VALU_DEP_1)
	v_cvt_f64_f32_e32 v[8:9], v12
	v_frexp_exp_i32_f64_e32 v8, v[8:9]
	v_frexp_mant_f32_e32 v9, v12
	s_delay_alu instid0(VALU_DEP_1) | instskip(SKIP_1) | instid1(VALU_DEP_1)
	v_cmp_gt_f32_e32 vcc_lo, 0x3f2aaaab, v9
	v_add_f32_e32 v9, -1.0, v12
	v_dual_sub_f32 v14, v9, v12 :: v_dual_sub_f32 v9, v10, v9
	v_subrev_co_ci_u32_e32 v8, vcc_lo, 0, v8, vcc_lo
	s_delay_alu instid0(VALU_DEP_1) | instskip(SKIP_1) | instid1(VALU_DEP_2)
	v_sub_nc_u32_e32 v13, 0, v8
	v_cvt_f32_i32_e32 v8, v8
	v_ldexp_f32 v12, v12, v13
	s_delay_alu instid0(VALU_DEP_1) | instskip(NEXT) | instid1(VALU_DEP_1)
	v_dual_add_f32 v14, 1.0, v14 :: v_dual_add_f32 v15, 1.0, v12
	v_add_f32_e32 v9, v9, v14
	s_delay_alu instid0(VALU_DEP_1) | instskip(NEXT) | instid1(VALU_DEP_3)
	v_ldexp_f32 v9, v9, v13
	v_dual_add_f32 v13, -1.0, v12 :: v_dual_add_f32 v14, -1.0, v15
	s_delay_alu instid0(VALU_DEP_1) | instskip(NEXT) | instid1(VALU_DEP_1)
	v_dual_add_f32 v17, 1.0, v13 :: v_dual_sub_f32 v14, v12, v14
	v_sub_f32_e32 v12, v12, v17
	s_delay_alu instid0(VALU_DEP_2) | instskip(NEXT) | instid1(VALU_DEP_2)
	v_add_f32_e32 v14, v9, v14
	v_add_f32_e32 v9, v9, v12
	s_delay_alu instid0(VALU_DEP_2) | instskip(SKIP_2) | instid1(VALU_DEP_4)
	v_add_f32_e32 v17, v15, v14
	v_cmp_eq_f32_e32 vcc_lo, 0x7f800000, v10
	v_cmp_gt_f32_e64 s29, 0x33800000, v10
	v_add_f32_e32 v101, v13, v9
	s_delay_alu instid0(VALU_DEP_4) | instskip(SKIP_1) | instid1(VALU_DEP_3)
	v_rcp_f32_e32 v12, v17
	v_sub_f32_e32 v15, v15, v17
	s_or_b32 vcc_lo, s29, vcc_lo
	s_delay_alu instid0(VALU_DEP_1) | instskip(NEXT) | instid1(VALU_DEP_1)
	v_dual_sub_f32 v13, v13, v101 :: v_dual_add_f32 v14, v14, v15
	v_add_f32_e32 v9, v9, v13
	s_waitcnt_depctr 0xfff
	v_mul_f32_e32 v102, v101, v12
	s_delay_alu instid0(VALU_DEP_1) | instskip(NEXT) | instid1(VALU_DEP_1)
	v_mul_f32_e32 v103, v17, v102
	v_fma_f32 v15, v102, v17, -v103
	s_delay_alu instid0(VALU_DEP_1) | instskip(NEXT) | instid1(VALU_DEP_1)
	v_fmac_f32_e32 v15, v102, v14
	v_add_f32_e32 v104, v103, v15
	s_delay_alu instid0(VALU_DEP_1) | instskip(NEXT) | instid1(VALU_DEP_1)
	v_dual_sub_f32 v106, v101, v104 :: v_dual_sub_f32 v13, v104, v103
	v_sub_f32_e32 v101, v101, v106
	s_delay_alu instid0(VALU_DEP_2) | instskip(NEXT) | instid1(VALU_DEP_2)
	v_sub_f32_e32 v13, v13, v15
	v_sub_f32_e32 v101, v101, v104
	s_delay_alu instid0(VALU_DEP_1) | instskip(NEXT) | instid1(VALU_DEP_1)
	v_add_f32_e32 v9, v9, v101
	v_add_f32_e32 v9, v13, v9
	s_delay_alu instid0(VALU_DEP_1) | instskip(NEXT) | instid1(VALU_DEP_1)
	v_add_f32_e32 v13, v106, v9
	v_mul_f32_e32 v15, v12, v13
	s_delay_alu instid0(VALU_DEP_1) | instskip(NEXT) | instid1(VALU_DEP_1)
	v_dual_sub_f32 v104, v106, v13 :: v_dual_mul_f32 v101, v17, v15
	v_add_f32_e32 v9, v9, v104
	s_delay_alu instid0(VALU_DEP_2) | instskip(NEXT) | instid1(VALU_DEP_1)
	v_fma_f32 v17, v15, v17, -v101
	v_fmac_f32_e32 v17, v15, v14
	s_delay_alu instid0(VALU_DEP_1) | instskip(NEXT) | instid1(VALU_DEP_1)
	v_add_f32_e32 v14, v101, v17
	v_sub_f32_e32 v103, v13, v14
	s_delay_alu instid0(VALU_DEP_1) | instskip(NEXT) | instid1(VALU_DEP_1)
	v_sub_f32_e32 v13, v13, v103
	v_sub_f32_e32 v13, v13, v14
	s_delay_alu instid0(VALU_DEP_1) | instskip(SKIP_2) | instid1(VALU_DEP_1)
	v_add_f32_e32 v9, v9, v13
	v_add_f32_e32 v13, v102, v15
	v_sub_f32_e32 v101, v14, v101
	v_sub_f32_e32 v14, v101, v17
	s_delay_alu instid0(VALU_DEP_1) | instskip(NEXT) | instid1(VALU_DEP_1)
	v_dual_add_f32 v9, v14, v9 :: v_dual_sub_f32 v14, v13, v102
	v_add_f32_e32 v9, v103, v9
	s_delay_alu instid0(VALU_DEP_1) | instskip(NEXT) | instid1(VALU_DEP_1)
	v_dual_sub_f32 v14, v15, v14 :: v_dual_mul_f32 v9, v12, v9
	v_add_f32_e32 v9, v14, v9
	s_delay_alu instid0(VALU_DEP_1) | instskip(NEXT) | instid1(VALU_DEP_1)
	v_add_f32_e32 v12, v13, v9
	v_mul_f32_e32 v14, v12, v12
	s_delay_alu instid0(VALU_DEP_1) | instskip(NEXT) | instid1(VALU_DEP_1)
	v_fmaak_f32 v15, s84, v14, 0x3ecc95a3
	v_dual_mul_f32 v17, v12, v14 :: v_dual_fmaak_f32 v14, v14, v15, 0x3f2aaada
	v_ldexp_f32 v15, v12, 1
	v_sub_f32_e32 v12, v12, v13
	s_delay_alu instid0(VALU_DEP_3) | instskip(NEXT) | instid1(VALU_DEP_2)
	v_dual_mul_f32 v14, v17, v14 :: v_dual_mul_f32 v17, 0x3f317218, v8
	v_sub_f32_e32 v9, v9, v12
	s_delay_alu instid0(VALU_DEP_2) | instskip(NEXT) | instid1(VALU_DEP_2)
	v_add_f32_e32 v13, v15, v14
	v_ldexp_f32 v9, v9, 1
	s_delay_alu instid0(VALU_DEP_2) | instskip(SKIP_1) | instid1(VALU_DEP_2)
	v_sub_f32_e32 v12, v13, v15
	v_fma_f32 v15, 0x3f317218, v8, -v17
	v_sub_f32_e32 v12, v14, v12
	s_delay_alu instid0(VALU_DEP_2) | instskip(NEXT) | instid1(VALU_DEP_2)
	v_fmac_f32_e32 v15, 0xb102e308, v8
	v_add_f32_e32 v8, v9, v12
	s_delay_alu instid0(VALU_DEP_2) | instskip(NEXT) | instid1(VALU_DEP_2)
	v_add_f32_e32 v9, v17, v15
	v_add_f32_e32 v12, v13, v8
	s_delay_alu instid0(VALU_DEP_2) | instskip(NEXT) | instid1(VALU_DEP_2)
	v_sub_f32_e32 v17, v9, v17
	v_dual_add_f32 v14, v9, v12 :: v_dual_sub_f32 v13, v12, v13
	s_delay_alu instid0(VALU_DEP_2) | instskip(NEXT) | instid1(VALU_DEP_2)
	v_sub_f32_e32 v15, v15, v17
	v_sub_f32_e32 v101, v14, v9
	s_delay_alu instid0(VALU_DEP_3) | instskip(NEXT) | instid1(VALU_DEP_2)
	v_sub_f32_e32 v8, v8, v13
	v_sub_f32_e32 v102, v14, v101
	s_delay_alu instid0(VALU_DEP_2) | instskip(NEXT) | instid1(VALU_DEP_2)
	v_dual_sub_f32 v12, v12, v101 :: v_dual_add_f32 v13, v15, v8
	v_sub_f32_e32 v9, v9, v102
	s_delay_alu instid0(VALU_DEP_1) | instskip(NEXT) | instid1(VALU_DEP_1)
	v_dual_add_f32 v9, v12, v9 :: v_dual_sub_f32 v12, v13, v15
	v_add_f32_e32 v9, v13, v9
	s_delay_alu instid0(VALU_DEP_2) | instskip(NEXT) | instid1(VALU_DEP_2)
	v_sub_f32_e32 v13, v13, v12
	v_dual_sub_f32 v8, v8, v12 :: v_dual_add_f32 v17, v14, v9
	s_delay_alu instid0(VALU_DEP_1) | instskip(NEXT) | instid1(VALU_DEP_1)
	v_dual_sub_f32 v13, v15, v13 :: v_dual_sub_f32 v12, v17, v14
	v_dual_add_f32 v8, v8, v13 :: v_dual_sub_f32 v9, v9, v12
	s_delay_alu instid0(VALU_DEP_1) | instskip(NEXT) | instid1(VALU_DEP_1)
	v_add_f32_e32 v8, v8, v9
	v_add_f32_e32 v8, v17, v8
	s_delay_alu instid0(VALU_DEP_1)
	v_cndmask_b32_e32 v123, v8, v10, vcc_lo
.LBB28_102:                             ;   in Loop: Header=BB28_12 Depth=1
	s_or_b32 exec_lo, exec_lo, s30
	v_lshlrev_b32_e32 v8, 16, v11
	s_delay_alu instid0(VALU_DEP_1) | instskip(NEXT) | instid1(VALU_DEP_1)
	v_add_f32_e32 v124, s67, v8
	v_cmp_ge_f32_e32 vcc_lo, 0x41a00000, v124
	s_and_b32 s29, s80, vcc_lo
	s_delay_alu instid0(SALU_CYCLE_1)
	s_and_saveexec_b32 s30, s29
	s_cbranch_execz .LBB28_104
; %bb.103:                              ;   in Loop: Header=BB28_12 Depth=1
	v_mul_f32_e32 v8, 0x3fb8aa3b, v124
	v_cmp_ngt_f32_e32 vcc_lo, 0xc2ce8ed0, v124
	s_delay_alu instid0(VALU_DEP_2) | instskip(SKIP_1) | instid1(VALU_DEP_2)
	v_rndne_f32_e32 v9, v8
	v_fma_f32 v10, 0x3fb8aa3b, v124, -v8
	v_sub_f32_e32 v8, v8, v9
	s_delay_alu instid0(VALU_DEP_2) | instskip(SKIP_1) | instid1(VALU_DEP_2)
	v_fmac_f32_e32 v10, 0x32a5705f, v124
	v_cvt_i32_f32_e32 v9, v9
	v_add_f32_e32 v8, v8, v10
	s_delay_alu instid0(VALU_DEP_1) | instskip(SKIP_2) | instid1(VALU_DEP_1)
	v_exp_f32_e32 v8, v8
	s_waitcnt_depctr 0xfff
	v_ldexp_f32 v8, v8, v9
	v_cndmask_b32_e32 v8, 0, v8, vcc_lo
	v_cmp_nlt_f32_e32 vcc_lo, 0x42b17218, v124
	s_delay_alu instid0(VALU_DEP_2) | instskip(NEXT) | instid1(VALU_DEP_1)
	v_cndmask_b32_e32 v10, 0x7f800000, v8, vcc_lo
	v_add_f32_e32 v12, 1.0, v10
	s_delay_alu instid0(VALU_DEP_1) | instskip(NEXT) | instid1(VALU_DEP_1)
	v_cvt_f64_f32_e32 v[8:9], v12
	v_frexp_exp_i32_f64_e32 v8, v[8:9]
	v_frexp_mant_f32_e32 v9, v12
	s_delay_alu instid0(VALU_DEP_1) | instskip(SKIP_1) | instid1(VALU_DEP_1)
	v_cmp_gt_f32_e32 vcc_lo, 0x3f2aaaab, v9
	v_add_f32_e32 v9, -1.0, v12
	v_dual_sub_f32 v14, v9, v12 :: v_dual_sub_f32 v9, v10, v9
	v_subrev_co_ci_u32_e32 v8, vcc_lo, 0, v8, vcc_lo
	s_delay_alu instid0(VALU_DEP_1) | instskip(SKIP_1) | instid1(VALU_DEP_2)
	v_sub_nc_u32_e32 v13, 0, v8
	v_cvt_f32_i32_e32 v8, v8
	v_ldexp_f32 v12, v12, v13
	s_delay_alu instid0(VALU_DEP_1) | instskip(NEXT) | instid1(VALU_DEP_1)
	v_dual_add_f32 v14, 1.0, v14 :: v_dual_add_f32 v15, 1.0, v12
	v_add_f32_e32 v9, v9, v14
	s_delay_alu instid0(VALU_DEP_1) | instskip(NEXT) | instid1(VALU_DEP_3)
	v_ldexp_f32 v9, v9, v13
	v_dual_add_f32 v13, -1.0, v12 :: v_dual_add_f32 v14, -1.0, v15
	s_delay_alu instid0(VALU_DEP_1) | instskip(NEXT) | instid1(VALU_DEP_1)
	v_dual_add_f32 v17, 1.0, v13 :: v_dual_sub_f32 v14, v12, v14
	v_sub_f32_e32 v12, v12, v17
	s_delay_alu instid0(VALU_DEP_2) | instskip(NEXT) | instid1(VALU_DEP_2)
	v_add_f32_e32 v14, v9, v14
	v_add_f32_e32 v9, v9, v12
	s_delay_alu instid0(VALU_DEP_2) | instskip(SKIP_2) | instid1(VALU_DEP_4)
	v_add_f32_e32 v17, v15, v14
	v_cmp_eq_f32_e32 vcc_lo, 0x7f800000, v10
	v_cmp_gt_f32_e64 s29, 0x33800000, v10
	v_add_f32_e32 v101, v13, v9
	s_delay_alu instid0(VALU_DEP_4) | instskip(SKIP_1) | instid1(VALU_DEP_3)
	v_rcp_f32_e32 v12, v17
	v_sub_f32_e32 v15, v15, v17
	s_or_b32 vcc_lo, s29, vcc_lo
	s_delay_alu instid0(VALU_DEP_1) | instskip(NEXT) | instid1(VALU_DEP_1)
	v_dual_sub_f32 v13, v13, v101 :: v_dual_add_f32 v14, v14, v15
	v_add_f32_e32 v9, v9, v13
	s_waitcnt_depctr 0xfff
	v_mul_f32_e32 v102, v101, v12
	s_delay_alu instid0(VALU_DEP_1) | instskip(NEXT) | instid1(VALU_DEP_1)
	v_mul_f32_e32 v103, v17, v102
	v_fma_f32 v15, v102, v17, -v103
	s_delay_alu instid0(VALU_DEP_1) | instskip(NEXT) | instid1(VALU_DEP_1)
	v_fmac_f32_e32 v15, v102, v14
	v_add_f32_e32 v104, v103, v15
	s_delay_alu instid0(VALU_DEP_1) | instskip(NEXT) | instid1(VALU_DEP_1)
	v_dual_sub_f32 v106, v101, v104 :: v_dual_sub_f32 v13, v104, v103
	v_sub_f32_e32 v101, v101, v106
	s_delay_alu instid0(VALU_DEP_2) | instskip(NEXT) | instid1(VALU_DEP_2)
	v_sub_f32_e32 v13, v13, v15
	v_sub_f32_e32 v101, v101, v104
	s_delay_alu instid0(VALU_DEP_1) | instskip(NEXT) | instid1(VALU_DEP_1)
	v_add_f32_e32 v9, v9, v101
	v_add_f32_e32 v9, v13, v9
	s_delay_alu instid0(VALU_DEP_1) | instskip(NEXT) | instid1(VALU_DEP_1)
	v_add_f32_e32 v13, v106, v9
	v_mul_f32_e32 v15, v12, v13
	s_delay_alu instid0(VALU_DEP_1) | instskip(NEXT) | instid1(VALU_DEP_1)
	v_dual_sub_f32 v104, v106, v13 :: v_dual_mul_f32 v101, v17, v15
	v_add_f32_e32 v9, v9, v104
	s_delay_alu instid0(VALU_DEP_2) | instskip(NEXT) | instid1(VALU_DEP_1)
	v_fma_f32 v17, v15, v17, -v101
	v_fmac_f32_e32 v17, v15, v14
	s_delay_alu instid0(VALU_DEP_1) | instskip(NEXT) | instid1(VALU_DEP_1)
	v_add_f32_e32 v14, v101, v17
	v_sub_f32_e32 v103, v13, v14
	s_delay_alu instid0(VALU_DEP_1) | instskip(NEXT) | instid1(VALU_DEP_1)
	v_sub_f32_e32 v13, v13, v103
	v_sub_f32_e32 v13, v13, v14
	s_delay_alu instid0(VALU_DEP_1) | instskip(SKIP_2) | instid1(VALU_DEP_1)
	v_add_f32_e32 v9, v9, v13
	v_add_f32_e32 v13, v102, v15
	v_sub_f32_e32 v101, v14, v101
	v_sub_f32_e32 v14, v101, v17
	s_delay_alu instid0(VALU_DEP_1) | instskip(NEXT) | instid1(VALU_DEP_1)
	v_dual_add_f32 v9, v14, v9 :: v_dual_sub_f32 v14, v13, v102
	v_add_f32_e32 v9, v103, v9
	s_delay_alu instid0(VALU_DEP_1) | instskip(NEXT) | instid1(VALU_DEP_1)
	v_dual_sub_f32 v14, v15, v14 :: v_dual_mul_f32 v9, v12, v9
	v_add_f32_e32 v9, v14, v9
	s_delay_alu instid0(VALU_DEP_1) | instskip(NEXT) | instid1(VALU_DEP_1)
	v_add_f32_e32 v12, v13, v9
	v_mul_f32_e32 v14, v12, v12
	s_delay_alu instid0(VALU_DEP_1) | instskip(NEXT) | instid1(VALU_DEP_1)
	v_fmaak_f32 v15, s84, v14, 0x3ecc95a3
	v_dual_mul_f32 v17, v12, v14 :: v_dual_fmaak_f32 v14, v14, v15, 0x3f2aaada
	v_ldexp_f32 v15, v12, 1
	v_sub_f32_e32 v12, v12, v13
	s_delay_alu instid0(VALU_DEP_3) | instskip(NEXT) | instid1(VALU_DEP_2)
	v_dual_mul_f32 v14, v17, v14 :: v_dual_mul_f32 v17, 0x3f317218, v8
	v_sub_f32_e32 v9, v9, v12
	s_delay_alu instid0(VALU_DEP_2) | instskip(NEXT) | instid1(VALU_DEP_2)
	v_add_f32_e32 v13, v15, v14
	v_ldexp_f32 v9, v9, 1
	s_delay_alu instid0(VALU_DEP_2) | instskip(SKIP_1) | instid1(VALU_DEP_2)
	v_sub_f32_e32 v12, v13, v15
	v_fma_f32 v15, 0x3f317218, v8, -v17
	v_sub_f32_e32 v12, v14, v12
	s_delay_alu instid0(VALU_DEP_2) | instskip(NEXT) | instid1(VALU_DEP_2)
	v_fmac_f32_e32 v15, 0xb102e308, v8
	v_add_f32_e32 v8, v9, v12
	s_delay_alu instid0(VALU_DEP_2) | instskip(NEXT) | instid1(VALU_DEP_2)
	v_add_f32_e32 v9, v17, v15
	v_add_f32_e32 v12, v13, v8
	s_delay_alu instid0(VALU_DEP_2) | instskip(NEXT) | instid1(VALU_DEP_2)
	v_sub_f32_e32 v17, v9, v17
	v_dual_add_f32 v14, v9, v12 :: v_dual_sub_f32 v13, v12, v13
	s_delay_alu instid0(VALU_DEP_2) | instskip(NEXT) | instid1(VALU_DEP_2)
	v_sub_f32_e32 v15, v15, v17
	v_sub_f32_e32 v101, v14, v9
	s_delay_alu instid0(VALU_DEP_3) | instskip(NEXT) | instid1(VALU_DEP_2)
	v_sub_f32_e32 v8, v8, v13
	v_sub_f32_e32 v102, v14, v101
	s_delay_alu instid0(VALU_DEP_2) | instskip(NEXT) | instid1(VALU_DEP_2)
	v_dual_sub_f32 v12, v12, v101 :: v_dual_add_f32 v13, v15, v8
	v_sub_f32_e32 v9, v9, v102
	s_delay_alu instid0(VALU_DEP_1) | instskip(NEXT) | instid1(VALU_DEP_1)
	v_dual_add_f32 v9, v12, v9 :: v_dual_sub_f32 v12, v13, v15
	v_add_f32_e32 v9, v13, v9
	s_delay_alu instid0(VALU_DEP_2) | instskip(NEXT) | instid1(VALU_DEP_2)
	v_sub_f32_e32 v13, v13, v12
	v_dual_sub_f32 v8, v8, v12 :: v_dual_add_f32 v17, v14, v9
	s_delay_alu instid0(VALU_DEP_1) | instskip(NEXT) | instid1(VALU_DEP_1)
	v_dual_sub_f32 v13, v15, v13 :: v_dual_sub_f32 v12, v17, v14
	v_dual_add_f32 v8, v8, v13 :: v_dual_sub_f32 v9, v9, v12
	s_delay_alu instid0(VALU_DEP_1) | instskip(NEXT) | instid1(VALU_DEP_1)
	v_add_f32_e32 v8, v8, v9
	v_add_f32_e32 v8, v17, v8
	s_delay_alu instid0(VALU_DEP_1)
	v_cndmask_b32_e32 v124, v8, v10, vcc_lo
.LBB28_104:                             ;   in Loop: Header=BB28_12 Depth=1
	s_or_b32 exec_lo, exec_lo, s30
	v_and_b32_e32 v8, 0xffff0000, v11
	s_delay_alu instid0(VALU_DEP_1) | instskip(NEXT) | instid1(VALU_DEP_1)
	v_add_f32_e32 v125, s67, v8
	v_cmp_ge_f32_e32 vcc_lo, 0x41a00000, v125
	s_and_b32 s29, s80, vcc_lo
	s_delay_alu instid0(SALU_CYCLE_1)
	s_and_saveexec_b32 s30, s29
	s_cbranch_execz .LBB28_106
; %bb.105:                              ;   in Loop: Header=BB28_12 Depth=1
	v_mul_f32_e32 v8, 0x3fb8aa3b, v125
	v_cmp_ngt_f32_e32 vcc_lo, 0xc2ce8ed0, v125
	s_delay_alu instid0(VALU_DEP_2) | instskip(SKIP_1) | instid1(VALU_DEP_2)
	v_rndne_f32_e32 v9, v8
	v_fma_f32 v10, 0x3fb8aa3b, v125, -v8
	v_sub_f32_e32 v8, v8, v9
	s_delay_alu instid0(VALU_DEP_2) | instskip(SKIP_1) | instid1(VALU_DEP_2)
	v_fmac_f32_e32 v10, 0x32a5705f, v125
	v_cvt_i32_f32_e32 v9, v9
	v_add_f32_e32 v8, v8, v10
	s_delay_alu instid0(VALU_DEP_1) | instskip(SKIP_2) | instid1(VALU_DEP_1)
	v_exp_f32_e32 v8, v8
	s_waitcnt_depctr 0xfff
	v_ldexp_f32 v8, v8, v9
	v_cndmask_b32_e32 v8, 0, v8, vcc_lo
	v_cmp_nlt_f32_e32 vcc_lo, 0x42b17218, v125
	s_delay_alu instid0(VALU_DEP_2) | instskip(NEXT) | instid1(VALU_DEP_1)
	v_cndmask_b32_e32 v10, 0x7f800000, v8, vcc_lo
	v_add_f32_e32 v11, 1.0, v10
	s_delay_alu instid0(VALU_DEP_1) | instskip(NEXT) | instid1(VALU_DEP_1)
	v_cvt_f64_f32_e32 v[8:9], v11
	v_frexp_exp_i32_f64_e32 v8, v[8:9]
	v_frexp_mant_f32_e32 v9, v11
	s_delay_alu instid0(VALU_DEP_1) | instskip(SKIP_1) | instid1(VALU_DEP_1)
	v_cmp_gt_f32_e32 vcc_lo, 0x3f2aaaab, v9
	v_add_f32_e32 v9, -1.0, v11
	v_sub_f32_e32 v13, v9, v11
	v_sub_f32_e32 v9, v10, v9
	s_delay_alu instid0(VALU_DEP_2) | instskip(NEXT) | instid1(VALU_DEP_1)
	v_add_f32_e32 v13, 1.0, v13
	v_add_f32_e32 v9, v9, v13
	v_cmp_gt_f32_e64 s29, 0x33800000, v10
	v_subrev_co_ci_u32_e32 v8, vcc_lo, 0, v8, vcc_lo
	v_cmp_eq_f32_e32 vcc_lo, 0x7f800000, v10
	s_delay_alu instid0(VALU_DEP_2) | instskip(SKIP_2) | instid1(VALU_DEP_2)
	v_sub_nc_u32_e32 v12, 0, v8
	v_cvt_f32_i32_e32 v8, v8
	s_or_b32 vcc_lo, s29, vcc_lo
	v_ldexp_f32 v11, v11, v12
	v_ldexp_f32 v9, v9, v12
	s_delay_alu instid0(VALU_DEP_2) | instskip(NEXT) | instid1(VALU_DEP_1)
	v_add_f32_e32 v14, 1.0, v11
	v_dual_add_f32 v12, -1.0, v11 :: v_dual_add_f32 v13, -1.0, v14
	s_delay_alu instid0(VALU_DEP_1) | instskip(NEXT) | instid1(VALU_DEP_2)
	v_add_f32_e32 v15, 1.0, v12
	v_sub_f32_e32 v13, v11, v13
	s_delay_alu instid0(VALU_DEP_2) | instskip(NEXT) | instid1(VALU_DEP_2)
	v_sub_f32_e32 v11, v11, v15
	v_add_f32_e32 v13, v9, v13
	s_delay_alu instid0(VALU_DEP_2) | instskip(NEXT) | instid1(VALU_DEP_1)
	v_add_f32_e32 v9, v9, v11
	v_add_f32_e32 v17, v12, v9
	s_delay_alu instid0(VALU_DEP_3) | instskip(NEXT) | instid1(VALU_DEP_2)
	v_add_f32_e32 v15, v14, v13
	v_sub_f32_e32 v12, v12, v17
	s_delay_alu instid0(VALU_DEP_2) | instskip(SKIP_1) | instid1(VALU_DEP_1)
	v_rcp_f32_e32 v11, v15
	v_sub_f32_e32 v14, v14, v15
	v_add_f32_e32 v13, v13, v14
	s_waitcnt_depctr 0xfff
	v_mul_f32_e32 v101, v17, v11
	s_delay_alu instid0(VALU_DEP_1) | instskip(NEXT) | instid1(VALU_DEP_1)
	v_dual_mul_f32 v102, v15, v101 :: v_dual_add_f32 v9, v9, v12
	v_fma_f32 v14, v101, v15, -v102
	s_delay_alu instid0(VALU_DEP_1) | instskip(NEXT) | instid1(VALU_DEP_1)
	v_fmac_f32_e32 v14, v101, v13
	v_add_f32_e32 v103, v102, v14
	s_delay_alu instid0(VALU_DEP_1) | instskip(SKIP_1) | instid1(VALU_DEP_1)
	v_sub_f32_e32 v12, v103, v102
	v_sub_f32_e32 v104, v17, v103
	v_dual_sub_f32 v12, v12, v14 :: v_dual_sub_f32 v17, v17, v104
	s_delay_alu instid0(VALU_DEP_1) | instskip(NEXT) | instid1(VALU_DEP_1)
	v_sub_f32_e32 v17, v17, v103
	v_add_f32_e32 v9, v9, v17
	s_delay_alu instid0(VALU_DEP_1) | instskip(NEXT) | instid1(VALU_DEP_1)
	v_add_f32_e32 v9, v12, v9
	v_add_f32_e32 v12, v104, v9
	s_delay_alu instid0(VALU_DEP_1) | instskip(SKIP_1) | instid1(VALU_DEP_2)
	v_mul_f32_e32 v14, v11, v12
	v_sub_f32_e32 v103, v104, v12
	v_mul_f32_e32 v17, v15, v14
	s_delay_alu instid0(VALU_DEP_2) | instskip(NEXT) | instid1(VALU_DEP_2)
	v_add_f32_e32 v9, v9, v103
	v_fma_f32 v15, v14, v15, -v17
	s_delay_alu instid0(VALU_DEP_1) | instskip(NEXT) | instid1(VALU_DEP_1)
	v_fmac_f32_e32 v15, v14, v13
	v_add_f32_e32 v13, v17, v15
	s_delay_alu instid0(VALU_DEP_1) | instskip(NEXT) | instid1(VALU_DEP_1)
	v_sub_f32_e32 v102, v12, v13
	v_dual_sub_f32 v17, v13, v17 :: v_dual_sub_f32 v12, v12, v102
	s_delay_alu instid0(VALU_DEP_1) | instskip(NEXT) | instid1(VALU_DEP_1)
	v_dual_sub_f32 v12, v12, v13 :: v_dual_sub_f32 v13, v17, v15
	v_add_f32_e32 v9, v9, v12
	v_add_f32_e32 v12, v101, v14
	s_delay_alu instid0(VALU_DEP_2) | instskip(NEXT) | instid1(VALU_DEP_2)
	v_add_f32_e32 v9, v13, v9
	v_sub_f32_e32 v13, v12, v101
	s_delay_alu instid0(VALU_DEP_2) | instskip(NEXT) | instid1(VALU_DEP_2)
	v_add_f32_e32 v9, v102, v9
	v_sub_f32_e32 v13, v14, v13
	s_delay_alu instid0(VALU_DEP_2) | instskip(NEXT) | instid1(VALU_DEP_1)
	v_mul_f32_e32 v9, v11, v9
	v_add_f32_e32 v9, v13, v9
	s_delay_alu instid0(VALU_DEP_1) | instskip(NEXT) | instid1(VALU_DEP_1)
	v_add_f32_e32 v11, v12, v9
	v_mul_f32_e32 v13, v11, v11
	s_delay_alu instid0(VALU_DEP_1) | instskip(SKIP_1) | instid1(VALU_DEP_2)
	v_fmaak_f32 v14, s84, v13, 0x3ecc95a3
	v_mul_f32_e32 v15, v11, v13
	v_fmaak_f32 v13, v13, v14, 0x3f2aaada
	v_ldexp_f32 v14, v11, 1
	v_sub_f32_e32 v11, v11, v12
	s_delay_alu instid0(VALU_DEP_3) | instskip(SKIP_1) | instid1(VALU_DEP_2)
	v_mul_f32_e32 v13, v15, v13
	v_mul_f32_e32 v15, 0x3f317218, v8
	v_dual_sub_f32 v9, v9, v11 :: v_dual_add_f32 v12, v14, v13
	s_delay_alu instid0(VALU_DEP_1) | instskip(NEXT) | instid1(VALU_DEP_2)
	v_ldexp_f32 v9, v9, 1
	v_sub_f32_e32 v11, v12, v14
	s_delay_alu instid0(VALU_DEP_4) | instskip(NEXT) | instid1(VALU_DEP_1)
	v_fma_f32 v14, 0x3f317218, v8, -v15
	v_dual_sub_f32 v11, v13, v11 :: v_dual_fmac_f32 v14, 0xb102e308, v8
	s_delay_alu instid0(VALU_DEP_1) | instskip(NEXT) | instid1(VALU_DEP_1)
	v_dual_add_f32 v8, v9, v11 :: v_dual_add_f32 v9, v15, v14
	v_add_f32_e32 v11, v12, v8
	s_delay_alu instid0(VALU_DEP_2) | instskip(NEXT) | instid1(VALU_DEP_2)
	v_sub_f32_e32 v15, v9, v15
	v_dual_add_f32 v13, v9, v11 :: v_dual_sub_f32 v12, v11, v12
	s_delay_alu instid0(VALU_DEP_1) | instskip(NEXT) | instid1(VALU_DEP_1)
	v_dual_sub_f32 v14, v14, v15 :: v_dual_sub_f32 v17, v13, v9
	v_dual_sub_f32 v8, v8, v12 :: v_dual_sub_f32 v101, v13, v17
	s_delay_alu instid0(VALU_DEP_1) | instskip(NEXT) | instid1(VALU_DEP_2)
	v_dual_sub_f32 v11, v11, v17 :: v_dual_add_f32 v12, v14, v8
	v_sub_f32_e32 v9, v9, v101
	s_delay_alu instid0(VALU_DEP_1) | instskip(NEXT) | instid1(VALU_DEP_3)
	v_add_f32_e32 v9, v11, v9
	v_sub_f32_e32 v11, v12, v14
	s_delay_alu instid0(VALU_DEP_2) | instskip(NEXT) | instid1(VALU_DEP_2)
	v_add_f32_e32 v9, v12, v9
	v_sub_f32_e32 v12, v12, v11
	s_delay_alu instid0(VALU_DEP_2) | instskip(NEXT) | instid1(VALU_DEP_1)
	v_dual_sub_f32 v8, v8, v11 :: v_dual_add_f32 v15, v13, v9
	v_dual_sub_f32 v12, v14, v12 :: v_dual_sub_f32 v11, v15, v13
	s_delay_alu instid0(VALU_DEP_1) | instskip(NEXT) | instid1(VALU_DEP_1)
	v_dual_add_f32 v8, v8, v12 :: v_dual_sub_f32 v9, v9, v11
	v_add_f32_e32 v8, v8, v9
	s_delay_alu instid0(VALU_DEP_1) | instskip(NEXT) | instid1(VALU_DEP_1)
	v_add_f32_e32 v8, v15, v8
	v_cndmask_b32_e32 v125, v8, v10, vcc_lo
.LBB28_106:                             ;   in Loop: Header=BB28_12 Depth=1
	s_or_b32 exec_lo, exec_lo, s30
	v_and_b32_e32 v10, 0xffff0000, v5
	v_lshlrev_b32_e32 v5, 16, v5
	v_and_b32_e32 v9, 0xffff0000, v6
	v_and_b32_e32 v14, 0xffff0000, v7
	;; [unrolled: 1-line block ×4, first 2 shown]
	v_lshlrev_b32_e32 v1, 16, v1
	v_and_b32_e32 v12, 0xffff0000, v2
	v_lshlrev_b32_e32 v0, 16, v0
	v_lshlrev_b32_e32 v2, 16, v2
	v_mul_f32_e32 v106, s68, v5
	v_dual_mul_f32 v103, s68, v9 :: v_dual_lshlrev_b32 v8, 16, v7
	v_lshlrev_b32_e32 v6, 16, v6
	v_mul_f32_e32 v120, s68, v15
	s_delay_alu instid0(VALU_DEP_3)
	v_dual_mul_f32 v118, s68, v13 :: v_dual_mul_f32 v101, s68, v8
	v_mul_f32_e32 v119, s68, v0
	v_dual_mul_f32 v114, s68, v2 :: v_dual_and_b32 v11, 0xffff0000, v3
	v_and_b32_e32 v7, 0xffff0000, v4
	v_lshlrev_b32_e32 v3, 16, v3
	v_lshlrev_b32_e32 v4, 16, v4
	v_mul_f32_e32 v102, s68, v6
	v_mul_f32_e32 v112, s68, v11
	s_and_b32 vcc_lo, exec_lo, s81
	v_mul_f32_e32 v111, s68, v3
	v_mul_f32_e32 v109, s68, v4
	;; [unrolled: 1-line block ×3, first 2 shown]
	v_dual_mul_f32 v104, s68, v14 :: v_dual_mul_f32 v117, s68, v1
	v_dual_mul_f32 v110, s68, v7 :: v_dual_mul_f32 v115, s68, v12
	s_barrier
	buffer_gl0_inv
	s_cbranch_vccz .LBB28_204
; %bb.107:                              ;   in Loop: Header=BB28_12 Depth=1
	v_dual_mul_f32 v126, v125, v14 :: v_dual_mul_f32 v131, v124, v8
	v_add_co_u32 v14, s29, s61, v16
	s_delay_alu instid0(VALU_DEP_1) | instskip(SKIP_1) | instid1(VALU_DEP_1)
	v_add_co_ci_u32_e64 v17, null, s62, 0, s29
	v_add_co_u32 v16, s29, s49, v16
	v_add_co_ci_u32_e64 v130, null, s74, 0, s29
	s_delay_alu instid0(VALU_DEP_4) | instskip(NEXT) | instid1(VALU_DEP_4)
	v_add_co_u32 v127, vcc_lo, v14, v93
	v_add_co_ci_u32_e32 v128, vcc_lo, 0, v17, vcc_lo
	s_delay_alu instid0(VALU_DEP_4) | instskip(NEXT) | instid1(VALU_DEP_4)
	v_add_co_u32 v129, vcc_lo, v16, v93
	v_add_co_ci_u32_e32 v130, vcc_lo, 0, v130, vcc_lo
	v_cmp_gt_u32_e32 vcc_lo, s41, v18
	s_cmp_lg_u32 s86, 0
	v_cmp_gt_u32_e64 s31, s41, v79
	s_cselect_b32 s51, -1, 0
	s_cmp_eq_u32 s86, s83
	v_cmp_gt_u32_e64 s33, s41, v80
	s_cselect_b32 s87, -1, 0
	s_or_b32 s29, s82, vcc_lo
	v_cmp_gt_u32_e32 vcc_lo, s41, v78
	v_cmp_gt_u32_e64 s34, s41, v81
	v_cmp_gt_u32_e64 s35, s41, v82
	;; [unrolled: 1-line block ×4, first 2 shown]
	s_or_b32 s30, s82, vcc_lo
	v_cmp_gt_u32_e32 vcc_lo, s41, v83
	v_cmp_gt_u32_e64 s39, s41, v86
	v_cmp_gt_u32_e64 s40, s41, v87
	;; [unrolled: 1-line block ×4, first 2 shown]
	s_or_b32 s36, s82, vcc_lo
	v_cmp_gt_u32_e32 vcc_lo, s41, v88
	v_cmp_gt_u32_e64 s44, s41, v91
	v_cmp_gt_u32_e64 s45, s41, v92
	v_dual_mul_f32 v132, v123, v9 :: v_dual_mul_f32 v133, v122, v6
	v_dual_mul_f32 v134, v121, v10 :: v_dual_mul_f32 v135, v116, v5
	;; [unrolled: 1-line block ×7, first 2 shown]
	s_mov_b32 s64, 0
	s_or_b32 s31, s82, s31
	s_or_b32 s33, s82, s33
	;; [unrolled: 1-line block ×8, first 2 shown]
	s_or_b32 s41, s82, vcc_lo
	s_or_b32 s42, s82, s42
	s_or_b32 s43, s82, s43
	;; [unrolled: 1-line block ×4, first 2 shown]
	s_mov_b32 s52, s64
	s_mov_b32 s54, s64
	;; [unrolled: 1-line block ×5, first 2 shown]
	s_branch .LBB28_109
.LBB28_108:                             ;   in Loop: Header=BB28_109 Depth=2
	s_or_b32 exec_lo, exec_lo, s46
	v_cndmask_b32_e64 v9, v175, v11, s12
	v_cndmask_b32_e64 v10, v174, v10, s12
	s_add_i32 s88, s88, -1
	s_add_i32 s89, s89, 8
	s_add_i32 s58, s58, s75
	v_fma_f32 v9, v9, v149, v148
	v_mul_f32_e32 v10, v10, v149
	s_add_i32 s54, s54, s48
	s_add_i32 s52, s52, s60
	;; [unrolled: 1-line block ×3, first 2 shown]
	v_cndmask_b32_e64 v9, v9, v148, s11
	v_cndmask_b32_e64 v10, v10, v149, s11
	s_cmp_eq_u32 s88, 0
	s_waitcnt lgkmcnt(0)
	s_delay_alu instid0(VALU_DEP_1) | instskip(NEXT) | instid1(VALU_DEP_1)
	v_dual_fmac_f32 v9, v8, v10 :: v_dual_and_b32 v10, 0xffff0000, v5
	v_dual_fmac_f32 v12, v9, v151 :: v_dual_lshlrev_b32 v5, 16, v5
	s_delay_alu instid0(VALU_DEP_1) | instskip(NEXT) | instid1(VALU_DEP_1)
	v_fmac_f32_e32 v13, v12, v152
	v_fmac_f32_e32 v14, v13, v154
	s_delay_alu instid0(VALU_DEP_3) | instskip(NEXT) | instid1(VALU_DEP_2)
	v_fmac_f32_e32 v117, v13, v5
	v_fmac_f32_e32 v15, v14, v157
	s_delay_alu instid0(VALU_DEP_1) | instskip(NEXT) | instid1(VALU_DEP_1)
	v_fmac_f32_e32 v146, v15, v158
	v_fmac_f32_e32 v147, v146, v159
	s_delay_alu instid0(VALU_DEP_1) | instskip(NEXT) | instid1(VALU_DEP_1)
	v_fmac_f32_e32 v150, v147, v160
	v_dual_fmac_f32 v153, v150, v162 :: v_dual_and_b32 v8, 0xffff0000, v4
	v_lshlrev_b32_e32 v4, 16, v4
	s_delay_alu instid0(VALU_DEP_2) | instskip(SKIP_1) | instid1(VALU_DEP_3)
	v_dual_fmac_f32 v120, v12, v8 :: v_dual_fmac_f32 v155, v153, v163
	v_and_b32_e32 v11, 0xffff0000, v6
	v_dual_fmac_f32 v119, v9, v4 :: v_dual_and_b32 v16, 0xffff0000, v7
	s_delay_alu instid0(VALU_DEP_3) | instskip(NEXT) | instid1(VALU_DEP_3)
	v_dual_fmac_f32 v156, v155, v164 :: v_dual_lshlrev_b32 v7, 16, v7
	v_dual_fmac_f32 v115, v146, v11 :: v_dual_and_b32 v148, 0xffff0000, v1
	s_delay_alu instid0(VALU_DEP_2) | instskip(NEXT) | instid1(VALU_DEP_3)
	v_dual_fmac_f32 v112, v150, v16 :: v_dual_fmac_f32 v111, v147, v7
	v_dual_fmac_f32 v161, v156, v172 :: v_dual_lshlrev_b32 v6, 16, v6
	v_dual_fmac_f32 v118, v14, v10 :: v_dual_lshlrev_b32 v1, 16, v1
	s_delay_alu instid0(VALU_DEP_2) | instskip(SKIP_3) | instid1(VALU_DEP_4)
	v_fmac_f32_e32 v165, v161, v167
	v_and_b32_e32 v17, 0xffff0000, v0
	v_lshlrev_b32_e32 v0, 16, v0
	v_dual_fmac_f32 v114, v15, v6 :: v_dual_and_b32 v151, 0xffff0000, v3
	v_dual_fmac_f32 v166, v165, v169 :: v_dual_and_b32 v149, 0xffff0000, v2
	v_lshlrev_b32_e32 v2, 16, v2
	v_lshlrev_b32_e32 v3, 16, v3
	v_dual_fmac_f32 v109, v153, v0 :: v_dual_fmac_f32 v110, v155, v17
	s_delay_alu instid0(VALU_DEP_4) | instskip(SKIP_2) | instid1(VALU_DEP_3)
	v_fmac_f32_e32 v168, v166, v171
	v_dual_fmac_f32 v106, v156, v1 :: v_dual_fmac_f32 v107, v161, v148
	v_dual_fmac_f32 v102, v165, v2 :: v_dual_fmac_f32 v103, v166, v149
	v_fmac_f32_e32 v170, v168, v173
	v_fmac_f32_e32 v101, v168, v3
	s_delay_alu instid0(VALU_DEP_2)
	v_fmac_f32_e32 v104, v170, v151
	s_cbranch_scc1 .LBB28_204
.LBB28_109:                             ;   Parent Loop BB28_12 Depth=1
                                        ; =>  This Inner Loop Header: Depth=2
	s_lshl_b64 s[46:47], s[64:65], 2
	s_mov_b32 s53, s65
	s_add_u32 s46, s72, s46
	s_addc_u32 s47, s73, s47
	v_dual_mov_b32 v2, 0 :: v_dual_mov_b32 v3, 0
	global_load_b32 v146, v21, s[46:47]
	s_lshl_b64 s[46:47], s[52:53], 1
	s_delay_alu instid0(SALU_CYCLE_1)
	v_add_co_u32 v0, vcc_lo, v127, s46
	v_add_co_ci_u32_e32 v1, vcc_lo, s47, v128, vcc_lo
	s_and_saveexec_b32 s46, s13
	s_cbranch_execz .LBB28_111
; %bb.110:                              ;   in Loop: Header=BB28_109 Depth=2
	global_load_u16 v3, v[0:1], off
.LBB28_111:                             ;   in Loop: Header=BB28_109 Depth=2
	s_or_b32 exec_lo, exec_lo, s46
	s_and_saveexec_b32 s46, s14
	s_cbranch_execz .LBB28_113
; %bb.112:                              ;   in Loop: Header=BB28_109 Depth=2
	global_load_u16 v2, v[0:1], off offset:64
.LBB28_113:                             ;   in Loop: Header=BB28_109 Depth=2
	s_or_b32 exec_lo, exec_lo, s46
	v_dual_mov_b32 v4, 0 :: v_dual_mov_b32 v5, 0
	s_and_saveexec_b32 s46, s15
	s_cbranch_execz .LBB28_115
; %bb.114:                              ;   in Loop: Header=BB28_109 Depth=2
	global_load_u16 v5, v[0:1], off offset:128
.LBB28_115:                             ;   in Loop: Header=BB28_109 Depth=2
	s_or_b32 exec_lo, exec_lo, s46
	s_and_saveexec_b32 s46, s16
	s_cbranch_execz .LBB28_117
; %bb.116:                              ;   in Loop: Header=BB28_109 Depth=2
	global_load_u16 v4, v[0:1], off offset:192
.LBB28_117:                             ;   in Loop: Header=BB28_109 Depth=2
	s_or_b32 exec_lo, exec_lo, s46
	v_dual_mov_b32 v6, 0 :: v_dual_mov_b32 v7, 0
	s_and_saveexec_b32 s46, s17
	s_cbranch_execz .LBB28_119
; %bb.118:                              ;   in Loop: Header=BB28_109 Depth=2
	global_load_u16 v7, v[0:1], off offset:256
.LBB28_119:                             ;   in Loop: Header=BB28_109 Depth=2
	s_or_b32 exec_lo, exec_lo, s46
	s_and_saveexec_b32 s46, s18
	s_cbranch_execz .LBB28_121
; %bb.120:                              ;   in Loop: Header=BB28_109 Depth=2
	global_load_u16 v6, v[0:1], off offset:320
.LBB28_121:                             ;   in Loop: Header=BB28_109 Depth=2
	s_or_b32 exec_lo, exec_lo, s46
	v_dual_mov_b32 v8, 0 :: v_dual_mov_b32 v9, 0
	s_and_saveexec_b32 s46, s19
	s_cbranch_execz .LBB28_123
; %bb.122:                              ;   in Loop: Header=BB28_109 Depth=2
	global_load_u16 v9, v[0:1], off offset:384
.LBB28_123:                             ;   in Loop: Header=BB28_109 Depth=2
	s_or_b32 exec_lo, exec_lo, s46
	s_and_saveexec_b32 s46, s20
	s_cbranch_execz .LBB28_125
; %bb.124:                              ;   in Loop: Header=BB28_109 Depth=2
	global_load_u16 v8, v[0:1], off offset:448
.LBB28_125:                             ;   in Loop: Header=BB28_109 Depth=2
	s_or_b32 exec_lo, exec_lo, s46
	v_dual_mov_b32 v10, 0 :: v_dual_mov_b32 v11, 0
	s_and_saveexec_b32 s46, s21
	s_cbranch_execz .LBB28_127
; %bb.126:                              ;   in Loop: Header=BB28_109 Depth=2
	global_load_u16 v11, v[0:1], off offset:512
.LBB28_127:                             ;   in Loop: Header=BB28_109 Depth=2
	s_or_b32 exec_lo, exec_lo, s46
	s_and_saveexec_b32 s46, s22
	s_cbranch_execz .LBB28_129
; %bb.128:                              ;   in Loop: Header=BB28_109 Depth=2
	global_load_u16 v10, v[0:1], off offset:576
.LBB28_129:                             ;   in Loop: Header=BB28_109 Depth=2
	s_or_b32 exec_lo, exec_lo, s46
	v_dual_mov_b32 v12, 0 :: v_dual_mov_b32 v13, 0
	s_and_saveexec_b32 s46, s23
	s_cbranch_execz .LBB28_131
; %bb.130:                              ;   in Loop: Header=BB28_109 Depth=2
	global_load_u16 v13, v[0:1], off offset:640
.LBB28_131:                             ;   in Loop: Header=BB28_109 Depth=2
	s_or_b32 exec_lo, exec_lo, s46
	s_and_saveexec_b32 s46, s24
	s_cbranch_execz .LBB28_133
; %bb.132:                              ;   in Loop: Header=BB28_109 Depth=2
	global_load_u16 v12, v[0:1], off offset:704
.LBB28_133:                             ;   in Loop: Header=BB28_109 Depth=2
	s_or_b32 exec_lo, exec_lo, s46
	v_dual_mov_b32 v14, 0 :: v_dual_mov_b32 v15, 0
	s_and_saveexec_b32 s46, s25
	s_cbranch_execz .LBB28_135
; %bb.134:                              ;   in Loop: Header=BB28_109 Depth=2
	global_load_u16 v15, v[0:1], off offset:768
.LBB28_135:                             ;   in Loop: Header=BB28_109 Depth=2
	s_or_b32 exec_lo, exec_lo, s46
	s_and_saveexec_b32 s46, s26
	s_cbranch_execz .LBB28_137
; %bb.136:                              ;   in Loop: Header=BB28_109 Depth=2
	global_load_u16 v14, v[0:1], off offset:832
.LBB28_137:                             ;   in Loop: Header=BB28_109 Depth=2
	s_or_b32 exec_lo, exec_lo, s46
	v_dual_mov_b32 v16, 0 :: v_dual_mov_b32 v17, 0
	s_and_saveexec_b32 s46, s27
	s_cbranch_execz .LBB28_139
; %bb.138:                              ;   in Loop: Header=BB28_109 Depth=2
	global_load_u16 v17, v[0:1], off offset:896
.LBB28_139:                             ;   in Loop: Header=BB28_109 Depth=2
	s_or_b32 exec_lo, exec_lo, s46
	s_and_saveexec_b32 s46, s28
	s_cbranch_execz .LBB28_141
; %bb.140:                              ;   in Loop: Header=BB28_109 Depth=2
	global_load_u16 v16, v[0:1], off offset:960
.LBB28_141:                             ;   in Loop: Header=BB28_109 Depth=2
	s_or_b32 exec_lo, exec_lo, s46
	s_waitcnt vmcnt(0)
	ds_store_b16 v37, v3
	ds_store_b16 v37, v2 offset:64
	ds_store_b16 v38, v5 offset:128
	;; [unrolled: 1-line block ×15, first 2 shown]
	; wave barrier
	ds_load_b128 v[12:15], v52
	ds_load_b128 v[8:11], v52 offset:16
	s_mov_b32 s55, s65
	v_dual_mov_b32 v2, 0 :: v_dual_mov_b32 v3, 0
	s_lshl_b64 s[46:47], s[54:55], 1
	s_delay_alu instid0(SALU_CYCLE_1)
	v_add_co_u32 v0, vcc_lo, v129, s46
	v_add_co_ci_u32_e32 v1, vcc_lo, s47, v130, vcc_lo
	s_and_saveexec_b32 s46, s13
	s_cbranch_execz .LBB28_143
; %bb.142:                              ;   in Loop: Header=BB28_109 Depth=2
	global_load_u16 v3, v[0:1], off
.LBB28_143:                             ;   in Loop: Header=BB28_109 Depth=2
	s_or_b32 exec_lo, exec_lo, s46
	s_and_saveexec_b32 s46, s14
	s_cbranch_execz .LBB28_145
; %bb.144:                              ;   in Loop: Header=BB28_109 Depth=2
	global_load_u16 v2, v[0:1], off offset:64
.LBB28_145:                             ;   in Loop: Header=BB28_109 Depth=2
	s_or_b32 exec_lo, exec_lo, s46
	v_dual_mov_b32 v4, 0 :: v_dual_mov_b32 v5, 0
	s_and_saveexec_b32 s46, s15
	s_cbranch_execz .LBB28_147
; %bb.146:                              ;   in Loop: Header=BB28_109 Depth=2
	global_load_u16 v5, v[0:1], off offset:128
.LBB28_147:                             ;   in Loop: Header=BB28_109 Depth=2
	s_or_b32 exec_lo, exec_lo, s46
	s_and_saveexec_b32 s46, s16
	s_cbranch_execz .LBB28_149
; %bb.148:                              ;   in Loop: Header=BB28_109 Depth=2
	global_load_u16 v4, v[0:1], off offset:192
.LBB28_149:                             ;   in Loop: Header=BB28_109 Depth=2
	s_or_b32 exec_lo, exec_lo, s46
	v_dual_mov_b32 v6, 0 :: v_dual_mov_b32 v7, 0
	s_and_saveexec_b32 s46, s17
	s_cbranch_execz .LBB28_151
; %bb.150:                              ;   in Loop: Header=BB28_109 Depth=2
	global_load_u16 v7, v[0:1], off offset:256
.LBB28_151:                             ;   in Loop: Header=BB28_109 Depth=2
	;; [unrolled: 13-line block ×7, first 2 shown]
	s_or_b32 exec_lo, exec_lo, s46
	s_and_saveexec_b32 s46, s28
	s_cbranch_execz .LBB28_173
; %bb.172:                              ;   in Loop: Header=BB28_109 Depth=2
	global_load_u16 v153, v[0:1], off offset:960
.LBB28_173:                             ;   in Loop: Header=BB28_109 Depth=2
	s_or_b32 exec_lo, exec_lo, s46
	s_waitcnt vmcnt(0)
	ds_store_b16 v37, v3 offset:4224
	ds_store_b16 v53, v2 offset:64
	;; [unrolled: 1-line block ×16, first 2 shown]
	; wave barrier
	ds_load_b128 v[4:7], v52 offset:4224
	ds_load_b128 v[0:3], v68 offset:16
	s_and_not1_b32 vcc_lo, exec_lo, s51
	s_cbranch_vccnz .LBB28_175
; %bb.174:                              ;   in Loop: Header=BB28_109 Depth=2
	v_mov_b32_e32 v16, s89
	ds_load_b64 v[16:17], v16
	s_cbranch_execz .LBB28_176
	s_branch .LBB28_179
.LBB28_175:                             ;   in Loop: Header=BB28_109 Depth=2
                                        ; implicit-def: $vgpr16
.LBB28_176:                             ;   in Loop: Header=BB28_109 Depth=2
	s_waitcnt lgkmcnt(0)
	v_mov_b32_e32 v17, 0
	s_and_not1_b32 vcc_lo, exec_lo, s66
	s_cbranch_vccnz .LBB28_178
; %bb.177:                              ;   in Loop: Header=BB28_109 Depth=2
	s_mov_b32 s59, s65
	s_delay_alu instid0(SALU_CYCLE_1) | instskip(NEXT) | instid1(SALU_CYCLE_1)
	s_lshl_b64 s[46:47], s[58:59], 1
	s_add_u32 s46, s76, s46
	s_addc_u32 s47, s77, s47
	global_load_u16 v16, v21, s[46:47]
	s_waitcnt vmcnt(0)
	v_lshlrev_b32_e32 v17, 16, v16
.LBB28_178:                             ;   in Loop: Header=BB28_109 Depth=2
	v_mov_b32_e32 v16, 1.0
.LBB28_179:                             ;   in Loop: Header=BB28_109 Depth=2
	s_waitcnt lgkmcnt(19)
	v_dual_mul_f32 v168, 0x3fb8aa3b, v146 :: v_dual_lshlrev_b32 v147, 16, v12
	v_and_b32_e32 v12, 0xffff0000, v12
	v_lshlrev_b32_e32 v146, 16, v13
	v_and_b32_e32 v150, 0xffff0000, v13
	v_lshlrev_b32_e32 v153, 16, v14
	v_mul_f32_e32 v13, v168, v94
	v_dual_mul_f32 v14, v168, v95 :: v_dual_and_b32 v155, 0xffff0000, v14
	v_dual_mul_f32 v149, v168, v97 :: v_dual_lshlrev_b32 v156, 16, v15
	s_delay_alu instid0(VALU_DEP_3) | instskip(SKIP_1) | instid1(VALU_DEP_4)
	v_cmp_gt_f32_e32 vcc_lo, 0xc2fc0000, v13
	v_dual_mul_f32 v12, v144, v12 :: v_dual_and_b32 v159, 0xffff0000, v15
	v_cmp_gt_f32_e64 s46, 0xc2fc0000, v14
	v_mul_f32_e32 v15, v168, v96
	v_cndmask_b32_e64 v13, 0, 0x42800000, vcc_lo
	v_cndmask_b32_e64 v148, 1.0, 0x1f800000, vcc_lo
	s_waitcnt lgkmcnt(18)
	v_lshlrev_b32_e32 v165, 16, v10
	v_cndmask_b32_e64 v14, 0, 0x42800000, s46
	v_mul_f32_e32 v147, v145, v147
	v_fmac_f32_e32 v13, v168, v94
	v_dual_mul_f32 v146, v143, v146 :: v_dual_lshlrev_b32 v161, 16, v8
	v_and_b32_e32 v8, 0xffff0000, v8
	v_fmac_f32_e32 v14, v168, v95
	s_delay_alu instid0(VALU_DEP_4) | instskip(SKIP_2) | instid1(VALU_DEP_3)
	v_exp_f32_e32 v13, v13
	v_cmp_gt_f32_e32 vcc_lo, 0xc2fc0000, v15
	v_dual_mul_f32 v155, v140, v155 :: v_dual_and_b32 v10, 0xffff0000, v10
	v_exp_f32_e32 v14, v14
	v_dual_mul_f32 v161, v137, v161 :: v_dual_mul_f32 v8, v136, v8
	v_cndmask_b32_e64 v15, 0, 0x42800000, vcc_lo
	v_lshlrev_b32_e32 v170, 16, v11
	v_and_b32_e32 v11, 0xffff0000, v11
	s_delay_alu instid0(TRANS32_DEP_2)
	v_mul_f32_e32 v13, v13, v148
	v_cndmask_b32_e64 v148, 0, v147, s29
	v_cndmask_b32_e64 v147, 1.0, 0x1f800000, s46
	v_cmp_gt_f32_e64 s46, 0xc2fc0000, v149
	v_fmac_f32_e32 v15, v168, v96
	v_cndmask_b32_e64 v149, 1.0, v13, s29
	v_cndmask_b32_e64 v12, 0, v12, s30
	v_mul_f32_e32 v13, v14, v147
	v_cndmask_b32_e64 v151, 0, 0x42800000, s46
	v_exp_f32_e32 v14, v15
	v_cndmask_b32_e64 v147, 1.0, 0x1f800000, vcc_lo
	v_lshlrev_b32_e32 v163, 16, v9
	v_mul_f32_e32 v15, v168, v98
	v_fmac_f32_e32 v151, v168, v97
	v_and_b32_e32 v9, 0xffff0000, v9
	v_mul_f32_e32 v171, v168, v123
	v_mul_f32_e32 v173, v168, v125
	v_cmp_gt_f32_e32 vcc_lo, 0xc2fc0000, v15
	v_exp_f32_e32 v154, v151
	v_mul_f32_e32 v14, v14, v147
	v_cndmask_b32_e64 v147, 1.0, 0x1f800000, s46
	v_mul_f32_e32 v157, v168, v105
	v_cndmask_b32_e64 v15, 0, 0x42800000, vcc_lo
	v_mul_f32_e32 v160, v168, v108
	v_cndmask_b32_e64 v152, 1.0, v14, s31
	v_mul_f32_e32 v14, v142, v150
	v_mul_f32_e32 v150, v168, v100
	v_fmac_f32_e32 v15, v168, v98
	v_mul_f32_e32 v147, v154, v147
	v_cmp_gt_f32_e64 s47, 0xc2fc0000, v157
	v_cndmask_b32_e64 v14, 0, v14, s33
	v_mul_f32_e32 v162, v168, v116
	v_exp_f32_e32 v15, v15
	v_cndmask_b32_e64 v154, 1.0, v147, s33
	v_cndmask_b32_e64 v147, 1.0, 0x1f800000, vcc_lo
	v_cmp_gt_f32_e32 vcc_lo, 0xc2fc0000, v150
	v_mul_f32_e32 v170, v131, v170
	v_dual_mul_f32 v10, v132, v10 :: v_dual_mul_f32 v11, v126, v11
	v_cndmask_b32_e64 v150, 0, 0x42800000, vcc_lo
	s_delay_alu instid0(TRANS32_DEP_1) | instskip(SKIP_2) | instid1(VALU_DEP_4)
	v_mul_f32_e32 v147, v15, v147
	v_mul_f32_e32 v15, v141, v153
	v_cndmask_b32_e64 v153, 0, 0x42800000, s47
	v_fmac_f32_e32 v150, v168, v100
	v_cndmask_b32_e64 v151, 1.0, v13, s30
	v_cndmask_b32_e64 v13, 0, v146, s31
	v_mul_f32_e32 v146, v168, v99
	v_cndmask_b32_e64 v157, 1.0, v147, s34
	v_exp_f32_e32 v150, v150
	v_fma_f32 v169, v151, v148, v12
	v_cndmask_b32_e64 v15, 0, v15, s34
	v_cmp_gt_f32_e64 s46, 0xc2fc0000, v146
	s_delay_alu instid0(VALU_DEP_1) | instskip(SKIP_1) | instid1(VALU_DEP_2)
	v_cndmask_b32_e64 v146, 0, 0x42800000, s46
	v_cndmask_b32_e64 v158, 1.0, 0x1f800000, s46
	v_fmac_f32_e32 v146, v168, v99
	s_delay_alu instid0(VALU_DEP_1)
	v_exp_f32_e32 v146, v146
	s_waitcnt_depctr 0xfff
	v_mul_f32_e32 v147, v146, v158
	v_cndmask_b32_e64 v146, 0, v155, s35
	v_cndmask_b32_e64 v155, 1.0, 0x1f800000, vcc_lo
	v_cmp_gt_f32_e32 vcc_lo, 0xc2fc0000, v160
	v_mul_f32_e32 v160, v138, v159
	v_cndmask_b32_e64 v158, 1.0, v147, s35
	s_delay_alu instid0(VALU_DEP_4)
	v_dual_mul_f32 v147, v139, v156 :: v_dual_mul_f32 v150, v150, v155
	v_cndmask_b32_e64 v155, 1.0, 0x1f800000, s47
	v_cmp_gt_f32_e64 s47, 0xc2fc0000, v162
	v_mul_f32_e32 v162, v168, v121
	v_cndmask_b32_e64 v156, 0, 0x42800000, vcc_lo
	v_cndmask_b32_e64 v164, 1.0, 0x1f800000, vcc_lo
	v_cndmask_b32_e64 v159, 1.0, v150, s36
	v_cndmask_b32_e64 v150, 0, v160, s37
	v_cmp_gt_f32_e32 vcc_lo, 0xc2fc0000, v162
	v_fmac_f32_e32 v156, v168, v108
	v_cndmask_b32_e64 v147, 0, v147, s36
	v_cndmask_b32_e64 v166, 0, 0x42800000, vcc_lo
	v_cndmask_b32_e64 v167, 1.0, 0x1f800000, vcc_lo
	s_delay_alu instid0(VALU_DEP_2) | instskip(NEXT) | instid1(VALU_DEP_1)
	v_fmac_f32_e32 v166, v168, v121
	v_exp_f32_e32 v166, v166
	v_fmac_f32_e32 v153, v168, v105
	s_delay_alu instid0(VALU_DEP_1) | instskip(SKIP_3) | instid1(VALU_DEP_2)
	v_exp_f32_e32 v153, v153
	s_waitcnt_depctr 0xfff
	v_mul_f32_e32 v153, v153, v155
	v_mul_f32_e32 v155, v168, v113
	v_cndmask_b32_e64 v160, 1.0, v153, s37
	s_delay_alu instid0(VALU_DEP_2) | instskip(SKIP_2) | instid1(VALU_DEP_2)
	v_cmp_gt_f32_e64 s46, 0xc2fc0000, v155
	v_exp_f32_e32 v153, v156
	v_cndmask_b32_e64 v156, 0, 0x42800000, s47
	v_cndmask_b32_e64 v155, 0, 0x42800000, s46
	s_delay_alu instid0(VALU_DEP_2)
	v_fmac_f32_e32 v156, v168, v116
	s_waitcnt_depctr 0xfff
	v_dual_fmac_f32 v155, v168, v113 :: v_dual_mul_f32 v162, v153, v164
	v_cndmask_b32_e64 v153, 0, v161, s38
	v_exp_f32_e32 v156, v156
	v_cndmask_b32_e64 v161, 1.0, 0x1f800000, s46
	s_delay_alu instid0(VALU_DEP_3) | instskip(SKIP_3) | instid1(VALU_DEP_2)
	v_exp_f32_e32 v155, v155
	v_cndmask_b32_e64 v164, 1.0, 0x1f800000, s47
	v_cmp_gt_f32_e64 s46, 0xc2fc0000, v171
	v_cndmask_b32_e64 v162, 1.0, v162, s38
	v_cndmask_b32_e64 v171, 1.0, 0x1f800000, s46
	s_waitcnt_depctr 0xfff
	v_dual_mul_f32 v164, v156, v164 :: v_dual_mul_f32 v161, v155, v161
	v_cndmask_b32_e64 v155, 0, v8, s39
	v_mul_f32_e32 v8, v135, v163
	s_delay_alu instid0(VALU_DEP_3) | instskip(NEXT) | instid1(VALU_DEP_4)
	v_cndmask_b32_e64 v164, 1.0, v164, s40
	v_cndmask_b32_e64 v163, 1.0, v161, s39
	v_mul_f32_e32 v161, v168, v122
	s_delay_alu instid0(VALU_DEP_4) | instskip(SKIP_1) | instid1(VALU_DEP_3)
	v_cndmask_b32_e64 v156, 0, v8, s40
	v_dual_mul_f32 v8, v166, v167 :: v_dual_mul_f32 v167, v151, v149
	v_cmp_gt_f32_e32 vcc_lo, 0xc2fc0000, v161
	s_delay_alu instid0(VALU_DEP_2) | instskip(SKIP_3) | instid1(VALU_DEP_3)
	v_cndmask_b32_e64 v172, 1.0, v8, s41
	v_cndmask_b32_e64 v166, 0, 0x42800000, vcc_lo
	v_mul_f32_e32 v9, v134, v9
	v_cndmask_b32_e64 v8, 1.0, 0x1f800000, vcc_lo
	v_fmac_f32_e32 v166, v168, v122
	s_delay_alu instid0(VALU_DEP_3)
	v_cndmask_b32_e64 v161, 0, v9, s41
	v_mul_f32_e32 v9, v167, v152
	v_fma_f32 v167, v169, v152, v13
	v_cndmask_b32_e64 v169, 0, 0x42800000, s46
	v_exp_f32_e32 v166, v166
	v_cmp_gt_f32_e64 s46, 0xc2fc0000, v173
	v_mul_f32_e32 v9, v9, v154
	v_fma_f32 v167, v167, v154, v14
	v_fmac_f32_e32 v169, v168, v123
	s_delay_alu instid0(VALU_DEP_3) | instskip(NEXT) | instid1(VALU_DEP_3)
	v_mul_f32_e32 v9, v9, v157
	v_fma_f32 v167, v167, v157, v15
	s_delay_alu instid0(VALU_DEP_3)
	v_exp_f32_e32 v169, v169
	s_delay_alu instid0(TRANS32_DEP_2) | instid1(VALU_DEP_2)
	v_dual_mul_f32 v8, v166, v8 :: v_dual_mul_f32 v9, v9, v158
	s_delay_alu instid0(VALU_DEP_2) | instskip(NEXT) | instid1(VALU_DEP_2)
	v_fma_f32 v166, v167, v158, v146
	v_cndmask_b32_e64 v167, 1.0, v8, s42
	s_delay_alu instid0(VALU_DEP_3) | instskip(NEXT) | instid1(VALU_DEP_3)
	v_mul_f32_e32 v8, v9, v159
	v_fma_f32 v9, v166, v159, v147
	v_mul_f32_e32 v166, v168, v124
	s_delay_alu instid0(VALU_DEP_3) | instskip(NEXT) | instid1(VALU_DEP_3)
	v_mul_f32_e32 v8, v8, v160
	v_fma_f32 v9, v9, v160, v150
	s_delay_alu instid0(VALU_DEP_3)
	v_cmp_gt_f32_e32 vcc_lo, 0xc2fc0000, v166
	v_mul_f32_e32 v165, v133, v165
	v_cndmask_b32_e64 v166, 0, v10, s43
	v_mul_f32_e32 v8, v8, v162
	v_fma_f32 v9, v9, v162, v153
	v_cndmask_b32_e64 v10, 0, 0x42800000, s46
	v_mul_f32_e32 v169, v169, v171
	v_cndmask_b32_e64 v171, 0, 0x42800000, vcc_lo
	v_mul_f32_e32 v8, v8, v163
	v_fma_f32 v9, v9, v163, v155
	v_fmac_f32_e32 v10, v168, v125
	v_cndmask_b32_e64 v165, 0, v165, s42
	v_fmac_f32_e32 v171, v168, v124
	v_mul_f32_e32 v8, v8, v164
	v_fma_f32 v9, v9, v164, v156
	v_cndmask_b32_e64 v168, 1.0, 0x1f800000, vcc_lo
	v_exp_f32_e32 v10, v10
	v_exp_f32_e32 v171, v171
	v_mul_f32_e32 v8, v8, v172
	v_fma_f32 v9, v9, v172, v161
	v_cndmask_b32_e64 v169, 1.0, v169, s43
	s_delay_alu instid0(VALU_DEP_3) | instskip(NEXT) | instid1(VALU_DEP_3)
	v_mul_f32_e32 v8, v8, v167
	v_fma_f32 v9, v9, v167, v165
	s_waitcnt_depctr 0xfff
	v_mul_f32_e32 v171, v171, v168
	v_cndmask_b32_e64 v168, 0, v170, s44
	v_cndmask_b32_e64 v170, 1.0, 0x1f800000, s46
	v_mul_f32_e32 v8, v8, v169
	v_fma_f32 v9, v9, v169, v166
	v_cndmask_b32_e64 v171, 1.0, v171, s44
	s_delay_alu instid0(VALU_DEP_4) | instskip(SKIP_1) | instid1(VALU_DEP_3)
	v_mul_f32_e32 v10, v10, v170
	v_cndmask_b32_e64 v170, 0, v11, s45
	v_mul_f32_e32 v8, v8, v171
	v_fma_f32 v9, v9, v171, v168
	s_delay_alu instid0(VALU_DEP_4) | instskip(NEXT) | instid1(VALU_DEP_1)
	v_cndmask_b32_e64 v173, 1.0, v10, s45
	v_mul_f32_e32 v8, v8, v173
	s_delay_alu instid0(VALU_DEP_3) | instskip(NEXT) | instid1(VALU_DEP_2)
	v_fma_f32 v9, v9, v173, v170
	v_mov_b32_dpp v11, v8 row_shr:1 row_mask:0xf bank_mask:0xf
	s_delay_alu instid0(VALU_DEP_2)
	v_mov_b32_dpp v10, v9 row_shr:1 row_mask:0xf bank_mask:0xf
	s_and_saveexec_b32 s46, s0
; %bb.180:                              ;   in Loop: Header=BB28_109 Depth=2
	s_delay_alu instid0(VALU_DEP_2) | instskip(NEXT) | instid1(VALU_DEP_1)
	v_mul_f32_e32 v11, v8, v11
	v_dual_fmac_f32 v9, v8, v10 :: v_dual_mov_b32 v8, v11
; %bb.181:                              ;   in Loop: Header=BB28_109 Depth=2
	s_or_b32 exec_lo, exec_lo, s46
	s_delay_alu instid0(VALU_DEP_1) | instskip(NEXT) | instid1(VALU_DEP_2)
	v_mov_b32_dpp v10, v8 row_shr:2 row_mask:0xf bank_mask:0xf
	v_mov_b32_dpp v11, v9 row_shr:2 row_mask:0xf bank_mask:0xf
	s_and_saveexec_b32 s46, s1
; %bb.182:                              ;   in Loop: Header=BB28_109 Depth=2
	s_delay_alu instid0(VALU_DEP_1) | instskip(NEXT) | instid1(VALU_DEP_3)
	v_fmac_f32_e32 v9, v8, v11
	v_mul_f32_e32 v8, v8, v10
; %bb.183:                              ;   in Loop: Header=BB28_109 Depth=2
	s_or_b32 exec_lo, exec_lo, s46
	s_delay_alu instid0(VALU_DEP_1) | instskip(NEXT) | instid1(VALU_DEP_3)
	v_mov_b32_dpp v10, v8 row_shr:4 row_mask:0xf bank_mask:0xf
	v_mov_b32_dpp v11, v9 row_shr:4 row_mask:0xf bank_mask:0xf
	s_and_saveexec_b32 s46, s2
; %bb.184:                              ;   in Loop: Header=BB28_109 Depth=2
	s_delay_alu instid0(VALU_DEP_1) | instskip(NEXT) | instid1(VALU_DEP_3)
	v_fmac_f32_e32 v9, v8, v11
	v_mul_f32_e32 v8, v8, v10
; %bb.185:                              ;   in Loop: Header=BB28_109 Depth=2
	s_or_b32 exec_lo, exec_lo, s46
	s_delay_alu instid0(VALU_DEP_1) | instskip(NEXT) | instid1(VALU_DEP_3)
	v_mov_b32_dpp v10, v8 row_shr:8 row_mask:0xf bank_mask:0xf
	v_mov_b32_dpp v11, v9 row_shr:8 row_mask:0xf bank_mask:0xf
	s_and_saveexec_b32 s46, s3
; %bb.186:                              ;   in Loop: Header=BB28_109 Depth=2
	s_delay_alu instid0(VALU_DEP_1) | instskip(NEXT) | instid1(VALU_DEP_3)
	v_fmac_f32_e32 v9, v8, v11
	v_mul_f32_e32 v8, v8, v10
; %bb.187:                              ;   in Loop: Header=BB28_109 Depth=2
	s_or_b32 exec_lo, exec_lo, s46
	ds_swizzle_b32 v11, v8 offset:swizzle(BROADCAST,32,15)
	ds_swizzle_b32 v10, v9 offset:swizzle(BROADCAST,32,15)
	s_and_saveexec_b32 s46, s4
	s_cbranch_execz .LBB28_189
; %bb.188:                              ;   in Loop: Header=BB28_109 Depth=2
	s_waitcnt lgkmcnt(1)
	v_mul_f32_e32 v11, v8, v11
	s_waitcnt lgkmcnt(0)
	s_delay_alu instid0(VALU_DEP_1)
	v_dual_fmac_f32 v9, v8, v10 :: v_dual_mov_b32 v8, v11
.LBB28_189:                             ;   in Loop: Header=BB28_109 Depth=2
	s_or_b32 exec_lo, exec_lo, s46
	s_and_saveexec_b32 s46, s5
	s_cbranch_execz .LBB28_191
; %bb.190:                              ;   in Loop: Header=BB28_109 Depth=2
	ds_store_b64 v69, v[8:9] offset:8448
.LBB28_191:                             ;   in Loop: Header=BB28_109 Depth=2
	s_or_b32 exec_lo, exec_lo, s46
	s_waitcnt lgkmcnt(0)
	s_waitcnt_vscnt null, 0x0
	s_barrier
	buffer_gl0_inv
	s_and_saveexec_b32 s46, s6
	s_cbranch_execz .LBB28_195
; %bb.192:                              ;   in Loop: Header=BB28_109 Depth=2
	ds_load_b64 v[10:11], v70 offset:8448
	s_waitcnt lgkmcnt(0)
	v_mov_b32_dpp v176, v10 row_shr:1 row_mask:0xf bank_mask:0xf
	v_mov_b32_dpp v175, v11 row_shr:1 row_mask:0xf bank_mask:0xf
	v_mov_b32_e32 v174, v10
	s_and_saveexec_b32 s47, s7
; %bb.193:                              ;   in Loop: Header=BB28_109 Depth=2
	s_delay_alu instid0(VALU_DEP_3) | instskip(NEXT) | instid1(VALU_DEP_3)
	v_mul_f32_e32 v174, v10, v176
	v_fmac_f32_e32 v11, v10, v175
	s_delay_alu instid0(VALU_DEP_2)
	v_mov_b32_e32 v10, v174
; %bb.194:                              ;   in Loop: Header=BB28_109 Depth=2
	s_or_b32 exec_lo, exec_lo, s47
	v_mov_b32_dpp v174, v174 row_shr:2 row_mask:0xf bank_mask:0xf
	s_delay_alu instid0(VALU_DEP_3) | instskip(NEXT) | instid1(VALU_DEP_2)
	v_mov_b32_dpp v175, v11 row_shr:2 row_mask:0xf bank_mask:0xf
	v_mul_f32_e32 v174, v10, v174
	s_delay_alu instid0(VALU_DEP_2) | instskip(NEXT) | instid1(VALU_DEP_2)
	v_fma_f32 v175, v10, v175, v11
	v_cndmask_b32_e64 v10, v10, v174, s8
	s_delay_alu instid0(VALU_DEP_2)
	v_cndmask_b32_e64 v11, v11, v175, s8
	ds_store_b64 v70, v[10:11] offset:8448
.LBB28_195:                             ;   in Loop: Header=BB28_109 Depth=2
	s_or_b32 exec_lo, exec_lo, s46
	s_waitcnt lgkmcnt(0)
	s_barrier
	buffer_gl0_inv
                                        ; implicit-def: $vgpr11
	s_and_saveexec_b32 s46, s10
	s_cbranch_execz .LBB28_197
; %bb.196:                              ;   in Loop: Header=BB28_109 Depth=2
	ds_load_b64 v[10:11], v69 offset:8440
	s_waitcnt lgkmcnt(0)
	v_mul_f32_e32 v174, v8, v10
	s_delay_alu instid0(VALU_DEP_1)
	v_dual_fmac_f32 v9, v8, v11 :: v_dual_mov_b32 v8, v174
.LBB28_197:                             ;   in Loop: Header=BB28_109 Depth=2
	s_or_b32 exec_lo, exec_lo, s46
	ds_bpermute_b32 v174, v71, v8
	ds_bpermute_b32 v175, v71, v9
	s_and_saveexec_b32 s46, s9
	s_cbranch_execz .LBB28_201
; %bb.198:                              ;   in Loop: Header=BB28_109 Depth=2
	ds_load_b64 v[8:9], v21 offset:8472
	s_and_saveexec_b32 s47, s11
	s_cbranch_execz .LBB28_200
; %bb.199:                              ;   in Loop: Header=BB28_109 Depth=2
	ds_store_b64 v21, v[16:17] offset:8472
.LBB28_200:                             ;   in Loop: Header=BB28_109 Depth=2
	s_or_b32 exec_lo, exec_lo, s47
	s_waitcnt lgkmcnt(0)
	v_fmac_f32_e32 v9, v8, v17
	s_delay_alu instid0(VALU_DEP_1)
	v_dual_mul_f32 v16, v16, v8 :: v_dual_mov_b32 v17, v9
.LBB28_201:                             ;   in Loop: Header=BB28_109 Depth=2
	s_or_b32 exec_lo, exec_lo, s46
	s_waitcnt lgkmcnt(0)
	s_barrier
	buffer_gl0_inv
	ds_load_b32 v8, v21 offset:8476
	s_and_saveexec_b32 s46, s11
	s_cbranch_execz .LBB28_108
; %bb.202:                              ;   in Loop: Header=BB28_109 Depth=2
	v_mov_b32_e32 v9, s89
	s_and_not1_b32 vcc_lo, exec_lo, s87
	ds_store_b64 v9, v[16:17]
	s_cbranch_vccnz .LBB28_108
; %bb.203:                              ;   in Loop: Header=BB28_109 Depth=2
	v_bfe_u32 v9, v17, 16, 1
	v_cmp_o_f32_e32 vcc_lo, v17, v17
	s_mov_b32 s59, s65
	s_delay_alu instid0(SALU_CYCLE_1) | instskip(NEXT) | instid1(VALU_DEP_2)
	s_lshl_b64 s[90:91], s[58:59], 1
	v_add3_u32 v9, v17, v9, 0x7fff
	s_add_u32 s90, s76, s90
	s_addc_u32 s91, s77, s91
	s_delay_alu instid0(VALU_DEP_1) | instskip(NEXT) | instid1(VALU_DEP_1)
	v_lshrrev_b32_e32 v9, 16, v9
	v_cndmask_b32_e32 v9, 0x7fc0, v9, vcc_lo
	global_store_b16 v21, v9, s[90:91]
	s_branch .LBB28_108
.LBB28_204:                             ;   in Loop: Header=BB28_12 Depth=1
	v_bfe_u32 v0, v119, 16, 1
	v_bfe_u32 v1, v120, 16, 1
	v_cmp_o_f32_e32 vcc_lo, v119, v119
	v_bfe_u32 v2, v117, 16, 1
	v_bfe_u32 v4, v115, 16, 1
	v_add3_u32 v0, v119, v0, 0x7fff
	v_add3_u32 v1, v120, v1, 0x7fff
	v_bfe_u32 v7, v111, 16, 1
	v_add3_u32 v2, v117, v2, 0x7fff
	v_bfe_u32 v6, v112, 16, 1
	v_lshrrev_b32_e32 v0, 16, v0
	v_lshrrev_b32_e32 v1, 16, v1
	v_add3_u32 v4, v115, v4, 0x7fff
	v_lshrrev_b32_e32 v2, 16, v2
	v_add3_u32 v7, v111, v7, 0x7fff
	v_cndmask_b32_e32 v0, 0x7fc0, v0, vcc_lo
	v_cmp_o_f32_e32 vcc_lo, v120, v120
	v_add3_u32 v6, v112, v6, 0x7fff
	v_bfe_u32 v3, v118, 16, 1
	v_bfe_u32 v10, v107, 16, 1
	;; [unrolled: 1-line block ×3, first 2 shown]
	v_cndmask_b32_e32 v5, 0x7fc0, v1, vcc_lo
	v_bfe_u32 v1, v114, 16, 1
	v_cmp_o_f32_e32 vcc_lo, v117, v117
	v_lshrrev_b32_e32 v6, 16, v6
	v_add3_u32 v3, v118, v3, 0x7fff
	v_bfe_u32 v12, v104, 16, 1
	v_add3_u32 v1, v114, v1, 0x7fff
	v_cndmask_b32_e32 v8, 0x7fc0, v2, vcc_lo
	v_cmp_o_f32_e32 vcc_lo, v114, v114
	v_lshrrev_b32_e32 v2, 16, v4
	v_lshrrev_b32_e32 v4, 16, v7
	;; [unrolled: 1-line block ×4, first 2 shown]
	v_bfe_u32 v7, v109, 16, 1
	v_add3_u32 v11, v101, v11, 0x7fff
	v_perm_b32 v0, v5, v0, 0x5040100
	v_cndmask_b32_e32 v1, 0x7fc0, v1, vcc_lo
	v_cmp_o_f32_e32 vcc_lo, v111, v111
	s_waitcnt_vscnt null, 0x0
	s_barrier
	buffer_gl0_inv
	s_mov_b32 s51, s65
	v_cndmask_b32_e32 v4, 0x7fc0, v4, vcc_lo
	v_cmp_o_f32_e32 vcc_lo, v112, v112
	s_lshl_b64 s[34:35], s[50:51], 1
	v_cndmask_b32_e32 v6, 0x7fc0, v6, vcc_lo
	v_cmp_o_f32_e32 vcc_lo, v115, v115
	v_cndmask_b32_e32 v2, 0x7fc0, v2, vcc_lo
	v_cmp_o_f32_e32 vcc_lo, v118, v118
	s_delay_alu instid0(VALU_DEP_2)
	v_perm_b32 v2, v2, v1, 0x5040100
	v_cndmask_b32_e32 v9, 0x7fc0, v3, vcc_lo
	v_perm_b32 v3, v6, v4, 0x5040100
	v_add3_u32 v6, v109, v7, 0x7fff
	v_bfe_u32 v7, v106, 16, 1
	v_cmp_o_f32_e32 vcc_lo, v109, v109
	v_perm_b32 v1, v9, v8, 0x5040100
	v_add3_u32 v8, v107, v10, 0x7fff
	v_lshrrev_b32_e32 v6, 16, v6
	v_add3_u32 v7, v106, v7, 0x7fff
	v_bfe_u32 v10, v103, 16, 1
	v_bfe_u32 v4, v110, 16, 1
	s_delay_alu instid0(VALU_DEP_4) | instskip(NEXT) | instid1(VALU_DEP_4)
	v_cndmask_b32_e32 v9, 0x7fc0, v6, vcc_lo
	v_lshrrev_b32_e32 v6, 16, v7
	v_lshrrev_b32_e32 v7, 16, v8
	v_bfe_u32 v8, v102, 16, 1
	v_cmp_o_f32_e32 vcc_lo, v106, v106
	v_add3_u32 v4, v110, v4, 0x7fff
	s_delay_alu instid0(VALU_DEP_3)
	v_add3_u32 v8, v102, v8, 0x7fff
	v_cndmask_b32_e32 v13, 0x7fc0, v6, vcc_lo
	v_cmp_o_f32_e32 vcc_lo, v107, v107
	v_add3_u32 v6, v103, v10, 0x7fff
	v_add3_u32 v10, v104, v12, 0x7fff
	v_lshrrev_b32_e32 v4, 16, v4
	v_cndmask_b32_e32 v12, 0x7fc0, v7, vcc_lo
	v_lshrrev_b32_e32 v7, 16, v8
	v_cmp_o_f32_e32 vcc_lo, v102, v102
	v_lshrrev_b32_e32 v8, 16, v11
	v_lshrrev_b32_e32 v10, 16, v10
	;; [unrolled: 1-line block ×3, first 2 shown]
	v_perm_b32 v5, v12, v13, 0x5040100
	v_cndmask_b32_e32 v11, 0x7fc0, v7, vcc_lo
	v_cmp_o_f32_e32 vcc_lo, v101, v101
	v_cndmask_b32_e32 v7, 0x7fc0, v8, vcc_lo
	v_cmp_o_f32_e32 vcc_lo, v104, v104
	;; [unrolled: 2-line block ×3, first 2 shown]
	s_delay_alu instid0(VALU_DEP_2) | instskip(SKIP_2) | instid1(VALU_DEP_2)
	v_perm_b32 v7, v8, v7, 0x5040100
	v_cndmask_b32_e32 v6, 0x7fc0, v6, vcc_lo
	v_cmp_o_f32_e32 vcc_lo, v110, v110
	v_perm_b32 v6, v6, v11, 0x5040100
	v_cndmask_b32_e32 v4, 0x7fc0, v4, vcc_lo
	s_delay_alu instid0(VALU_DEP_1)
	v_perm_b32 v4, v4, v9, 0x5040100
	ds_store_b128 v52, v[0:3]
	ds_store_b128 v52, v[4:7] offset:16
	; wave barrier
	ds_load_u16 v16, v37 offset:64
	ds_load_u16 v15, v38 offset:128
	;; [unrolled: 1-line block ×15, first 2 shown]
	v_add_co_u32 v0, vcc_lo, v72, s34
	v_add_co_ci_u32_e32 v1, vcc_lo, s35, v73, vcc_lo
	s_and_saveexec_b32 s29, s13
	s_cbranch_execnz .LBB28_271
; %bb.205:                              ;   in Loop: Header=BB28_12 Depth=1
	s_or_b32 exec_lo, exec_lo, s29
	s_and_saveexec_b32 s29, s14
	s_cbranch_execnz .LBB28_272
.LBB28_206:                             ;   in Loop: Header=BB28_12 Depth=1
	s_or_b32 exec_lo, exec_lo, s29
	s_and_saveexec_b32 s29, s15
	s_cbranch_execnz .LBB28_273
.LBB28_207:                             ;   in Loop: Header=BB28_12 Depth=1
	s_or_b32 exec_lo, exec_lo, s29
	s_and_saveexec_b32 s29, s16
	s_cbranch_execnz .LBB28_274
.LBB28_208:                             ;   in Loop: Header=BB28_12 Depth=1
	s_or_b32 exec_lo, exec_lo, s29
	s_and_saveexec_b32 s29, s17
	s_cbranch_execnz .LBB28_275
.LBB28_209:                             ;   in Loop: Header=BB28_12 Depth=1
	s_or_b32 exec_lo, exec_lo, s29
	s_and_saveexec_b32 s29, s18
	s_cbranch_execnz .LBB28_276
.LBB28_210:                             ;   in Loop: Header=BB28_12 Depth=1
	s_or_b32 exec_lo, exec_lo, s29
	s_and_saveexec_b32 s29, s19
	s_cbranch_execnz .LBB28_277
.LBB28_211:                             ;   in Loop: Header=BB28_12 Depth=1
	s_or_b32 exec_lo, exec_lo, s29
	s_and_saveexec_b32 s29, s20
	s_cbranch_execnz .LBB28_278
.LBB28_212:                             ;   in Loop: Header=BB28_12 Depth=1
	s_or_b32 exec_lo, exec_lo, s29
	s_and_saveexec_b32 s29, s21
	s_cbranch_execnz .LBB28_279
.LBB28_213:                             ;   in Loop: Header=BB28_12 Depth=1
	s_or_b32 exec_lo, exec_lo, s29
	s_and_saveexec_b32 s29, s22
	s_cbranch_execnz .LBB28_280
.LBB28_214:                             ;   in Loop: Header=BB28_12 Depth=1
	s_or_b32 exec_lo, exec_lo, s29
	s_and_saveexec_b32 s29, s23
	s_cbranch_execnz .LBB28_281
.LBB28_215:                             ;   in Loop: Header=BB28_12 Depth=1
	s_or_b32 exec_lo, exec_lo, s29
	s_and_saveexec_b32 s29, s24
	s_cbranch_execnz .LBB28_282
.LBB28_216:                             ;   in Loop: Header=BB28_12 Depth=1
	s_or_b32 exec_lo, exec_lo, s29
	s_and_saveexec_b32 s29, s25
	s_cbranch_execnz .LBB28_283
.LBB28_217:                             ;   in Loop: Header=BB28_12 Depth=1
	s_or_b32 exec_lo, exec_lo, s29
	s_and_saveexec_b32 s29, s26
	s_cbranch_execnz .LBB28_284
.LBB28_218:                             ;   in Loop: Header=BB28_12 Depth=1
	s_or_b32 exec_lo, exec_lo, s29
	s_and_saveexec_b32 s29, s27
	s_cbranch_execnz .LBB28_285
.LBB28_219:                             ;   in Loop: Header=BB28_12 Depth=1
	s_or_b32 exec_lo, exec_lo, s29
	s_and_saveexec_b32 s29, s28
	s_cbranch_execz .LBB28_221
.LBB28_220:                             ;   in Loop: Header=BB28_12 Depth=1
	s_waitcnt lgkmcnt(0)
	global_store_b16 v[0:1], v2, off offset:960
.LBB28_221:                             ;   in Loop: Header=BB28_12 Depth=1
	s_or_b32 exec_lo, exec_lo, s29
	v_add_co_u32 v0, vcc_lo, v74, s34
	v_add_co_ci_u32_e32 v1, vcc_lo, s35, v75, vcc_lo
	s_waitcnt lgkmcnt(0)
	v_dual_mov_b32 v2, 0 :: v_dual_mov_b32 v3, 0
	s_waitcnt_vscnt null, 0x0
	s_barrier
	buffer_gl0_inv
	s_and_saveexec_b32 s29, s13
	s_cbranch_execz .LBB28_223
; %bb.222:                              ;   in Loop: Header=BB28_12 Depth=1
	global_load_u16 v3, v[0:1], off
.LBB28_223:                             ;   in Loop: Header=BB28_12 Depth=1
	s_or_b32 exec_lo, exec_lo, s29
	s_and_saveexec_b32 s29, s14
	s_cbranch_execz .LBB28_225
; %bb.224:                              ;   in Loop: Header=BB28_12 Depth=1
	global_load_u16 v2, v[0:1], off offset:64
.LBB28_225:                             ;   in Loop: Header=BB28_12 Depth=1
	s_or_b32 exec_lo, exec_lo, s29
	v_dual_mov_b32 v4, 0 :: v_dual_mov_b32 v5, 0
	s_and_saveexec_b32 s29, s15
	s_cbranch_execz .LBB28_227
; %bb.226:                              ;   in Loop: Header=BB28_12 Depth=1
	global_load_u16 v5, v[0:1], off offset:128
.LBB28_227:                             ;   in Loop: Header=BB28_12 Depth=1
	s_or_b32 exec_lo, exec_lo, s29
	s_and_saveexec_b32 s29, s16
	s_cbranch_execz .LBB28_229
; %bb.228:                              ;   in Loop: Header=BB28_12 Depth=1
	global_load_u16 v4, v[0:1], off offset:192
.LBB28_229:                             ;   in Loop: Header=BB28_12 Depth=1
	s_or_b32 exec_lo, exec_lo, s29
	v_dual_mov_b32 v6, 0 :: v_dual_mov_b32 v7, 0
	s_and_saveexec_b32 s29, s17
	s_cbranch_execz .LBB28_231
; %bb.230:                              ;   in Loop: Header=BB28_12 Depth=1
	global_load_u16 v7, v[0:1], off offset:256
.LBB28_231:                             ;   in Loop: Header=BB28_12 Depth=1
	;; [unrolled: 13-line block ×7, first 2 shown]
	s_or_b32 exec_lo, exec_lo, s29
	s_and_saveexec_b32 s29, s28
	s_cbranch_execz .LBB28_253
; %bb.252:                              ;   in Loop: Header=BB28_12 Depth=1
	global_load_u16 v16, v[0:1], off offset:960
.LBB28_253:                             ;   in Loop: Header=BB28_12 Depth=1
	s_or_b32 exec_lo, exec_lo, s29
	s_waitcnt vmcnt(0)
	ds_store_b16 v37, v3
	ds_store_b16 v37, v2 offset:64
	ds_store_b16 v38, v5 offset:128
	;; [unrolled: 1-line block ×15, first 2 shown]
	; wave barrier
	ds_load_b128 v[4:7], v52
	ds_load_b128 v[0:3], v52 offset:16
	s_waitcnt lgkmcnt(0)
	s_barrier
	buffer_gl0_inv
	v_and_b32_e32 v8, 0xffff0000, v4
	v_and_b32_e32 v15, 0xffff0000, v5
	;; [unrolled: 1-line block ×3, first 2 shown]
	v_lshlrev_b32_e32 v5, 16, v5
	s_delay_alu instid0(VALU_DEP_4) | instskip(NEXT) | instid1(VALU_DEP_3)
	v_mul_f32_e32 v9, 0xbfb8aa3b, v8
	v_mul_f32_e32 v17, 0xbfb8aa3b, v16
	s_delay_alu instid0(VALU_DEP_3) | instskip(NEXT) | instid1(VALU_DEP_3)
	v_cmp_nlt_f32_e64 s30, 0x42ce8ed0, v5
	v_fma_f32 v11, 0xbfb8aa3b, v8, -v9
	v_rndne_f32_e32 v12, v9
	s_delay_alu instid0(VALU_DEP_4) | instskip(NEXT) | instid1(VALU_DEP_3)
	v_rndne_f32_e32 v100, v17
	v_fmac_f32_e32 v11, 0xb2a5705f, v8
	s_delay_alu instid0(VALU_DEP_3) | instskip(SKIP_1) | instid1(VALU_DEP_2)
	v_sub_f32_e32 v9, v9, v12
	v_cvt_i32_f32_e32 v12, v12
	v_add_f32_e32 v9, v9, v11
	v_cmp_nlt_f32_e32 vcc_lo, 0x42ce8ed0, v8
	v_lshlrev_b32_e32 v11, 16, v6
	s_delay_alu instid0(VALU_DEP_3) | instskip(SKIP_2) | instid1(VALU_DEP_1)
	v_exp_f32_e32 v9, v9
	s_waitcnt_depctr 0xfff
	v_ldexp_f32 v9, v9, v12
	v_dual_cndmask_b32 v9, 0, v9 :: v_dual_lshlrev_b32 v4, 16, v4
	s_delay_alu instid0(VALU_DEP_1) | instskip(SKIP_1) | instid1(VALU_DEP_2)
	v_mul_f32_e32 v10, 0xbfb8aa3b, v4
	v_cmp_nlt_f32_e32 vcc_lo, 0x42ce8ed0, v4
	v_rndne_f32_e32 v13, v10
	v_fma_f32 v14, 0xbfb8aa3b, v4, -v10
	s_delay_alu instid0(VALU_DEP_2) | instskip(NEXT) | instid1(VALU_DEP_2)
	v_sub_f32_e32 v10, v10, v13
	v_fmac_f32_e32 v14, 0xb2a5705f, v4
	v_cvt_i32_f32_e32 v13, v13
	s_delay_alu instid0(VALU_DEP_2) | instskip(SKIP_2) | instid1(VALU_DEP_3)
	v_add_f32_e32 v6, v10, v14
	v_mul_f32_e32 v14, 0xbfb8aa3b, v5
	v_mul_f32_e32 v10, 0xbfb8aa3b, v15
	v_exp_f32_e32 v6, v6
	s_delay_alu instid0(VALU_DEP_1) | instskip(SKIP_1) | instid1(VALU_DEP_2)
	v_fma_f32 v94, 0xbfb8aa3b, v15, -v10
	v_rndne_f32_e32 v95, v10
	v_fmac_f32_e32 v94, 0xb2a5705f, v15
	s_waitcnt_depctr 0xfff
	v_ldexp_f32 v6, v6, v13
	v_mul_f32_e32 v13, 0xbfb8aa3b, v11
	v_rndne_f32_e32 v96, v14
	v_fma_f32 v97, 0xbfb8aa3b, v5, -v14
	v_sub_f32_e32 v10, v10, v95
	v_cndmask_b32_e32 v6, 0, v6, vcc_lo
	v_cmp_ngt_f32_e32 vcc_lo, 0xc2b17218, v8
	s_delay_alu instid0(VALU_DEP_4) | instskip(SKIP_4) | instid1(VALU_DEP_2)
	v_dual_sub_f32 v12, v14, v96 :: v_dual_fmac_f32 v97, 0xb2a5705f, v5
	v_cvt_i32_f32_e32 v95, v95
	v_cvt_i32_f32_e32 v96, v96
	v_cndmask_b32_e32 v9, 0x7f800000, v9, vcc_lo
	v_cmp_ngt_f32_e32 vcc_lo, 0xc2b17218, v4
	v_dual_add_f32 v9, 1.0, v9 :: v_dual_cndmask_b32 v6, 0x7f800000, v6
	v_cmp_nlt_f32_e32 vcc_lo, 0x42ce8ed0, v15
	s_delay_alu instid0(VALU_DEP_2) | instskip(NEXT) | instid1(VALU_DEP_3)
	v_div_scale_f32 v14, null, v9, v9, v8
	v_add_f32_e32 v6, 1.0, v6
	s_delay_alu instid0(VALU_DEP_2) | instskip(NEXT) | instid1(VALU_DEP_1)
	v_rcp_f32_e32 v98, v14
	v_div_scale_f32 v113, s29, v4, v6, v4
	v_add_f32_e32 v12, v12, v97
	v_fma_f32 v97, 0xbfb8aa3b, v16, -v17
	v_dual_add_f32 v10, v10, v94 :: v_dual_sub_f32 v17, v17, v100
	v_div_scale_f32 v94, null, v6, v6, v4
	s_delay_alu instid0(VALU_DEP_3) | instskip(NEXT) | instid1(VALU_DEP_3)
	v_fmac_f32_e32 v97, 0xb2a5705f, v16
	v_exp_f32_e32 v10, v10
	v_cvt_i32_f32_e32 v100, v100
	s_delay_alu instid0(VALU_DEP_3) | instskip(NEXT) | instid1(VALU_DEP_2)
	v_rcp_f32_e32 v99, v94
	v_add_f32_e32 v17, v17, v97
	s_waitcnt_depctr 0xfff
	v_ldexp_f32 v10, v10, v95
	v_rndne_f32_e32 v95, v13
	v_fma_f32 v105, -v94, v99, 1.0
	s_delay_alu instid0(VALU_DEP_1) | instskip(NEXT) | instid1(VALU_DEP_1)
	v_fmac_f32_e32 v99, v105, v99
	v_mul_f32_e32 v105, v113, v99
	v_exp_f32_e32 v12, v12
	s_delay_alu instid0(VALU_DEP_1) | instskip(SKIP_2) | instid1(VALU_DEP_3)
	v_fma_f32 v121, -v94, v105, v113
	v_cndmask_b32_e32 v10, 0, v10, vcc_lo
	v_div_scale_f32 v108, vcc_lo, v8, v9, v8
	v_fmac_f32_e32 v105, v121, v99
	s_waitcnt_depctr 0xfff
	v_ldexp_f32 v12, v12, v96
	v_fma_f32 v96, -v14, v98, 1.0
	v_fma_f32 v94, -v94, v105, v113
	s_delay_alu instid0(VALU_DEP_3) | instskip(SKIP_1) | instid1(VALU_DEP_4)
	v_cndmask_b32_e64 v12, 0, v12, s30
	v_cmp_ngt_f32_e64 s30, 0xc2b17218, v15
	v_fmac_f32_e32 v98, v96, v98
	s_delay_alu instid0(VALU_DEP_2) | instskip(SKIP_1) | instid1(VALU_DEP_2)
	v_cndmask_b32_e64 v10, 0x7f800000, v10, s30
	v_cmp_ngt_f32_e64 s30, 0xc2b17218, v5
	v_add_f32_e32 v10, 1.0, v10
	s_delay_alu instid0(VALU_DEP_2) | instskip(SKIP_1) | instid1(VALU_DEP_3)
	v_cndmask_b32_e64 v12, 0x7f800000, v12, s30
	v_cmp_nlt_f32_e64 s30, 0x42ce8ed0, v16
	v_div_scale_f32 v122, null, v10, v10, v15
	s_delay_alu instid0(VALU_DEP_1) | instskip(SKIP_1) | instid1(VALU_DEP_1)
	v_rcp_f32_e32 v121, v122
	v_mul_f32_e32 v96, v108, v98
	v_fma_f32 v116, -v14, v96, v108
	s_delay_alu instid0(VALU_DEP_1) | instskip(NEXT) | instid1(VALU_DEP_1)
	v_fmac_f32_e32 v96, v116, v98
	v_fma_f32 v14, -v14, v96, v108
	v_sub_f32_e32 v108, v13, v95
	v_fma_f32 v13, 0xbfb8aa3b, v11, -v13
	v_add_f32_e32 v12, 1.0, v12
	v_cvt_i32_f32_e32 v95, v95
	v_div_fmas_f32 v14, v14, v98, v96
	s_mov_b32 vcc_lo, s29
	v_fmac_f32_e32 v13, 0xb2a5705f, v11
	v_div_scale_f32 v116, null, v12, v12, v5
	v_div_fmas_f32 v94, v94, v99, v105
	v_div_fixup_f32 v8, v14, v9, v8
	v_fma_f32 v9, -v122, v121, 1.0
	s_delay_alu instid0(VALU_DEP_4) | instskip(SKIP_2) | instid1(VALU_DEP_3)
	v_rcp_f32_e32 v96, v116
	v_div_scale_f32 v98, s29, v5, v12, v5
	v_div_fixup_f32 v4, v94, v6, v4
	v_fmac_f32_e32 v121, v9, v121
	s_delay_alu instid0(VALU_DEP_2)
	v_mul_f32_e32 v9, v119, v4
	v_div_scale_f32 v6, vcc_lo, v15, v10, v15
	s_waitcnt_depctr 0xfff
	v_fma_f32 v14, -v116, v96, 1.0
	v_exp_f32_e32 v4, v17
	v_bfe_u32 v97, v9, 16, 1
	s_delay_alu instid0(VALU_DEP_2) | instskip(NEXT) | instid1(VALU_DEP_2)
	v_fmac_f32_e32 v96, v14, v96
	v_add3_u32 v14, v9, v97, 0x7fff
	s_delay_alu instid0(VALU_DEP_2) | instskip(SKIP_2) | instid1(VALU_DEP_4)
	v_mul_f32_e32 v97, v98, v96
	v_add_f32_e32 v13, v108, v13
	v_mul_f32_e32 v94, v6, v121
	v_lshrrev_b32_e32 v14, 16, v14
	s_delay_alu instid0(TRANS32_DEP_1) | instskip(NEXT) | instid1(VALU_DEP_4)
	v_ldexp_f32 v4, v4, v100
	v_exp_f32_e32 v13, v13
	s_delay_alu instid0(VALU_DEP_3) | instskip(NEXT) | instid1(VALU_DEP_2)
	v_fma_f32 v99, -v122, v94, v6
	v_cndmask_b32_e64 v4, 0, v4, s30
	s_delay_alu instid0(VALU_DEP_2) | instskip(SKIP_1) | instid1(VALU_DEP_2)
	v_fmac_f32_e32 v94, v99, v121
	v_fma_f32 v99, -v116, v97, v98
	v_fma_f32 v6, -v122, v94, v6
	s_delay_alu instid0(VALU_DEP_2) | instskip(SKIP_1) | instid1(VALU_DEP_3)
	v_fmac_f32_e32 v97, v99, v96
	v_lshlrev_b32_e32 v99, 16, v7
	v_div_fmas_f32 v6, v6, v121, v94
	v_cmp_ngt_f32_e32 vcc_lo, 0xc2b17218, v16
	s_delay_alu instid0(VALU_DEP_3) | instskip(NEXT) | instid1(VALU_DEP_3)
	v_mul_f32_e32 v100, 0xbfb8aa3b, v99
	v_div_fixup_f32 v6, v6, v10, v15
	v_cndmask_b32_e32 v94, 0x7f800000, v4, vcc_lo
	v_mul_f32_e32 v8, v120, v8
	v_ldexp_f32 v10, v13, v95
	v_fma_f32 v113, 0xbfb8aa3b, v99, -v100
	s_delay_alu instid0(VALU_DEP_4) | instskip(NEXT) | instid1(VALU_DEP_4)
	v_add_f32_e32 v13, 1.0, v94
	v_bfe_u32 v17, v8, 16, 1
	v_cmp_o_f32_e32 vcc_lo, v8, v8
	s_delay_alu instid0(VALU_DEP_4) | instskip(NEXT) | instid1(VALU_DEP_4)
	v_fmac_f32_e32 v113, 0xb2a5705f, v99
	v_div_scale_f32 v15, null, v13, v13, v16
	s_delay_alu instid0(VALU_DEP_4) | instskip(SKIP_1) | instid1(VALU_DEP_2)
	v_add3_u32 v17, v8, v17, 0x7fff
	v_fma_f32 v8, -v116, v97, v98
	v_lshrrev_b32_e32 v17, 16, v17
	s_delay_alu instid0(VALU_DEP_1) | instskip(SKIP_1) | instid1(VALU_DEP_3)
	v_cndmask_b32_e32 v4, 0x7fc0, v17, vcc_lo
	s_mov_b32 vcc_lo, s29
	v_div_fmas_f32 v8, v8, v96, v97
	v_cmp_nlt_f32_e32 vcc_lo, 0x42ce8ed0, v11
	s_delay_alu instid0(VALU_DEP_2) | instskip(SKIP_3) | instid1(VALU_DEP_3)
	v_div_fixup_f32 v5, v8, v12, v5
	v_cndmask_b32_e32 v10, 0, v10, vcc_lo
	v_cmp_ngt_f32_e32 vcc_lo, 0xc2b17218, v11
	v_rcp_f32_e32 v8, v15
	v_mul_f32_e32 v12, v117, v5
	s_delay_alu instid0(VALU_DEP_3)
	v_cndmask_b32_e32 v10, 0x7f800000, v10, vcc_lo
	v_cmp_o_f32_e32 vcc_lo, v9, v9
	v_cndmask_b32_e32 v5, 0x7fc0, v14, vcc_lo
	v_and_b32_e32 v14, 0xffff0000, v7
	s_waitcnt_depctr 0xfff
	v_fma_f32 v94, -v15, v8, 1.0
	v_div_scale_f32 v7, vcc_lo, v16, v13, v16
	v_mul_f32_e32 v96, 0xbfb8aa3b, v14
	s_delay_alu instid0(VALU_DEP_3) | instskip(NEXT) | instid1(VALU_DEP_2)
	v_fmac_f32_e32 v8, v94, v8
	v_fma_f32 v97, 0xbfb8aa3b, v14, -v96
	v_rndne_f32_e32 v98, v96
	s_delay_alu instid0(VALU_DEP_3) | instskip(NEXT) | instid1(VALU_DEP_3)
	v_mul_f32_e32 v105, v7, v8
	v_fmac_f32_e32 v97, 0xb2a5705f, v14
	v_bfe_u32 v17, v12, 16, 1
	s_delay_alu instid0(VALU_DEP_3) | instskip(SKIP_1) | instid1(VALU_DEP_3)
	v_fma_f32 v116, -v15, v105, v7
	v_mul_f32_e32 v6, v118, v6
	v_add3_u32 v17, v12, v17, 0x7fff
	s_delay_alu instid0(VALU_DEP_3) | instskip(NEXT) | instid1(VALU_DEP_3)
	v_fmac_f32_e32 v105, v116, v8
	v_bfe_u32 v9, v6, 16, 1
	v_cmp_o_f32_e64 s30, v6, v6
	s_delay_alu instid0(VALU_DEP_4) | instskip(SKIP_1) | instid1(VALU_DEP_4)
	v_lshrrev_b32_e32 v17, 16, v17
	v_sub_f32_e32 v96, v96, v98
	v_add3_u32 v9, v6, v9, 0x7fff
	v_cvt_i32_f32_e32 v98, v98
	v_fma_f32 v7, -v15, v105, v7
	s_delay_alu instid0(VALU_DEP_4) | instskip(NEXT) | instid1(VALU_DEP_4)
	v_add_f32_e32 v96, v96, v97
	v_lshrrev_b32_e32 v9, 16, v9
	v_rndne_f32_e32 v97, v100
	s_delay_alu instid0(VALU_DEP_4)
	v_div_fmas_f32 v7, v7, v8, v105
	v_cmp_ngt_f32_e32 vcc_lo, 0xc2b17218, v14
	v_exp_f32_e32 v96, v96
	v_cndmask_b32_e64 v6, 0x7fc0, v9, s30
	v_cmp_nlt_f32_e64 s30, 0x42ce8ed0, v14
	v_sub_f32_e32 v100, v100, v97
	v_cvt_i32_f32_e32 v97, v97
	v_div_fixup_f32 v13, v7, v13, v16
	s_delay_alu instid0(VALU_DEP_3) | instskip(NEXT) | instid1(TRANS32_DEP_1)
	v_add_f32_e32 v100, v100, v113
	v_ldexp_f32 v9, v96, v98
	s_delay_alu instid0(VALU_DEP_2) | instskip(NEXT) | instid1(VALU_DEP_1)
	v_exp_f32_e32 v96, v100
	v_cndmask_b32_e64 v9, 0, v9, s30
	s_delay_alu instid0(VALU_DEP_1) | instskip(NEXT) | instid1(VALU_DEP_1)
	v_dual_add_f32 v10, 1.0, v10 :: v_dual_cndmask_b32 v9, 0x7f800000, v9
	v_div_scale_f32 v95, null, v10, v10, v11
	s_waitcnt_depctr 0xfff
	v_ldexp_f32 v8, v96, v97
	v_cmp_nlt_f32_e32 vcc_lo, 0x42ce8ed0, v99
	v_add_f32_e32 v9, 1.0, v9
	v_rcp_f32_e32 v94, v95
	s_delay_alu instid0(VALU_DEP_3) | instskip(SKIP_2) | instid1(VALU_DEP_1)
	v_cndmask_b32_e32 v8, 0, v8, vcc_lo
	s_waitcnt_depctr 0xfff
	v_fma_f32 v108, -v95, v94, 1.0
	v_fmac_f32_e32 v94, v108, v94
	v_div_scale_f32 v108, s29, v11, v10, v11
	s_delay_alu instid0(VALU_DEP_1) | instskip(NEXT) | instid1(VALU_DEP_1)
	s_mov_b32 vcc_lo, s29
	v_mul_f32_e32 v113, v108, v94
	v_div_scale_f32 v16, null, v9, v9, v14
	s_delay_alu instid0(VALU_DEP_2) | instskip(NEXT) | instid1(VALU_DEP_1)
	v_fma_f32 v15, -v95, v113, v108
	v_fmac_f32_e32 v113, v15, v94
	s_delay_alu instid0(VALU_DEP_1) | instskip(NEXT) | instid1(VALU_DEP_1)
	v_fma_f32 v7, -v95, v113, v108
	v_div_fmas_f32 v15, v7, v94, v113
	v_cmp_ngt_f32_e32 vcc_lo, 0xc2b17218, v99
	s_delay_alu instid0(VALU_DEP_2)
	v_div_fixup_f32 v10, v15, v10, v11
	v_cndmask_b32_e32 v8, 0x7f800000, v8, vcc_lo
	v_cmp_o_f32_e32 vcc_lo, v12, v12
	v_mul_f32_e32 v11, v115, v13
	v_rcp_f32_e32 v12, v16
	v_and_b32_e32 v13, 0xffff0000, v0
	v_dual_cndmask_b32 v7, 0x7fc0, v17 :: v_dual_lshlrev_b32 v0, 16, v0
	v_div_scale_f32 v105, vcc_lo, v14, v9, v14
	s_delay_alu instid0(VALU_DEP_3) | instskip(SKIP_3) | instid1(TRANS32_DEP_1)
	v_mul_f32_e32 v94, 0xbfb8aa3b, v13
	v_mul_f32_e32 v10, v114, v10
	v_cmp_nlt_f32_e64 s30, 0x42ce8ed0, v13
	v_bfe_u32 v15, v11, 16, 1
	v_fma_f32 v96, -v16, v12, 1.0
	v_fma_f32 v98, 0xbfb8aa3b, v13, -v94
	v_rndne_f32_e32 v100, v94
	s_delay_alu instid0(VALU_DEP_4) | instskip(NEXT) | instid1(VALU_DEP_4)
	v_add3_u32 v15, v11, v15, 0x7fff
	v_fmac_f32_e32 v12, v96, v12
	s_delay_alu instid0(VALU_DEP_4) | instskip(NEXT) | instid1(VALU_DEP_4)
	v_fmac_f32_e32 v98, 0xb2a5705f, v13
	v_sub_f32_e32 v94, v94, v100
	v_mul_f32_e32 v96, 0xbfb8aa3b, v0
	v_cvt_i32_f32_e32 v100, v100
	v_lshrrev_b32_e32 v15, 16, v15
	s_delay_alu instid0(VALU_DEP_4) | instskip(NEXT) | instid1(VALU_DEP_4)
	v_add_f32_e32 v94, v94, v98
	v_rndne_f32_e32 v98, v96
	v_fma_f32 v113, 0xbfb8aa3b, v0, -v96
	s_delay_alu instid0(VALU_DEP_1) | instskip(SKIP_1) | instid1(VALU_DEP_2)
	v_dual_sub_f32 v96, v96, v98 :: v_dual_fmac_f32 v113, 0xb2a5705f, v0
	v_cvt_i32_f32_e32 v98, v98
	v_add_f32_e32 v96, v96, v113
	s_delay_alu instid0(VALU_DEP_1) | instskip(SKIP_4) | instid1(VALU_DEP_1)
	v_exp_f32_e32 v96, v96
	s_waitcnt_depctr 0xfff
	v_ldexp_f32 v96, v96, v98
	v_and_b32_e32 v98, 0xffff0000, v1
	v_dual_mul_f32 v114, v105, v12 :: v_dual_lshlrev_b32 v1, 16, v1
	v_fma_f32 v113, -v16, v114, v105
	s_delay_alu instid0(VALU_DEP_1) | instskip(NEXT) | instid1(VALU_DEP_1)
	v_fmac_f32_e32 v114, v113, v12
	v_fma_f32 v16, -v16, v114, v105
	s_delay_alu instid0(VALU_DEP_1) | instskip(SKIP_1) | instid1(VALU_DEP_2)
	v_div_fmas_f32 v12, v16, v12, v114
	v_cmp_nlt_f32_e32 vcc_lo, 0x42ce8ed0, v0
	v_div_fixup_f32 v9, v12, v9, v14
	s_delay_alu instid0(VALU_DEP_1) | instskip(NEXT) | instid1(VALU_DEP_1)
	v_dual_add_f32 v8, 1.0, v8 :: v_dual_mul_f32 v9, v112, v9
	v_div_scale_f32 v17, null, v8, v8, v99
	v_mul_f32_e32 v112, 0xbfb8aa3b, v1
	s_delay_alu instid0(VALU_DEP_2) | instskip(NEXT) | instid1(VALU_DEP_1)
	v_rcp_f32_e32 v97, v17
	v_fma_f32 v113, 0xbfb8aa3b, v1, -v112
	s_delay_alu instid0(VALU_DEP_1) | instskip(SKIP_3) | instid1(VALU_DEP_1)
	v_fmac_f32_e32 v113, 0xb2a5705f, v1
	v_exp_f32_e32 v94, v94
	s_waitcnt_depctr 0xfff
	v_fma_f32 v108, -v17, v97, 1.0
	v_fmac_f32_e32 v97, v108, v97
	v_div_scale_f32 v108, s29, v99, v8, v99
	v_ldexp_f32 v94, v94, v100
	s_delay_alu instid0(VALU_DEP_2) | instskip(NEXT) | instid1(VALU_DEP_2)
	v_mul_f32_e32 v115, v108, v97
	v_cndmask_b32_e64 v94, 0, v94, s30
	v_cmp_ngt_f32_e64 s30, 0xc2b17218, v13
	s_delay_alu instid0(VALU_DEP_3) | instskip(NEXT) | instid1(VALU_DEP_2)
	v_fma_f32 v100, -v17, v115, v108
	v_cndmask_b32_e64 v94, 0x7f800000, v94, s30
	v_cmp_nlt_f32_e64 s30, 0x42ce8ed0, v98
	s_delay_alu instid0(VALU_DEP_3) | instskip(NEXT) | instid1(VALU_DEP_3)
	v_dual_fmac_f32 v115, v100, v97 :: v_dual_mul_f32 v100, 0xbfb8aa3b, v98
	v_add_f32_e32 v16, 1.0, v94
	v_cndmask_b32_e32 v94, 0, v96, vcc_lo
	s_delay_alu instid0(VALU_DEP_3) | instskip(SKIP_3) | instid1(VALU_DEP_3)
	v_fma_f32 v17, -v17, v115, v108
	s_mov_b32 vcc_lo, s29
	v_fma_f32 v14, 0xbfb8aa3b, v98, -v100
	v_div_scale_f32 v96, null, v16, v16, v13
	v_div_fmas_f32 v17, v17, v97, v115
	v_cmp_ngt_f32_e32 vcc_lo, 0xc2b17218, v0
	s_delay_alu instid0(VALU_DEP_4) | instskip(NEXT) | instid1(VALU_DEP_4)
	v_fmac_f32_e32 v14, 0xb2a5705f, v98
	v_rcp_f32_e32 v97, v96
	s_delay_alu instid0(VALU_DEP_3) | instskip(SKIP_2) | instid1(VALU_DEP_3)
	v_div_fixup_f32 v8, v17, v8, v99
	v_cndmask_b32_e32 v94, 0x7f800000, v94, vcc_lo
	v_cmp_o_f32_e32 vcc_lo, v11, v11
	v_mul_f32_e32 v8, v111, v8
	s_delay_alu instid0(VALU_DEP_3) | instskip(SKIP_1) | instid1(TRANS32_DEP_1)
	v_dual_add_f32 v12, 1.0, v94 :: v_dual_cndmask_b32 v11, 0x7fc0, v15
	v_rndne_f32_e32 v15, v100
	v_fma_f32 v17, -v96, v97, 1.0
	s_delay_alu instid0(VALU_DEP_2) | instskip(NEXT) | instid1(VALU_DEP_2)
	v_sub_f32_e32 v99, v100, v15
	v_fmac_f32_e32 v97, v17, v97
	v_bfe_u32 v95, v10, 16, 1
	v_cmp_o_f32_e64 s29, v10, v10
	v_cvt_i32_f32_e32 v15, v15
	v_add_f32_e32 v14, v99, v14
	v_div_scale_f32 v99, vcc_lo, v13, v16, v13
	v_add3_u32 v95, v10, v95, 0x7fff
	v_bfe_u32 v100, v8, 16, 1
	s_delay_alu instid0(VALU_DEP_4) | instskip(NEXT) | instid1(VALU_DEP_3)
	v_exp_f32_e32 v14, v14
	v_mul_f32_e32 v105, v99, v97
	v_div_scale_f32 v94, null, v12, v12, v0
	v_lshrrev_b32_e32 v95, 16, v95
	v_add3_u32 v100, v8, v100, 0x7fff
	s_delay_alu instid0(VALU_DEP_4) | instskip(NEXT) | instid1(VALU_DEP_4)
	v_fma_f32 v111, -v96, v105, v99
	v_rcp_f32_e32 v17, v94
	s_delay_alu instid0(VALU_DEP_3) | instskip(NEXT) | instid1(TRANS32_DEP_2)
	v_cndmask_b32_e64 v10, 0x7fc0, v95, s29
	v_ldexp_f32 v14, v14, v15
	v_div_scale_f32 v15, s29, v0, v12, v0
	v_fmac_f32_e32 v105, v111, v97
	v_bfe_u32 v95, v9, 16, 1
	s_delay_alu instid0(VALU_DEP_4) | instskip(SKIP_1) | instid1(TRANS32_DEP_1)
	v_cndmask_b32_e64 v14, 0, v14, s30
	v_cmp_ngt_f32_e64 s30, 0xc2b17218, v98
	v_fma_f32 v108, -v94, v17, 1.0
	v_fma_f32 v96, -v96, v105, v99
	v_add3_u32 v95, v9, v95, 0x7fff
	s_delay_alu instid0(VALU_DEP_4) | instskip(NEXT) | instid1(VALU_DEP_4)
	v_cndmask_b32_e64 v14, 0x7f800000, v14, s30
	v_fmac_f32_e32 v17, v108, v17
	v_rndne_f32_e32 v108, v112
	v_div_fmas_f32 v96, v96, v97, v105
	s_mov_b32 vcc_lo, s29
	v_add_f32_e32 v14, 1.0, v14
	v_mul_f32_e32 v114, v15, v17
	v_sub_f32_e32 v112, v112, v108
	v_div_fixup_f32 v13, v96, v16, v13
	v_lshrrev_b32_e32 v16, 16, v95
	v_cmp_o_f32_e64 s29, v9, v9
	v_fma_f32 v111, -v94, v114, v15
	v_add_f32_e32 v112, v112, v113
	s_delay_alu instid0(VALU_DEP_3) | instskip(NEXT) | instid1(VALU_DEP_3)
	v_cndmask_b32_e64 v9, 0x7fc0, v16, s29
	v_fmac_f32_e32 v114, v111, v17
	s_delay_alu instid0(VALU_DEP_3) | instskip(SKIP_2) | instid1(VALU_DEP_3)
	v_exp_f32_e32 v99, v112
	v_div_scale_f32 v111, null, v14, v14, v98
	v_cmp_o_f32_e64 s29, v8, v8
	v_fma_f32 v15, -v94, v114, v15
	v_cvt_i32_f32_e32 v94, v108
	s_delay_alu instid0(VALU_DEP_4) | instskip(NEXT) | instid1(VALU_DEP_2)
	v_rcp_f32_e32 v97, v111
	v_div_fmas_f32 v15, v15, v17, v114
	s_delay_alu instid0(TRANS32_DEP_2) | instid1(VALU_DEP_2)
	v_ldexp_f32 v17, v99, v94
	v_cmp_nlt_f32_e32 vcc_lo, 0x42ce8ed0, v1
	v_lshrrev_b32_e32 v94, 16, v100
	v_and_b32_e32 v100, 0xffff0000, v2
	v_div_fixup_f32 v0, v15, v12, v0
	v_mul_f32_e32 v12, v110, v13
	v_cndmask_b32_e32 v13, 0, v17, vcc_lo
	v_cmp_ngt_f32_e32 vcc_lo, 0xc2b17218, v1
	v_fma_f32 v15, -v111, v97, 1.0
	v_mul_f32_e32 v0, v109, v0
	v_bfe_u32 v17, v12, 16, 1
	v_cndmask_b32_e64 v8, 0x7fc0, v94, s29
	v_cndmask_b32_e32 v13, 0x7f800000, v13, vcc_lo
	v_fmac_f32_e32 v97, v15, v97
	v_div_scale_f32 v15, vcc_lo, v98, v14, v98
	v_add3_u32 v17, v12, v17, 0x7fff
	s_delay_alu instid0(VALU_DEP_4) | instskip(SKIP_1) | instid1(VALU_DEP_4)
	v_add_f32_e32 v13, 1.0, v13
	v_bfe_u32 v16, v0, 16, 1
	v_mul_f32_e32 v95, v15, v97
	v_cmp_o_f32_e64 s29, v12, v12
	v_lshrrev_b32_e32 v17, 16, v17
	v_div_scale_f32 v96, null, v13, v13, v1
	s_delay_alu instid0(VALU_DEP_4) | instskip(SKIP_1) | instid1(VALU_DEP_4)
	v_fma_f32 v94, -v111, v95, v15
	v_add3_u32 v16, v0, v16, 0x7fff
	v_cndmask_b32_e64 v12, 0x7fc0, v17, s29
	s_delay_alu instid0(VALU_DEP_4) | instskip(SKIP_4) | instid1(VALU_DEP_3)
	v_rcp_f32_e32 v99, v96
	v_cmp_o_f32_e64 s29, v0, v0
	v_fmac_f32_e32 v95, v94, v97
	v_mul_f32_e32 v17, 0xbfb8aa3b, v100
	v_lshrrev_b32_e32 v16, 16, v16
	v_fma_f32 v0, -v111, v95, v15
	s_delay_alu instid0(VALU_DEP_3) | instskip(SKIP_1) | instid1(TRANS32_DEP_1)
	v_fma_f32 v94, 0xbfb8aa3b, v100, -v17
	v_rndne_f32_e32 v105, v17
	v_fma_f32 v15, -v96, v99, 1.0
	v_cndmask_b32_e64 v16, 0x7fc0, v16, s29
	v_div_fmas_f32 v0, v0, v97, v95
	v_div_scale_f32 v95, vcc_lo, v1, v13, v1
	s_delay_alu instid0(VALU_DEP_4) | instskip(SKIP_3) | instid1(VALU_DEP_4)
	v_dual_fmac_f32 v99, v15, v99 :: v_dual_fmac_f32 v94, 0xb2a5705f, v100
	v_sub_f32_e32 v17, v17, v105
	v_cvt_i32_f32_e32 v105, v105
	v_cmp_nlt_f32_e64 s29, 0x42ce8ed0, v100
	v_mul_f32_e32 v97, v95, v99
	v_div_fixup_f32 v0, v0, v14, v98
	v_dual_add_f32 v17, v17, v94 :: v_dual_and_b32 v98, 0xffff0000, v3
	v_lshlrev_b32_e32 v3, 16, v3
	s_delay_alu instid0(VALU_DEP_4) | instskip(NEXT) | instid1(VALU_DEP_4)
	v_fma_f32 v108, -v96, v97, v95
	v_mul_f32_e32 v0, v107, v0
	s_delay_alu instid0(VALU_DEP_4) | instskip(SKIP_1) | instid1(VALU_DEP_3)
	v_exp_f32_e32 v17, v17
	v_mul_f32_e32 v109, 0xbfb8aa3b, v98
	v_fmac_f32_e32 v97, v108, v99
	s_delay_alu instid0(VALU_DEP_2) | instskip(NEXT) | instid1(VALU_DEP_2)
	v_rndne_f32_e32 v108, v109
	v_fma_f32 v95, -v96, v97, v95
	s_waitcnt_depctr 0xfff
	v_ldexp_f32 v17, v17, v105
	v_mul_f32_e32 v105, 0xbfb8aa3b, v3
	v_div_fmas_f32 v95, v95, v99, v97
	s_delay_alu instid0(VALU_DEP_3) | instskip(SKIP_1) | instid1(VALU_DEP_4)
	v_cndmask_b32_e64 v17, 0, v17, s29
	v_cmp_ngt_f32_e64 s29, 0xc2b17218, v100
	v_rndne_f32_e32 v110, v105
	s_delay_alu instid0(VALU_DEP_4)
	v_div_fixup_f32 v1, v95, v13, v1
	v_lshlrev_b32_e32 v2, 16, v2
	v_fma_f32 v111, 0xbfb8aa3b, v3, -v105
	v_cndmask_b32_e64 v17, 0x7f800000, v17, s29
	v_sub_f32_e32 v105, v105, v110
	v_mul_f32_e32 v1, v106, v1
	v_mul_f32_e32 v15, 0xbfb8aa3b, v2
	v_fmac_f32_e32 v111, 0xb2a5705f, v3
	v_add_f32_e32 v17, 1.0, v17
	v_cmp_nlt_f32_e64 s29, 0x42ce8ed0, v2
	v_bfe_u32 v116, v1, 16, 1
	v_rndne_f32_e32 v14, v15
	v_fma_f32 v94, 0xbfb8aa3b, v2, -v15
	v_div_scale_f32 v99, vcc_lo, v100, v17, v100
	s_delay_alu instid0(VALU_DEP_3) | instskip(NEXT) | instid1(VALU_DEP_3)
	v_sub_f32_e32 v15, v15, v14
	v_fmac_f32_e32 v94, 0xb2a5705f, v2
	v_cvt_i32_f32_e32 v14, v14
	s_delay_alu instid0(VALU_DEP_2) | instskip(SKIP_2) | instid1(VALU_DEP_3)
	v_add_f32_e32 v15, v15, v94
	v_fma_f32 v94, 0xbfb8aa3b, v98, -v109
	v_sub_f32_e32 v109, v109, v108
	v_exp_f32_e32 v15, v15
	s_delay_alu instid0(VALU_DEP_2)
	v_fmac_f32_e32 v94, 0xb2a5705f, v98
	s_waitcnt_depctr 0xfff
	v_ldexp_f32 v14, v15, v14
	v_add_f32_e32 v15, v109, v94
	v_add_f32_e32 v94, v105, v111
	v_cvt_i32_f32_e32 v105, v108
	v_div_scale_f32 v108, null, v17, v17, v100
	v_cvt_i32_f32_e32 v109, v110
	s_delay_alu instid0(VALU_DEP_4) | instskip(SKIP_1) | instid1(VALU_DEP_2)
	v_exp_f32_e32 v94, v94
	v_exp_f32_e32 v15, v15
	v_rcp_f32_e32 v96, v108
	v_cndmask_b32_e64 v14, 0, v14, s29
	v_cmp_ngt_f32_e64 s29, 0xc2b17218, v2
	s_delay_alu instid0(VALU_DEP_1) | instskip(NEXT) | instid1(TRANS32_DEP_3)
	v_cndmask_b32_e64 v14, 0x7f800000, v14, s29
	v_ldexp_f32 v94, v94, v109
	s_waitcnt_depctr 0xfff
	v_ldexp_f32 v15, v15, v105
	v_fma_f32 v109, -v108, v96, 1.0
	s_delay_alu instid0(VALU_DEP_1) | instskip(NEXT) | instid1(VALU_DEP_1)
	v_fmac_f32_e32 v96, v109, v96
	v_mul_f32_e32 v13, v99, v96
	s_delay_alu instid0(VALU_DEP_1) | instskip(NEXT) | instid1(VALU_DEP_1)
	v_fma_f32 v113, -v108, v13, v99
	v_fmac_f32_e32 v13, v113, v96
	v_cmp_nlt_f32_e64 s29, 0x42ce8ed0, v98
	s_delay_alu instid0(VALU_DEP_2) | instskip(NEXT) | instid1(VALU_DEP_2)
	v_fma_f32 v99, -v108, v13, v99
	v_cndmask_b32_e64 v15, 0, v15, s29
	v_cmp_nlt_f32_e64 s29, 0x42ce8ed0, v3
	s_delay_alu instid0(VALU_DEP_1) | instskip(SKIP_1) | instid1(VALU_DEP_1)
	v_cndmask_b32_e64 v94, 0, v94, s29
	v_cmp_ngt_f32_e64 s29, 0xc2b17218, v98
	v_cndmask_b32_e64 v15, 0x7f800000, v15, s29
	v_cmp_ngt_f32_e64 s29, 0xc2b17218, v3
	s_delay_alu instid0(VALU_DEP_2) | instskip(NEXT) | instid1(VALU_DEP_2)
	v_add_f32_e32 v15, 1.0, v15
	v_cndmask_b32_e64 v94, 0x7f800000, v94, s29
	s_delay_alu instid0(VALU_DEP_2) | instskip(NEXT) | instid1(VALU_DEP_2)
	v_div_scale_f32 v97, null, v15, v15, v98
	v_add_f32_e32 v94, 1.0, v94
	s_delay_alu instid0(VALU_DEP_2) | instskip(NEXT) | instid1(VALU_DEP_1)
	v_rcp_f32_e32 v111, v97
	v_div_scale_f32 v112, null, v94, v94, v3
	s_delay_alu instid0(VALU_DEP_1) | instskip(SKIP_2) | instid1(VALU_DEP_1)
	v_rcp_f32_e32 v95, v112
	s_waitcnt_depctr 0xfff
	v_fma_f32 v115, -v112, v95, 1.0
	v_fmac_f32_e32 v95, v115, v95
	v_div_scale_f32 v115, s31, v3, v94, v3
	v_add_f32_e32 v14, 1.0, v14
	s_delay_alu instid0(VALU_DEP_1) | instskip(SKIP_1) | instid1(VALU_DEP_2)
	v_div_scale_f32 v105, null, v14, v14, v2
	v_div_scale_f32 v107, s29, v2, v14, v2
	v_rcp_f32_e32 v110, v105
	s_waitcnt_depctr 0xfff
	v_fma_f32 v109, -v105, v110, 1.0
	s_delay_alu instid0(VALU_DEP_1) | instskip(SKIP_1) | instid1(VALU_DEP_1)
	v_fmac_f32_e32 v110, v109, v110
	v_fma_f32 v109, -v97, v111, 1.0
	v_dual_mul_f32 v114, v107, v110 :: v_dual_fmac_f32 v111, v109, v111
	v_div_scale_f32 v109, s30, v98, v15, v98
	s_delay_alu instid0(VALU_DEP_2) | instskip(NEXT) | instid1(VALU_DEP_2)
	v_fma_f32 v113, -v105, v114, v107
	v_mul_f32_e32 v117, v109, v111
	s_delay_alu instid0(VALU_DEP_2) | instskip(NEXT) | instid1(VALU_DEP_2)
	v_dual_fmac_f32 v114, v113, v110 :: v_dual_mul_f32 v113, v115, v95
	v_fma_f32 v108, -v97, v117, v109
	s_delay_alu instid0(VALU_DEP_1) | instskip(SKIP_1) | instid1(VALU_DEP_4)
	v_fmac_f32_e32 v117, v108, v111
	v_div_fmas_f32 v13, v99, v96, v13
	v_fma_f32 v96, -v105, v114, v107
	s_mov_b32 vcc_lo, s29
	v_fma_f32 v99, -v112, v113, v115
	s_delay_alu instid0(VALU_DEP_3)
	v_div_fixup_f32 v13, v13, v17, v100
	v_fma_f32 v17, -v97, v117, v109
	v_div_fmas_f32 v96, v96, v110, v114
	s_mov_b32 vcc_lo, s30
	v_fmac_f32_e32 v113, v99, v95
	v_mul_f32_e32 v13, v103, v13
	v_div_fmas_f32 v17, v17, v111, v117
	v_div_fixup_f32 v2, v96, v14, v2
	s_mov_b32 vcc_lo, s31
	v_fma_f32 v14, -v112, v113, v115
	v_add3_u32 v99, v1, v116, 0x7fff
	v_div_fixup_f32 v15, v17, v15, v98
	v_mul_f32_e32 v2, v102, v2
	v_bfe_u32 v17, v13, 16, 1
	v_div_fmas_f32 v14, v14, v95, v113
	s_delay_alu instid0(VALU_DEP_4) | instskip(SKIP_2) | instid1(VALU_DEP_4)
	v_mul_f32_e32 v15, v104, v15
	v_bfe_u32 v106, v0, 16, 1
	v_cmp_o_f32_e32 vcc_lo, v0, v0
	v_div_fixup_f32 v3, v14, v94, v3
	v_lshrrev_b32_e32 v14, 16, v99
	v_bfe_u32 v94, v2, 16, 1
	v_add3_u32 v106, v0, v106, 0x7fff
	v_add3_u32 v0, v13, v17, 0x7fff
	v_mul_f32_e32 v3, v101, v3
	s_delay_alu instid0(VALU_DEP_4) | instskip(NEXT) | instid1(VALU_DEP_4)
	v_add3_u32 v17, v2, v94, 0x7fff
	v_lshrrev_b32_e32 v95, 16, v106
	v_bfe_u32 v94, v15, 16, 1
	v_lshrrev_b32_e32 v0, 16, v0
	v_bfe_u32 v96, v3, 16, 1
	v_lshrrev_b32_e32 v17, 16, v17
	v_cndmask_b32_e32 v95, 0x7fc0, v95, vcc_lo
	v_cmp_o_f32_e32 vcc_lo, v1, v1
	v_add3_u32 v1, v15, v94, 0x7fff
	v_add3_u32 v94, v3, v96, 0x7fff
	v_cndmask_b32_e32 v14, 0x7fc0, v14, vcc_lo
	v_cmp_o_f32_e32 vcc_lo, v13, v13
	v_cndmask_b32_e32 v13, 0x7fc0, v0, vcc_lo
	v_cmp_o_f32_e32 vcc_lo, v2, v2
	v_lshrrev_b32_e32 v0, 16, v1
	v_lshrrev_b32_e32 v1, 16, v94
	v_perm_b32 v2, v11, v10, 0x5040100
	v_cndmask_b32_e32 v17, 0x7fc0, v17, vcc_lo
	v_cmp_o_f32_e32 vcc_lo, v15, v15
	v_cndmask_b32_e32 v15, 0x7fc0, v0, vcc_lo
	v_cmp_o_f32_e32 vcc_lo, v3, v3
	v_perm_b32 v3, v9, v8, 0x5040100
	v_perm_b32 v0, v4, v5, 0x5040100
	;; [unrolled: 1-line block ×4, first 2 shown]
	v_cndmask_b32_e32 v94, 0x7fc0, v1, vcc_lo
	v_perm_b32 v1, v6, v7, 0x5040100
	v_perm_b32 v6, v13, v17, 0x5040100
	s_delay_alu instid0(VALU_DEP_3)
	v_perm_b32 v7, v15, v94, 0x5040100
	ds_store_b128 v52, v[0:3]
	ds_store_b128 v52, v[4:7] offset:16
	; wave barrier
	ds_load_u16 v16, v37 offset:64
	ds_load_u16 v15, v38 offset:128
	;; [unrolled: 1-line block ×15, first 2 shown]
	v_add_co_u32 v0, vcc_lo, v76, s34
	v_add_co_ci_u32_e32 v1, vcc_lo, s35, v77, vcc_lo
	s_and_saveexec_b32 s29, s13
	s_cbranch_execnz .LBB28_286
; %bb.254:                              ;   in Loop: Header=BB28_12 Depth=1
	s_or_b32 exec_lo, exec_lo, s29
	s_and_saveexec_b32 s13, s14
	s_cbranch_execnz .LBB28_287
.LBB28_255:                             ;   in Loop: Header=BB28_12 Depth=1
	s_or_b32 exec_lo, exec_lo, s13
	s_and_saveexec_b32 s13, s15
	s_cbranch_execnz .LBB28_288
.LBB28_256:                             ;   in Loop: Header=BB28_12 Depth=1
	s_or_b32 exec_lo, exec_lo, s13
	s_and_saveexec_b32 s13, s16
	s_cbranch_execnz .LBB28_289
.LBB28_257:                             ;   in Loop: Header=BB28_12 Depth=1
	s_or_b32 exec_lo, exec_lo, s13
	s_and_saveexec_b32 s13, s17
	s_cbranch_execnz .LBB28_290
.LBB28_258:                             ;   in Loop: Header=BB28_12 Depth=1
	s_or_b32 exec_lo, exec_lo, s13
	s_and_saveexec_b32 s13, s18
	s_cbranch_execnz .LBB28_291
.LBB28_259:                             ;   in Loop: Header=BB28_12 Depth=1
	s_or_b32 exec_lo, exec_lo, s13
	s_and_saveexec_b32 s13, s19
	s_cbranch_execnz .LBB28_292
.LBB28_260:                             ;   in Loop: Header=BB28_12 Depth=1
	s_or_b32 exec_lo, exec_lo, s13
	s_and_saveexec_b32 s13, s20
	s_cbranch_execnz .LBB28_293
.LBB28_261:                             ;   in Loop: Header=BB28_12 Depth=1
	s_or_b32 exec_lo, exec_lo, s13
	s_and_saveexec_b32 s13, s21
	s_cbranch_execnz .LBB28_294
.LBB28_262:                             ;   in Loop: Header=BB28_12 Depth=1
	s_or_b32 exec_lo, exec_lo, s13
	s_and_saveexec_b32 s13, s22
	s_cbranch_execnz .LBB28_295
.LBB28_263:                             ;   in Loop: Header=BB28_12 Depth=1
	s_or_b32 exec_lo, exec_lo, s13
	s_and_saveexec_b32 s13, s23
	s_cbranch_execnz .LBB28_296
.LBB28_264:                             ;   in Loop: Header=BB28_12 Depth=1
	s_or_b32 exec_lo, exec_lo, s13
	s_and_saveexec_b32 s13, s24
	s_cbranch_execnz .LBB28_297
.LBB28_265:                             ;   in Loop: Header=BB28_12 Depth=1
	s_or_b32 exec_lo, exec_lo, s13
	s_and_saveexec_b32 s13, s25
	s_cbranch_execnz .LBB28_298
.LBB28_266:                             ;   in Loop: Header=BB28_12 Depth=1
	s_or_b32 exec_lo, exec_lo, s13
	s_and_saveexec_b32 s13, s26
	s_cbranch_execnz .LBB28_299
.LBB28_267:                             ;   in Loop: Header=BB28_12 Depth=1
	s_or_b32 exec_lo, exec_lo, s13
	s_and_saveexec_b32 s13, s27
	s_cbranch_execnz .LBB28_300
.LBB28_268:                             ;   in Loop: Header=BB28_12 Depth=1
	s_or_b32 exec_lo, exec_lo, s13
	s_and_saveexec_b32 s13, s28
	s_cbranch_execz .LBB28_11
	s_branch .LBB28_301
.LBB28_269:                             ;   in Loop: Header=BB28_12 Depth=1
	global_load_u16 v101, v[8:9], off offset:832
	s_or_b32 exec_lo, exec_lo, s29
	s_and_saveexec_b32 s29, s27
	s_cbranch_execz .LBB28_72
.LBB28_270:                             ;   in Loop: Header=BB28_12 Depth=1
	global_load_u16 v100, v[8:9], off offset:896
	s_or_b32 exec_lo, exec_lo, s29
	v_mov_b32_e32 v102, 0
	s_and_saveexec_b32 s29, s28
	s_cbranch_execnz .LBB28_73
	s_branch .LBB28_74
.LBB28_271:                             ;   in Loop: Header=BB28_12 Depth=1
	ds_load_u16 v17, v37
	s_waitcnt lgkmcnt(0)
	global_store_b16 v[0:1], v17, off
	s_or_b32 exec_lo, exec_lo, s29
	s_and_saveexec_b32 s29, s14
	s_cbranch_execz .LBB28_206
.LBB28_272:                             ;   in Loop: Header=BB28_12 Depth=1
	s_waitcnt lgkmcnt(14)
	global_store_b16 v[0:1], v16, off offset:64
	s_or_b32 exec_lo, exec_lo, s29
	s_and_saveexec_b32 s29, s15
	s_cbranch_execz .LBB28_207
.LBB28_273:                             ;   in Loop: Header=BB28_12 Depth=1
	s_waitcnt lgkmcnt(13)
	global_store_b16 v[0:1], v15, off offset:128
	s_or_b32 exec_lo, exec_lo, s29
	s_and_saveexec_b32 s29, s16
	s_cbranch_execz .LBB28_208
.LBB28_274:                             ;   in Loop: Header=BB28_12 Depth=1
	s_waitcnt lgkmcnt(12)
	global_store_b16 v[0:1], v14, off offset:192
	s_or_b32 exec_lo, exec_lo, s29
	s_and_saveexec_b32 s29, s17
	s_cbranch_execz .LBB28_209
.LBB28_275:                             ;   in Loop: Header=BB28_12 Depth=1
	s_waitcnt lgkmcnt(11)
	global_store_b16 v[0:1], v13, off offset:256
	s_or_b32 exec_lo, exec_lo, s29
	s_and_saveexec_b32 s29, s18
	s_cbranch_execz .LBB28_210
.LBB28_276:                             ;   in Loop: Header=BB28_12 Depth=1
	s_waitcnt lgkmcnt(10)
	global_store_b16 v[0:1], v12, off offset:320
	s_or_b32 exec_lo, exec_lo, s29
	s_and_saveexec_b32 s29, s19
	s_cbranch_execz .LBB28_211
.LBB28_277:                             ;   in Loop: Header=BB28_12 Depth=1
	s_waitcnt lgkmcnt(9)
	global_store_b16 v[0:1], v11, off offset:384
	s_or_b32 exec_lo, exec_lo, s29
	s_and_saveexec_b32 s29, s20
	s_cbranch_execz .LBB28_212
.LBB28_278:                             ;   in Loop: Header=BB28_12 Depth=1
	s_waitcnt lgkmcnt(8)
	global_store_b16 v[0:1], v10, off offset:448
	s_or_b32 exec_lo, exec_lo, s29
	s_and_saveexec_b32 s29, s21
	s_cbranch_execz .LBB28_213
.LBB28_279:                             ;   in Loop: Header=BB28_12 Depth=1
	s_waitcnt lgkmcnt(7)
	global_store_b16 v[0:1], v9, off offset:512
	s_or_b32 exec_lo, exec_lo, s29
	s_and_saveexec_b32 s29, s22
	s_cbranch_execz .LBB28_214
.LBB28_280:                             ;   in Loop: Header=BB28_12 Depth=1
	s_waitcnt lgkmcnt(6)
	global_store_b16 v[0:1], v8, off offset:576
	s_or_b32 exec_lo, exec_lo, s29
	s_and_saveexec_b32 s29, s23
	s_cbranch_execz .LBB28_215
.LBB28_281:                             ;   in Loop: Header=BB28_12 Depth=1
	s_waitcnt lgkmcnt(5)
	global_store_b16 v[0:1], v7, off offset:640
	s_or_b32 exec_lo, exec_lo, s29
	s_and_saveexec_b32 s29, s24
	s_cbranch_execz .LBB28_216
.LBB28_282:                             ;   in Loop: Header=BB28_12 Depth=1
	s_waitcnt lgkmcnt(4)
	global_store_b16 v[0:1], v6, off offset:704
	s_or_b32 exec_lo, exec_lo, s29
	s_and_saveexec_b32 s29, s25
	s_cbranch_execz .LBB28_217
.LBB28_283:                             ;   in Loop: Header=BB28_12 Depth=1
	s_waitcnt lgkmcnt(3)
	global_store_b16 v[0:1], v5, off offset:768
	s_or_b32 exec_lo, exec_lo, s29
	s_and_saveexec_b32 s29, s26
	s_cbranch_execz .LBB28_218
.LBB28_284:                             ;   in Loop: Header=BB28_12 Depth=1
	s_waitcnt lgkmcnt(2)
	global_store_b16 v[0:1], v4, off offset:832
	s_or_b32 exec_lo, exec_lo, s29
	s_and_saveexec_b32 s29, s27
	s_cbranch_execz .LBB28_219
.LBB28_285:                             ;   in Loop: Header=BB28_12 Depth=1
	s_waitcnt lgkmcnt(1)
	global_store_b16 v[0:1], v3, off offset:896
	s_or_b32 exec_lo, exec_lo, s29
	s_and_saveexec_b32 s29, s28
	s_cbranch_execnz .LBB28_220
	s_branch .LBB28_221
.LBB28_286:                             ;   in Loop: Header=BB28_12 Depth=1
	ds_load_u16 v17, v37
	s_waitcnt lgkmcnt(0)
	global_store_b16 v[0:1], v17, off
	s_or_b32 exec_lo, exec_lo, s29
	s_and_saveexec_b32 s13, s14
	s_cbranch_execz .LBB28_255
.LBB28_287:                             ;   in Loop: Header=BB28_12 Depth=1
	s_waitcnt lgkmcnt(14)
	global_store_b16 v[0:1], v16, off offset:64
	s_or_b32 exec_lo, exec_lo, s13
	s_and_saveexec_b32 s13, s15
	s_cbranch_execz .LBB28_256
.LBB28_288:                             ;   in Loop: Header=BB28_12 Depth=1
	s_waitcnt lgkmcnt(13)
	global_store_b16 v[0:1], v15, off offset:128
	s_or_b32 exec_lo, exec_lo, s13
	s_and_saveexec_b32 s13, s16
	s_cbranch_execz .LBB28_257
.LBB28_289:                             ;   in Loop: Header=BB28_12 Depth=1
	s_waitcnt lgkmcnt(12)
	global_store_b16 v[0:1], v14, off offset:192
	s_or_b32 exec_lo, exec_lo, s13
	s_and_saveexec_b32 s13, s17
	s_cbranch_execz .LBB28_258
.LBB28_290:                             ;   in Loop: Header=BB28_12 Depth=1
	s_waitcnt lgkmcnt(11)
	global_store_b16 v[0:1], v13, off offset:256
	s_or_b32 exec_lo, exec_lo, s13
	s_and_saveexec_b32 s13, s18
	s_cbranch_execz .LBB28_259
.LBB28_291:                             ;   in Loop: Header=BB28_12 Depth=1
	s_waitcnt lgkmcnt(10)
	global_store_b16 v[0:1], v12, off offset:320
	s_or_b32 exec_lo, exec_lo, s13
	s_and_saveexec_b32 s13, s19
	s_cbranch_execz .LBB28_260
.LBB28_292:                             ;   in Loop: Header=BB28_12 Depth=1
	s_waitcnt lgkmcnt(9)
	global_store_b16 v[0:1], v11, off offset:384
	s_or_b32 exec_lo, exec_lo, s13
	s_and_saveexec_b32 s13, s20
	s_cbranch_execz .LBB28_261
.LBB28_293:                             ;   in Loop: Header=BB28_12 Depth=1
	s_waitcnt lgkmcnt(8)
	global_store_b16 v[0:1], v10, off offset:448
	s_or_b32 exec_lo, exec_lo, s13
	s_and_saveexec_b32 s13, s21
	s_cbranch_execz .LBB28_262
.LBB28_294:                             ;   in Loop: Header=BB28_12 Depth=1
	s_waitcnt lgkmcnt(7)
	global_store_b16 v[0:1], v9, off offset:512
	s_or_b32 exec_lo, exec_lo, s13
	s_and_saveexec_b32 s13, s22
	s_cbranch_execz .LBB28_263
.LBB28_295:                             ;   in Loop: Header=BB28_12 Depth=1
	s_waitcnt lgkmcnt(6)
	global_store_b16 v[0:1], v8, off offset:576
	s_or_b32 exec_lo, exec_lo, s13
	s_and_saveexec_b32 s13, s23
	s_cbranch_execz .LBB28_264
.LBB28_296:                             ;   in Loop: Header=BB28_12 Depth=1
	s_waitcnt lgkmcnt(5)
	global_store_b16 v[0:1], v7, off offset:640
	s_or_b32 exec_lo, exec_lo, s13
	s_and_saveexec_b32 s13, s24
	s_cbranch_execz .LBB28_265
.LBB28_297:                             ;   in Loop: Header=BB28_12 Depth=1
	s_waitcnt lgkmcnt(4)
	global_store_b16 v[0:1], v6, off offset:704
	s_or_b32 exec_lo, exec_lo, s13
	s_and_saveexec_b32 s13, s25
	s_cbranch_execz .LBB28_266
.LBB28_298:                             ;   in Loop: Header=BB28_12 Depth=1
	s_waitcnt lgkmcnt(3)
	global_store_b16 v[0:1], v5, off offset:768
	s_or_b32 exec_lo, exec_lo, s13
	s_and_saveexec_b32 s13, s26
	s_cbranch_execz .LBB28_267
.LBB28_299:                             ;   in Loop: Header=BB28_12 Depth=1
	s_waitcnt lgkmcnt(2)
	global_store_b16 v[0:1], v4, off offset:832
	s_or_b32 exec_lo, exec_lo, s13
	s_and_saveexec_b32 s13, s27
	s_cbranch_execz .LBB28_268
.LBB28_300:                             ;   in Loop: Header=BB28_12 Depth=1
	s_waitcnt lgkmcnt(1)
	global_store_b16 v[0:1], v3, off offset:896
	s_or_b32 exec_lo, exec_lo, s13
	s_and_saveexec_b32 s13, s28
	s_cbranch_execz .LBB28_11
.LBB28_301:                             ;   in Loop: Header=BB28_12 Depth=1
	s_waitcnt lgkmcnt(0)
	global_store_b16 v[0:1], v2, off offset:960
	s_branch .LBB28_11
.LBB28_302:
	s_nop 0
	s_sendmsg sendmsg(MSG_DEALLOC_VGPRS)
	s_endpgm
	.section	.rodata,"a",@progbits
	.p2align	6, 0x0
	.amdhsa_kernel _Z25selective_scan_fwd_kernelI32Selective_Scan_fwd_kernel_traitsILi128ELi16ELi1ELb0ELb1ELb1ELb1ELb1EN3c108BFloat16EfS2_EEv13SSMParamsBase
		.amdhsa_group_segment_fixed_size 0
		.amdhsa_private_segment_fixed_size 0
		.amdhsa_kernarg_size 248
		.amdhsa_user_sgpr_count 14
		.amdhsa_user_sgpr_dispatch_ptr 0
		.amdhsa_user_sgpr_queue_ptr 0
		.amdhsa_user_sgpr_kernarg_segment_ptr 1
		.amdhsa_user_sgpr_dispatch_id 0
		.amdhsa_user_sgpr_private_segment_size 0
		.amdhsa_wavefront_size32 1
		.amdhsa_uses_dynamic_stack 0
		.amdhsa_enable_private_segment 0
		.amdhsa_system_sgpr_workgroup_id_x 1
		.amdhsa_system_sgpr_workgroup_id_y 1
		.amdhsa_system_sgpr_workgroup_id_z 0
		.amdhsa_system_sgpr_workgroup_info 0
		.amdhsa_system_vgpr_workitem_id 0
		.amdhsa_next_free_vgpr 177
		.amdhsa_next_free_sgpr 92
		.amdhsa_reserve_vcc 1
		.amdhsa_float_round_mode_32 0
		.amdhsa_float_round_mode_16_64 0
		.amdhsa_float_denorm_mode_32 3
		.amdhsa_float_denorm_mode_16_64 3
		.amdhsa_dx10_clamp 1
		.amdhsa_ieee_mode 1
		.amdhsa_fp16_overflow 0
		.amdhsa_workgroup_processor_mode 1
		.amdhsa_memory_ordered 1
		.amdhsa_forward_progress 0
		.amdhsa_shared_vgpr_count 0
		.amdhsa_exception_fp_ieee_invalid_op 0
		.amdhsa_exception_fp_denorm_src 0
		.amdhsa_exception_fp_ieee_div_zero 0
		.amdhsa_exception_fp_ieee_overflow 0
		.amdhsa_exception_fp_ieee_underflow 0
		.amdhsa_exception_fp_ieee_inexact 0
		.amdhsa_exception_int_div_zero 0
	.end_amdhsa_kernel
	.section	.text._Z25selective_scan_fwd_kernelI32Selective_Scan_fwd_kernel_traitsILi128ELi16ELi1ELb0ELb1ELb1ELb1ELb1EN3c108BFloat16EfS2_EEv13SSMParamsBase,"axG",@progbits,_Z25selective_scan_fwd_kernelI32Selective_Scan_fwd_kernel_traitsILi128ELi16ELi1ELb0ELb1ELb1ELb1ELb1EN3c108BFloat16EfS2_EEv13SSMParamsBase,comdat
.Lfunc_end28:
	.size	_Z25selective_scan_fwd_kernelI32Selective_Scan_fwd_kernel_traitsILi128ELi16ELi1ELb0ELb1ELb1ELb1ELb1EN3c108BFloat16EfS2_EEv13SSMParamsBase, .Lfunc_end28-_Z25selective_scan_fwd_kernelI32Selective_Scan_fwd_kernel_traitsILi128ELi16ELi1ELb0ELb1ELb1ELb1ELb1EN3c108BFloat16EfS2_EEv13SSMParamsBase
                                        ; -- End function
	.section	.AMDGPU.csdata,"",@progbits
; Kernel info:
; codeLenInByte = 27076
; NumSgprs: 94
; NumVgprs: 177
; ScratchSize: 0
; MemoryBound: 0
; FloatMode: 240
; IeeeMode: 1
; LDSByteSize: 0 bytes/workgroup (compile time only)
; SGPRBlocks: 11
; VGPRBlocks: 22
; NumSGPRsForWavesPerEU: 94
; NumVGPRsForWavesPerEU: 177
; Occupancy: 8
; WaveLimiterHint : 1
; COMPUTE_PGM_RSRC2:SCRATCH_EN: 0
; COMPUTE_PGM_RSRC2:USER_SGPR: 14
; COMPUTE_PGM_RSRC2:TRAP_HANDLER: 0
; COMPUTE_PGM_RSRC2:TGID_X_EN: 1
; COMPUTE_PGM_RSRC2:TGID_Y_EN: 1
; COMPUTE_PGM_RSRC2:TGID_Z_EN: 0
; COMPUTE_PGM_RSRC2:TIDIG_COMP_CNT: 0
	.section	.text._Z25selective_scan_fwd_kernelI32Selective_Scan_fwd_kernel_traitsILi128ELi16ELi1ELb0ELb1ELb1ELb1ELb0EN3c108BFloat16EfS2_EEv13SSMParamsBase,"axG",@progbits,_Z25selective_scan_fwd_kernelI32Selective_Scan_fwd_kernel_traitsILi128ELi16ELi1ELb0ELb1ELb1ELb1ELb0EN3c108BFloat16EfS2_EEv13SSMParamsBase,comdat
	.protected	_Z25selective_scan_fwd_kernelI32Selective_Scan_fwd_kernel_traitsILi128ELi16ELi1ELb0ELb1ELb1ELb1ELb0EN3c108BFloat16EfS2_EEv13SSMParamsBase ; -- Begin function _Z25selective_scan_fwd_kernelI32Selective_Scan_fwd_kernel_traitsILi128ELi16ELi1ELb0ELb1ELb1ELb1ELb0EN3c108BFloat16EfS2_EEv13SSMParamsBase
	.globl	_Z25selective_scan_fwd_kernelI32Selective_Scan_fwd_kernel_traitsILi128ELi16ELi1ELb0ELb1ELb1ELb1ELb0EN3c108BFloat16EfS2_EEv13SSMParamsBase
	.p2align	8
	.type	_Z25selective_scan_fwd_kernelI32Selective_Scan_fwd_kernel_traitsILi128ELi16ELi1ELb0ELb1ELb1ELb1ELb0EN3c108BFloat16EfS2_EEv13SSMParamsBase,@function
_Z25selective_scan_fwd_kernelI32Selective_Scan_fwd_kernel_traitsILi128ELi16ELi1ELb0ELb1ELb1ELb1ELb0EN3c108BFloat16EfS2_EEv13SSMParamsBase: ; @_Z25selective_scan_fwd_kernelI32Selective_Scan_fwd_kernel_traitsILi128ELi16ELi1ELb0ELb1ELb1ELb1ELb0EN3c108BFloat16EfS2_EEv13SSMParamsBase
; %bb.0:
	s_clause 0x1
	s_load_b32 s9, s[0:1], 0x18
	s_load_b128 s[4:7], s[0:1], 0xe8
	s_mov_b32 s34, s15
	s_mov_b32 s68, 0
	s_waitcnt lgkmcnt(0)
	s_abs_i32 s8, s9
	s_cmp_eq_u64 s[6:7], 0
	v_cvt_f32_u32_e32 v1, s8
	s_delay_alu instid0(VALU_DEP_1) | instskip(SKIP_2) | instid1(VALU_DEP_1)
	v_rcp_iflag_f32_e32 v1, v1
	s_waitcnt_depctr 0xfff
	v_mul_f32_e32 v1, 0x4f7ffffe, v1
	v_cvt_u32_f32_e32 v1, v1
	s_delay_alu instid0(VALU_DEP_1)
	v_readfirstlane_b32 s10, v1
	s_cbranch_scc1 .LBB29_2
; %bb.1:
	v_mov_b32_e32 v1, 0
	s_ashr_i32 s3, s14, 31
	s_add_u32 s2, s6, s14
	s_addc_u32 s3, s7, s3
	global_load_u8 v1, v1, s[2:3]
	s_waitcnt vmcnt(0)
	v_and_b32_e32 v1, 1, v1
	s_delay_alu instid0(VALU_DEP_1)
	v_cmp_eq_u32_e64 s68, 1, v1
.LBB29_2:
	s_load_b64 s[6:7], s[0:1], 0x20
	s_cmp_eq_u64 s[4:5], 0
	s_cbranch_scc1 .LBB29_4
; %bb.3:
	s_ashr_i32 s15, s14, 31
	s_delay_alu instid0(SALU_CYCLE_1) | instskip(NEXT) | instid1(SALU_CYCLE_1)
	s_lshl_b64 s[2:3], s[14:15], 2
	s_add_u32 s2, s4, s2
	s_addc_u32 s3, s5, s3
	s_load_b32 s2, s[2:3], 0x0
	s_waitcnt lgkmcnt(0)
	s_ashr_i32 s3, s2, 31
	s_delay_alu instid0(SALU_CYCLE_1)
	s_cmp_eq_u64 s[6:7], s[2:3]
	s_cbranch_scc0 .LBB29_5
	s_branch .LBB29_302
.LBB29_4:
	s_mov_b32 s2, s14
	s_delay_alu instid0(SALU_CYCLE_1)
	s_ashr_i32 s3, s2, 31
	s_waitcnt lgkmcnt(0)
	s_cmp_eq_u64 s[6:7], s[2:3]
	s_cbranch_scc1 .LBB29_302
.LBB29_5:
	s_clause 0x1
	s_load_b512 s[16:31], s[0:1], 0x88
	s_load_b64 s[64:65], s[0:1], 0x8
	s_mov_b32 s69, 0
	s_mov_b32 s70, 0
	s_waitcnt lgkmcnt(0)
	s_cmp_eq_u64 s[22:23], 0
	s_cbranch_scc1 .LBB29_7
; %bb.6:
	s_ashr_i32 s35, s34, 31
	s_delay_alu instid0(SALU_CYCLE_1) | instskip(NEXT) | instid1(SALU_CYCLE_1)
	s_lshl_b64 s[4:5], s[34:35], 2
	s_add_u32 s4, s22, s4
	s_addc_u32 s5, s23, s5
	s_load_b32 s70, s[4:5], 0x0
.LBB29_7:
	s_cmp_eq_u64 s[28:29], 0
	s_cbranch_scc1 .LBB29_9
; %bb.8:
	s_ashr_i32 s35, s34, 31
	s_delay_alu instid0(SALU_CYCLE_1) | instskip(NEXT) | instid1(SALU_CYCLE_1)
	s_lshl_b64 s[4:5], s[34:35], 2
	s_add_u32 s4, s28, s4
	s_addc_u32 s5, s29, s5
	s_load_b32 s69, s[4:5], 0x0
.LBB29_9:
	s_cmp_lt_i32 s64, 1
	s_cbranch_scc1 .LBB29_302
; %bb.10:
	s_sub_i32 s3, 0, s8
	s_load_b256 s[48:55], s[0:1], 0x4c
	s_mul_i32 s3, s3, s10
	s_abs_i32 s4, s34
	s_mul_hi_u32 s3, s10, s3
	s_ashr_i32 s6, s9, 31
	s_add_i32 s10, s10, s3
	s_ashr_i32 s3, s34, 31
	s_mul_hi_u32 s5, s4, s10
	s_xor_b32 s3, s3, s6
	s_mul_i32 s7, s5, s8
	s_add_i32 s6, s5, 1
	s_sub_i32 s4, s4, s7
	s_load_b256 s[56:63], s[0:1], 0x2c
	s_sub_i32 s7, s4, s8
	s_cmp_ge_u32 s4, s8
	s_mov_b32 s67, 0
	s_cselect_b32 s5, s6, s5
	s_cselect_b32 s4, s7, s4
	s_add_i32 s6, s5, 1
	s_cmp_ge_u32 s4, s8
	s_waitcnt lgkmcnt(0)
	s_mul_i32 s66, s50, s14
	s_cselect_b32 s6, s6, s5
	s_lshl_b64 s[4:5], s[66:67], 1
	s_xor_b32 s6, s6, s3
	s_mul_i32 s66, s51, s34
	s_sub_i32 s3, s6, s3
	s_add_u32 s6, s24, s4
	s_addc_u32 s7, s25, s5
	s_lshl_b64 s[4:5], s[66:67], 1
	s_mul_i32 s66, s52, s14
	s_add_u32 s63, s6, s4
	s_addc_u32 s71, s7, s5
	s_lshl_b64 s[4:5], s[66:67], 1
	s_mul_i32 s66, s53, s34
	;; [unrolled: 4-line block ×4, first 2 shown]
	s_load_b64 s[6:7], s[0:1], 0x7c
	s_add_u32 s73, s16, s4
	s_addc_u32 s74, s17, s5
	s_lshl_b64 s[4:5], s[66:67], 1
	v_dual_mov_b32 v21, 0 :: v_dual_lshlrev_b32 v18, 4, v0
	s_mul_i32 s66, s3, s61
	s_load_b128 s[24:27], s[0:1], 0xc8
	s_add_u32 s8, s18, s4
	s_addc_u32 s9, s19, s5
	s_lshl_b64 s[4:5], s[66:67], 1
	s_mul_i32 s66, s62, s14
	s_add_u32 s61, s8, s4
	v_mbcnt_lo_u32_b32 v19, -1, 0
	v_and_b32_e32 v1, 0x600, v18
	s_addc_u32 s62, s9, s5
	s_lshl_b64 s[4:5], s[66:67], 1
	s_load_b128 s[16:19], s[0:1], 0x6c
	s_add_u32 s8, s20, s4
	s_mul_i32 s66, s3, s49
	s_addc_u32 s3, s21, s5
	s_clause 0x2
	s_load_b32 s49, s[0:1], 0x84
	s_load_b64 s[20:21], s[0:1], 0xd8
	s_load_b32 s0, s[0:1], 0x28
	v_or_b32_e32 v20, v19, v1
	v_and_b32_e32 v14, 0x60, v0
	s_lshl_b64 s[4:5], s[66:67], 1
	s_waitcnt lgkmcnt(0)
	s_mul_i32 s66, s2, s6
	s_add_u32 s75, s8, s4
	v_or_b32_e32 v24, 0x60, v20
	s_addc_u32 s76, s3, s5
	s_lshl_b64 s[2:3], s[66:67], 1
	v_or_b32_e32 v26, 0xa0, v20
	v_or_b32_e32 v28, 0xe0, v20
	;; [unrolled: 1-line block ×5, first 2 shown]
	v_lshrrev_b32_e32 v2, 5, v24
	v_or_b32_e32 v36, 0x1e0, v20
	v_or_b32_e32 v16, v19, v14
	s_mul_i32 s66, s7, s34
	s_add_u32 s4, s24, s2
	s_addc_u32 s5, s25, s3
	s_lshl_b64 s[2:3], s[66:67], 1
	v_or_b32_e32 v23, 64, v20
	s_add_u32 s77, s4, s2
	v_or_b32_e32 v25, 0x80, v20
	v_or_b32_e32 v27, 0xc0, v20
	;; [unrolled: 1-line block ×6, first 2 shown]
	v_and_b32_e32 v2, 50, v2
	v_lshrrev_b32_e32 v5, 5, v26
	v_lshrrev_b32_e32 v8, 5, v28
	;; [unrolled: 1-line block ×6, first 2 shown]
	v_lshrrev_b16 v50, 1, v16
	s_addc_u32 s78, s5, s3
	s_add_i32 s2, s64, 0x7ff
	v_lshrrev_b32_e32 v3, 5, v1
	s_lshr_b32 s79, s2, 11
	s_bitcmp1_b32 s0, 0
	v_lshrrev_b32_e32 v4, 5, v23
	v_lshrrev_b32_e32 v6, 5, v25
	v_add_lshl_u32 v2, v2, v20, 1
	v_and_b32_e32 v5, 52, v5
	v_lshrrev_b32_e32 v7, 5, v27
	v_and_b32_e32 v8, 54, v8
	v_lshrrev_b32_e32 v10, 5, v29
	;; [unrolled: 2-line block ×5, first 2 shown]
	v_and_b32_e32 v51, 62, v49
	v_lshlrev_b32_e32 v16, 4, v16
	v_and_b32_e32 v52, 62, v50
	s_cselect_b32 s80, -1, 0
	s_cmp_gt_i32 s65, 0
	v_add_lshl_u32 v3, v3, v20, 1
	s_cselect_b32 s81, -1, 0
	s_add_i32 s0, 0, 0x1080
	v_add_lshl_u32 v4, v4, v20, 1
	v_add_lshl_u32 v6, v6, v20, 1
	v_add_nc_u32_e32 v39, 0, v2
	v_add_lshl_u32 v5, v5, v20, 1
	v_add_lshl_u32 v7, v7, v20, 1
	;; [unrolled: 1-line block ×12, first 2 shown]
	v_add_nc_u32_e32 v55, s0, v2
	v_and_b32_e32 v2, 15, v19
	s_and_b32 s1, s64, 0x7ff
	v_add_nc_u32_e32 v51, 0, v67
	v_add_nc_u32_e32 v53, s0, v3
	;; [unrolled: 1-line block ×15, first 2 shown]
	s_cmp_eq_u32 s1, 0
	v_add_nc_u32_e32 v68, s0, v16
	v_cmp_ne_u32_e64 s0, 0, v2
	v_cmp_lt_u32_e64 s1, 1, v2
	v_cmp_lt_u32_e64 s2, 3, v2
	v_cmp_lt_u32_e64 s3, 7, v2
	v_add_nc_u32_e32 v2, -1, v19
	v_add_nc_u32_e32 v37, 0, v3
	v_lshrrev_b32_e32 v3, 2, v0
	s_mul_i32 s66, s16, s14
	v_add_nc_u32_e32 v41, 0, v5
	v_or_b32_e32 v5, 31, v14
	v_cmp_gt_i32_e32 vcc_lo, 0, v2
	s_cselect_b32 s82, -1, 0
	s_lshl_b64 s[12:13], s[66:67], 1
	v_and_b32_e32 v3, 24, v3
	s_add_i32 s83, s79, -1
	v_cndmask_b32_e32 v2, v2, v19, vcc_lo
	s_mul_i32 s66, s17, s34
	s_add_u32 s15, s30, s12
	s_addc_u32 s13, s31, s13
	s_lshl_b64 s[16:17], s[66:67], 1
	v_cmp_eq_u32_e64 s5, v5, v0
	v_cmp_gt_u32_e64 s6, 4, v0
	v_lshl_add_u32 v70, v0, 3, 0
	v_cmp_gt_u32_e64 s9, 32, v0
	v_cmp_lt_u32_e64 s10, 31, v0
	v_cmp_eq_u32_e64 s11, 0, v0
	s_mul_i32 s66, s54, s14
	v_lshlrev_b32_e32 v0, 1, v19
	s_add_u32 s15, s15, s16
	v_add_nc_u32_e32 v38, 0, v4
	v_and_b32_e32 v4, 16, v19
	v_add_nc_u32_e32 v69, 0, v3
	v_and_b32_e32 v3, 3, v19
	s_addc_u32 s13, s13, s17
	s_lshl_b64 s[16:17], s[66:67], 1
	s_mul_i32 s66, s55, s34
	s_add_u32 s22, s26, s16
	v_lshlrev_b32_e32 v71, 2, v2
	s_addc_u32 s23, s27, s17
	s_lshl_b64 s[16:17], s[66:67], 1
	v_add_co_u32 v2, s15, s15, v0
	s_mul_i32 s66, s18, s14
	v_cmp_ne_u32_e64 s4, 0, v4
	v_cmp_ne_u32_e64 s7, 0, v3
	v_cmp_lt_u32_e64 s8, 1, v3
	v_add_co_ci_u32_e64 v3, null, s13, 0, s15
	s_add_u32 s13, s22, s16
	v_lshlrev_b32_e32 v4, 1, v1
	s_addc_u32 s16, s23, s17
	s_lshl_b64 s[14:15], s[66:67], 1
	s_mul_i32 s66, s19, s34
	s_add_u32 s17, s20, s14
	s_addc_u32 s18, s21, s15
	s_lshl_b64 s[14:15], s[66:67], 1
	v_add_co_u32 v72, vcc_lo, v2, v4
	v_add_co_u32 v2, s13, s13, v0
	s_add_u32 s14, s17, s14
	v_add_co_ci_u32_e32 v73, vcc_lo, 0, v3, vcc_lo
	v_add_co_ci_u32_e64 v3, null, s16, 0, s13
	s_addc_u32 s15, s18, s15
	v_add_co_u32 v0, s13, s14, v0
	s_delay_alu instid0(VALU_DEP_1) | instskip(SKIP_2) | instid1(VALU_DEP_4)
	v_add_co_ci_u32_e64 v5, null, s15, 0, s13
	v_add_co_u32 v74, vcc_lo, v2, v4
	v_add_co_ci_u32_e32 v75, vcc_lo, 0, v3, vcc_lo
	v_add_co_u32 v76, vcc_lo, v0, v4
	v_or_b32_e32 v22, 32, v20
	v_add_nc_u32_e32 v40, 0, v6
	v_add_nc_u32_e32 v42, 0, v7
	;; [unrolled: 1-line block ×11, first 2 shown]
	v_cmp_eq_u32_e64 s12, 0, v19
	v_add_co_ci_u32_e32 v77, vcc_lo, 0, v5, vcc_lo
	v_or_b32_e32 v78, 1, v18
	v_or_b32_e32 v79, 2, v18
	v_or_b32_e32 v80, 3, v18
	v_or_b32_e32 v81, 4, v18
	v_or_b32_e32 v82, 5, v18
	v_or_b32_e32 v83, 6, v18
	v_or_b32_e32 v84, 7, v18
	v_or_b32_e32 v85, 8, v18
	v_or_b32_e32 v86, 9, v18
	v_or_b32_e32 v87, 10, v18
	v_or_b32_e32 v88, 11, v18
	v_or_b32_e32 v89, 12, v18
	v_or_b32_e32 v90, 13, v18
	v_or_b32_e32 v91, 14, v18
	v_or_b32_e32 v92, 15, v18
	v_lshlrev_b32_e32 v93, 1, v1
	s_mov_b32 s84, 0x3e9b6dac
	s_add_i32 s85, 0, 0x2120
	s_mov_b32 s86, 0
	s_branch .LBB29_12
.LBB29_11:                              ;   in Loop: Header=BB29_12 Depth=1
	s_or_b32 exec_lo, exec_lo, s13
	s_add_u32 s72, s72, 0x1000
	s_addc_u32 s56, s56, 0
	s_add_u32 s63, s63, 0x1000
	s_addc_u32 s71, s71, 0
	;; [unrolled: 2-line block ×4, first 2 shown]
	s_add_i32 s86, s86, 1
	s_delay_alu instid0(SALU_CYCLE_1)
	s_cmp_lg_u32 s86, s79
	s_cbranch_scc0 .LBB29_302
.LBB29_12:                              ; =>This Loop Header: Depth=1
                                        ;     Child Loop BB29_109 Depth 2
	s_waitcnt lgkmcnt(14)
	v_lshlrev_b32_e32 v16, 1, v19
	s_lshl_b32 s50, s86, 11
	s_waitcnt lgkmcnt(0)
	v_mov_b32_e32 v2, 0
	s_sub_i32 s41, s64, s50
	v_add_co_u32 v0, s13, s63, v16
	s_delay_alu instid0(VALU_DEP_1) | instskip(SKIP_1) | instid1(VALU_DEP_3)
	v_add_co_ci_u32_e64 v1, null, s71, 0, s13
	v_cmp_gt_u32_e64 s13, s41, v20
	v_add_co_u32 v0, vcc_lo, v0, v93
	s_delay_alu instid0(VALU_DEP_3)
	v_add_co_ci_u32_e32 v1, vcc_lo, 0, v1, vcc_lo
	s_waitcnt_vscnt null, 0x0
	s_barrier
	buffer_gl0_inv
	s_and_saveexec_b32 s14, s13
	s_cbranch_execz .LBB29_14
; %bb.13:                               ;   in Loop: Header=BB29_12 Depth=1
	global_load_u16 v2, v[0:1], off
.LBB29_14:                              ;   in Loop: Header=BB29_12 Depth=1
	s_or_b32 exec_lo, exec_lo, s14
	v_cmp_gt_u32_e64 s14, s41, v22
	v_dual_mov_b32 v3, 0 :: v_dual_mov_b32 v4, 0
	s_delay_alu instid0(VALU_DEP_2)
	s_and_saveexec_b32 s15, s14
	s_cbranch_execz .LBB29_16
; %bb.15:                               ;   in Loop: Header=BB29_12 Depth=1
	global_load_u16 v4, v[0:1], off offset:64
.LBB29_16:                              ;   in Loop: Header=BB29_12 Depth=1
	s_or_b32 exec_lo, exec_lo, s15
	v_cmp_gt_u32_e64 s15, s41, v23
	s_delay_alu instid0(VALU_DEP_1)
	s_and_saveexec_b32 s16, s15
	s_cbranch_execz .LBB29_18
; %bb.17:                               ;   in Loop: Header=BB29_12 Depth=1
	global_load_u16 v3, v[0:1], off offset:128
.LBB29_18:                              ;   in Loop: Header=BB29_12 Depth=1
	s_or_b32 exec_lo, exec_lo, s16
	v_cmp_gt_u32_e64 s16, s41, v24
	v_dual_mov_b32 v5, 0 :: v_dual_mov_b32 v6, 0
	s_delay_alu instid0(VALU_DEP_2)
	s_and_saveexec_b32 s17, s16
	s_cbranch_execz .LBB29_20
; %bb.19:                               ;   in Loop: Header=BB29_12 Depth=1
	global_load_u16 v6, v[0:1], off offset:192
.LBB29_20:                              ;   in Loop: Header=BB29_12 Depth=1
	s_or_b32 exec_lo, exec_lo, s17
	v_cmp_gt_u32_e64 s17, s41, v25
	s_delay_alu instid0(VALU_DEP_1)
	s_and_saveexec_b32 s18, s17
	s_cbranch_execz .LBB29_22
; %bb.21:                               ;   in Loop: Header=BB29_12 Depth=1
	global_load_u16 v5, v[0:1], off offset:256
.LBB29_22:                              ;   in Loop: Header=BB29_12 Depth=1
	;; [unrolled: 17-line block ×3, first 2 shown]
	s_or_b32 exec_lo, exec_lo, s20
	v_cmp_gt_u32_e64 s20, s41, v28
	v_mov_b32_e32 v9, 0
	v_mov_b32_e32 v11, 0
	s_delay_alu instid0(VALU_DEP_3)
	s_and_saveexec_b32 s21, s20
	s_cbranch_execz .LBB29_28
; %bb.27:                               ;   in Loop: Header=BB29_12 Depth=1
	global_load_u16 v11, v[0:1], off offset:448
.LBB29_28:                              ;   in Loop: Header=BB29_12 Depth=1
	s_or_b32 exec_lo, exec_lo, s21
	v_cmp_gt_u32_e64 s21, s41, v29
	s_delay_alu instid0(VALU_DEP_1)
	s_and_saveexec_b32 s22, s21
	s_cbranch_execz .LBB29_30
; %bb.29:                               ;   in Loop: Header=BB29_12 Depth=1
	global_load_u16 v9, v[0:1], off offset:512
.LBB29_30:                              ;   in Loop: Header=BB29_12 Depth=1
	s_or_b32 exec_lo, exec_lo, s22
	v_cmp_gt_u32_e64 s22, s41, v30
	v_dual_mov_b32 v12, 0 :: v_dual_mov_b32 v13, 0
	s_delay_alu instid0(VALU_DEP_2)
	s_and_saveexec_b32 s23, s22
	s_cbranch_execz .LBB29_32
; %bb.31:                               ;   in Loop: Header=BB29_12 Depth=1
	global_load_u16 v13, v[0:1], off offset:576
.LBB29_32:                              ;   in Loop: Header=BB29_12 Depth=1
	s_or_b32 exec_lo, exec_lo, s23
	v_cmp_gt_u32_e64 s23, s41, v31
	s_delay_alu instid0(VALU_DEP_1)
	s_and_saveexec_b32 s24, s23
	s_cbranch_execz .LBB29_34
; %bb.33:                               ;   in Loop: Header=BB29_12 Depth=1
	global_load_u16 v12, v[0:1], off offset:640
.LBB29_34:                              ;   in Loop: Header=BB29_12 Depth=1
	s_or_b32 exec_lo, exec_lo, s24
	v_cmp_gt_u32_e64 s24, s41, v32
	v_dual_mov_b32 v14, 0 :: v_dual_mov_b32 v15, 0
	s_delay_alu instid0(VALU_DEP_2)
	;; [unrolled: 17-line block ×4, first 2 shown]
	s_and_saveexec_b32 s29, s28
	s_cbranch_execz .LBB29_44
; %bb.43:                               ;   in Loop: Header=BB29_12 Depth=1
	global_load_u16 v95, v[0:1], off offset:960
.LBB29_44:                              ;   in Loop: Header=BB29_12 Depth=1
	s_or_b32 exec_lo, exec_lo, s29
	s_waitcnt vmcnt(0)
	ds_store_b16 v37, v2
	ds_store_b16 v37, v4 offset:64
	ds_store_b16 v38, v3 offset:128
	;; [unrolled: 1-line block ×15, first 2 shown]
	; wave barrier
	ds_load_b128 v[0:3], v52
	ds_load_b128 v[4:7], v52 offset:16
	v_add_co_u32 v8, s29, s72, v16
	s_delay_alu instid0(VALU_DEP_1) | instskip(SKIP_1) | instid1(VALU_DEP_2)
	v_add_co_ci_u32_e64 v9, null, s56, 0, s29
	s_waitcnt lgkmcnt(0)
	v_add_co_u32 v8, vcc_lo, v8, v93
	s_delay_alu instid0(VALU_DEP_2)
	v_add_co_ci_u32_e32 v9, vcc_lo, 0, v9, vcc_lo
	s_barrier
	buffer_gl0_inv
	s_and_saveexec_b32 s29, s13
	s_cbranch_execz .LBB29_46
; %bb.45:                               ;   in Loop: Header=BB29_12 Depth=1
	global_load_u16 v10, v[8:9], off
.LBB29_46:                              ;   in Loop: Header=BB29_12 Depth=1
	s_or_b32 exec_lo, exec_lo, s29
	v_dual_mov_b32 v11, 0 :: v_dual_mov_b32 v12, 0
	s_and_saveexec_b32 s29, s14
	s_cbranch_execz .LBB29_48
; %bb.47:                               ;   in Loop: Header=BB29_12 Depth=1
	global_load_u16 v12, v[8:9], off offset:64
.LBB29_48:                              ;   in Loop: Header=BB29_12 Depth=1
	s_or_b32 exec_lo, exec_lo, s29
	s_and_saveexec_b32 s29, s15
	s_cbranch_execz .LBB29_50
; %bb.49:                               ;   in Loop: Header=BB29_12 Depth=1
	global_load_u16 v11, v[8:9], off offset:128
.LBB29_50:                              ;   in Loop: Header=BB29_12 Depth=1
	s_or_b32 exec_lo, exec_lo, s29
	v_dual_mov_b32 v13, 0 :: v_dual_mov_b32 v14, 0
	s_and_saveexec_b32 s29, s16
	s_cbranch_execz .LBB29_52
; %bb.51:                               ;   in Loop: Header=BB29_12 Depth=1
	global_load_u16 v14, v[8:9], off offset:192
.LBB29_52:                              ;   in Loop: Header=BB29_12 Depth=1
	s_or_b32 exec_lo, exec_lo, s29
	s_and_saveexec_b32 s29, s17
	s_cbranch_execz .LBB29_54
; %bb.53:                               ;   in Loop: Header=BB29_12 Depth=1
	global_load_u16 v13, v[8:9], off offset:256
.LBB29_54:                              ;   in Loop: Header=BB29_12 Depth=1
	s_or_b32 exec_lo, exec_lo, s29
	v_mov_b32_e32 v15, 0
	v_mov_b32_e32 v17, 0
	s_and_saveexec_b32 s29, s18
	s_cbranch_execz .LBB29_56
; %bb.55:                               ;   in Loop: Header=BB29_12 Depth=1
	global_load_u16 v17, v[8:9], off offset:320
.LBB29_56:                              ;   in Loop: Header=BB29_12 Depth=1
	s_or_b32 exec_lo, exec_lo, s29
	s_and_saveexec_b32 s29, s19
	s_cbranch_execz .LBB29_58
; %bb.57:                               ;   in Loop: Header=BB29_12 Depth=1
	global_load_u16 v15, v[8:9], off offset:384
.LBB29_58:                              ;   in Loop: Header=BB29_12 Depth=1
	s_or_b32 exec_lo, exec_lo, s29
	v_dual_mov_b32 v94, 0 :: v_dual_mov_b32 v95, 0
	s_and_saveexec_b32 s29, s20
	s_cbranch_execz .LBB29_60
; %bb.59:                               ;   in Loop: Header=BB29_12 Depth=1
	global_load_u16 v95, v[8:9], off offset:448
.LBB29_60:                              ;   in Loop: Header=BB29_12 Depth=1
	s_or_b32 exec_lo, exec_lo, s29
	s_and_saveexec_b32 s29, s21
	s_cbranch_execz .LBB29_62
; %bb.61:                               ;   in Loop: Header=BB29_12 Depth=1
	global_load_u16 v94, v[8:9], off offset:512
.LBB29_62:                              ;   in Loop: Header=BB29_12 Depth=1
	s_or_b32 exec_lo, exec_lo, s29
	v_dual_mov_b32 v96, 0 :: v_dual_mov_b32 v97, 0
	;; [unrolled: 13-line block ×4, first 2 shown]
	s_and_saveexec_b32 s29, s26
	s_cbranch_execnz .LBB29_269
; %bb.71:                               ;   in Loop: Header=BB29_12 Depth=1
	s_or_b32 exec_lo, exec_lo, s29
	s_and_saveexec_b32 s29, s27
	s_cbranch_execnz .LBB29_270
.LBB29_72:                              ;   in Loop: Header=BB29_12 Depth=1
	s_or_b32 exec_lo, exec_lo, s29
	v_mov_b32_e32 v102, 0
	s_and_saveexec_b32 s29, s28
	s_cbranch_execz .LBB29_74
.LBB29_73:                              ;   in Loop: Header=BB29_12 Depth=1
	global_load_u16 v102, v[8:9], off offset:960
.LBB29_74:                              ;   in Loop: Header=BB29_12 Depth=1
	s_or_b32 exec_lo, exec_lo, s29
	s_waitcnt vmcnt(0)
	ds_store_b16 v37, v10
	ds_store_b16 v37, v12 offset:64
	ds_store_b16 v38, v11 offset:128
	;; [unrolled: 1-line block ×15, first 2 shown]
	; wave barrier
	ds_load_b128 v[12:15], v52
	ds_load_b128 v[8:11], v52 offset:16
	s_waitcnt lgkmcnt(1)
	v_lshlrev_b32_e32 v17, 16, v12
	s_delay_alu instid0(VALU_DEP_1) | instskip(NEXT) | instid1(VALU_DEP_1)
	v_add_f32_e32 v94, s69, v17
	v_cmp_ge_f32_e32 vcc_lo, 0x41a00000, v94
	s_and_b32 s29, s80, vcc_lo
	s_delay_alu instid0(SALU_CYCLE_1)
	s_and_saveexec_b32 s30, s29
	s_cbranch_execz .LBB29_76
; %bb.75:                               ;   in Loop: Header=BB29_12 Depth=1
	v_mul_f32_e32 v17, 0x3fb8aa3b, v94
	v_cmp_ngt_f32_e32 vcc_lo, 0xc2ce8ed0, v94
	s_delay_alu instid0(VALU_DEP_2) | instskip(SKIP_1) | instid1(VALU_DEP_1)
	v_rndne_f32_e32 v95, v17
	v_fma_f32 v96, 0x3fb8aa3b, v94, -v17
	v_dual_sub_f32 v17, v17, v95 :: v_dual_fmac_f32 v96, 0x32a5705f, v94
	v_cvt_i32_f32_e32 v95, v95
	s_delay_alu instid0(VALU_DEP_2) | instskip(NEXT) | instid1(VALU_DEP_1)
	v_add_f32_e32 v17, v17, v96
	v_exp_f32_e32 v17, v17
	s_waitcnt_depctr 0xfff
	v_ldexp_f32 v17, v17, v95
	s_delay_alu instid0(VALU_DEP_1) | instskip(SKIP_1) | instid1(VALU_DEP_2)
	v_cndmask_b32_e32 v17, 0, v17, vcc_lo
	v_cmp_nlt_f32_e32 vcc_lo, 0x42b17218, v94
	v_cndmask_b32_e32 v17, 0x7f800000, v17, vcc_lo
	s_delay_alu instid0(VALU_DEP_1) | instskip(NEXT) | instid1(VALU_DEP_1)
	v_add_f32_e32 v96, 1.0, v17
	v_cvt_f64_f32_e32 v[94:95], v96
	s_delay_alu instid0(VALU_DEP_1) | instskip(SKIP_1) | instid1(VALU_DEP_1)
	v_frexp_exp_i32_f64_e32 v94, v[94:95]
	v_frexp_mant_f32_e32 v95, v96
	v_cmp_gt_f32_e32 vcc_lo, 0x3f2aaaab, v95
	v_add_f32_e32 v95, -1.0, v96
	s_delay_alu instid0(VALU_DEP_1) | instskip(NEXT) | instid1(VALU_DEP_1)
	v_dual_sub_f32 v98, v95, v96 :: v_dual_sub_f32 v95, v17, v95
	v_add_f32_e32 v98, 1.0, v98
	v_subrev_co_ci_u32_e32 v94, vcc_lo, 0, v94, vcc_lo
	s_delay_alu instid0(VALU_DEP_1) | instskip(SKIP_1) | instid1(VALU_DEP_2)
	v_sub_nc_u32_e32 v97, 0, v94
	v_cvt_f32_i32_e32 v94, v94
	v_ldexp_f32 v96, v96, v97
	v_add_f32_e32 v95, v95, v98
	s_delay_alu instid0(VALU_DEP_1) | instskip(NEXT) | instid1(VALU_DEP_3)
	v_ldexp_f32 v95, v95, v97
	v_add_f32_e32 v99, 1.0, v96
	s_delay_alu instid0(VALU_DEP_1) | instskip(NEXT) | instid1(VALU_DEP_1)
	v_add_f32_e32 v98, -1.0, v99
	v_sub_f32_e32 v98, v96, v98
	v_cmp_eq_f32_e32 vcc_lo, 0x7f800000, v17
	v_cmp_gt_f32_e64 s29, 0x33800000, v17
	s_delay_alu instid0(VALU_DEP_3) | instskip(NEXT) | instid1(VALU_DEP_2)
	v_dual_add_f32 v98, v95, v98 :: v_dual_add_f32 v97, -1.0, v96
	s_or_b32 vcc_lo, s29, vcc_lo
	s_delay_alu instid0(VALU_DEP_1) | instskip(NEXT) | instid1(VALU_DEP_1)
	v_add_f32_e32 v100, 1.0, v97
	v_sub_f32_e32 v96, v96, v100
	s_delay_alu instid0(VALU_DEP_3) | instskip(NEXT) | instid1(VALU_DEP_1)
	v_add_f32_e32 v100, v99, v98
	v_sub_f32_e32 v99, v99, v100
	s_delay_alu instid0(VALU_DEP_3) | instskip(SKIP_1) | instid1(VALU_DEP_2)
	v_add_f32_e32 v95, v95, v96
	v_rcp_f32_e32 v96, v100
	v_add_f32_e32 v98, v98, v99
	s_delay_alu instid0(VALU_DEP_2) | instskip(NEXT) | instid1(VALU_DEP_1)
	v_add_f32_e32 v101, v97, v95
	v_sub_f32_e32 v97, v97, v101
	s_waitcnt_depctr 0xfff
	v_dual_mul_f32 v102, v101, v96 :: v_dual_add_f32 v95, v95, v97
	s_delay_alu instid0(VALU_DEP_1) | instskip(NEXT) | instid1(VALU_DEP_1)
	v_mul_f32_e32 v103, v100, v102
	v_fma_f32 v99, v102, v100, -v103
	s_delay_alu instid0(VALU_DEP_1) | instskip(NEXT) | instid1(VALU_DEP_1)
	v_fmac_f32_e32 v99, v102, v98
	v_add_f32_e32 v104, v103, v99
	s_delay_alu instid0(VALU_DEP_1) | instskip(NEXT) | instid1(VALU_DEP_1)
	v_sub_f32_e32 v105, v101, v104
	v_sub_f32_e32 v101, v101, v105
	v_sub_f32_e32 v97, v104, v103
	s_delay_alu instid0(VALU_DEP_2) | instskip(NEXT) | instid1(VALU_DEP_2)
	v_sub_f32_e32 v101, v101, v104
	v_sub_f32_e32 v97, v97, v99
	s_delay_alu instid0(VALU_DEP_2) | instskip(NEXT) | instid1(VALU_DEP_1)
	v_add_f32_e32 v95, v95, v101
	v_add_f32_e32 v95, v97, v95
	s_delay_alu instid0(VALU_DEP_1) | instskip(NEXT) | instid1(VALU_DEP_1)
	v_add_f32_e32 v97, v105, v95
	v_mul_f32_e32 v99, v96, v97
	s_delay_alu instid0(VALU_DEP_1) | instskip(NEXT) | instid1(VALU_DEP_1)
	v_dual_sub_f32 v104, v105, v97 :: v_dual_mul_f32 v101, v100, v99
	v_add_f32_e32 v95, v95, v104
	s_delay_alu instid0(VALU_DEP_2) | instskip(NEXT) | instid1(VALU_DEP_1)
	v_fma_f32 v100, v99, v100, -v101
	v_fmac_f32_e32 v100, v99, v98
	s_delay_alu instid0(VALU_DEP_1) | instskip(NEXT) | instid1(VALU_DEP_1)
	v_add_f32_e32 v98, v101, v100
	v_sub_f32_e32 v103, v97, v98
	v_sub_f32_e32 v101, v98, v101
	s_delay_alu instid0(VALU_DEP_2) | instskip(NEXT) | instid1(VALU_DEP_1)
	v_sub_f32_e32 v97, v97, v103
	v_sub_f32_e32 v97, v97, v98
	s_delay_alu instid0(VALU_DEP_1) | instskip(SKIP_1) | instid1(VALU_DEP_1)
	v_dual_sub_f32 v98, v101, v100 :: v_dual_add_f32 v95, v95, v97
	v_add_f32_e32 v97, v102, v99
	v_dual_add_f32 v95, v98, v95 :: v_dual_sub_f32 v98, v97, v102
	s_delay_alu instid0(VALU_DEP_1) | instskip(NEXT) | instid1(VALU_DEP_1)
	v_add_f32_e32 v95, v103, v95
	v_dual_sub_f32 v98, v99, v98 :: v_dual_mul_f32 v95, v96, v95
	s_delay_alu instid0(VALU_DEP_1) | instskip(NEXT) | instid1(VALU_DEP_1)
	v_add_f32_e32 v95, v98, v95
	v_add_f32_e32 v96, v97, v95
	s_delay_alu instid0(VALU_DEP_1) | instskip(NEXT) | instid1(VALU_DEP_1)
	v_mul_f32_e32 v98, v96, v96
	v_fmaak_f32 v99, s84, v98, 0x3ecc95a3
	v_mul_f32_e32 v100, v96, v98
	s_delay_alu instid0(VALU_DEP_2) | instskip(SKIP_2) | instid1(VALU_DEP_3)
	v_fmaak_f32 v98, v98, v99, 0x3f2aaada
	v_ldexp_f32 v99, v96, 1
	v_sub_f32_e32 v96, v96, v97
	v_mul_f32_e32 v98, v100, v98
	s_delay_alu instid0(VALU_DEP_2) | instskip(NEXT) | instid1(VALU_DEP_2)
	v_dual_mul_f32 v100, 0x3f317218, v94 :: v_dual_sub_f32 v95, v95, v96
	v_add_f32_e32 v97, v99, v98
	s_delay_alu instid0(VALU_DEP_2) | instskip(NEXT) | instid1(VALU_DEP_2)
	v_ldexp_f32 v95, v95, 1
	v_sub_f32_e32 v96, v97, v99
	s_delay_alu instid0(VALU_DEP_4) | instskip(NEXT) | instid1(VALU_DEP_1)
	v_fma_f32 v99, 0x3f317218, v94, -v100
	v_dual_sub_f32 v96, v98, v96 :: v_dual_fmac_f32 v99, 0xb102e308, v94
	s_delay_alu instid0(VALU_DEP_1) | instskip(NEXT) | instid1(VALU_DEP_1)
	v_dual_add_f32 v94, v95, v96 :: v_dual_add_f32 v95, v100, v99
	v_add_f32_e32 v96, v97, v94
	s_delay_alu instid0(VALU_DEP_2) | instskip(NEXT) | instid1(VALU_DEP_2)
	v_sub_f32_e32 v100, v95, v100
	v_dual_add_f32 v98, v95, v96 :: v_dual_sub_f32 v97, v96, v97
	s_delay_alu instid0(VALU_DEP_2) | instskip(NEXT) | instid1(VALU_DEP_2)
	v_sub_f32_e32 v99, v99, v100
	v_sub_f32_e32 v101, v98, v95
	s_delay_alu instid0(VALU_DEP_3) | instskip(NEXT) | instid1(VALU_DEP_2)
	v_sub_f32_e32 v94, v94, v97
	v_sub_f32_e32 v102, v98, v101
	s_delay_alu instid0(VALU_DEP_2) | instskip(NEXT) | instid1(VALU_DEP_2)
	v_dual_sub_f32 v96, v96, v101 :: v_dual_add_f32 v97, v99, v94
	v_sub_f32_e32 v95, v95, v102
	s_delay_alu instid0(VALU_DEP_1) | instskip(NEXT) | instid1(VALU_DEP_3)
	v_add_f32_e32 v95, v96, v95
	v_sub_f32_e32 v96, v97, v99
	s_delay_alu instid0(VALU_DEP_2) | instskip(NEXT) | instid1(VALU_DEP_2)
	v_add_f32_e32 v95, v97, v95
	v_sub_f32_e32 v97, v97, v96
	v_sub_f32_e32 v94, v94, v96
	s_delay_alu instid0(VALU_DEP_2) | instskip(NEXT) | instid1(VALU_DEP_1)
	v_dual_add_f32 v100, v98, v95 :: v_dual_sub_f32 v97, v99, v97
	v_sub_f32_e32 v96, v100, v98
	s_delay_alu instid0(VALU_DEP_1) | instskip(NEXT) | instid1(VALU_DEP_1)
	v_dual_add_f32 v94, v94, v97 :: v_dual_sub_f32 v95, v95, v96
	v_add_f32_e32 v94, v94, v95
	s_delay_alu instid0(VALU_DEP_1) | instskip(NEXT) | instid1(VALU_DEP_1)
	v_add_f32_e32 v94, v100, v94
	v_cndmask_b32_e32 v94, v94, v17, vcc_lo
.LBB29_76:                              ;   in Loop: Header=BB29_12 Depth=1
	s_or_b32 exec_lo, exec_lo, s30
	v_and_b32_e32 v12, 0xffff0000, v12
	s_delay_alu instid0(VALU_DEP_1) | instskip(NEXT) | instid1(VALU_DEP_1)
	v_add_f32_e32 v95, s69, v12
	v_cmp_ge_f32_e32 vcc_lo, 0x41a00000, v95
	s_and_b32 s29, s80, vcc_lo
	s_delay_alu instid0(SALU_CYCLE_1)
	s_and_saveexec_b32 s30, s29
	s_cbranch_execz .LBB29_78
; %bb.77:                               ;   in Loop: Header=BB29_12 Depth=1
	v_mul_f32_e32 v12, 0x3fb8aa3b, v95
	v_cmp_ngt_f32_e32 vcc_lo, 0xc2ce8ed0, v95
	s_delay_alu instid0(VALU_DEP_2) | instskip(SKIP_1) | instid1(VALU_DEP_2)
	v_rndne_f32_e32 v17, v12
	v_fma_f32 v96, 0x3fb8aa3b, v95, -v12
	v_sub_f32_e32 v12, v12, v17
	s_delay_alu instid0(VALU_DEP_2) | instskip(SKIP_1) | instid1(VALU_DEP_2)
	v_fmac_f32_e32 v96, 0x32a5705f, v95
	v_cvt_i32_f32_e32 v17, v17
	v_add_f32_e32 v12, v12, v96
	s_delay_alu instid0(VALU_DEP_1) | instskip(SKIP_2) | instid1(VALU_DEP_1)
	v_exp_f32_e32 v12, v12
	s_waitcnt_depctr 0xfff
	v_ldexp_f32 v12, v12, v17
	v_cndmask_b32_e32 v12, 0, v12, vcc_lo
	v_cmp_nlt_f32_e32 vcc_lo, 0x42b17218, v95
	s_delay_alu instid0(VALU_DEP_2) | instskip(NEXT) | instid1(VALU_DEP_1)
	v_cndmask_b32_e32 v12, 0x7f800000, v12, vcc_lo
	v_add_f32_e32 v17, 1.0, v12
	s_delay_alu instid0(VALU_DEP_1) | instskip(NEXT) | instid1(VALU_DEP_1)
	v_cvt_f64_f32_e32 v[95:96], v17
	v_frexp_exp_i32_f64_e32 v95, v[95:96]
	v_frexp_mant_f32_e32 v96, v17
	s_delay_alu instid0(VALU_DEP_1) | instskip(SKIP_1) | instid1(VALU_DEP_1)
	v_cmp_gt_f32_e32 vcc_lo, 0x3f2aaaab, v96
	v_add_f32_e32 v96, -1.0, v17
	v_sub_f32_e32 v98, v96, v17
	v_sub_f32_e32 v96, v12, v96
	s_delay_alu instid0(VALU_DEP_2) | instskip(NEXT) | instid1(VALU_DEP_1)
	v_add_f32_e32 v98, 1.0, v98
	v_add_f32_e32 v96, v96, v98
	v_subrev_co_ci_u32_e32 v95, vcc_lo, 0, v95, vcc_lo
	s_delay_alu instid0(VALU_DEP_1) | instskip(SKIP_1) | instid1(VALU_DEP_2)
	v_sub_nc_u32_e32 v97, 0, v95
	v_cvt_f32_i32_e32 v95, v95
	v_ldexp_f32 v17, v17, v97
	v_ldexp_f32 v96, v96, v97
	s_delay_alu instid0(VALU_DEP_2) | instskip(NEXT) | instid1(VALU_DEP_1)
	v_add_f32_e32 v99, 1.0, v17
	v_dual_add_f32 v97, -1.0, v17 :: v_dual_add_f32 v98, -1.0, v99
	s_delay_alu instid0(VALU_DEP_1) | instskip(NEXT) | instid1(VALU_DEP_2)
	v_add_f32_e32 v100, 1.0, v97
	v_sub_f32_e32 v98, v17, v98
	s_delay_alu instid0(VALU_DEP_2) | instskip(NEXT) | instid1(VALU_DEP_1)
	v_sub_f32_e32 v17, v17, v100
	v_add_f32_e32 v17, v96, v17
	s_delay_alu instid0(VALU_DEP_1) | instskip(SKIP_2) | instid1(VALU_DEP_3)
	v_add_f32_e32 v101, v97, v17
	v_cmp_eq_f32_e32 vcc_lo, 0x7f800000, v12
	v_cmp_gt_f32_e64 s29, 0x33800000, v12
	v_dual_sub_f32 v97, v97, v101 :: v_dual_add_f32 v98, v96, v98
	s_delay_alu instid0(VALU_DEP_2) | instskip(NEXT) | instid1(VALU_DEP_1)
	s_or_b32 vcc_lo, s29, vcc_lo
	v_dual_add_f32 v17, v17, v97 :: v_dual_add_f32 v100, v99, v98
	s_delay_alu instid0(VALU_DEP_1) | instskip(SKIP_1) | instid1(VALU_DEP_1)
	v_rcp_f32_e32 v96, v100
	v_sub_f32_e32 v99, v99, v100
	v_add_f32_e32 v98, v98, v99
	s_waitcnt_depctr 0xfff
	v_mul_f32_e32 v102, v101, v96
	s_delay_alu instid0(VALU_DEP_1) | instskip(NEXT) | instid1(VALU_DEP_1)
	v_mul_f32_e32 v103, v100, v102
	v_fma_f32 v99, v102, v100, -v103
	s_delay_alu instid0(VALU_DEP_1) | instskip(NEXT) | instid1(VALU_DEP_1)
	v_fmac_f32_e32 v99, v102, v98
	v_add_f32_e32 v104, v103, v99
	s_delay_alu instid0(VALU_DEP_1) | instskip(SKIP_1) | instid1(VALU_DEP_2)
	v_sub_f32_e32 v105, v101, v104
	v_sub_f32_e32 v97, v104, v103
	v_sub_f32_e32 v101, v101, v105
	s_delay_alu instid0(VALU_DEP_2) | instskip(NEXT) | instid1(VALU_DEP_2)
	v_sub_f32_e32 v97, v97, v99
	v_sub_f32_e32 v101, v101, v104
	s_delay_alu instid0(VALU_DEP_1) | instskip(NEXT) | instid1(VALU_DEP_1)
	v_add_f32_e32 v17, v17, v101
	v_add_f32_e32 v17, v97, v17
	s_delay_alu instid0(VALU_DEP_1) | instskip(NEXT) | instid1(VALU_DEP_1)
	v_add_f32_e32 v97, v105, v17
	v_mul_f32_e32 v99, v96, v97
	s_delay_alu instid0(VALU_DEP_1) | instskip(NEXT) | instid1(VALU_DEP_1)
	v_mul_f32_e32 v101, v100, v99
	v_fma_f32 v100, v99, v100, -v101
	s_delay_alu instid0(VALU_DEP_1) | instskip(SKIP_1) | instid1(VALU_DEP_2)
	v_fmac_f32_e32 v100, v99, v98
	v_sub_f32_e32 v104, v105, v97
	v_add_f32_e32 v98, v101, v100
	s_delay_alu instid0(VALU_DEP_2) | instskip(NEXT) | instid1(VALU_DEP_2)
	v_add_f32_e32 v17, v17, v104
	v_sub_f32_e32 v103, v97, v98
	s_delay_alu instid0(VALU_DEP_1) | instskip(NEXT) | instid1(VALU_DEP_1)
	v_sub_f32_e32 v97, v97, v103
	v_sub_f32_e32 v97, v97, v98
	s_delay_alu instid0(VALU_DEP_1) | instskip(SKIP_2) | instid1(VALU_DEP_1)
	v_add_f32_e32 v17, v17, v97
	v_add_f32_e32 v97, v102, v99
	v_sub_f32_e32 v101, v98, v101
	v_sub_f32_e32 v98, v101, v100
	s_delay_alu instid0(VALU_DEP_1) | instskip(NEXT) | instid1(VALU_DEP_1)
	v_dual_add_f32 v17, v98, v17 :: v_dual_sub_f32 v98, v97, v102
	v_add_f32_e32 v17, v103, v17
	s_delay_alu instid0(VALU_DEP_1) | instskip(NEXT) | instid1(VALU_DEP_1)
	v_dual_sub_f32 v98, v99, v98 :: v_dual_mul_f32 v17, v96, v17
	v_add_f32_e32 v17, v98, v17
	s_delay_alu instid0(VALU_DEP_1) | instskip(NEXT) | instid1(VALU_DEP_1)
	v_add_f32_e32 v96, v97, v17
	v_mul_f32_e32 v98, v96, v96
	s_delay_alu instid0(VALU_DEP_1) | instskip(SKIP_1) | instid1(VALU_DEP_2)
	v_fmaak_f32 v99, s84, v98, 0x3ecc95a3
	v_mul_f32_e32 v100, v96, v98
	v_fmaak_f32 v98, v98, v99, 0x3f2aaada
	v_ldexp_f32 v99, v96, 1
	s_delay_alu instid0(VALU_DEP_2) | instskip(SKIP_1) | instid1(VALU_DEP_2)
	v_mul_f32_e32 v98, v100, v98
	v_sub_f32_e32 v96, v96, v97
	v_dual_mul_f32 v100, 0x3f317218, v95 :: v_dual_add_f32 v97, v99, v98
	s_delay_alu instid0(VALU_DEP_2) | instskip(NEXT) | instid1(VALU_DEP_2)
	v_sub_f32_e32 v17, v17, v96
	v_sub_f32_e32 v96, v97, v99
	s_delay_alu instid0(VALU_DEP_3) | instskip(NEXT) | instid1(VALU_DEP_3)
	v_fma_f32 v99, 0x3f317218, v95, -v100
	v_ldexp_f32 v17, v17, 1
	s_delay_alu instid0(VALU_DEP_2) | instskip(NEXT) | instid1(VALU_DEP_1)
	v_dual_sub_f32 v96, v98, v96 :: v_dual_fmac_f32 v99, 0xb102e308, v95
	v_add_f32_e32 v17, v17, v96
	s_delay_alu instid0(VALU_DEP_1) | instskip(NEXT) | instid1(VALU_DEP_1)
	v_dual_add_f32 v95, v100, v99 :: v_dual_add_f32 v96, v97, v17
	v_sub_f32_e32 v100, v95, v100
	s_delay_alu instid0(VALU_DEP_2) | instskip(NEXT) | instid1(VALU_DEP_2)
	v_dual_add_f32 v98, v95, v96 :: v_dual_sub_f32 v97, v96, v97
	v_sub_f32_e32 v99, v99, v100
	s_delay_alu instid0(VALU_DEP_2) | instskip(NEXT) | instid1(VALU_DEP_1)
	v_sub_f32_e32 v101, v98, v95
	v_sub_f32_e32 v102, v98, v101
	;; [unrolled: 1-line block ×4, first 2 shown]
	s_delay_alu instid0(VALU_DEP_1) | instskip(NEXT) | instid1(VALU_DEP_4)
	v_add_f32_e32 v97, v99, v17
	v_sub_f32_e32 v95, v95, v102
	s_delay_alu instid0(VALU_DEP_1) | instskip(NEXT) | instid1(VALU_DEP_3)
	v_add_f32_e32 v95, v96, v95
	v_sub_f32_e32 v96, v97, v99
	s_delay_alu instid0(VALU_DEP_2) | instskip(NEXT) | instid1(VALU_DEP_2)
	v_add_f32_e32 v95, v97, v95
	v_sub_f32_e32 v97, v97, v96
	s_delay_alu instid0(VALU_DEP_2) | instskip(NEXT) | instid1(VALU_DEP_1)
	v_dual_sub_f32 v17, v17, v96 :: v_dual_add_f32 v100, v98, v95
	v_dual_sub_f32 v96, v100, v98 :: v_dual_sub_f32 v97, v99, v97
	s_delay_alu instid0(VALU_DEP_1) | instskip(NEXT) | instid1(VALU_DEP_2)
	v_sub_f32_e32 v95, v95, v96
	v_add_f32_e32 v17, v17, v97
	s_delay_alu instid0(VALU_DEP_1) | instskip(NEXT) | instid1(VALU_DEP_1)
	v_add_f32_e32 v17, v17, v95
	v_add_f32_e32 v17, v100, v17
	s_delay_alu instid0(VALU_DEP_1)
	v_cndmask_b32_e32 v95, v17, v12, vcc_lo
.LBB29_78:                              ;   in Loop: Header=BB29_12 Depth=1
	s_or_b32 exec_lo, exec_lo, s30
	v_lshlrev_b32_e32 v12, 16, v13
	s_delay_alu instid0(VALU_DEP_1) | instskip(NEXT) | instid1(VALU_DEP_1)
	v_add_f32_e32 v96, s69, v12
	v_cmp_ge_f32_e32 vcc_lo, 0x41a00000, v96
	s_and_b32 s29, s80, vcc_lo
	s_delay_alu instid0(SALU_CYCLE_1)
	s_and_saveexec_b32 s30, s29
	s_cbranch_execz .LBB29_80
; %bb.79:                               ;   in Loop: Header=BB29_12 Depth=1
	v_mul_f32_e32 v12, 0x3fb8aa3b, v96
	v_cmp_ngt_f32_e32 vcc_lo, 0xc2ce8ed0, v96
	s_delay_alu instid0(VALU_DEP_2) | instskip(SKIP_1) | instid1(VALU_DEP_1)
	v_rndne_f32_e32 v17, v12
	v_fma_f32 v97, 0x3fb8aa3b, v96, -v12
	v_dual_sub_f32 v12, v12, v17 :: v_dual_fmac_f32 v97, 0x32a5705f, v96
	v_cvt_i32_f32_e32 v17, v17
	s_delay_alu instid0(VALU_DEP_2) | instskip(NEXT) | instid1(VALU_DEP_1)
	v_add_f32_e32 v12, v12, v97
	v_exp_f32_e32 v12, v12
	s_waitcnt_depctr 0xfff
	v_ldexp_f32 v12, v12, v17
	s_delay_alu instid0(VALU_DEP_1) | instskip(SKIP_1) | instid1(VALU_DEP_2)
	v_cndmask_b32_e32 v12, 0, v12, vcc_lo
	v_cmp_nlt_f32_e32 vcc_lo, 0x42b17218, v96
	v_cndmask_b32_e32 v12, 0x7f800000, v12, vcc_lo
	s_delay_alu instid0(VALU_DEP_1) | instskip(NEXT) | instid1(VALU_DEP_1)
	v_add_f32_e32 v17, 1.0, v12
	v_cvt_f64_f32_e32 v[96:97], v17
	s_delay_alu instid0(VALU_DEP_1) | instskip(SKIP_1) | instid1(VALU_DEP_1)
	v_frexp_exp_i32_f64_e32 v96, v[96:97]
	v_frexp_mant_f32_e32 v97, v17
	v_cmp_gt_f32_e32 vcc_lo, 0x3f2aaaab, v97
	v_add_f32_e32 v97, -1.0, v17
	s_delay_alu instid0(VALU_DEP_1) | instskip(SKIP_1) | instid1(VALU_DEP_2)
	v_sub_f32_e32 v99, v97, v17
	v_sub_f32_e32 v97, v12, v97
	v_add_f32_e32 v99, 1.0, v99
	s_delay_alu instid0(VALU_DEP_1) | instskip(SKIP_3) | instid1(VALU_DEP_2)
	v_add_f32_e32 v97, v97, v99
	v_cmp_gt_f32_e64 s29, 0x33800000, v12
	v_subrev_co_ci_u32_e32 v96, vcc_lo, 0, v96, vcc_lo
	v_cmp_eq_f32_e32 vcc_lo, 0x7f800000, v12
	v_sub_nc_u32_e32 v98, 0, v96
	v_cvt_f32_i32_e32 v96, v96
	s_or_b32 vcc_lo, s29, vcc_lo
	s_delay_alu instid0(VALU_DEP_2) | instskip(SKIP_1) | instid1(VALU_DEP_2)
	v_ldexp_f32 v17, v17, v98
	v_ldexp_f32 v97, v97, v98
	v_add_f32_e32 v100, 1.0, v17
	s_delay_alu instid0(VALU_DEP_1) | instskip(NEXT) | instid1(VALU_DEP_1)
	v_dual_add_f32 v98, -1.0, v17 :: v_dual_add_f32 v99, -1.0, v100
	v_add_f32_e32 v101, 1.0, v98
	s_delay_alu instid0(VALU_DEP_2) | instskip(NEXT) | instid1(VALU_DEP_2)
	v_sub_f32_e32 v99, v17, v99
	v_sub_f32_e32 v17, v17, v101
	s_delay_alu instid0(VALU_DEP_1) | instskip(NEXT) | instid1(VALU_DEP_1)
	v_add_f32_e32 v17, v97, v17
	v_dual_add_f32 v102, v98, v17 :: v_dual_add_f32 v99, v97, v99
	s_delay_alu instid0(VALU_DEP_1) | instskip(NEXT) | instid1(VALU_DEP_1)
	v_dual_sub_f32 v98, v98, v102 :: v_dual_add_f32 v101, v100, v99
	v_rcp_f32_e32 v97, v101
	v_sub_f32_e32 v100, v100, v101
	s_delay_alu instid0(VALU_DEP_1) | instskip(SKIP_2) | instid1(VALU_DEP_1)
	v_add_f32_e32 v99, v99, v100
	s_waitcnt_depctr 0xfff
	v_mul_f32_e32 v103, v102, v97
	v_mul_f32_e32 v104, v101, v103
	s_delay_alu instid0(VALU_DEP_1) | instskip(NEXT) | instid1(VALU_DEP_1)
	v_fma_f32 v100, v103, v101, -v104
	v_fmac_f32_e32 v100, v103, v99
	s_delay_alu instid0(VALU_DEP_1) | instskip(NEXT) | instid1(VALU_DEP_1)
	v_add_f32_e32 v105, v104, v100
	v_sub_f32_e32 v106, v102, v105
	s_delay_alu instid0(VALU_DEP_1) | instskip(SKIP_2) | instid1(VALU_DEP_3)
	v_sub_f32_e32 v102, v102, v106
	v_add_f32_e32 v17, v17, v98
	v_sub_f32_e32 v98, v105, v104
	v_sub_f32_e32 v102, v102, v105
	s_delay_alu instid0(VALU_DEP_1) | instskip(NEXT) | instid1(VALU_DEP_1)
	v_dual_sub_f32 v98, v98, v100 :: v_dual_add_f32 v17, v17, v102
	v_add_f32_e32 v17, v98, v17
	s_delay_alu instid0(VALU_DEP_1) | instskip(NEXT) | instid1(VALU_DEP_1)
	v_add_f32_e32 v98, v106, v17
	v_mul_f32_e32 v100, v97, v98
	s_delay_alu instid0(VALU_DEP_1) | instskip(NEXT) | instid1(VALU_DEP_1)
	v_dual_sub_f32 v105, v106, v98 :: v_dual_mul_f32 v102, v101, v100
	v_add_f32_e32 v17, v17, v105
	s_delay_alu instid0(VALU_DEP_2) | instskip(NEXT) | instid1(VALU_DEP_1)
	v_fma_f32 v101, v100, v101, -v102
	v_fmac_f32_e32 v101, v100, v99
	s_delay_alu instid0(VALU_DEP_1) | instskip(NEXT) | instid1(VALU_DEP_1)
	v_add_f32_e32 v99, v102, v101
	v_sub_f32_e32 v104, v98, v99
	s_delay_alu instid0(VALU_DEP_1) | instskip(NEXT) | instid1(VALU_DEP_1)
	v_sub_f32_e32 v98, v98, v104
	v_sub_f32_e32 v98, v98, v99
	s_delay_alu instid0(VALU_DEP_1) | instskip(SKIP_1) | instid1(VALU_DEP_1)
	v_dual_add_f32 v17, v17, v98 :: v_dual_add_f32 v98, v103, v100
	v_sub_f32_e32 v102, v99, v102
	v_sub_f32_e32 v99, v102, v101
	s_delay_alu instid0(VALU_DEP_1) | instskip(NEXT) | instid1(VALU_DEP_4)
	v_add_f32_e32 v17, v99, v17
	v_sub_f32_e32 v99, v98, v103
	s_delay_alu instid0(VALU_DEP_2) | instskip(NEXT) | instid1(VALU_DEP_2)
	v_add_f32_e32 v17, v104, v17
	v_sub_f32_e32 v99, v100, v99
	s_delay_alu instid0(VALU_DEP_2) | instskip(NEXT) | instid1(VALU_DEP_1)
	v_mul_f32_e32 v17, v97, v17
	v_add_f32_e32 v17, v99, v17
	s_delay_alu instid0(VALU_DEP_1) | instskip(NEXT) | instid1(VALU_DEP_1)
	v_add_f32_e32 v97, v98, v17
	v_mul_f32_e32 v99, v97, v97
	s_delay_alu instid0(VALU_DEP_1) | instskip(SKIP_1) | instid1(VALU_DEP_2)
	v_fmaak_f32 v100, s84, v99, 0x3ecc95a3
	v_mul_f32_e32 v101, v97, v99
	v_fmaak_f32 v99, v99, v100, 0x3f2aaada
	v_ldexp_f32 v100, v97, 1
	v_sub_f32_e32 v97, v97, v98
	s_delay_alu instid0(VALU_DEP_3) | instskip(SKIP_1) | instid1(VALU_DEP_2)
	v_mul_f32_e32 v99, v101, v99
	v_mul_f32_e32 v101, 0x3f317218, v96
	v_dual_sub_f32 v17, v17, v97 :: v_dual_add_f32 v98, v100, v99
	s_delay_alu instid0(VALU_DEP_1) | instskip(NEXT) | instid1(VALU_DEP_2)
	v_ldexp_f32 v17, v17, 1
	v_sub_f32_e32 v97, v98, v100
	s_delay_alu instid0(VALU_DEP_4) | instskip(NEXT) | instid1(VALU_DEP_1)
	v_fma_f32 v100, 0x3f317218, v96, -v101
	v_dual_sub_f32 v97, v99, v97 :: v_dual_fmac_f32 v100, 0xb102e308, v96
	s_delay_alu instid0(VALU_DEP_1) | instskip(NEXT) | instid1(VALU_DEP_1)
	v_add_f32_e32 v17, v17, v97
	v_dual_add_f32 v96, v101, v100 :: v_dual_add_f32 v97, v98, v17
	s_delay_alu instid0(VALU_DEP_1) | instskip(NEXT) | instid1(VALU_DEP_2)
	v_sub_f32_e32 v101, v96, v101
	v_dual_add_f32 v99, v96, v97 :: v_dual_sub_f32 v98, v97, v98
	s_delay_alu instid0(VALU_DEP_2) | instskip(NEXT) | instid1(VALU_DEP_2)
	v_sub_f32_e32 v100, v100, v101
	v_dual_sub_f32 v102, v99, v96 :: v_dual_sub_f32 v17, v17, v98
	s_delay_alu instid0(VALU_DEP_1) | instskip(NEXT) | instid1(VALU_DEP_2)
	v_sub_f32_e32 v103, v99, v102
	v_dual_sub_f32 v97, v97, v102 :: v_dual_add_f32 v98, v100, v17
	s_delay_alu instid0(VALU_DEP_2) | instskip(NEXT) | instid1(VALU_DEP_1)
	v_sub_f32_e32 v96, v96, v103
	v_add_f32_e32 v96, v97, v96
	s_delay_alu instid0(VALU_DEP_3) | instskip(NEXT) | instid1(VALU_DEP_2)
	v_sub_f32_e32 v97, v98, v100
	v_add_f32_e32 v96, v98, v96
	s_delay_alu instid0(VALU_DEP_2) | instskip(SKIP_1) | instid1(VALU_DEP_2)
	v_sub_f32_e32 v98, v98, v97
	v_sub_f32_e32 v17, v17, v97
	v_dual_add_f32 v101, v99, v96 :: v_dual_sub_f32 v98, v100, v98
	s_delay_alu instid0(VALU_DEP_1) | instskip(NEXT) | instid1(VALU_DEP_1)
	v_sub_f32_e32 v97, v101, v99
	v_dual_add_f32 v17, v17, v98 :: v_dual_sub_f32 v96, v96, v97
	s_delay_alu instid0(VALU_DEP_1) | instskip(NEXT) | instid1(VALU_DEP_1)
	v_add_f32_e32 v17, v17, v96
	v_add_f32_e32 v17, v101, v17
	s_delay_alu instid0(VALU_DEP_1)
	v_cndmask_b32_e32 v96, v17, v12, vcc_lo
.LBB29_80:                              ;   in Loop: Header=BB29_12 Depth=1
	s_or_b32 exec_lo, exec_lo, s30
	v_and_b32_e32 v12, 0xffff0000, v13
	s_delay_alu instid0(VALU_DEP_1) | instskip(NEXT) | instid1(VALU_DEP_1)
	v_add_f32_e32 v97, s69, v12
	v_cmp_ge_f32_e32 vcc_lo, 0x41a00000, v97
	s_and_b32 s29, s80, vcc_lo
	s_delay_alu instid0(SALU_CYCLE_1)
	s_and_saveexec_b32 s30, s29
	s_cbranch_execz .LBB29_82
; %bb.81:                               ;   in Loop: Header=BB29_12 Depth=1
	v_mul_f32_e32 v12, 0x3fb8aa3b, v97
	v_cmp_ngt_f32_e32 vcc_lo, 0xc2ce8ed0, v97
	s_delay_alu instid0(VALU_DEP_2) | instskip(SKIP_1) | instid1(VALU_DEP_2)
	v_rndne_f32_e32 v13, v12
	v_fma_f32 v17, 0x3fb8aa3b, v97, -v12
	v_sub_f32_e32 v12, v12, v13
	s_delay_alu instid0(VALU_DEP_2) | instskip(SKIP_1) | instid1(VALU_DEP_2)
	v_fmac_f32_e32 v17, 0x32a5705f, v97
	v_cvt_i32_f32_e32 v13, v13
	v_add_f32_e32 v12, v12, v17
	s_delay_alu instid0(VALU_DEP_1) | instskip(SKIP_2) | instid1(VALU_DEP_1)
	v_exp_f32_e32 v12, v12
	s_waitcnt_depctr 0xfff
	v_ldexp_f32 v12, v12, v13
	v_cndmask_b32_e32 v12, 0, v12, vcc_lo
	v_cmp_nlt_f32_e32 vcc_lo, 0x42b17218, v97
	s_delay_alu instid0(VALU_DEP_2) | instskip(NEXT) | instid1(VALU_DEP_1)
	v_cndmask_b32_e32 v17, 0x7f800000, v12, vcc_lo
	v_add_f32_e32 v97, 1.0, v17
	s_delay_alu instid0(VALU_DEP_1) | instskip(NEXT) | instid1(VALU_DEP_1)
	v_cvt_f64_f32_e32 v[12:13], v97
	v_frexp_exp_i32_f64_e32 v12, v[12:13]
	v_frexp_mant_f32_e32 v13, v97
	s_delay_alu instid0(VALU_DEP_1) | instskip(SKIP_1) | instid1(VALU_DEP_1)
	v_cmp_gt_f32_e32 vcc_lo, 0x3f2aaaab, v13
	v_add_f32_e32 v13, -1.0, v97
	v_sub_f32_e32 v99, v13, v97
	s_delay_alu instid0(VALU_DEP_1) | instskip(SKIP_1) | instid1(VALU_DEP_1)
	v_add_f32_e32 v99, 1.0, v99
	v_subrev_co_ci_u32_e32 v12, vcc_lo, 0, v12, vcc_lo
	v_sub_nc_u32_e32 v98, 0, v12
	v_cvt_f32_i32_e32 v12, v12
	s_delay_alu instid0(VALU_DEP_2) | instskip(NEXT) | instid1(VALU_DEP_1)
	v_ldexp_f32 v97, v97, v98
	v_add_f32_e32 v100, 1.0, v97
	v_sub_f32_e32 v13, v17, v13
	v_cmp_eq_f32_e32 vcc_lo, 0x7f800000, v17
	v_cmp_gt_f32_e64 s29, 0x33800000, v17
	s_delay_alu instid0(VALU_DEP_3) | instskip(SKIP_1) | instid1(VALU_DEP_3)
	v_add_f32_e32 v13, v13, v99
	v_add_f32_e32 v99, -1.0, v100
	s_or_b32 vcc_lo, s29, vcc_lo
	s_delay_alu instid0(VALU_DEP_2) | instskip(NEXT) | instid1(VALU_DEP_2)
	v_ldexp_f32 v13, v13, v98
	v_dual_add_f32 v98, -1.0, v97 :: v_dual_sub_f32 v99, v97, v99
	s_delay_alu instid0(VALU_DEP_1) | instskip(NEXT) | instid1(VALU_DEP_2)
	v_add_f32_e32 v101, 1.0, v98
	v_add_f32_e32 v99, v13, v99
	s_delay_alu instid0(VALU_DEP_2) | instskip(NEXT) | instid1(VALU_DEP_1)
	v_sub_f32_e32 v97, v97, v101
	v_add_f32_e32 v13, v13, v97
	s_delay_alu instid0(VALU_DEP_1) | instskip(NEXT) | instid1(VALU_DEP_1)
	v_dual_add_f32 v102, v98, v13 :: v_dual_add_f32 v101, v100, v99
	v_sub_f32_e32 v98, v98, v102
	s_delay_alu instid0(VALU_DEP_2) | instskip(NEXT) | instid1(VALU_DEP_1)
	v_rcp_f32_e32 v97, v101
	v_dual_sub_f32 v100, v100, v101 :: v_dual_add_f32 v13, v13, v98
	s_delay_alu instid0(VALU_DEP_1) | instskip(SKIP_2) | instid1(VALU_DEP_1)
	v_add_f32_e32 v99, v99, v100
	s_waitcnt_depctr 0xfff
	v_mul_f32_e32 v103, v102, v97
	v_mul_f32_e32 v104, v101, v103
	s_delay_alu instid0(VALU_DEP_1) | instskip(NEXT) | instid1(VALU_DEP_1)
	v_fma_f32 v100, v103, v101, -v104
	v_fmac_f32_e32 v100, v103, v99
	s_delay_alu instid0(VALU_DEP_1) | instskip(NEXT) | instid1(VALU_DEP_1)
	v_add_f32_e32 v105, v104, v100
	v_sub_f32_e32 v106, v102, v105
	v_sub_f32_e32 v98, v105, v104
	s_delay_alu instid0(VALU_DEP_2) | instskip(NEXT) | instid1(VALU_DEP_2)
	v_sub_f32_e32 v102, v102, v106
	v_sub_f32_e32 v98, v98, v100
	s_delay_alu instid0(VALU_DEP_2) | instskip(NEXT) | instid1(VALU_DEP_1)
	v_sub_f32_e32 v102, v102, v105
	v_add_f32_e32 v13, v13, v102
	s_delay_alu instid0(VALU_DEP_1) | instskip(NEXT) | instid1(VALU_DEP_1)
	v_add_f32_e32 v13, v98, v13
	v_add_f32_e32 v98, v106, v13
	s_delay_alu instid0(VALU_DEP_1) | instskip(NEXT) | instid1(VALU_DEP_1)
	v_mul_f32_e32 v100, v97, v98
	v_dual_sub_f32 v105, v106, v98 :: v_dual_mul_f32 v102, v101, v100
	s_delay_alu instid0(VALU_DEP_1) | instskip(NEXT) | instid1(VALU_DEP_1)
	v_fma_f32 v101, v100, v101, -v102
	v_fmac_f32_e32 v101, v100, v99
	s_delay_alu instid0(VALU_DEP_1) | instskip(NEXT) | instid1(VALU_DEP_1)
	v_add_f32_e32 v99, v102, v101
	v_dual_add_f32 v13, v13, v105 :: v_dual_sub_f32 v104, v98, v99
	s_delay_alu instid0(VALU_DEP_1) | instskip(NEXT) | instid1(VALU_DEP_1)
	v_sub_f32_e32 v98, v98, v104
	v_sub_f32_e32 v98, v98, v99
	s_delay_alu instid0(VALU_DEP_1) | instskip(SKIP_1) | instid1(VALU_DEP_1)
	v_dual_add_f32 v13, v13, v98 :: v_dual_add_f32 v98, v103, v100
	v_sub_f32_e32 v102, v99, v102
	v_sub_f32_e32 v99, v102, v101
	s_delay_alu instid0(VALU_DEP_1) | instskip(NEXT) | instid1(VALU_DEP_4)
	v_add_f32_e32 v13, v99, v13
	v_sub_f32_e32 v99, v98, v103
	s_delay_alu instid0(VALU_DEP_2) | instskip(NEXT) | instid1(VALU_DEP_2)
	v_add_f32_e32 v13, v104, v13
	v_sub_f32_e32 v99, v100, v99
	s_delay_alu instid0(VALU_DEP_2) | instskip(NEXT) | instid1(VALU_DEP_1)
	v_mul_f32_e32 v13, v97, v13
	v_add_f32_e32 v13, v99, v13
	s_delay_alu instid0(VALU_DEP_1) | instskip(NEXT) | instid1(VALU_DEP_1)
	v_add_f32_e32 v97, v98, v13
	v_mul_f32_e32 v99, v97, v97
	s_delay_alu instid0(VALU_DEP_1) | instskip(SKIP_1) | instid1(VALU_DEP_2)
	v_fmaak_f32 v100, s84, v99, 0x3ecc95a3
	v_mul_f32_e32 v101, v97, v99
	v_fmaak_f32 v99, v99, v100, 0x3f2aaada
	v_ldexp_f32 v100, v97, 1
	v_sub_f32_e32 v97, v97, v98
	s_delay_alu instid0(VALU_DEP_3) | instskip(SKIP_1) | instid1(VALU_DEP_2)
	v_mul_f32_e32 v99, v101, v99
	v_mul_f32_e32 v101, 0x3f317218, v12
	v_dual_sub_f32 v13, v13, v97 :: v_dual_add_f32 v98, v100, v99
	s_delay_alu instid0(VALU_DEP_1) | instskip(NEXT) | instid1(VALU_DEP_2)
	v_ldexp_f32 v13, v13, 1
	v_sub_f32_e32 v97, v98, v100
	s_delay_alu instid0(VALU_DEP_4) | instskip(NEXT) | instid1(VALU_DEP_1)
	v_fma_f32 v100, 0x3f317218, v12, -v101
	v_dual_sub_f32 v97, v99, v97 :: v_dual_fmac_f32 v100, 0xb102e308, v12
	s_delay_alu instid0(VALU_DEP_1) | instskip(NEXT) | instid1(VALU_DEP_2)
	v_add_f32_e32 v12, v13, v97
	v_add_f32_e32 v13, v101, v100
	s_delay_alu instid0(VALU_DEP_2) | instskip(NEXT) | instid1(VALU_DEP_2)
	v_add_f32_e32 v97, v98, v12
	v_sub_f32_e32 v101, v13, v101
	s_delay_alu instid0(VALU_DEP_2) | instskip(SKIP_1) | instid1(VALU_DEP_3)
	v_add_f32_e32 v99, v13, v97
	v_sub_f32_e32 v98, v97, v98
	v_sub_f32_e32 v100, v100, v101
	s_delay_alu instid0(VALU_DEP_3) | instskip(NEXT) | instid1(VALU_DEP_3)
	v_sub_f32_e32 v102, v99, v13
	v_sub_f32_e32 v12, v12, v98
	s_delay_alu instid0(VALU_DEP_2) | instskip(NEXT) | instid1(VALU_DEP_2)
	v_sub_f32_e32 v103, v99, v102
	v_dual_sub_f32 v97, v97, v102 :: v_dual_add_f32 v98, v100, v12
	s_delay_alu instid0(VALU_DEP_2) | instskip(NEXT) | instid1(VALU_DEP_1)
	v_sub_f32_e32 v13, v13, v103
	v_add_f32_e32 v13, v97, v13
	s_delay_alu instid0(VALU_DEP_3) | instskip(NEXT) | instid1(VALU_DEP_2)
	v_sub_f32_e32 v97, v98, v100
	v_add_f32_e32 v13, v98, v13
	s_delay_alu instid0(VALU_DEP_2) | instskip(SKIP_1) | instid1(VALU_DEP_1)
	v_sub_f32_e32 v12, v12, v97
	v_sub_f32_e32 v98, v98, v97
	v_dual_add_f32 v101, v99, v13 :: v_dual_sub_f32 v98, v100, v98
	s_delay_alu instid0(VALU_DEP_1) | instskip(NEXT) | instid1(VALU_DEP_1)
	v_dual_sub_f32 v97, v101, v99 :: v_dual_add_f32 v12, v12, v98
	v_sub_f32_e32 v13, v13, v97
	s_delay_alu instid0(VALU_DEP_1) | instskip(NEXT) | instid1(VALU_DEP_1)
	v_add_f32_e32 v12, v12, v13
	v_add_f32_e32 v12, v101, v12
	s_delay_alu instid0(VALU_DEP_1)
	v_cndmask_b32_e32 v97, v12, v17, vcc_lo
.LBB29_82:                              ;   in Loop: Header=BB29_12 Depth=1
	s_or_b32 exec_lo, exec_lo, s30
	v_lshlrev_b32_e32 v12, 16, v14
	s_delay_alu instid0(VALU_DEP_1) | instskip(NEXT) | instid1(VALU_DEP_1)
	v_add_f32_e32 v98, s69, v12
	v_cmp_ge_f32_e32 vcc_lo, 0x41a00000, v98
	s_and_b32 s29, s80, vcc_lo
	s_delay_alu instid0(SALU_CYCLE_1)
	s_and_saveexec_b32 s30, s29
	s_cbranch_execz .LBB29_84
; %bb.83:                               ;   in Loop: Header=BB29_12 Depth=1
	v_mul_f32_e32 v12, 0x3fb8aa3b, v98
	v_cmp_ngt_f32_e32 vcc_lo, 0xc2ce8ed0, v98
	s_delay_alu instid0(VALU_DEP_2) | instskip(SKIP_1) | instid1(VALU_DEP_1)
	v_rndne_f32_e32 v13, v12
	v_fma_f32 v17, 0x3fb8aa3b, v98, -v12
	v_dual_sub_f32 v12, v12, v13 :: v_dual_fmac_f32 v17, 0x32a5705f, v98
	v_cvt_i32_f32_e32 v13, v13
	s_delay_alu instid0(VALU_DEP_2) | instskip(NEXT) | instid1(VALU_DEP_1)
	v_add_f32_e32 v12, v12, v17
	v_exp_f32_e32 v12, v12
	s_waitcnt_depctr 0xfff
	v_ldexp_f32 v12, v12, v13
	s_delay_alu instid0(VALU_DEP_1) | instskip(SKIP_1) | instid1(VALU_DEP_2)
	v_cndmask_b32_e32 v12, 0, v12, vcc_lo
	v_cmp_nlt_f32_e32 vcc_lo, 0x42b17218, v98
	v_cndmask_b32_e32 v17, 0x7f800000, v12, vcc_lo
	s_delay_alu instid0(VALU_DEP_1) | instskip(NEXT) | instid1(VALU_DEP_1)
	v_add_f32_e32 v98, 1.0, v17
	v_cvt_f64_f32_e32 v[12:13], v98
	s_delay_alu instid0(VALU_DEP_1) | instskip(SKIP_1) | instid1(VALU_DEP_1)
	v_frexp_exp_i32_f64_e32 v12, v[12:13]
	v_frexp_mant_f32_e32 v13, v98
	v_cmp_gt_f32_e32 vcc_lo, 0x3f2aaaab, v13
	v_add_f32_e32 v13, -1.0, v98
	s_delay_alu instid0(VALU_DEP_1) | instskip(SKIP_2) | instid1(VALU_DEP_3)
	v_sub_f32_e32 v100, v13, v98
	v_sub_f32_e32 v13, v17, v13
	v_cmp_gt_f32_e64 s29, 0x33800000, v17
	v_add_f32_e32 v100, 1.0, v100
	s_delay_alu instid0(VALU_DEP_1) | instskip(SKIP_2) | instid1(VALU_DEP_2)
	v_add_f32_e32 v13, v13, v100
	v_subrev_co_ci_u32_e32 v12, vcc_lo, 0, v12, vcc_lo
	v_cmp_eq_f32_e32 vcc_lo, 0x7f800000, v17
	v_sub_nc_u32_e32 v99, 0, v12
	v_cvt_f32_i32_e32 v12, v12
	s_or_b32 vcc_lo, s29, vcc_lo
	s_delay_alu instid0(VALU_DEP_2) | instskip(SKIP_1) | instid1(VALU_DEP_2)
	v_ldexp_f32 v98, v98, v99
	v_ldexp_f32 v13, v13, v99
	v_add_f32_e32 v99, -1.0, v98
	s_delay_alu instid0(VALU_DEP_1) | instskip(NEXT) | instid1(VALU_DEP_1)
	v_dual_add_f32 v101, 1.0, v98 :: v_dual_add_f32 v102, 1.0, v99
	v_add_f32_e32 v100, -1.0, v101
	s_delay_alu instid0(VALU_DEP_1) | instskip(NEXT) | instid1(VALU_DEP_3)
	v_sub_f32_e32 v100, v98, v100
	v_sub_f32_e32 v98, v98, v102
	s_delay_alu instid0(VALU_DEP_2) | instskip(NEXT) | instid1(VALU_DEP_2)
	v_add_f32_e32 v100, v13, v100
	v_add_f32_e32 v13, v13, v98
	s_delay_alu instid0(VALU_DEP_1) | instskip(NEXT) | instid1(VALU_DEP_1)
	v_dual_add_f32 v103, v99, v13 :: v_dual_add_f32 v102, v101, v100
	v_sub_f32_e32 v99, v99, v103
	s_delay_alu instid0(VALU_DEP_2) | instskip(SKIP_1) | instid1(VALU_DEP_1)
	v_rcp_f32_e32 v98, v102
	v_sub_f32_e32 v101, v101, v102
	v_dual_add_f32 v13, v13, v99 :: v_dual_add_f32 v100, v100, v101
	s_waitcnt_depctr 0xfff
	v_mul_f32_e32 v104, v103, v98
	s_delay_alu instid0(VALU_DEP_1) | instskip(NEXT) | instid1(VALU_DEP_1)
	v_mul_f32_e32 v105, v102, v104
	v_fma_f32 v101, v104, v102, -v105
	s_delay_alu instid0(VALU_DEP_1) | instskip(NEXT) | instid1(VALU_DEP_1)
	v_fmac_f32_e32 v101, v104, v100
	v_add_f32_e32 v106, v105, v101
	s_delay_alu instid0(VALU_DEP_1) | instskip(SKIP_1) | instid1(VALU_DEP_2)
	v_sub_f32_e32 v107, v103, v106
	v_sub_f32_e32 v99, v106, v105
	;; [unrolled: 1-line block ×3, first 2 shown]
	s_delay_alu instid0(VALU_DEP_2) | instskip(NEXT) | instid1(VALU_DEP_2)
	v_sub_f32_e32 v99, v99, v101
	v_sub_f32_e32 v103, v103, v106
	s_delay_alu instid0(VALU_DEP_1) | instskip(NEXT) | instid1(VALU_DEP_1)
	v_add_f32_e32 v13, v13, v103
	v_add_f32_e32 v13, v99, v13
	s_delay_alu instid0(VALU_DEP_1) | instskip(NEXT) | instid1(VALU_DEP_1)
	v_add_f32_e32 v99, v107, v13
	v_mul_f32_e32 v101, v98, v99
	s_delay_alu instid0(VALU_DEP_1) | instskip(NEXT) | instid1(VALU_DEP_1)
	v_dual_sub_f32 v106, v107, v99 :: v_dual_mul_f32 v103, v102, v101
	v_add_f32_e32 v13, v13, v106
	s_delay_alu instid0(VALU_DEP_2) | instskip(NEXT) | instid1(VALU_DEP_1)
	v_fma_f32 v102, v101, v102, -v103
	v_fmac_f32_e32 v102, v101, v100
	s_delay_alu instid0(VALU_DEP_1) | instskip(NEXT) | instid1(VALU_DEP_1)
	v_add_f32_e32 v100, v103, v102
	v_sub_f32_e32 v105, v99, v100
	s_delay_alu instid0(VALU_DEP_1) | instskip(NEXT) | instid1(VALU_DEP_1)
	v_sub_f32_e32 v99, v99, v105
	v_sub_f32_e32 v99, v99, v100
	s_delay_alu instid0(VALU_DEP_1) | instskip(SKIP_2) | instid1(VALU_DEP_1)
	v_add_f32_e32 v13, v13, v99
	v_add_f32_e32 v99, v104, v101
	v_sub_f32_e32 v103, v100, v103
	v_sub_f32_e32 v100, v103, v102
	s_delay_alu instid0(VALU_DEP_1) | instskip(NEXT) | instid1(VALU_DEP_1)
	v_dual_add_f32 v13, v100, v13 :: v_dual_sub_f32 v100, v99, v104
	v_add_f32_e32 v13, v105, v13
	s_delay_alu instid0(VALU_DEP_1) | instskip(NEXT) | instid1(VALU_DEP_1)
	v_dual_sub_f32 v100, v101, v100 :: v_dual_mul_f32 v13, v98, v13
	v_add_f32_e32 v13, v100, v13
	s_delay_alu instid0(VALU_DEP_1) | instskip(NEXT) | instid1(VALU_DEP_1)
	v_add_f32_e32 v98, v99, v13
	v_mul_f32_e32 v100, v98, v98
	s_delay_alu instid0(VALU_DEP_1) | instskip(SKIP_1) | instid1(VALU_DEP_2)
	v_fmaak_f32 v101, s84, v100, 0x3ecc95a3
	v_mul_f32_e32 v102, v98, v100
	v_fmaak_f32 v100, v100, v101, 0x3f2aaada
	v_ldexp_f32 v101, v98, 1
	v_sub_f32_e32 v98, v98, v99
	s_delay_alu instid0(VALU_DEP_3) | instskip(NEXT) | instid1(VALU_DEP_2)
	v_mul_f32_e32 v100, v102, v100
	v_dual_mul_f32 v102, 0x3f317218, v12 :: v_dual_sub_f32 v13, v13, v98
	s_delay_alu instid0(VALU_DEP_2) | instskip(NEXT) | instid1(VALU_DEP_2)
	v_add_f32_e32 v99, v101, v100
	v_ldexp_f32 v13, v13, 1
	s_delay_alu instid0(VALU_DEP_2) | instskip(NEXT) | instid1(VALU_DEP_4)
	v_sub_f32_e32 v98, v99, v101
	v_fma_f32 v101, 0x3f317218, v12, -v102
	s_delay_alu instid0(VALU_DEP_1) | instskip(NEXT) | instid1(VALU_DEP_1)
	v_dual_sub_f32 v98, v100, v98 :: v_dual_fmac_f32 v101, 0xb102e308, v12
	v_add_f32_e32 v12, v13, v98
	s_delay_alu instid0(VALU_DEP_1) | instskip(NEXT) | instid1(VALU_DEP_1)
	v_add_f32_e32 v98, v99, v12
	v_sub_f32_e32 v99, v98, v99
	s_delay_alu instid0(VALU_DEP_1) | instskip(NEXT) | instid1(VALU_DEP_1)
	v_dual_sub_f32 v12, v12, v99 :: v_dual_add_f32 v13, v102, v101
	v_add_f32_e32 v100, v13, v98
	s_delay_alu instid0(VALU_DEP_1) | instskip(NEXT) | instid1(VALU_DEP_1)
	v_dual_sub_f32 v102, v13, v102 :: v_dual_sub_f32 v103, v100, v13
	v_dual_sub_f32 v101, v101, v102 :: v_dual_sub_f32 v104, v100, v103
	s_delay_alu instid0(VALU_DEP_1) | instskip(NEXT) | instid1(VALU_DEP_2)
	v_dual_sub_f32 v98, v98, v103 :: v_dual_add_f32 v99, v101, v12
	v_sub_f32_e32 v13, v13, v104
	s_delay_alu instid0(VALU_DEP_1) | instskip(NEXT) | instid1(VALU_DEP_3)
	v_add_f32_e32 v13, v98, v13
	v_sub_f32_e32 v98, v99, v101
	s_delay_alu instid0(VALU_DEP_2) | instskip(NEXT) | instid1(VALU_DEP_2)
	v_add_f32_e32 v13, v99, v13
	v_sub_f32_e32 v99, v99, v98
	v_sub_f32_e32 v12, v12, v98
	s_delay_alu instid0(VALU_DEP_2) | instskip(NEXT) | instid1(VALU_DEP_1)
	v_dual_add_f32 v102, v100, v13 :: v_dual_sub_f32 v99, v101, v99
	v_sub_f32_e32 v98, v102, v100
	s_delay_alu instid0(VALU_DEP_1) | instskip(NEXT) | instid1(VALU_DEP_1)
	v_dual_add_f32 v12, v12, v99 :: v_dual_sub_f32 v13, v13, v98
	v_add_f32_e32 v12, v12, v13
	s_delay_alu instid0(VALU_DEP_1) | instskip(NEXT) | instid1(VALU_DEP_1)
	v_add_f32_e32 v12, v102, v12
	v_cndmask_b32_e32 v98, v12, v17, vcc_lo
.LBB29_84:                              ;   in Loop: Header=BB29_12 Depth=1
	s_or_b32 exec_lo, exec_lo, s30
	v_and_b32_e32 v12, 0xffff0000, v14
	s_delay_alu instid0(VALU_DEP_1) | instskip(NEXT) | instid1(VALU_DEP_1)
	v_add_f32_e32 v99, s69, v12
	v_cmp_ge_f32_e32 vcc_lo, 0x41a00000, v99
	s_and_b32 s29, s80, vcc_lo
	s_delay_alu instid0(SALU_CYCLE_1)
	s_and_saveexec_b32 s30, s29
	s_cbranch_execz .LBB29_86
; %bb.85:                               ;   in Loop: Header=BB29_12 Depth=1
	v_mul_f32_e32 v12, 0x3fb8aa3b, v99
	v_cmp_ngt_f32_e32 vcc_lo, 0xc2ce8ed0, v99
	s_delay_alu instid0(VALU_DEP_2) | instskip(SKIP_1) | instid1(VALU_DEP_2)
	v_rndne_f32_e32 v13, v12
	v_fma_f32 v14, 0x3fb8aa3b, v99, -v12
	v_sub_f32_e32 v12, v12, v13
	s_delay_alu instid0(VALU_DEP_2) | instskip(SKIP_1) | instid1(VALU_DEP_2)
	v_fmac_f32_e32 v14, 0x32a5705f, v99
	v_cvt_i32_f32_e32 v13, v13
	v_add_f32_e32 v12, v12, v14
	s_delay_alu instid0(VALU_DEP_1) | instskip(SKIP_2) | instid1(VALU_DEP_1)
	v_exp_f32_e32 v12, v12
	s_waitcnt_depctr 0xfff
	v_ldexp_f32 v12, v12, v13
	v_cndmask_b32_e32 v12, 0, v12, vcc_lo
	v_cmp_nlt_f32_e32 vcc_lo, 0x42b17218, v99
	s_delay_alu instid0(VALU_DEP_2) | instskip(NEXT) | instid1(VALU_DEP_1)
	v_cndmask_b32_e32 v14, 0x7f800000, v12, vcc_lo
	v_add_f32_e32 v17, 1.0, v14
	s_delay_alu instid0(VALU_DEP_1) | instskip(NEXT) | instid1(VALU_DEP_1)
	v_cvt_f64_f32_e32 v[12:13], v17
	v_frexp_exp_i32_f64_e32 v12, v[12:13]
	v_frexp_mant_f32_e32 v13, v17
	s_delay_alu instid0(VALU_DEP_1) | instskip(SKIP_1) | instid1(VALU_DEP_1)
	v_cmp_gt_f32_e32 vcc_lo, 0x3f2aaaab, v13
	v_add_f32_e32 v13, -1.0, v17
	v_sub_f32_e32 v100, v13, v17
	v_sub_f32_e32 v13, v14, v13
	v_subrev_co_ci_u32_e32 v12, vcc_lo, 0, v12, vcc_lo
	s_delay_alu instid0(VALU_DEP_1) | instskip(SKIP_1) | instid1(VALU_DEP_2)
	v_sub_nc_u32_e32 v99, 0, v12
	v_cvt_f32_i32_e32 v12, v12
	v_ldexp_f32 v17, v17, v99
	s_delay_alu instid0(VALU_DEP_1) | instskip(NEXT) | instid1(VALU_DEP_1)
	v_dual_add_f32 v100, 1.0, v100 :: v_dual_add_f32 v101, 1.0, v17
	v_dual_add_f32 v13, v13, v100 :: v_dual_add_f32 v100, -1.0, v101
	s_delay_alu instid0(VALU_DEP_1) | instskip(SKIP_4) | instid1(VALU_DEP_4)
	v_ldexp_f32 v13, v13, v99
	v_add_f32_e32 v99, -1.0, v17
	v_cmp_eq_f32_e32 vcc_lo, 0x7f800000, v14
	v_cmp_gt_f32_e64 s29, 0x33800000, v14
	v_sub_f32_e32 v100, v17, v100
	v_add_f32_e32 v102, 1.0, v99
	s_delay_alu instid0(VALU_DEP_3) | instskip(NEXT) | instid1(VALU_DEP_2)
	s_or_b32 vcc_lo, s29, vcc_lo
	v_add_f32_e32 v100, v13, v100
	s_delay_alu instid0(VALU_DEP_2) | instskip(NEXT) | instid1(VALU_DEP_1)
	v_sub_f32_e32 v17, v17, v102
	v_add_f32_e32 v13, v13, v17
	s_delay_alu instid0(VALU_DEP_1) | instskip(NEXT) | instid1(VALU_DEP_1)
	v_dual_add_f32 v103, v99, v13 :: v_dual_add_f32 v102, v101, v100
	v_sub_f32_e32 v99, v99, v103
	s_delay_alu instid0(VALU_DEP_2) | instskip(SKIP_1) | instid1(VALU_DEP_1)
	v_rcp_f32_e32 v17, v102
	v_sub_f32_e32 v101, v101, v102
	v_dual_add_f32 v13, v13, v99 :: v_dual_add_f32 v100, v100, v101
	s_waitcnt_depctr 0xfff
	v_mul_f32_e32 v104, v103, v17
	s_delay_alu instid0(VALU_DEP_1) | instskip(NEXT) | instid1(VALU_DEP_1)
	v_mul_f32_e32 v105, v102, v104
	v_fma_f32 v101, v104, v102, -v105
	s_delay_alu instid0(VALU_DEP_1) | instskip(NEXT) | instid1(VALU_DEP_1)
	v_fmac_f32_e32 v101, v104, v100
	v_add_f32_e32 v106, v105, v101
	s_delay_alu instid0(VALU_DEP_1) | instskip(NEXT) | instid1(VALU_DEP_1)
	v_sub_f32_e32 v107, v103, v106
	v_sub_f32_e32 v103, v103, v107
	;; [unrolled: 1-line block ×3, first 2 shown]
	s_delay_alu instid0(VALU_DEP_2) | instskip(NEXT) | instid1(VALU_DEP_2)
	v_sub_f32_e32 v103, v103, v106
	v_sub_f32_e32 v99, v99, v101
	s_delay_alu instid0(VALU_DEP_2) | instskip(NEXT) | instid1(VALU_DEP_1)
	v_add_f32_e32 v13, v13, v103
	v_add_f32_e32 v13, v99, v13
	s_delay_alu instid0(VALU_DEP_1) | instskip(NEXT) | instid1(VALU_DEP_1)
	v_add_f32_e32 v99, v107, v13
	v_mul_f32_e32 v101, v17, v99
	s_delay_alu instid0(VALU_DEP_1) | instskip(NEXT) | instid1(VALU_DEP_1)
	v_dual_sub_f32 v106, v107, v99 :: v_dual_mul_f32 v103, v102, v101
	v_add_f32_e32 v13, v13, v106
	s_delay_alu instid0(VALU_DEP_2) | instskip(NEXT) | instid1(VALU_DEP_1)
	v_fma_f32 v102, v101, v102, -v103
	v_fmac_f32_e32 v102, v101, v100
	s_delay_alu instid0(VALU_DEP_1) | instskip(NEXT) | instid1(VALU_DEP_1)
	v_add_f32_e32 v100, v103, v102
	v_sub_f32_e32 v105, v99, v100
	v_sub_f32_e32 v103, v100, v103
	s_delay_alu instid0(VALU_DEP_2) | instskip(NEXT) | instid1(VALU_DEP_1)
	v_sub_f32_e32 v99, v99, v105
	v_sub_f32_e32 v99, v99, v100
	s_delay_alu instid0(VALU_DEP_1) | instskip(SKIP_1) | instid1(VALU_DEP_1)
	v_dual_sub_f32 v100, v103, v102 :: v_dual_add_f32 v13, v13, v99
	v_add_f32_e32 v99, v104, v101
	v_dual_add_f32 v13, v100, v13 :: v_dual_sub_f32 v100, v99, v104
	s_delay_alu instid0(VALU_DEP_1) | instskip(NEXT) | instid1(VALU_DEP_2)
	v_add_f32_e32 v13, v105, v13
	v_sub_f32_e32 v100, v101, v100
	s_delay_alu instid0(VALU_DEP_2) | instskip(NEXT) | instid1(VALU_DEP_1)
	v_mul_f32_e32 v13, v17, v13
	v_add_f32_e32 v13, v100, v13
	s_delay_alu instid0(VALU_DEP_1) | instskip(NEXT) | instid1(VALU_DEP_1)
	v_add_f32_e32 v17, v99, v13
	v_mul_f32_e32 v100, v17, v17
	s_delay_alu instid0(VALU_DEP_1) | instskip(SKIP_1) | instid1(VALU_DEP_2)
	v_fmaak_f32 v101, s84, v100, 0x3ecc95a3
	v_mul_f32_e32 v102, v17, v100
	v_fmaak_f32 v100, v100, v101, 0x3f2aaada
	v_ldexp_f32 v101, v17, 1
	s_delay_alu instid0(VALU_DEP_2) | instskip(NEXT) | instid1(VALU_DEP_1)
	v_dual_sub_f32 v17, v17, v99 :: v_dual_mul_f32 v100, v102, v100
	v_dual_mul_f32 v102, 0x3f317218, v12 :: v_dual_sub_f32 v13, v13, v17
	s_delay_alu instid0(VALU_DEP_2) | instskip(NEXT) | instid1(VALU_DEP_2)
	v_add_f32_e32 v99, v101, v100
	v_ldexp_f32 v13, v13, 1
	s_delay_alu instid0(VALU_DEP_2) | instskip(NEXT) | instid1(VALU_DEP_4)
	v_sub_f32_e32 v17, v99, v101
	v_fma_f32 v101, 0x3f317218, v12, -v102
	s_delay_alu instid0(VALU_DEP_2) | instskip(NEXT) | instid1(VALU_DEP_1)
	v_sub_f32_e32 v17, v100, v17
	v_dual_fmac_f32 v101, 0xb102e308, v12 :: v_dual_add_f32 v12, v13, v17
	s_delay_alu instid0(VALU_DEP_1) | instskip(NEXT) | instid1(VALU_DEP_1)
	v_add_f32_e32 v13, v102, v101
	v_dual_add_f32 v17, v99, v12 :: v_dual_sub_f32 v102, v13, v102
	s_delay_alu instid0(VALU_DEP_1) | instskip(SKIP_1) | instid1(VALU_DEP_3)
	v_add_f32_e32 v100, v13, v17
	v_sub_f32_e32 v99, v17, v99
	v_sub_f32_e32 v101, v101, v102
	s_delay_alu instid0(VALU_DEP_3) | instskip(NEXT) | instid1(VALU_DEP_3)
	v_sub_f32_e32 v103, v100, v13
	v_sub_f32_e32 v12, v12, v99
	s_delay_alu instid0(VALU_DEP_2) | instskip(SKIP_1) | instid1(VALU_DEP_3)
	v_sub_f32_e32 v104, v100, v103
	v_sub_f32_e32 v17, v17, v103
	v_add_f32_e32 v99, v101, v12
	s_delay_alu instid0(VALU_DEP_3) | instskip(NEXT) | instid1(VALU_DEP_1)
	v_sub_f32_e32 v13, v13, v104
	v_add_f32_e32 v13, v17, v13
	s_delay_alu instid0(VALU_DEP_3) | instskip(NEXT) | instid1(VALU_DEP_2)
	v_sub_f32_e32 v17, v99, v101
	v_add_f32_e32 v13, v99, v13
	s_delay_alu instid0(VALU_DEP_2) | instskip(SKIP_1) | instid1(VALU_DEP_2)
	v_sub_f32_e32 v99, v99, v17
	v_sub_f32_e32 v12, v12, v17
	v_dual_add_f32 v102, v100, v13 :: v_dual_sub_f32 v99, v101, v99
	s_delay_alu instid0(VALU_DEP_1) | instskip(NEXT) | instid1(VALU_DEP_1)
	v_dual_sub_f32 v17, v102, v100 :: v_dual_add_f32 v12, v12, v99
	v_sub_f32_e32 v13, v13, v17
	s_delay_alu instid0(VALU_DEP_1) | instskip(NEXT) | instid1(VALU_DEP_1)
	v_add_f32_e32 v12, v12, v13
	v_add_f32_e32 v12, v102, v12
	s_delay_alu instid0(VALU_DEP_1)
	v_cndmask_b32_e32 v99, v12, v14, vcc_lo
.LBB29_86:                              ;   in Loop: Header=BB29_12 Depth=1
	s_or_b32 exec_lo, exec_lo, s30
	v_lshlrev_b32_e32 v12, 16, v15
	s_delay_alu instid0(VALU_DEP_1) | instskip(NEXT) | instid1(VALU_DEP_1)
	v_add_f32_e32 v100, s69, v12
	v_cmp_ge_f32_e32 vcc_lo, 0x41a00000, v100
	s_and_b32 s29, s80, vcc_lo
	s_delay_alu instid0(SALU_CYCLE_1)
	s_and_saveexec_b32 s30, s29
	s_cbranch_execz .LBB29_88
; %bb.87:                               ;   in Loop: Header=BB29_12 Depth=1
	v_mul_f32_e32 v12, 0x3fb8aa3b, v100
	v_cmp_ngt_f32_e32 vcc_lo, 0xc2ce8ed0, v100
	s_delay_alu instid0(VALU_DEP_2) | instskip(SKIP_1) | instid1(VALU_DEP_2)
	v_rndne_f32_e32 v13, v12
	v_fma_f32 v14, 0x3fb8aa3b, v100, -v12
	v_sub_f32_e32 v12, v12, v13
	s_delay_alu instid0(VALU_DEP_2) | instskip(SKIP_1) | instid1(VALU_DEP_2)
	v_fmac_f32_e32 v14, 0x32a5705f, v100
	v_cvt_i32_f32_e32 v13, v13
	v_add_f32_e32 v12, v12, v14
	s_delay_alu instid0(VALU_DEP_1) | instskip(SKIP_2) | instid1(VALU_DEP_1)
	v_exp_f32_e32 v12, v12
	s_waitcnt_depctr 0xfff
	v_ldexp_f32 v12, v12, v13
	v_cndmask_b32_e32 v12, 0, v12, vcc_lo
	v_cmp_nlt_f32_e32 vcc_lo, 0x42b17218, v100
	s_delay_alu instid0(VALU_DEP_2) | instskip(NEXT) | instid1(VALU_DEP_1)
	v_cndmask_b32_e32 v14, 0x7f800000, v12, vcc_lo
	v_add_f32_e32 v17, 1.0, v14
	s_delay_alu instid0(VALU_DEP_1) | instskip(NEXT) | instid1(VALU_DEP_1)
	v_cvt_f64_f32_e32 v[12:13], v17
	v_frexp_exp_i32_f64_e32 v12, v[12:13]
	v_frexp_mant_f32_e32 v13, v17
	s_delay_alu instid0(VALU_DEP_1) | instskip(SKIP_1) | instid1(VALU_DEP_1)
	v_cmp_gt_f32_e32 vcc_lo, 0x3f2aaaab, v13
	v_add_f32_e32 v13, -1.0, v17
	v_sub_f32_e32 v101, v13, v17
	s_delay_alu instid0(VALU_DEP_1) | instskip(SKIP_2) | instid1(VALU_DEP_2)
	v_add_f32_e32 v101, 1.0, v101
	v_sub_f32_e32 v13, v14, v13
	v_cmp_gt_f32_e64 s29, 0x33800000, v14
	v_add_f32_e32 v13, v13, v101
	v_subrev_co_ci_u32_e32 v12, vcc_lo, 0, v12, vcc_lo
	v_cmp_eq_f32_e32 vcc_lo, 0x7f800000, v14
	s_delay_alu instid0(VALU_DEP_2) | instskip(SKIP_2) | instid1(VALU_DEP_2)
	v_sub_nc_u32_e32 v100, 0, v12
	v_cvt_f32_i32_e32 v12, v12
	s_or_b32 vcc_lo, s29, vcc_lo
	v_ldexp_f32 v17, v17, v100
	v_ldexp_f32 v13, v13, v100
	s_delay_alu instid0(VALU_DEP_2) | instskip(NEXT) | instid1(VALU_DEP_1)
	v_add_f32_e32 v100, -1.0, v17
	v_dual_add_f32 v102, 1.0, v17 :: v_dual_add_f32 v103, 1.0, v100
	s_delay_alu instid0(VALU_DEP_1) | instskip(NEXT) | instid1(VALU_DEP_1)
	v_add_f32_e32 v101, -1.0, v102
	v_sub_f32_e32 v101, v17, v101
	s_delay_alu instid0(VALU_DEP_3) | instskip(NEXT) | instid1(VALU_DEP_2)
	v_sub_f32_e32 v17, v17, v103
	v_add_f32_e32 v101, v13, v101
	s_delay_alu instid0(VALU_DEP_2) | instskip(NEXT) | instid1(VALU_DEP_1)
	v_add_f32_e32 v13, v13, v17
	v_add_f32_e32 v104, v100, v13
	s_delay_alu instid0(VALU_DEP_1) | instskip(NEXT) | instid1(VALU_DEP_1)
	v_dual_sub_f32 v100, v100, v104 :: v_dual_add_f32 v103, v102, v101
	v_add_f32_e32 v13, v13, v100
	s_delay_alu instid0(VALU_DEP_2) | instskip(SKIP_1) | instid1(VALU_DEP_1)
	v_rcp_f32_e32 v17, v103
	v_sub_f32_e32 v102, v102, v103
	v_add_f32_e32 v101, v101, v102
	s_waitcnt_depctr 0xfff
	v_mul_f32_e32 v105, v104, v17
	s_delay_alu instid0(VALU_DEP_1) | instskip(NEXT) | instid1(VALU_DEP_1)
	v_mul_f32_e32 v106, v103, v105
	v_fma_f32 v102, v105, v103, -v106
	s_delay_alu instid0(VALU_DEP_1) | instskip(NEXT) | instid1(VALU_DEP_1)
	v_fmac_f32_e32 v102, v105, v101
	v_add_f32_e32 v107, v106, v102
	s_delay_alu instid0(VALU_DEP_1) | instskip(SKIP_1) | instid1(VALU_DEP_2)
	v_sub_f32_e32 v108, v104, v107
	v_sub_f32_e32 v100, v107, v106
	;; [unrolled: 1-line block ×3, first 2 shown]
	s_delay_alu instid0(VALU_DEP_1) | instskip(NEXT) | instid1(VALU_DEP_1)
	v_sub_f32_e32 v104, v104, v107
	v_dual_sub_f32 v100, v100, v102 :: v_dual_add_f32 v13, v13, v104
	s_delay_alu instid0(VALU_DEP_1) | instskip(NEXT) | instid1(VALU_DEP_1)
	v_add_f32_e32 v13, v100, v13
	v_add_f32_e32 v100, v108, v13
	s_delay_alu instid0(VALU_DEP_1) | instskip(NEXT) | instid1(VALU_DEP_1)
	v_mul_f32_e32 v102, v17, v100
	v_dual_sub_f32 v107, v108, v100 :: v_dual_mul_f32 v104, v103, v102
	s_delay_alu instid0(VALU_DEP_1) | instskip(NEXT) | instid1(VALU_DEP_2)
	v_add_f32_e32 v13, v13, v107
	v_fma_f32 v103, v102, v103, -v104
	s_delay_alu instid0(VALU_DEP_1) | instskip(NEXT) | instid1(VALU_DEP_1)
	v_fmac_f32_e32 v103, v102, v101
	v_add_f32_e32 v101, v104, v103
	s_delay_alu instid0(VALU_DEP_1) | instskip(NEXT) | instid1(VALU_DEP_1)
	v_sub_f32_e32 v106, v100, v101
	v_sub_f32_e32 v100, v100, v106
	s_delay_alu instid0(VALU_DEP_1) | instskip(NEXT) | instid1(VALU_DEP_1)
	v_sub_f32_e32 v100, v100, v101
	v_add_f32_e32 v13, v13, v100
	v_add_f32_e32 v100, v105, v102
	v_sub_f32_e32 v104, v101, v104
	s_delay_alu instid0(VALU_DEP_1) | instskip(NEXT) | instid1(VALU_DEP_1)
	v_sub_f32_e32 v101, v104, v103
	v_add_f32_e32 v13, v101, v13
	s_delay_alu instid0(VALU_DEP_4) | instskip(NEXT) | instid1(VALU_DEP_2)
	v_sub_f32_e32 v101, v100, v105
	v_add_f32_e32 v13, v106, v13
	s_delay_alu instid0(VALU_DEP_2) | instskip(NEXT) | instid1(VALU_DEP_2)
	v_sub_f32_e32 v101, v102, v101
	v_mul_f32_e32 v13, v17, v13
	s_delay_alu instid0(VALU_DEP_1) | instskip(NEXT) | instid1(VALU_DEP_1)
	v_add_f32_e32 v13, v101, v13
	v_add_f32_e32 v17, v100, v13
	s_delay_alu instid0(VALU_DEP_1) | instskip(NEXT) | instid1(VALU_DEP_1)
	v_mul_f32_e32 v101, v17, v17
	v_fmaak_f32 v102, s84, v101, 0x3ecc95a3
	v_mul_f32_e32 v103, v17, v101
	s_delay_alu instid0(VALU_DEP_2) | instskip(SKIP_1) | instid1(VALU_DEP_2)
	v_fmaak_f32 v101, v101, v102, 0x3f2aaada
	v_ldexp_f32 v102, v17, 1
	v_mul_f32_e32 v101, v103, v101
	s_delay_alu instid0(VALU_DEP_1) | instskip(NEXT) | instid1(VALU_DEP_1)
	v_dual_sub_f32 v17, v17, v100 :: v_dual_add_f32 v100, v102, v101
	v_sub_f32_e32 v13, v13, v17
	s_delay_alu instid0(VALU_DEP_2) | instskip(NEXT) | instid1(VALU_DEP_2)
	v_sub_f32_e32 v17, v100, v102
	v_ldexp_f32 v13, v13, 1
	s_delay_alu instid0(VALU_DEP_2) | instskip(SKIP_1) | instid1(VALU_DEP_1)
	v_sub_f32_e32 v17, v101, v17
	v_mul_f32_e32 v103, 0x3f317218, v12
	v_fma_f32 v102, 0x3f317218, v12, -v103
	s_delay_alu instid0(VALU_DEP_1) | instskip(NEXT) | instid1(VALU_DEP_1)
	v_fmac_f32_e32 v102, 0xb102e308, v12
	v_dual_add_f32 v12, v13, v17 :: v_dual_add_f32 v13, v103, v102
	s_delay_alu instid0(VALU_DEP_1) | instskip(NEXT) | instid1(VALU_DEP_1)
	v_add_f32_e32 v17, v100, v12
	v_add_f32_e32 v101, v13, v17
	v_sub_f32_e32 v100, v17, v100
	s_delay_alu instid0(VALU_DEP_2) | instskip(NEXT) | instid1(VALU_DEP_2)
	v_sub_f32_e32 v104, v101, v13
	v_dual_sub_f32 v12, v12, v100 :: v_dual_sub_f32 v103, v13, v103
	s_delay_alu instid0(VALU_DEP_2) | instskip(NEXT) | instid1(VALU_DEP_2)
	v_sub_f32_e32 v105, v101, v104
	v_dual_sub_f32 v17, v17, v104 :: v_dual_sub_f32 v102, v102, v103
	s_delay_alu instid0(VALU_DEP_1) | instskip(NEXT) | instid1(VALU_DEP_1)
	v_dual_sub_f32 v13, v13, v105 :: v_dual_add_f32 v100, v102, v12
	v_add_f32_e32 v13, v17, v13
	s_delay_alu instid0(VALU_DEP_2) | instskip(NEXT) | instid1(VALU_DEP_2)
	v_sub_f32_e32 v17, v100, v102
	v_add_f32_e32 v13, v100, v13
	s_delay_alu instid0(VALU_DEP_2) | instskip(SKIP_1) | instid1(VALU_DEP_2)
	v_sub_f32_e32 v100, v100, v17
	v_sub_f32_e32 v12, v12, v17
	v_dual_add_f32 v103, v101, v13 :: v_dual_sub_f32 v100, v102, v100
	s_delay_alu instid0(VALU_DEP_1) | instskip(NEXT) | instid1(VALU_DEP_1)
	v_dual_sub_f32 v17, v103, v101 :: v_dual_add_f32 v12, v12, v100
	v_sub_f32_e32 v13, v13, v17
	s_delay_alu instid0(VALU_DEP_1) | instskip(NEXT) | instid1(VALU_DEP_1)
	v_add_f32_e32 v12, v12, v13
	v_add_f32_e32 v12, v103, v12
	s_delay_alu instid0(VALU_DEP_1)
	v_cndmask_b32_e32 v100, v12, v14, vcc_lo
.LBB29_88:                              ;   in Loop: Header=BB29_12 Depth=1
	s_or_b32 exec_lo, exec_lo, s30
	v_and_b32_e32 v12, 0xffff0000, v15
	s_delay_alu instid0(VALU_DEP_1) | instskip(NEXT) | instid1(VALU_DEP_1)
	v_add_f32_e32 v105, s69, v12
	v_cmp_ge_f32_e32 vcc_lo, 0x41a00000, v105
	s_and_b32 s29, s80, vcc_lo
	s_delay_alu instid0(SALU_CYCLE_1)
	s_and_saveexec_b32 s30, s29
	s_cbranch_execz .LBB29_90
; %bb.89:                               ;   in Loop: Header=BB29_12 Depth=1
	v_mul_f32_e32 v12, 0x3fb8aa3b, v105
	v_cmp_ngt_f32_e32 vcc_lo, 0xc2ce8ed0, v105
	s_delay_alu instid0(VALU_DEP_2) | instskip(SKIP_1) | instid1(VALU_DEP_2)
	v_rndne_f32_e32 v13, v12
	v_fma_f32 v14, 0x3fb8aa3b, v105, -v12
	v_sub_f32_e32 v12, v12, v13
	s_delay_alu instid0(VALU_DEP_2) | instskip(SKIP_1) | instid1(VALU_DEP_2)
	v_fmac_f32_e32 v14, 0x32a5705f, v105
	v_cvt_i32_f32_e32 v13, v13
	v_add_f32_e32 v12, v12, v14
	s_delay_alu instid0(VALU_DEP_1) | instskip(SKIP_2) | instid1(VALU_DEP_1)
	v_exp_f32_e32 v12, v12
	s_waitcnt_depctr 0xfff
	v_ldexp_f32 v12, v12, v13
	v_cndmask_b32_e32 v12, 0, v12, vcc_lo
	v_cmp_nlt_f32_e32 vcc_lo, 0x42b17218, v105
	s_delay_alu instid0(VALU_DEP_2) | instskip(NEXT) | instid1(VALU_DEP_1)
	v_cndmask_b32_e32 v14, 0x7f800000, v12, vcc_lo
	v_add_f32_e32 v15, 1.0, v14
	s_delay_alu instid0(VALU_DEP_1) | instskip(NEXT) | instid1(VALU_DEP_1)
	v_cvt_f64_f32_e32 v[12:13], v15
	v_frexp_exp_i32_f64_e32 v12, v[12:13]
	v_frexp_mant_f32_e32 v13, v15
	s_delay_alu instid0(VALU_DEP_1) | instskip(SKIP_1) | instid1(VALU_DEP_1)
	v_cmp_gt_f32_e32 vcc_lo, 0x3f2aaaab, v13
	v_add_f32_e32 v13, -1.0, v15
	v_sub_f32_e32 v101, v13, v15
	v_sub_f32_e32 v13, v14, v13
	s_delay_alu instid0(VALU_DEP_2) | instskip(NEXT) | instid1(VALU_DEP_1)
	v_add_f32_e32 v101, 1.0, v101
	v_add_f32_e32 v13, v13, v101
	v_cmp_gt_f32_e64 s29, 0x33800000, v14
	v_subrev_co_ci_u32_e32 v12, vcc_lo, 0, v12, vcc_lo
	v_cmp_eq_f32_e32 vcc_lo, 0x7f800000, v14
	s_delay_alu instid0(VALU_DEP_2) | instskip(SKIP_2) | instid1(VALU_DEP_2)
	v_sub_nc_u32_e32 v17, 0, v12
	v_cvt_f32_i32_e32 v12, v12
	s_or_b32 vcc_lo, s29, vcc_lo
	v_ldexp_f32 v15, v15, v17
	v_ldexp_f32 v13, v13, v17
	s_delay_alu instid0(VALU_DEP_2) | instskip(SKIP_1) | instid1(VALU_DEP_2)
	v_add_f32_e32 v102, 1.0, v15
	v_add_f32_e32 v17, -1.0, v15
	v_add_f32_e32 v101, -1.0, v102
	s_delay_alu instid0(VALU_DEP_2) | instskip(NEXT) | instid1(VALU_DEP_2)
	v_add_f32_e32 v103, 1.0, v17
	v_sub_f32_e32 v101, v15, v101
	s_delay_alu instid0(VALU_DEP_2) | instskip(NEXT) | instid1(VALU_DEP_2)
	v_sub_f32_e32 v15, v15, v103
	v_add_f32_e32 v101, v13, v101
	s_delay_alu instid0(VALU_DEP_2) | instskip(NEXT) | instid1(VALU_DEP_1)
	v_add_f32_e32 v13, v13, v15
	v_add_f32_e32 v104, v17, v13
	s_delay_alu instid0(VALU_DEP_3) | instskip(NEXT) | instid1(VALU_DEP_1)
	v_add_f32_e32 v103, v102, v101
	v_rcp_f32_e32 v15, v103
	v_sub_f32_e32 v102, v102, v103
	s_delay_alu instid0(VALU_DEP_1) | instskip(SKIP_2) | instid1(VALU_DEP_1)
	v_add_f32_e32 v101, v101, v102
	s_waitcnt_depctr 0xfff
	v_mul_f32_e32 v105, v104, v15
	v_dual_mul_f32 v106, v103, v105 :: v_dual_sub_f32 v17, v17, v104
	s_delay_alu instid0(VALU_DEP_1) | instskip(NEXT) | instid1(VALU_DEP_2)
	v_fma_f32 v102, v105, v103, -v106
	v_add_f32_e32 v13, v13, v17
	s_delay_alu instid0(VALU_DEP_2) | instskip(NEXT) | instid1(VALU_DEP_1)
	v_fmac_f32_e32 v102, v105, v101
	v_add_f32_e32 v107, v106, v102
	s_delay_alu instid0(VALU_DEP_1) | instskip(NEXT) | instid1(VALU_DEP_1)
	v_dual_sub_f32 v108, v104, v107 :: v_dual_sub_f32 v17, v107, v106
	v_dual_sub_f32 v104, v104, v108 :: v_dual_sub_f32 v17, v17, v102
	s_delay_alu instid0(VALU_DEP_1) | instskip(NEXT) | instid1(VALU_DEP_1)
	v_sub_f32_e32 v104, v104, v107
	v_add_f32_e32 v13, v13, v104
	s_delay_alu instid0(VALU_DEP_1) | instskip(NEXT) | instid1(VALU_DEP_1)
	v_add_f32_e32 v13, v17, v13
	v_add_f32_e32 v17, v108, v13
	s_delay_alu instid0(VALU_DEP_1) | instskip(NEXT) | instid1(VALU_DEP_1)
	v_mul_f32_e32 v102, v15, v17
	v_dual_sub_f32 v107, v108, v17 :: v_dual_mul_f32 v104, v103, v102
	s_delay_alu instid0(VALU_DEP_1) | instskip(NEXT) | instid1(VALU_DEP_2)
	v_add_f32_e32 v13, v13, v107
	v_fma_f32 v103, v102, v103, -v104
	s_delay_alu instid0(VALU_DEP_1) | instskip(NEXT) | instid1(VALU_DEP_1)
	v_fmac_f32_e32 v103, v102, v101
	v_add_f32_e32 v101, v104, v103
	s_delay_alu instid0(VALU_DEP_1) | instskip(SKIP_1) | instid1(VALU_DEP_2)
	v_sub_f32_e32 v106, v17, v101
	v_sub_f32_e32 v104, v101, v104
	v_sub_f32_e32 v17, v17, v106
	s_delay_alu instid0(VALU_DEP_1) | instskip(NEXT) | instid1(VALU_DEP_3)
	v_sub_f32_e32 v17, v17, v101
	v_sub_f32_e32 v101, v104, v103
	s_delay_alu instid0(VALU_DEP_2) | instskip(SKIP_1) | instid1(VALU_DEP_2)
	v_add_f32_e32 v13, v13, v17
	v_add_f32_e32 v17, v105, v102
	;; [unrolled: 1-line block ×3, first 2 shown]
	s_delay_alu instid0(VALU_DEP_2) | instskip(NEXT) | instid1(VALU_DEP_2)
	v_sub_f32_e32 v101, v17, v105
	v_add_f32_e32 v13, v106, v13
	s_delay_alu instid0(VALU_DEP_2) | instskip(NEXT) | instid1(VALU_DEP_2)
	v_sub_f32_e32 v101, v102, v101
	v_mul_f32_e32 v13, v15, v13
	s_delay_alu instid0(VALU_DEP_1) | instskip(NEXT) | instid1(VALU_DEP_1)
	v_add_f32_e32 v13, v101, v13
	v_add_f32_e32 v15, v17, v13
	s_delay_alu instid0(VALU_DEP_1) | instskip(NEXT) | instid1(VALU_DEP_1)
	v_mul_f32_e32 v101, v15, v15
	v_fmaak_f32 v102, s84, v101, 0x3ecc95a3
	v_mul_f32_e32 v103, v15, v101
	s_delay_alu instid0(VALU_DEP_2) | instskip(SKIP_2) | instid1(VALU_DEP_3)
	v_fmaak_f32 v101, v101, v102, 0x3f2aaada
	v_ldexp_f32 v102, v15, 1
	v_sub_f32_e32 v15, v15, v17
	v_mul_f32_e32 v101, v103, v101
	v_mul_f32_e32 v103, 0x3f317218, v12
	s_delay_alu instid0(VALU_DEP_3) | instskip(NEXT) | instid1(VALU_DEP_3)
	v_sub_f32_e32 v13, v13, v15
	v_add_f32_e32 v17, v102, v101
	s_delay_alu instid0(VALU_DEP_2) | instskip(NEXT) | instid1(VALU_DEP_2)
	v_ldexp_f32 v13, v13, 1
	v_sub_f32_e32 v15, v17, v102
	v_fma_f32 v102, 0x3f317218, v12, -v103
	s_delay_alu instid0(VALU_DEP_1) | instskip(NEXT) | instid1(VALU_DEP_1)
	v_dual_sub_f32 v15, v101, v15 :: v_dual_fmac_f32 v102, 0xb102e308, v12
	v_dual_add_f32 v12, v13, v15 :: v_dual_add_f32 v13, v103, v102
	s_delay_alu instid0(VALU_DEP_1) | instskip(NEXT) | instid1(VALU_DEP_1)
	v_add_f32_e32 v15, v17, v12
	v_add_f32_e32 v101, v13, v15
	v_sub_f32_e32 v17, v15, v17
	s_delay_alu instid0(VALU_DEP_2) | instskip(NEXT) | instid1(VALU_DEP_2)
	v_sub_f32_e32 v104, v101, v13
	v_dual_sub_f32 v103, v13, v103 :: v_dual_sub_f32 v12, v12, v17
	s_delay_alu instid0(VALU_DEP_1) | instskip(SKIP_1) | instid1(VALU_DEP_2)
	v_dual_sub_f32 v105, v101, v104 :: v_dual_sub_f32 v102, v102, v103
	v_sub_f32_e32 v15, v15, v104
	v_sub_f32_e32 v13, v13, v105
	s_delay_alu instid0(VALU_DEP_3) | instskip(NEXT) | instid1(VALU_DEP_2)
	v_add_f32_e32 v17, v102, v12
	v_add_f32_e32 v13, v15, v13
	s_delay_alu instid0(VALU_DEP_2) | instskip(NEXT) | instid1(VALU_DEP_2)
	v_sub_f32_e32 v15, v17, v102
	v_add_f32_e32 v13, v17, v13
	s_delay_alu instid0(VALU_DEP_2) | instskip(NEXT) | instid1(VALU_DEP_2)
	v_sub_f32_e32 v17, v17, v15
	v_dual_sub_f32 v12, v12, v15 :: v_dual_add_f32 v103, v101, v13
	s_delay_alu instid0(VALU_DEP_2) | instskip(NEXT) | instid1(VALU_DEP_2)
	v_sub_f32_e32 v17, v102, v17
	v_sub_f32_e32 v15, v103, v101
	s_delay_alu instid0(VALU_DEP_1) | instskip(NEXT) | instid1(VALU_DEP_1)
	v_dual_add_f32 v12, v12, v17 :: v_dual_sub_f32 v13, v13, v15
	v_add_f32_e32 v12, v12, v13
	s_delay_alu instid0(VALU_DEP_1) | instskip(NEXT) | instid1(VALU_DEP_1)
	v_add_f32_e32 v12, v103, v12
	v_cndmask_b32_e32 v105, v12, v14, vcc_lo
.LBB29_90:                              ;   in Loop: Header=BB29_12 Depth=1
	s_or_b32 exec_lo, exec_lo, s30
	s_waitcnt lgkmcnt(0)
	v_lshlrev_b32_e32 v12, 16, v8
	s_delay_alu instid0(VALU_DEP_1) | instskip(NEXT) | instid1(VALU_DEP_1)
	v_add_f32_e32 v108, s69, v12
	v_cmp_ge_f32_e32 vcc_lo, 0x41a00000, v108
	s_and_b32 s29, s80, vcc_lo
	s_delay_alu instid0(SALU_CYCLE_1)
	s_and_saveexec_b32 s30, s29
	s_cbranch_execz .LBB29_92
; %bb.91:                               ;   in Loop: Header=BB29_12 Depth=1
	v_mul_f32_e32 v12, 0x3fb8aa3b, v108
	v_cmp_ngt_f32_e32 vcc_lo, 0xc2ce8ed0, v108
	s_delay_alu instid0(VALU_DEP_2) | instskip(SKIP_1) | instid1(VALU_DEP_2)
	v_rndne_f32_e32 v13, v12
	v_fma_f32 v14, 0x3fb8aa3b, v108, -v12
	v_sub_f32_e32 v12, v12, v13
	s_delay_alu instid0(VALU_DEP_2) | instskip(SKIP_1) | instid1(VALU_DEP_2)
	v_fmac_f32_e32 v14, 0x32a5705f, v108
	v_cvt_i32_f32_e32 v13, v13
	v_add_f32_e32 v12, v12, v14
	s_delay_alu instid0(VALU_DEP_1) | instskip(SKIP_2) | instid1(VALU_DEP_1)
	v_exp_f32_e32 v12, v12
	s_waitcnt_depctr 0xfff
	v_ldexp_f32 v12, v12, v13
	v_cndmask_b32_e32 v12, 0, v12, vcc_lo
	v_cmp_nlt_f32_e32 vcc_lo, 0x42b17218, v108
	s_delay_alu instid0(VALU_DEP_2) | instskip(NEXT) | instid1(VALU_DEP_1)
	v_cndmask_b32_e32 v14, 0x7f800000, v12, vcc_lo
	v_add_f32_e32 v15, 1.0, v14
	s_delay_alu instid0(VALU_DEP_1) | instskip(NEXT) | instid1(VALU_DEP_1)
	v_cvt_f64_f32_e32 v[12:13], v15
	v_frexp_exp_i32_f64_e32 v12, v[12:13]
	v_frexp_mant_f32_e32 v13, v15
	s_delay_alu instid0(VALU_DEP_1) | instskip(SKIP_1) | instid1(VALU_DEP_1)
	v_cmp_gt_f32_e32 vcc_lo, 0x3f2aaaab, v13
	v_add_f32_e32 v13, -1.0, v15
	v_sub_f32_e32 v101, v13, v15
	v_sub_f32_e32 v13, v14, v13
	s_delay_alu instid0(VALU_DEP_2) | instskip(NEXT) | instid1(VALU_DEP_1)
	v_add_f32_e32 v101, 1.0, v101
	v_add_f32_e32 v13, v13, v101
	v_cmp_gt_f32_e64 s29, 0x33800000, v14
	v_subrev_co_ci_u32_e32 v12, vcc_lo, 0, v12, vcc_lo
	v_cmp_eq_f32_e32 vcc_lo, 0x7f800000, v14
	s_delay_alu instid0(VALU_DEP_2) | instskip(SKIP_2) | instid1(VALU_DEP_2)
	v_sub_nc_u32_e32 v17, 0, v12
	v_cvt_f32_i32_e32 v12, v12
	s_or_b32 vcc_lo, s29, vcc_lo
	v_ldexp_f32 v15, v15, v17
	v_ldexp_f32 v13, v13, v17
	s_delay_alu instid0(VALU_DEP_2) | instskip(SKIP_1) | instid1(VALU_DEP_2)
	v_add_f32_e32 v102, 1.0, v15
	v_add_f32_e32 v17, -1.0, v15
	v_add_f32_e32 v101, -1.0, v102
	s_delay_alu instid0(VALU_DEP_2) | instskip(NEXT) | instid1(VALU_DEP_2)
	v_add_f32_e32 v103, 1.0, v17
	v_sub_f32_e32 v101, v15, v101
	s_delay_alu instid0(VALU_DEP_2) | instskip(NEXT) | instid1(VALU_DEP_2)
	v_sub_f32_e32 v15, v15, v103
	v_add_f32_e32 v101, v13, v101
	s_delay_alu instid0(VALU_DEP_2) | instskip(NEXT) | instid1(VALU_DEP_2)
	v_add_f32_e32 v13, v13, v15
	v_add_f32_e32 v103, v102, v101
	s_delay_alu instid0(VALU_DEP_2) | instskip(NEXT) | instid1(VALU_DEP_2)
	v_add_f32_e32 v104, v17, v13
	v_rcp_f32_e32 v15, v103
	v_sub_f32_e32 v102, v102, v103
	s_waitcnt_depctr 0xfff
	v_dual_add_f32 v101, v101, v102 :: v_dual_mul_f32 v106, v104, v15
	s_delay_alu instid0(VALU_DEP_1) | instskip(NEXT) | instid1(VALU_DEP_1)
	v_mul_f32_e32 v107, v103, v106
	v_fma_f32 v102, v106, v103, -v107
	s_delay_alu instid0(VALU_DEP_1) | instskip(NEXT) | instid1(VALU_DEP_1)
	v_dual_fmac_f32 v102, v106, v101 :: v_dual_sub_f32 v17, v17, v104
	v_add_f32_e32 v108, v107, v102
	s_delay_alu instid0(VALU_DEP_1) | instskip(NEXT) | instid1(VALU_DEP_1)
	v_sub_f32_e32 v109, v104, v108
	v_sub_f32_e32 v104, v104, v109
	s_delay_alu instid0(VALU_DEP_1) | instskip(SKIP_1) | instid1(VALU_DEP_2)
	v_dual_sub_f32 v104, v104, v108 :: v_dual_add_f32 v13, v13, v17
	v_sub_f32_e32 v17, v108, v107
	v_add_f32_e32 v13, v13, v104
	s_delay_alu instid0(VALU_DEP_2) | instskip(NEXT) | instid1(VALU_DEP_1)
	v_sub_f32_e32 v17, v17, v102
	v_add_f32_e32 v13, v17, v13
	s_delay_alu instid0(VALU_DEP_1) | instskip(NEXT) | instid1(VALU_DEP_1)
	v_add_f32_e32 v17, v109, v13
	v_mul_f32_e32 v102, v15, v17
	s_delay_alu instid0(VALU_DEP_1) | instskip(SKIP_1) | instid1(VALU_DEP_2)
	v_mul_f32_e32 v104, v103, v102
	v_sub_f32_e32 v108, v109, v17
	v_fma_f32 v103, v102, v103, -v104
	s_delay_alu instid0(VALU_DEP_2) | instskip(NEXT) | instid1(VALU_DEP_2)
	v_add_f32_e32 v13, v13, v108
	v_fmac_f32_e32 v103, v102, v101
	s_delay_alu instid0(VALU_DEP_1) | instskip(NEXT) | instid1(VALU_DEP_1)
	v_add_f32_e32 v101, v104, v103
	v_sub_f32_e32 v107, v17, v101
	v_sub_f32_e32 v104, v101, v104
	s_delay_alu instid0(VALU_DEP_2) | instskip(NEXT) | instid1(VALU_DEP_1)
	v_sub_f32_e32 v17, v17, v107
	v_sub_f32_e32 v17, v17, v101
	s_delay_alu instid0(VALU_DEP_3) | instskip(NEXT) | instid1(VALU_DEP_2)
	v_sub_f32_e32 v101, v104, v103
	v_add_f32_e32 v13, v13, v17
	v_add_f32_e32 v17, v106, v102
	s_delay_alu instid0(VALU_DEP_2) | instskip(NEXT) | instid1(VALU_DEP_2)
	v_add_f32_e32 v13, v101, v13
	v_sub_f32_e32 v101, v17, v106
	s_delay_alu instid0(VALU_DEP_2) | instskip(NEXT) | instid1(VALU_DEP_2)
	v_add_f32_e32 v13, v107, v13
	v_sub_f32_e32 v101, v102, v101
	s_delay_alu instid0(VALU_DEP_2) | instskip(NEXT) | instid1(VALU_DEP_1)
	v_mul_f32_e32 v13, v15, v13
	v_add_f32_e32 v13, v101, v13
	s_delay_alu instid0(VALU_DEP_1) | instskip(NEXT) | instid1(VALU_DEP_1)
	v_add_f32_e32 v15, v17, v13
	v_mul_f32_e32 v101, v15, v15
	s_delay_alu instid0(VALU_DEP_1) | instskip(SKIP_1) | instid1(VALU_DEP_2)
	v_fmaak_f32 v102, s84, v101, 0x3ecc95a3
	v_mul_f32_e32 v103, v15, v101
	v_fmaak_f32 v101, v101, v102, 0x3f2aaada
	v_ldexp_f32 v102, v15, 1
	v_sub_f32_e32 v15, v15, v17
	s_delay_alu instid0(VALU_DEP_3) | instskip(SKIP_1) | instid1(VALU_DEP_3)
	v_mul_f32_e32 v101, v103, v101
	v_mul_f32_e32 v103, 0x3f317218, v12
	v_sub_f32_e32 v13, v13, v15
	s_delay_alu instid0(VALU_DEP_3) | instskip(NEXT) | instid1(VALU_DEP_2)
	v_add_f32_e32 v17, v102, v101
	v_ldexp_f32 v13, v13, 1
	s_delay_alu instid0(VALU_DEP_2) | instskip(SKIP_1) | instid1(VALU_DEP_1)
	v_sub_f32_e32 v15, v17, v102
	v_fma_f32 v102, 0x3f317218, v12, -v103
	v_dual_sub_f32 v15, v101, v15 :: v_dual_fmac_f32 v102, 0xb102e308, v12
	s_delay_alu instid0(VALU_DEP_1) | instskip(NEXT) | instid1(VALU_DEP_1)
	v_dual_add_f32 v12, v13, v15 :: v_dual_add_f32 v13, v103, v102
	v_add_f32_e32 v15, v17, v12
	s_delay_alu instid0(VALU_DEP_2) | instskip(NEXT) | instid1(VALU_DEP_2)
	v_sub_f32_e32 v103, v13, v103
	v_add_f32_e32 v101, v13, v15
	s_delay_alu instid0(VALU_DEP_2) | instskip(NEXT) | instid1(VALU_DEP_2)
	v_dual_sub_f32 v17, v15, v17 :: v_dual_sub_f32 v102, v102, v103
	v_sub_f32_e32 v104, v101, v13
	s_delay_alu instid0(VALU_DEP_2) | instskip(NEXT) | instid1(VALU_DEP_2)
	v_sub_f32_e32 v12, v12, v17
	v_sub_f32_e32 v106, v101, v104
	;; [unrolled: 1-line block ×3, first 2 shown]
	s_delay_alu instid0(VALU_DEP_3) | instskip(NEXT) | instid1(VALU_DEP_3)
	v_add_f32_e32 v17, v102, v12
	v_sub_f32_e32 v13, v13, v106
	s_delay_alu instid0(VALU_DEP_1) | instskip(NEXT) | instid1(VALU_DEP_3)
	v_add_f32_e32 v13, v15, v13
	v_sub_f32_e32 v15, v17, v102
	s_delay_alu instid0(VALU_DEP_2) | instskip(NEXT) | instid1(VALU_DEP_2)
	v_add_f32_e32 v13, v17, v13
	v_sub_f32_e32 v17, v17, v15
	s_delay_alu instid0(VALU_DEP_2) | instskip(NEXT) | instid1(VALU_DEP_2)
	v_dual_sub_f32 v12, v12, v15 :: v_dual_add_f32 v103, v101, v13
	v_sub_f32_e32 v17, v102, v17
	s_delay_alu instid0(VALU_DEP_2) | instskip(NEXT) | instid1(VALU_DEP_1)
	v_sub_f32_e32 v15, v103, v101
	v_dual_add_f32 v12, v12, v17 :: v_dual_sub_f32 v13, v13, v15
	s_delay_alu instid0(VALU_DEP_1) | instskip(NEXT) | instid1(VALU_DEP_1)
	v_add_f32_e32 v12, v12, v13
	v_add_f32_e32 v12, v103, v12
	s_delay_alu instid0(VALU_DEP_1)
	v_cndmask_b32_e32 v108, v12, v14, vcc_lo
.LBB29_92:                              ;   in Loop: Header=BB29_12 Depth=1
	s_or_b32 exec_lo, exec_lo, s30
	v_and_b32_e32 v8, 0xffff0000, v8
	s_delay_alu instid0(VALU_DEP_1) | instskip(NEXT) | instid1(VALU_DEP_1)
	v_add_f32_e32 v113, s69, v8
	v_cmp_ge_f32_e32 vcc_lo, 0x41a00000, v113
	s_and_b32 s29, s80, vcc_lo
	s_delay_alu instid0(SALU_CYCLE_1)
	s_and_saveexec_b32 s30, s29
	s_cbranch_execz .LBB29_94
; %bb.93:                               ;   in Loop: Header=BB29_12 Depth=1
	v_mul_f32_e32 v8, 0x3fb8aa3b, v113
	v_cmp_ngt_f32_e32 vcc_lo, 0xc2ce8ed0, v113
	s_delay_alu instid0(VALU_DEP_2) | instskip(SKIP_1) | instid1(VALU_DEP_1)
	v_rndne_f32_e32 v12, v8
	v_fma_f32 v13, 0x3fb8aa3b, v113, -v8
	v_dual_sub_f32 v8, v8, v12 :: v_dual_fmac_f32 v13, 0x32a5705f, v113
	v_cvt_i32_f32_e32 v12, v12
	s_delay_alu instid0(VALU_DEP_2) | instskip(NEXT) | instid1(VALU_DEP_1)
	v_add_f32_e32 v8, v8, v13
	v_exp_f32_e32 v8, v8
	s_waitcnt_depctr 0xfff
	v_ldexp_f32 v8, v8, v12
	s_delay_alu instid0(VALU_DEP_1) | instskip(SKIP_1) | instid1(VALU_DEP_2)
	v_cndmask_b32_e32 v8, 0, v8, vcc_lo
	v_cmp_nlt_f32_e32 vcc_lo, 0x42b17218, v113
	v_cndmask_b32_e32 v8, 0x7f800000, v8, vcc_lo
	s_delay_alu instid0(VALU_DEP_1) | instskip(NEXT) | instid1(VALU_DEP_1)
	v_add_f32_e32 v14, 1.0, v8
	v_cvt_f64_f32_e32 v[12:13], v14
	s_delay_alu instid0(VALU_DEP_1) | instskip(SKIP_1) | instid1(VALU_DEP_1)
	v_frexp_exp_i32_f64_e32 v12, v[12:13]
	v_frexp_mant_f32_e32 v13, v14
	v_cmp_gt_f32_e32 vcc_lo, 0x3f2aaaab, v13
	v_add_f32_e32 v13, -1.0, v14
	s_delay_alu instid0(VALU_DEP_1) | instskip(NEXT) | instid1(VALU_DEP_1)
	v_sub_f32_e32 v17, v13, v14
	v_add_f32_e32 v17, 1.0, v17
	v_subrev_co_ci_u32_e32 v12, vcc_lo, 0, v12, vcc_lo
	s_delay_alu instid0(VALU_DEP_1) | instskip(SKIP_1) | instid1(VALU_DEP_2)
	v_sub_nc_u32_e32 v15, 0, v12
	v_cvt_f32_i32_e32 v12, v12
	v_ldexp_f32 v14, v14, v15
	s_delay_alu instid0(VALU_DEP_1) | instskip(SKIP_3) | instid1(VALU_DEP_3)
	v_add_f32_e32 v101, 1.0, v14
	v_sub_f32_e32 v13, v8, v13
	v_cmp_eq_f32_e32 vcc_lo, 0x7f800000, v8
	v_cmp_gt_f32_e64 s29, 0x33800000, v8
	v_add_f32_e32 v13, v13, v17
	s_delay_alu instid0(VALU_DEP_2) | instskip(NEXT) | instid1(VALU_DEP_1)
	s_or_b32 vcc_lo, s29, vcc_lo
	v_ldexp_f32 v13, v13, v15
	v_add_f32_e32 v15, -1.0, v14
	s_delay_alu instid0(VALU_DEP_1) | instskip(NEXT) | instid1(VALU_DEP_1)
	v_dual_add_f32 v102, 1.0, v15 :: v_dual_add_f32 v17, -1.0, v101
	v_sub_f32_e32 v17, v14, v17
	s_delay_alu instid0(VALU_DEP_1) | instskip(NEXT) | instid1(VALU_DEP_1)
	v_dual_sub_f32 v14, v14, v102 :: v_dual_add_f32 v17, v13, v17
	v_add_f32_e32 v13, v13, v14
	s_delay_alu instid0(VALU_DEP_2) | instskip(NEXT) | instid1(VALU_DEP_2)
	v_add_f32_e32 v102, v101, v17
	v_add_f32_e32 v103, v15, v13
	s_delay_alu instid0(VALU_DEP_2) | instskip(SKIP_1) | instid1(VALU_DEP_2)
	v_rcp_f32_e32 v14, v102
	v_sub_f32_e32 v101, v101, v102
	v_sub_f32_e32 v15, v15, v103
	s_waitcnt_depctr 0xfff
	v_dual_add_f32 v13, v13, v15 :: v_dual_mul_f32 v104, v103, v14
	s_delay_alu instid0(VALU_DEP_1) | instskip(NEXT) | instid1(VALU_DEP_1)
	v_dual_mul_f32 v106, v102, v104 :: v_dual_add_f32 v17, v17, v101
	v_fma_f32 v101, v104, v102, -v106
	s_delay_alu instid0(VALU_DEP_1) | instskip(NEXT) | instid1(VALU_DEP_1)
	v_fmac_f32_e32 v101, v104, v17
	v_add_f32_e32 v107, v106, v101
	s_delay_alu instid0(VALU_DEP_1) | instskip(SKIP_1) | instid1(VALU_DEP_2)
	v_sub_f32_e32 v109, v103, v107
	v_sub_f32_e32 v15, v107, v106
	;; [unrolled: 1-line block ×3, first 2 shown]
	s_delay_alu instid0(VALU_DEP_2) | instskip(NEXT) | instid1(VALU_DEP_2)
	v_sub_f32_e32 v15, v15, v101
	v_sub_f32_e32 v103, v103, v107
	s_delay_alu instid0(VALU_DEP_1) | instskip(NEXT) | instid1(VALU_DEP_1)
	v_add_f32_e32 v13, v13, v103
	v_add_f32_e32 v13, v15, v13
	s_delay_alu instid0(VALU_DEP_1) | instskip(NEXT) | instid1(VALU_DEP_1)
	v_add_f32_e32 v15, v109, v13
	v_mul_f32_e32 v101, v14, v15
	s_delay_alu instid0(VALU_DEP_1) | instskip(NEXT) | instid1(VALU_DEP_1)
	v_mul_f32_e32 v103, v102, v101
	v_fma_f32 v102, v101, v102, -v103
	s_delay_alu instid0(VALU_DEP_1) | instskip(SKIP_1) | instid1(VALU_DEP_2)
	v_fmac_f32_e32 v102, v101, v17
	v_sub_f32_e32 v107, v109, v15
	v_add_f32_e32 v17, v103, v102
	s_delay_alu instid0(VALU_DEP_1) | instskip(SKIP_1) | instid1(VALU_DEP_2)
	v_dual_add_f32 v13, v13, v107 :: v_dual_sub_f32 v106, v15, v17
	v_sub_f32_e32 v103, v17, v103
	v_sub_f32_e32 v15, v15, v106
	s_delay_alu instid0(VALU_DEP_1) | instskip(NEXT) | instid1(VALU_DEP_3)
	v_sub_f32_e32 v15, v15, v17
	v_sub_f32_e32 v17, v103, v102
	s_delay_alu instid0(VALU_DEP_2) | instskip(SKIP_1) | instid1(VALU_DEP_2)
	v_add_f32_e32 v13, v13, v15
	v_add_f32_e32 v15, v104, v101
	;; [unrolled: 1-line block ×3, first 2 shown]
	s_delay_alu instid0(VALU_DEP_2) | instskip(NEXT) | instid1(VALU_DEP_2)
	v_sub_f32_e32 v17, v15, v104
	v_add_f32_e32 v13, v106, v13
	s_delay_alu instid0(VALU_DEP_2) | instskip(NEXT) | instid1(VALU_DEP_2)
	v_sub_f32_e32 v17, v101, v17
	v_mul_f32_e32 v13, v14, v13
	s_delay_alu instid0(VALU_DEP_1) | instskip(NEXT) | instid1(VALU_DEP_1)
	v_add_f32_e32 v13, v17, v13
	v_add_f32_e32 v14, v15, v13
	s_delay_alu instid0(VALU_DEP_1) | instskip(NEXT) | instid1(VALU_DEP_1)
	v_mul_f32_e32 v17, v14, v14
	v_fmaak_f32 v101, s84, v17, 0x3ecc95a3
	v_mul_f32_e32 v102, v14, v17
	s_delay_alu instid0(VALU_DEP_2) | instskip(SKIP_2) | instid1(VALU_DEP_3)
	v_fmaak_f32 v17, v17, v101, 0x3f2aaada
	v_ldexp_f32 v101, v14, 1
	v_sub_f32_e32 v14, v14, v15
	v_dual_mul_f32 v17, v102, v17 :: v_dual_mul_f32 v102, 0x3f317218, v12
	s_delay_alu instid0(VALU_DEP_2) | instskip(NEXT) | instid1(VALU_DEP_2)
	v_sub_f32_e32 v13, v13, v14
	v_add_f32_e32 v15, v101, v17
	s_delay_alu instid0(VALU_DEP_2) | instskip(NEXT) | instid1(VALU_DEP_2)
	v_ldexp_f32 v13, v13, 1
	v_sub_f32_e32 v14, v15, v101
	v_fma_f32 v101, 0x3f317218, v12, -v102
	s_delay_alu instid0(VALU_DEP_1) | instskip(NEXT) | instid1(VALU_DEP_1)
	v_dual_sub_f32 v14, v17, v14 :: v_dual_fmac_f32 v101, 0xb102e308, v12
	v_dual_add_f32 v12, v13, v14 :: v_dual_add_f32 v13, v102, v101
	s_delay_alu instid0(VALU_DEP_1) | instskip(NEXT) | instid1(VALU_DEP_2)
	v_add_f32_e32 v14, v15, v12
	v_sub_f32_e32 v102, v13, v102
	s_delay_alu instid0(VALU_DEP_2) | instskip(SKIP_1) | instid1(VALU_DEP_3)
	v_add_f32_e32 v17, v13, v14
	v_sub_f32_e32 v15, v14, v15
	v_sub_f32_e32 v101, v101, v102
	s_delay_alu instid0(VALU_DEP_2) | instskip(NEXT) | instid1(VALU_DEP_1)
	v_dual_sub_f32 v103, v17, v13 :: v_dual_sub_f32 v12, v12, v15
	v_sub_f32_e32 v104, v17, v103
	s_delay_alu instid0(VALU_DEP_2) | instskip(NEXT) | instid1(VALU_DEP_2)
	v_dual_sub_f32 v14, v14, v103 :: v_dual_add_f32 v15, v101, v12
	v_sub_f32_e32 v13, v13, v104
	s_delay_alu instid0(VALU_DEP_1) | instskip(NEXT) | instid1(VALU_DEP_3)
	v_add_f32_e32 v13, v14, v13
	v_sub_f32_e32 v14, v15, v101
	s_delay_alu instid0(VALU_DEP_2) | instskip(NEXT) | instid1(VALU_DEP_2)
	v_add_f32_e32 v13, v15, v13
	v_sub_f32_e32 v15, v15, v14
	v_sub_f32_e32 v12, v12, v14
	s_delay_alu instid0(VALU_DEP_3) | instskip(NEXT) | instid1(VALU_DEP_1)
	v_add_f32_e32 v102, v17, v13
	v_dual_sub_f32 v15, v101, v15 :: v_dual_sub_f32 v14, v102, v17
	s_delay_alu instid0(VALU_DEP_1) | instskip(NEXT) | instid1(VALU_DEP_1)
	v_dual_add_f32 v12, v12, v15 :: v_dual_sub_f32 v13, v13, v14
	v_add_f32_e32 v12, v12, v13
	s_delay_alu instid0(VALU_DEP_1) | instskip(NEXT) | instid1(VALU_DEP_1)
	v_add_f32_e32 v12, v102, v12
	v_cndmask_b32_e32 v113, v12, v8, vcc_lo
.LBB29_94:                              ;   in Loop: Header=BB29_12 Depth=1
	s_or_b32 exec_lo, exec_lo, s30
	v_lshlrev_b32_e32 v8, 16, v9
	s_delay_alu instid0(VALU_DEP_1) | instskip(NEXT) | instid1(VALU_DEP_1)
	v_add_f32_e32 v116, s69, v8
	v_cmp_ge_f32_e32 vcc_lo, 0x41a00000, v116
	s_and_b32 s29, s80, vcc_lo
	s_delay_alu instid0(SALU_CYCLE_1)
	s_and_saveexec_b32 s30, s29
	s_cbranch_execz .LBB29_96
; %bb.95:                               ;   in Loop: Header=BB29_12 Depth=1
	v_mul_f32_e32 v8, 0x3fb8aa3b, v116
	v_cmp_ngt_f32_e32 vcc_lo, 0xc2ce8ed0, v116
	s_delay_alu instid0(VALU_DEP_2) | instskip(SKIP_1) | instid1(VALU_DEP_2)
	v_rndne_f32_e32 v12, v8
	v_fma_f32 v13, 0x3fb8aa3b, v116, -v8
	v_sub_f32_e32 v8, v8, v12
	s_delay_alu instid0(VALU_DEP_2) | instskip(SKIP_1) | instid1(VALU_DEP_2)
	v_fmac_f32_e32 v13, 0x32a5705f, v116
	v_cvt_i32_f32_e32 v12, v12
	v_add_f32_e32 v8, v8, v13
	s_delay_alu instid0(VALU_DEP_1) | instskip(SKIP_2) | instid1(VALU_DEP_1)
	v_exp_f32_e32 v8, v8
	s_waitcnt_depctr 0xfff
	v_ldexp_f32 v8, v8, v12
	v_cndmask_b32_e32 v8, 0, v8, vcc_lo
	v_cmp_nlt_f32_e32 vcc_lo, 0x42b17218, v116
	s_delay_alu instid0(VALU_DEP_2) | instskip(NEXT) | instid1(VALU_DEP_1)
	v_cndmask_b32_e32 v8, 0x7f800000, v8, vcc_lo
	v_add_f32_e32 v14, 1.0, v8
	s_delay_alu instid0(VALU_DEP_1) | instskip(NEXT) | instid1(VALU_DEP_1)
	v_cvt_f64_f32_e32 v[12:13], v14
	v_frexp_exp_i32_f64_e32 v12, v[12:13]
	v_frexp_mant_f32_e32 v13, v14
	s_delay_alu instid0(VALU_DEP_1) | instskip(SKIP_1) | instid1(VALU_DEP_1)
	v_cmp_gt_f32_e32 vcc_lo, 0x3f2aaaab, v13
	v_add_f32_e32 v13, -1.0, v14
	v_sub_f32_e32 v17, v13, v14
	v_sub_f32_e32 v13, v8, v13
	s_delay_alu instid0(VALU_DEP_2) | instskip(NEXT) | instid1(VALU_DEP_1)
	v_add_f32_e32 v17, 1.0, v17
	v_add_f32_e32 v13, v13, v17
	v_cmp_gt_f32_e64 s29, 0x33800000, v8
	v_subrev_co_ci_u32_e32 v12, vcc_lo, 0, v12, vcc_lo
	v_cmp_eq_f32_e32 vcc_lo, 0x7f800000, v8
	s_delay_alu instid0(VALU_DEP_2) | instskip(SKIP_2) | instid1(VALU_DEP_2)
	v_sub_nc_u32_e32 v15, 0, v12
	v_cvt_f32_i32_e32 v12, v12
	s_or_b32 vcc_lo, s29, vcc_lo
	v_ldexp_f32 v14, v14, v15
	v_ldexp_f32 v13, v13, v15
	s_delay_alu instid0(VALU_DEP_2) | instskip(SKIP_1) | instid1(VALU_DEP_1)
	v_add_f32_e32 v101, 1.0, v14
	v_add_f32_e32 v15, -1.0, v14
	v_dual_add_f32 v102, 1.0, v15 :: v_dual_add_f32 v17, -1.0, v101
	s_delay_alu instid0(VALU_DEP_1) | instskip(NEXT) | instid1(VALU_DEP_1)
	v_sub_f32_e32 v17, v14, v17
	v_dual_sub_f32 v14, v14, v102 :: v_dual_add_f32 v17, v13, v17
	s_delay_alu instid0(VALU_DEP_1) | instskip(NEXT) | instid1(VALU_DEP_2)
	v_add_f32_e32 v13, v13, v14
	v_add_f32_e32 v102, v101, v17
	s_delay_alu instid0(VALU_DEP_2) | instskip(NEXT) | instid1(VALU_DEP_2)
	v_add_f32_e32 v103, v15, v13
	v_rcp_f32_e32 v14, v102
	v_sub_f32_e32 v101, v101, v102
	s_delay_alu instid0(VALU_DEP_2) | instskip(SKIP_2) | instid1(VALU_DEP_1)
	v_sub_f32_e32 v15, v15, v103
	s_waitcnt_depctr 0xfff
	v_dual_add_f32 v13, v13, v15 :: v_dual_mul_f32 v104, v103, v14
	v_dual_mul_f32 v106, v102, v104 :: v_dual_add_f32 v17, v17, v101
	s_delay_alu instid0(VALU_DEP_1) | instskip(NEXT) | instid1(VALU_DEP_1)
	v_fma_f32 v101, v104, v102, -v106
	v_fmac_f32_e32 v101, v104, v17
	s_delay_alu instid0(VALU_DEP_1) | instskip(NEXT) | instid1(VALU_DEP_1)
	v_add_f32_e32 v107, v106, v101
	v_sub_f32_e32 v109, v103, v107
	v_sub_f32_e32 v15, v107, v106
	s_delay_alu instid0(VALU_DEP_2) | instskip(NEXT) | instid1(VALU_DEP_2)
	v_sub_f32_e32 v103, v103, v109
	v_sub_f32_e32 v15, v15, v101
	s_delay_alu instid0(VALU_DEP_2) | instskip(NEXT) | instid1(VALU_DEP_1)
	v_sub_f32_e32 v103, v103, v107
	v_add_f32_e32 v13, v13, v103
	s_delay_alu instid0(VALU_DEP_1) | instskip(NEXT) | instid1(VALU_DEP_1)
	v_add_f32_e32 v13, v15, v13
	v_add_f32_e32 v15, v109, v13
	s_delay_alu instid0(VALU_DEP_1) | instskip(NEXT) | instid1(VALU_DEP_1)
	v_mul_f32_e32 v101, v14, v15
	v_mul_f32_e32 v103, v102, v101
	s_delay_alu instid0(VALU_DEP_1) | instskip(NEXT) | instid1(VALU_DEP_1)
	v_fma_f32 v102, v101, v102, -v103
	v_fmac_f32_e32 v102, v101, v17
	v_sub_f32_e32 v107, v109, v15
	s_delay_alu instid0(VALU_DEP_2) | instskip(NEXT) | instid1(VALU_DEP_1)
	v_add_f32_e32 v17, v103, v102
	v_dual_add_f32 v13, v13, v107 :: v_dual_sub_f32 v106, v15, v17
	v_sub_f32_e32 v103, v17, v103
	s_delay_alu instid0(VALU_DEP_2) | instskip(NEXT) | instid1(VALU_DEP_1)
	v_sub_f32_e32 v15, v15, v106
	v_sub_f32_e32 v15, v15, v17
	s_delay_alu instid0(VALU_DEP_3) | instskip(NEXT) | instid1(VALU_DEP_2)
	v_sub_f32_e32 v17, v103, v102
	v_add_f32_e32 v13, v13, v15
	v_add_f32_e32 v15, v104, v101
	s_delay_alu instid0(VALU_DEP_2) | instskip(NEXT) | instid1(VALU_DEP_2)
	v_add_f32_e32 v13, v17, v13
	v_sub_f32_e32 v17, v15, v104
	s_delay_alu instid0(VALU_DEP_2) | instskip(NEXT) | instid1(VALU_DEP_2)
	v_add_f32_e32 v13, v106, v13
	v_sub_f32_e32 v17, v101, v17
	s_delay_alu instid0(VALU_DEP_2) | instskip(NEXT) | instid1(VALU_DEP_1)
	v_mul_f32_e32 v13, v14, v13
	v_add_f32_e32 v13, v17, v13
	s_delay_alu instid0(VALU_DEP_1) | instskip(NEXT) | instid1(VALU_DEP_1)
	v_add_f32_e32 v14, v15, v13
	v_mul_f32_e32 v17, v14, v14
	s_delay_alu instid0(VALU_DEP_1) | instskip(SKIP_1) | instid1(VALU_DEP_2)
	v_fmaak_f32 v101, s84, v17, 0x3ecc95a3
	v_mul_f32_e32 v102, v14, v17
	v_fmaak_f32 v17, v17, v101, 0x3f2aaada
	v_ldexp_f32 v101, v14, 1
	v_sub_f32_e32 v14, v14, v15
	s_delay_alu instid0(VALU_DEP_3) | instskip(NEXT) | instid1(VALU_DEP_2)
	v_dual_mul_f32 v17, v102, v17 :: v_dual_mul_f32 v102, 0x3f317218, v12
	v_sub_f32_e32 v13, v13, v14
	s_delay_alu instid0(VALU_DEP_2) | instskip(NEXT) | instid1(VALU_DEP_2)
	v_add_f32_e32 v15, v101, v17
	v_ldexp_f32 v13, v13, 1
	s_delay_alu instid0(VALU_DEP_2) | instskip(SKIP_1) | instid1(VALU_DEP_1)
	v_sub_f32_e32 v14, v15, v101
	v_fma_f32 v101, 0x3f317218, v12, -v102
	v_dual_sub_f32 v14, v17, v14 :: v_dual_fmac_f32 v101, 0xb102e308, v12
	s_delay_alu instid0(VALU_DEP_1) | instskip(NEXT) | instid1(VALU_DEP_1)
	v_dual_add_f32 v12, v13, v14 :: v_dual_add_f32 v13, v102, v101
	v_add_f32_e32 v14, v15, v12
	s_delay_alu instid0(VALU_DEP_2) | instskip(NEXT) | instid1(VALU_DEP_2)
	v_sub_f32_e32 v102, v13, v102
	v_add_f32_e32 v17, v13, v14
	v_sub_f32_e32 v15, v14, v15
	s_delay_alu instid0(VALU_DEP_3) | instskip(NEXT) | instid1(VALU_DEP_2)
	v_sub_f32_e32 v101, v101, v102
	v_dual_sub_f32 v103, v17, v13 :: v_dual_sub_f32 v12, v12, v15
	s_delay_alu instid0(VALU_DEP_1) | instskip(NEXT) | instid1(VALU_DEP_2)
	v_sub_f32_e32 v104, v17, v103
	v_dual_sub_f32 v14, v14, v103 :: v_dual_add_f32 v15, v101, v12
	s_delay_alu instid0(VALU_DEP_2) | instskip(NEXT) | instid1(VALU_DEP_1)
	v_sub_f32_e32 v13, v13, v104
	v_add_f32_e32 v13, v14, v13
	s_delay_alu instid0(VALU_DEP_3) | instskip(NEXT) | instid1(VALU_DEP_2)
	v_sub_f32_e32 v14, v15, v101
	v_add_f32_e32 v13, v15, v13
	s_delay_alu instid0(VALU_DEP_2) | instskip(SKIP_1) | instid1(VALU_DEP_3)
	v_sub_f32_e32 v15, v15, v14
	v_sub_f32_e32 v12, v12, v14
	v_add_f32_e32 v102, v17, v13
	s_delay_alu instid0(VALU_DEP_1) | instskip(NEXT) | instid1(VALU_DEP_1)
	v_dual_sub_f32 v15, v101, v15 :: v_dual_sub_f32 v14, v102, v17
	v_dual_add_f32 v12, v12, v15 :: v_dual_sub_f32 v13, v13, v14
	s_delay_alu instid0(VALU_DEP_1) | instskip(NEXT) | instid1(VALU_DEP_1)
	v_add_f32_e32 v12, v12, v13
	v_add_f32_e32 v12, v102, v12
	s_delay_alu instid0(VALU_DEP_1)
	v_cndmask_b32_e32 v116, v12, v8, vcc_lo
.LBB29_96:                              ;   in Loop: Header=BB29_12 Depth=1
	s_or_b32 exec_lo, exec_lo, s30
	v_and_b32_e32 v8, 0xffff0000, v9
	s_delay_alu instid0(VALU_DEP_1) | instskip(NEXT) | instid1(VALU_DEP_1)
	v_add_f32_e32 v121, s69, v8
	v_cmp_ge_f32_e32 vcc_lo, 0x41a00000, v121
	s_and_b32 s29, s80, vcc_lo
	s_delay_alu instid0(SALU_CYCLE_1)
	s_and_saveexec_b32 s30, s29
	s_cbranch_execz .LBB29_98
; %bb.97:                               ;   in Loop: Header=BB29_12 Depth=1
	v_mul_f32_e32 v8, 0x3fb8aa3b, v121
	v_cmp_ngt_f32_e32 vcc_lo, 0xc2ce8ed0, v121
	s_delay_alu instid0(VALU_DEP_2) | instskip(SKIP_1) | instid1(VALU_DEP_2)
	v_rndne_f32_e32 v9, v8
	v_fma_f32 v12, 0x3fb8aa3b, v121, -v8
	v_sub_f32_e32 v8, v8, v9
	s_delay_alu instid0(VALU_DEP_2) | instskip(SKIP_1) | instid1(VALU_DEP_2)
	v_fmac_f32_e32 v12, 0x32a5705f, v121
	v_cvt_i32_f32_e32 v9, v9
	v_add_f32_e32 v8, v8, v12
	s_delay_alu instid0(VALU_DEP_1) | instskip(SKIP_2) | instid1(VALU_DEP_1)
	v_exp_f32_e32 v8, v8
	s_waitcnt_depctr 0xfff
	v_ldexp_f32 v8, v8, v9
	v_cndmask_b32_e32 v8, 0, v8, vcc_lo
	v_cmp_nlt_f32_e32 vcc_lo, 0x42b17218, v121
	s_delay_alu instid0(VALU_DEP_2) | instskip(NEXT) | instid1(VALU_DEP_1)
	v_cndmask_b32_e32 v12, 0x7f800000, v8, vcc_lo
	v_add_f32_e32 v13, 1.0, v12
	s_delay_alu instid0(VALU_DEP_1) | instskip(NEXT) | instid1(VALU_DEP_1)
	v_cvt_f64_f32_e32 v[8:9], v13
	v_frexp_exp_i32_f64_e32 v8, v[8:9]
	v_frexp_mant_f32_e32 v9, v13
	s_delay_alu instid0(VALU_DEP_1) | instskip(SKIP_1) | instid1(VALU_DEP_1)
	v_cmp_gt_f32_e32 vcc_lo, 0x3f2aaaab, v9
	v_add_f32_e32 v9, -1.0, v13
	v_sub_f32_e32 v15, v9, v13
	s_delay_alu instid0(VALU_DEP_1) | instskip(SKIP_1) | instid1(VALU_DEP_1)
	v_add_f32_e32 v15, 1.0, v15
	v_subrev_co_ci_u32_e32 v8, vcc_lo, 0, v8, vcc_lo
	v_sub_nc_u32_e32 v14, 0, v8
	v_cvt_f32_i32_e32 v8, v8
	s_delay_alu instid0(VALU_DEP_2) | instskip(NEXT) | instid1(VALU_DEP_1)
	v_ldexp_f32 v13, v13, v14
	v_add_f32_e32 v17, 1.0, v13
	v_sub_f32_e32 v9, v12, v9
	v_cmp_eq_f32_e32 vcc_lo, 0x7f800000, v12
	v_cmp_gt_f32_e64 s29, 0x33800000, v12
	s_delay_alu instid0(VALU_DEP_3) | instskip(NEXT) | instid1(VALU_DEP_2)
	v_add_f32_e32 v9, v9, v15
	s_or_b32 vcc_lo, s29, vcc_lo
	s_delay_alu instid0(VALU_DEP_1) | instskip(SKIP_2) | instid1(VALU_DEP_1)
	v_ldexp_f32 v9, v9, v14
	v_add_f32_e32 v14, -1.0, v13
	v_add_f32_e32 v15, -1.0, v17
	v_sub_f32_e32 v15, v13, v15
	s_delay_alu instid0(VALU_DEP_3) | instskip(NEXT) | instid1(VALU_DEP_2)
	v_add_f32_e32 v101, 1.0, v14
	v_add_f32_e32 v15, v9, v15
	s_delay_alu instid0(VALU_DEP_2) | instskip(NEXT) | instid1(VALU_DEP_2)
	v_sub_f32_e32 v13, v13, v101
	v_add_f32_e32 v101, v17, v15
	s_delay_alu instid0(VALU_DEP_2) | instskip(NEXT) | instid1(VALU_DEP_2)
	v_add_f32_e32 v9, v9, v13
	v_rcp_f32_e32 v13, v101
	s_delay_alu instid0(VALU_DEP_1) | instskip(NEXT) | instid1(VALU_DEP_1)
	v_add_f32_e32 v102, v14, v9
	v_dual_sub_f32 v17, v17, v101 :: v_dual_sub_f32 v14, v14, v102
	s_delay_alu instid0(VALU_DEP_1) | instskip(SKIP_2) | instid1(VALU_DEP_1)
	v_add_f32_e32 v15, v15, v17
	s_waitcnt_depctr 0xfff
	v_mul_f32_e32 v103, v102, v13
	v_mul_f32_e32 v104, v101, v103
	s_delay_alu instid0(VALU_DEP_1) | instskip(NEXT) | instid1(VALU_DEP_1)
	v_fma_f32 v17, v103, v101, -v104
	v_fmac_f32_e32 v17, v103, v15
	s_delay_alu instid0(VALU_DEP_1) | instskip(NEXT) | instid1(VALU_DEP_1)
	v_add_f32_e32 v106, v104, v17
	v_sub_f32_e32 v107, v102, v106
	s_delay_alu instid0(VALU_DEP_1) | instskip(NEXT) | instid1(VALU_DEP_1)
	v_sub_f32_e32 v102, v102, v107
	v_sub_f32_e32 v102, v102, v106
	v_dual_add_f32 v9, v9, v14 :: v_dual_sub_f32 v14, v106, v104
	s_delay_alu instid0(VALU_DEP_1) | instskip(NEXT) | instid1(VALU_DEP_1)
	v_dual_sub_f32 v14, v14, v17 :: v_dual_add_f32 v9, v9, v102
	v_add_f32_e32 v9, v14, v9
	s_delay_alu instid0(VALU_DEP_1) | instskip(NEXT) | instid1(VALU_DEP_1)
	v_add_f32_e32 v14, v107, v9
	v_mul_f32_e32 v17, v13, v14
	s_delay_alu instid0(VALU_DEP_1) | instskip(NEXT) | instid1(VALU_DEP_1)
	v_mul_f32_e32 v102, v101, v17
	v_fma_f32 v101, v17, v101, -v102
	s_delay_alu instid0(VALU_DEP_1) | instskip(NEXT) | instid1(VALU_DEP_1)
	v_dual_fmac_f32 v101, v17, v15 :: v_dual_sub_f32 v106, v107, v14
	v_add_f32_e32 v15, v102, v101
	s_delay_alu instid0(VALU_DEP_1) | instskip(SKIP_1) | instid1(VALU_DEP_2)
	v_sub_f32_e32 v104, v14, v15
	v_sub_f32_e32 v102, v15, v102
	v_dual_add_f32 v9, v9, v106 :: v_dual_sub_f32 v14, v14, v104
	s_delay_alu instid0(VALU_DEP_1) | instskip(NEXT) | instid1(VALU_DEP_3)
	v_sub_f32_e32 v14, v14, v15
	v_sub_f32_e32 v15, v102, v101
	s_delay_alu instid0(VALU_DEP_2) | instskip(NEXT) | instid1(VALU_DEP_1)
	v_dual_add_f32 v9, v9, v14 :: v_dual_add_f32 v14, v103, v17
	v_add_f32_e32 v9, v15, v9
	s_delay_alu instid0(VALU_DEP_2) | instskip(NEXT) | instid1(VALU_DEP_2)
	v_sub_f32_e32 v15, v14, v103
	v_add_f32_e32 v9, v104, v9
	s_delay_alu instid0(VALU_DEP_2) | instskip(NEXT) | instid1(VALU_DEP_2)
	v_sub_f32_e32 v15, v17, v15
	v_mul_f32_e32 v9, v13, v9
	s_delay_alu instid0(VALU_DEP_1) | instskip(NEXT) | instid1(VALU_DEP_1)
	v_add_f32_e32 v9, v15, v9
	v_add_f32_e32 v13, v14, v9
	s_delay_alu instid0(VALU_DEP_1) | instskip(NEXT) | instid1(VALU_DEP_1)
	v_mul_f32_e32 v15, v13, v13
	v_fmaak_f32 v17, s84, v15, 0x3ecc95a3
	v_mul_f32_e32 v101, v13, v15
	s_delay_alu instid0(VALU_DEP_2) | instskip(SKIP_2) | instid1(VALU_DEP_3)
	v_fmaak_f32 v15, v15, v17, 0x3f2aaada
	v_ldexp_f32 v17, v13, 1
	v_sub_f32_e32 v13, v13, v14
	v_mul_f32_e32 v15, v101, v15
	v_mul_f32_e32 v101, 0x3f317218, v8
	s_delay_alu instid0(VALU_DEP_3) | instskip(NEXT) | instid1(VALU_DEP_3)
	v_sub_f32_e32 v9, v9, v13
	v_add_f32_e32 v14, v17, v15
	s_delay_alu instid0(VALU_DEP_2) | instskip(NEXT) | instid1(VALU_DEP_2)
	v_ldexp_f32 v9, v9, 1
	v_sub_f32_e32 v13, v14, v17
	v_fma_f32 v17, 0x3f317218, v8, -v101
	s_delay_alu instid0(VALU_DEP_2) | instskip(NEXT) | instid1(VALU_DEP_1)
	v_sub_f32_e32 v13, v15, v13
	v_dual_fmac_f32 v17, 0xb102e308, v8 :: v_dual_add_f32 v8, v9, v13
	s_delay_alu instid0(VALU_DEP_1) | instskip(NEXT) | instid1(VALU_DEP_2)
	v_add_f32_e32 v9, v101, v17
	v_add_f32_e32 v13, v14, v8
	s_delay_alu instid0(VALU_DEP_2) | instskip(NEXT) | instid1(VALU_DEP_2)
	v_sub_f32_e32 v101, v9, v101
	v_add_f32_e32 v15, v9, v13
	v_sub_f32_e32 v14, v13, v14
	s_delay_alu instid0(VALU_DEP_3) | instskip(NEXT) | instid1(VALU_DEP_3)
	v_sub_f32_e32 v17, v17, v101
	v_sub_f32_e32 v102, v15, v9
	s_delay_alu instid0(VALU_DEP_3) | instskip(NEXT) | instid1(VALU_DEP_2)
	v_sub_f32_e32 v8, v8, v14
	v_sub_f32_e32 v103, v15, v102
	;; [unrolled: 1-line block ×3, first 2 shown]
	s_delay_alu instid0(VALU_DEP_3) | instskip(NEXT) | instid1(VALU_DEP_3)
	v_add_f32_e32 v14, v17, v8
	v_sub_f32_e32 v9, v9, v103
	s_delay_alu instid0(VALU_DEP_1) | instskip(NEXT) | instid1(VALU_DEP_3)
	v_add_f32_e32 v9, v13, v9
	v_sub_f32_e32 v13, v14, v17
	s_delay_alu instid0(VALU_DEP_2) | instskip(NEXT) | instid1(VALU_DEP_2)
	v_add_f32_e32 v9, v14, v9
	v_sub_f32_e32 v14, v14, v13
	v_sub_f32_e32 v8, v8, v13
	s_delay_alu instid0(VALU_DEP_2) | instskip(NEXT) | instid1(VALU_DEP_1)
	v_dual_add_f32 v101, v15, v9 :: v_dual_sub_f32 v14, v17, v14
	v_dual_sub_f32 v13, v101, v15 :: v_dual_add_f32 v8, v8, v14
	s_delay_alu instid0(VALU_DEP_1) | instskip(NEXT) | instid1(VALU_DEP_1)
	v_sub_f32_e32 v9, v9, v13
	v_add_f32_e32 v8, v8, v9
	s_delay_alu instid0(VALU_DEP_1) | instskip(NEXT) | instid1(VALU_DEP_1)
	v_add_f32_e32 v8, v101, v8
	v_cndmask_b32_e32 v121, v8, v12, vcc_lo
.LBB29_98:                              ;   in Loop: Header=BB29_12 Depth=1
	s_or_b32 exec_lo, exec_lo, s30
	v_lshlrev_b32_e32 v8, 16, v10
	s_delay_alu instid0(VALU_DEP_1) | instskip(NEXT) | instid1(VALU_DEP_1)
	v_add_f32_e32 v122, s69, v8
	v_cmp_ge_f32_e32 vcc_lo, 0x41a00000, v122
	s_and_b32 s29, s80, vcc_lo
	s_delay_alu instid0(SALU_CYCLE_1)
	s_and_saveexec_b32 s30, s29
	s_cbranch_execz .LBB29_100
; %bb.99:                               ;   in Loop: Header=BB29_12 Depth=1
	v_mul_f32_e32 v8, 0x3fb8aa3b, v122
	v_cmp_ngt_f32_e32 vcc_lo, 0xc2ce8ed0, v122
	s_delay_alu instid0(VALU_DEP_2) | instskip(SKIP_1) | instid1(VALU_DEP_2)
	v_rndne_f32_e32 v9, v8
	v_fma_f32 v12, 0x3fb8aa3b, v122, -v8
	v_sub_f32_e32 v8, v8, v9
	s_delay_alu instid0(VALU_DEP_2) | instskip(SKIP_1) | instid1(VALU_DEP_2)
	v_fmac_f32_e32 v12, 0x32a5705f, v122
	v_cvt_i32_f32_e32 v9, v9
	v_add_f32_e32 v8, v8, v12
	s_delay_alu instid0(VALU_DEP_1) | instskip(SKIP_2) | instid1(VALU_DEP_1)
	v_exp_f32_e32 v8, v8
	s_waitcnt_depctr 0xfff
	v_ldexp_f32 v8, v8, v9
	v_cndmask_b32_e32 v8, 0, v8, vcc_lo
	v_cmp_nlt_f32_e32 vcc_lo, 0x42b17218, v122
	s_delay_alu instid0(VALU_DEP_2) | instskip(NEXT) | instid1(VALU_DEP_1)
	v_cndmask_b32_e32 v12, 0x7f800000, v8, vcc_lo
	v_add_f32_e32 v13, 1.0, v12
	s_delay_alu instid0(VALU_DEP_1) | instskip(NEXT) | instid1(VALU_DEP_1)
	v_cvt_f64_f32_e32 v[8:9], v13
	v_frexp_exp_i32_f64_e32 v8, v[8:9]
	v_frexp_mant_f32_e32 v9, v13
	s_delay_alu instid0(VALU_DEP_1) | instskip(SKIP_1) | instid1(VALU_DEP_1)
	v_cmp_gt_f32_e32 vcc_lo, 0x3f2aaaab, v9
	v_add_f32_e32 v9, -1.0, v13
	v_sub_f32_e32 v15, v9, v13
	s_delay_alu instid0(VALU_DEP_1) | instskip(SKIP_1) | instid1(VALU_DEP_1)
	v_add_f32_e32 v15, 1.0, v15
	v_subrev_co_ci_u32_e32 v8, vcc_lo, 0, v8, vcc_lo
	v_sub_nc_u32_e32 v14, 0, v8
	v_cvt_f32_i32_e32 v8, v8
	s_delay_alu instid0(VALU_DEP_2) | instskip(NEXT) | instid1(VALU_DEP_1)
	v_ldexp_f32 v13, v13, v14
	v_add_f32_e32 v17, 1.0, v13
	v_sub_f32_e32 v9, v12, v9
	v_cmp_eq_f32_e32 vcc_lo, 0x7f800000, v12
	v_cmp_gt_f32_e64 s29, 0x33800000, v12
	s_delay_alu instid0(VALU_DEP_3) | instskip(SKIP_1) | instid1(VALU_DEP_3)
	v_add_f32_e32 v9, v9, v15
	v_add_f32_e32 v15, -1.0, v17
	s_or_b32 vcc_lo, s29, vcc_lo
	s_delay_alu instid0(VALU_DEP_2) | instskip(NEXT) | instid1(VALU_DEP_2)
	v_ldexp_f32 v9, v9, v14
	v_dual_add_f32 v14, -1.0, v13 :: v_dual_sub_f32 v15, v13, v15
	s_delay_alu instid0(VALU_DEP_1) | instskip(NEXT) | instid1(VALU_DEP_2)
	v_add_f32_e32 v101, 1.0, v14
	v_add_f32_e32 v15, v9, v15
	s_delay_alu instid0(VALU_DEP_2) | instskip(NEXT) | instid1(VALU_DEP_1)
	v_sub_f32_e32 v13, v13, v101
	v_add_f32_e32 v9, v9, v13
	s_delay_alu instid0(VALU_DEP_1) | instskip(NEXT) | instid1(VALU_DEP_1)
	v_add_f32_e32 v102, v14, v9
	v_dual_sub_f32 v14, v14, v102 :: v_dual_add_f32 v101, v17, v15
	s_delay_alu instid0(VALU_DEP_1) | instskip(SKIP_1) | instid1(VALU_DEP_1)
	v_rcp_f32_e32 v13, v101
	v_sub_f32_e32 v17, v17, v101
	v_add_f32_e32 v15, v15, v17
	s_waitcnt_depctr 0xfff
	v_mul_f32_e32 v103, v102, v13
	s_delay_alu instid0(VALU_DEP_1) | instskip(NEXT) | instid1(VALU_DEP_1)
	v_mul_f32_e32 v104, v101, v103
	v_fma_f32 v17, v103, v101, -v104
	s_delay_alu instid0(VALU_DEP_1) | instskip(NEXT) | instid1(VALU_DEP_1)
	v_fmac_f32_e32 v17, v103, v15
	v_add_f32_e32 v106, v104, v17
	s_delay_alu instid0(VALU_DEP_1) | instskip(NEXT) | instid1(VALU_DEP_1)
	v_sub_f32_e32 v107, v102, v106
	v_sub_f32_e32 v102, v102, v107
	s_delay_alu instid0(VALU_DEP_1) | instskip(SKIP_1) | instid1(VALU_DEP_1)
	v_sub_f32_e32 v102, v102, v106
	v_dual_add_f32 v9, v9, v14 :: v_dual_sub_f32 v14, v106, v104
	v_dual_sub_f32 v14, v14, v17 :: v_dual_add_f32 v9, v9, v102
	s_delay_alu instid0(VALU_DEP_1) | instskip(NEXT) | instid1(VALU_DEP_1)
	v_add_f32_e32 v9, v14, v9
	v_add_f32_e32 v14, v107, v9
	s_delay_alu instid0(VALU_DEP_1) | instskip(NEXT) | instid1(VALU_DEP_1)
	v_mul_f32_e32 v17, v13, v14
	v_mul_f32_e32 v102, v101, v17
	s_delay_alu instid0(VALU_DEP_1) | instskip(NEXT) | instid1(VALU_DEP_1)
	v_fma_f32 v101, v17, v101, -v102
	v_dual_fmac_f32 v101, v17, v15 :: v_dual_sub_f32 v106, v107, v14
	s_delay_alu instid0(VALU_DEP_1) | instskip(NEXT) | instid1(VALU_DEP_1)
	v_add_f32_e32 v15, v102, v101
	v_sub_f32_e32 v104, v14, v15
	v_sub_f32_e32 v102, v15, v102
	s_delay_alu instid0(VALU_DEP_2) | instskip(NEXT) | instid1(VALU_DEP_1)
	v_dual_add_f32 v9, v9, v106 :: v_dual_sub_f32 v14, v14, v104
	v_sub_f32_e32 v14, v14, v15
	s_delay_alu instid0(VALU_DEP_3) | instskip(NEXT) | instid1(VALU_DEP_2)
	v_sub_f32_e32 v15, v102, v101
	v_dual_add_f32 v9, v9, v14 :: v_dual_add_f32 v14, v103, v17
	s_delay_alu instid0(VALU_DEP_1) | instskip(NEXT) | instid1(VALU_DEP_2)
	v_add_f32_e32 v9, v15, v9
	v_sub_f32_e32 v15, v14, v103
	s_delay_alu instid0(VALU_DEP_2) | instskip(NEXT) | instid1(VALU_DEP_2)
	v_add_f32_e32 v9, v104, v9
	v_sub_f32_e32 v15, v17, v15
	s_delay_alu instid0(VALU_DEP_2) | instskip(NEXT) | instid1(VALU_DEP_1)
	v_mul_f32_e32 v9, v13, v9
	v_add_f32_e32 v9, v15, v9
	s_delay_alu instid0(VALU_DEP_1) | instskip(NEXT) | instid1(VALU_DEP_1)
	v_add_f32_e32 v13, v14, v9
	v_mul_f32_e32 v15, v13, v13
	s_delay_alu instid0(VALU_DEP_1) | instskip(SKIP_1) | instid1(VALU_DEP_2)
	v_fmaak_f32 v17, s84, v15, 0x3ecc95a3
	v_mul_f32_e32 v101, v13, v15
	v_fmaak_f32 v15, v15, v17, 0x3f2aaada
	v_ldexp_f32 v17, v13, 1
	v_sub_f32_e32 v13, v13, v14
	s_delay_alu instid0(VALU_DEP_3) | instskip(SKIP_1) | instid1(VALU_DEP_3)
	v_mul_f32_e32 v15, v101, v15
	v_mul_f32_e32 v101, 0x3f317218, v8
	v_sub_f32_e32 v9, v9, v13
	s_delay_alu instid0(VALU_DEP_3) | instskip(NEXT) | instid1(VALU_DEP_2)
	v_add_f32_e32 v14, v17, v15
	v_ldexp_f32 v9, v9, 1
	s_delay_alu instid0(VALU_DEP_2) | instskip(SKIP_1) | instid1(VALU_DEP_2)
	v_sub_f32_e32 v13, v14, v17
	v_fma_f32 v17, 0x3f317218, v8, -v101
	v_sub_f32_e32 v13, v15, v13
	s_delay_alu instid0(VALU_DEP_1) | instskip(NEXT) | instid1(VALU_DEP_1)
	v_dual_fmac_f32 v17, 0xb102e308, v8 :: v_dual_add_f32 v8, v9, v13
	v_add_f32_e32 v9, v101, v17
	s_delay_alu instid0(VALU_DEP_2) | instskip(NEXT) | instid1(VALU_DEP_2)
	v_add_f32_e32 v13, v14, v8
	v_sub_f32_e32 v101, v9, v101
	s_delay_alu instid0(VALU_DEP_2) | instskip(SKIP_1) | instid1(VALU_DEP_3)
	v_add_f32_e32 v15, v9, v13
	v_sub_f32_e32 v14, v13, v14
	v_sub_f32_e32 v17, v17, v101
	s_delay_alu instid0(VALU_DEP_3) | instskip(NEXT) | instid1(VALU_DEP_3)
	v_sub_f32_e32 v102, v15, v9
	v_sub_f32_e32 v8, v8, v14
	s_delay_alu instid0(VALU_DEP_2) | instskip(SKIP_1) | instid1(VALU_DEP_3)
	v_sub_f32_e32 v103, v15, v102
	v_sub_f32_e32 v13, v13, v102
	v_add_f32_e32 v14, v17, v8
	s_delay_alu instid0(VALU_DEP_3) | instskip(NEXT) | instid1(VALU_DEP_1)
	v_sub_f32_e32 v9, v9, v103
	v_add_f32_e32 v9, v13, v9
	s_delay_alu instid0(VALU_DEP_3) | instskip(NEXT) | instid1(VALU_DEP_2)
	v_sub_f32_e32 v13, v14, v17
	v_add_f32_e32 v9, v14, v9
	s_delay_alu instid0(VALU_DEP_2) | instskip(SKIP_1) | instid1(VALU_DEP_2)
	v_sub_f32_e32 v14, v14, v13
	v_sub_f32_e32 v8, v8, v13
	v_dual_add_f32 v101, v15, v9 :: v_dual_sub_f32 v14, v17, v14
	s_delay_alu instid0(VALU_DEP_1) | instskip(NEXT) | instid1(VALU_DEP_1)
	v_dual_sub_f32 v13, v101, v15 :: v_dual_add_f32 v8, v8, v14
	v_sub_f32_e32 v9, v9, v13
	s_delay_alu instid0(VALU_DEP_1) | instskip(NEXT) | instid1(VALU_DEP_1)
	v_add_f32_e32 v8, v8, v9
	v_add_f32_e32 v8, v101, v8
	s_delay_alu instid0(VALU_DEP_1)
	v_cndmask_b32_e32 v122, v8, v12, vcc_lo
.LBB29_100:                             ;   in Loop: Header=BB29_12 Depth=1
	s_or_b32 exec_lo, exec_lo, s30
	v_and_b32_e32 v8, 0xffff0000, v10
	s_delay_alu instid0(VALU_DEP_1) | instskip(NEXT) | instid1(VALU_DEP_1)
	v_add_f32_e32 v123, s69, v8
	v_cmp_ge_f32_e32 vcc_lo, 0x41a00000, v123
	s_and_b32 s29, s80, vcc_lo
	s_delay_alu instid0(SALU_CYCLE_1)
	s_and_saveexec_b32 s30, s29
	s_cbranch_execz .LBB29_102
; %bb.101:                              ;   in Loop: Header=BB29_12 Depth=1
	v_mul_f32_e32 v8, 0x3fb8aa3b, v123
	v_cmp_ngt_f32_e32 vcc_lo, 0xc2ce8ed0, v123
	s_delay_alu instid0(VALU_DEP_2) | instskip(SKIP_1) | instid1(VALU_DEP_2)
	v_rndne_f32_e32 v9, v8
	v_fma_f32 v10, 0x3fb8aa3b, v123, -v8
	v_sub_f32_e32 v8, v8, v9
	s_delay_alu instid0(VALU_DEP_2) | instskip(SKIP_1) | instid1(VALU_DEP_2)
	v_fmac_f32_e32 v10, 0x32a5705f, v123
	v_cvt_i32_f32_e32 v9, v9
	v_add_f32_e32 v8, v8, v10
	s_delay_alu instid0(VALU_DEP_1) | instskip(SKIP_2) | instid1(VALU_DEP_1)
	v_exp_f32_e32 v8, v8
	s_waitcnt_depctr 0xfff
	v_ldexp_f32 v8, v8, v9
	v_cndmask_b32_e32 v8, 0, v8, vcc_lo
	v_cmp_nlt_f32_e32 vcc_lo, 0x42b17218, v123
	s_delay_alu instid0(VALU_DEP_2) | instskip(NEXT) | instid1(VALU_DEP_1)
	v_cndmask_b32_e32 v10, 0x7f800000, v8, vcc_lo
	v_add_f32_e32 v12, 1.0, v10
	s_delay_alu instid0(VALU_DEP_1) | instskip(NEXT) | instid1(VALU_DEP_1)
	v_cvt_f64_f32_e32 v[8:9], v12
	v_frexp_exp_i32_f64_e32 v8, v[8:9]
	v_frexp_mant_f32_e32 v9, v12
	s_delay_alu instid0(VALU_DEP_1) | instskip(SKIP_1) | instid1(VALU_DEP_1)
	v_cmp_gt_f32_e32 vcc_lo, 0x3f2aaaab, v9
	v_add_f32_e32 v9, -1.0, v12
	v_dual_sub_f32 v14, v9, v12 :: v_dual_sub_f32 v9, v10, v9
	v_subrev_co_ci_u32_e32 v8, vcc_lo, 0, v8, vcc_lo
	s_delay_alu instid0(VALU_DEP_1) | instskip(SKIP_1) | instid1(VALU_DEP_2)
	v_sub_nc_u32_e32 v13, 0, v8
	v_cvt_f32_i32_e32 v8, v8
	v_ldexp_f32 v12, v12, v13
	s_delay_alu instid0(VALU_DEP_1) | instskip(NEXT) | instid1(VALU_DEP_1)
	v_dual_add_f32 v14, 1.0, v14 :: v_dual_add_f32 v15, 1.0, v12
	v_add_f32_e32 v9, v9, v14
	s_delay_alu instid0(VALU_DEP_1) | instskip(NEXT) | instid1(VALU_DEP_3)
	v_ldexp_f32 v9, v9, v13
	v_dual_add_f32 v13, -1.0, v12 :: v_dual_add_f32 v14, -1.0, v15
	s_delay_alu instid0(VALU_DEP_1) | instskip(NEXT) | instid1(VALU_DEP_1)
	v_dual_add_f32 v17, 1.0, v13 :: v_dual_sub_f32 v14, v12, v14
	v_sub_f32_e32 v12, v12, v17
	s_delay_alu instid0(VALU_DEP_2) | instskip(NEXT) | instid1(VALU_DEP_2)
	v_add_f32_e32 v14, v9, v14
	v_add_f32_e32 v9, v9, v12
	s_delay_alu instid0(VALU_DEP_2) | instskip(SKIP_2) | instid1(VALU_DEP_4)
	v_add_f32_e32 v17, v15, v14
	v_cmp_eq_f32_e32 vcc_lo, 0x7f800000, v10
	v_cmp_gt_f32_e64 s29, 0x33800000, v10
	v_add_f32_e32 v101, v13, v9
	s_delay_alu instid0(VALU_DEP_4) | instskip(SKIP_1) | instid1(VALU_DEP_3)
	v_rcp_f32_e32 v12, v17
	v_sub_f32_e32 v15, v15, v17
	s_or_b32 vcc_lo, s29, vcc_lo
	s_delay_alu instid0(VALU_DEP_1) | instskip(NEXT) | instid1(VALU_DEP_1)
	v_dual_sub_f32 v13, v13, v101 :: v_dual_add_f32 v14, v14, v15
	v_add_f32_e32 v9, v9, v13
	s_waitcnt_depctr 0xfff
	v_mul_f32_e32 v102, v101, v12
	s_delay_alu instid0(VALU_DEP_1) | instskip(NEXT) | instid1(VALU_DEP_1)
	v_mul_f32_e32 v103, v17, v102
	v_fma_f32 v15, v102, v17, -v103
	s_delay_alu instid0(VALU_DEP_1) | instskip(NEXT) | instid1(VALU_DEP_1)
	v_fmac_f32_e32 v15, v102, v14
	v_add_f32_e32 v104, v103, v15
	s_delay_alu instid0(VALU_DEP_1) | instskip(NEXT) | instid1(VALU_DEP_1)
	v_dual_sub_f32 v106, v101, v104 :: v_dual_sub_f32 v13, v104, v103
	v_sub_f32_e32 v101, v101, v106
	s_delay_alu instid0(VALU_DEP_2) | instskip(NEXT) | instid1(VALU_DEP_2)
	v_sub_f32_e32 v13, v13, v15
	v_sub_f32_e32 v101, v101, v104
	s_delay_alu instid0(VALU_DEP_1) | instskip(NEXT) | instid1(VALU_DEP_1)
	v_add_f32_e32 v9, v9, v101
	v_add_f32_e32 v9, v13, v9
	s_delay_alu instid0(VALU_DEP_1) | instskip(NEXT) | instid1(VALU_DEP_1)
	v_add_f32_e32 v13, v106, v9
	v_mul_f32_e32 v15, v12, v13
	s_delay_alu instid0(VALU_DEP_1) | instskip(NEXT) | instid1(VALU_DEP_1)
	v_dual_sub_f32 v104, v106, v13 :: v_dual_mul_f32 v101, v17, v15
	v_add_f32_e32 v9, v9, v104
	s_delay_alu instid0(VALU_DEP_2) | instskip(NEXT) | instid1(VALU_DEP_1)
	v_fma_f32 v17, v15, v17, -v101
	v_fmac_f32_e32 v17, v15, v14
	s_delay_alu instid0(VALU_DEP_1) | instskip(NEXT) | instid1(VALU_DEP_1)
	v_add_f32_e32 v14, v101, v17
	v_sub_f32_e32 v103, v13, v14
	s_delay_alu instid0(VALU_DEP_1) | instskip(NEXT) | instid1(VALU_DEP_1)
	v_sub_f32_e32 v13, v13, v103
	v_sub_f32_e32 v13, v13, v14
	s_delay_alu instid0(VALU_DEP_1) | instskip(SKIP_2) | instid1(VALU_DEP_1)
	v_add_f32_e32 v9, v9, v13
	v_add_f32_e32 v13, v102, v15
	v_sub_f32_e32 v101, v14, v101
	v_sub_f32_e32 v14, v101, v17
	s_delay_alu instid0(VALU_DEP_1) | instskip(NEXT) | instid1(VALU_DEP_1)
	v_dual_add_f32 v9, v14, v9 :: v_dual_sub_f32 v14, v13, v102
	v_add_f32_e32 v9, v103, v9
	s_delay_alu instid0(VALU_DEP_1) | instskip(NEXT) | instid1(VALU_DEP_1)
	v_dual_sub_f32 v14, v15, v14 :: v_dual_mul_f32 v9, v12, v9
	v_add_f32_e32 v9, v14, v9
	s_delay_alu instid0(VALU_DEP_1) | instskip(NEXT) | instid1(VALU_DEP_1)
	v_add_f32_e32 v12, v13, v9
	v_mul_f32_e32 v14, v12, v12
	s_delay_alu instid0(VALU_DEP_1) | instskip(NEXT) | instid1(VALU_DEP_1)
	v_fmaak_f32 v15, s84, v14, 0x3ecc95a3
	v_dual_mul_f32 v17, v12, v14 :: v_dual_fmaak_f32 v14, v14, v15, 0x3f2aaada
	v_ldexp_f32 v15, v12, 1
	v_sub_f32_e32 v12, v12, v13
	s_delay_alu instid0(VALU_DEP_3) | instskip(NEXT) | instid1(VALU_DEP_2)
	v_dual_mul_f32 v14, v17, v14 :: v_dual_mul_f32 v17, 0x3f317218, v8
	v_sub_f32_e32 v9, v9, v12
	s_delay_alu instid0(VALU_DEP_2) | instskip(NEXT) | instid1(VALU_DEP_2)
	v_add_f32_e32 v13, v15, v14
	v_ldexp_f32 v9, v9, 1
	s_delay_alu instid0(VALU_DEP_2) | instskip(SKIP_1) | instid1(VALU_DEP_2)
	v_sub_f32_e32 v12, v13, v15
	v_fma_f32 v15, 0x3f317218, v8, -v17
	v_sub_f32_e32 v12, v14, v12
	s_delay_alu instid0(VALU_DEP_2) | instskip(NEXT) | instid1(VALU_DEP_2)
	v_fmac_f32_e32 v15, 0xb102e308, v8
	v_add_f32_e32 v8, v9, v12
	s_delay_alu instid0(VALU_DEP_2) | instskip(NEXT) | instid1(VALU_DEP_2)
	v_add_f32_e32 v9, v17, v15
	v_add_f32_e32 v12, v13, v8
	s_delay_alu instid0(VALU_DEP_2) | instskip(NEXT) | instid1(VALU_DEP_2)
	v_sub_f32_e32 v17, v9, v17
	v_dual_add_f32 v14, v9, v12 :: v_dual_sub_f32 v13, v12, v13
	s_delay_alu instid0(VALU_DEP_2) | instskip(NEXT) | instid1(VALU_DEP_2)
	v_sub_f32_e32 v15, v15, v17
	v_sub_f32_e32 v101, v14, v9
	s_delay_alu instid0(VALU_DEP_3) | instskip(NEXT) | instid1(VALU_DEP_2)
	v_sub_f32_e32 v8, v8, v13
	v_sub_f32_e32 v102, v14, v101
	s_delay_alu instid0(VALU_DEP_2) | instskip(NEXT) | instid1(VALU_DEP_2)
	v_dual_sub_f32 v12, v12, v101 :: v_dual_add_f32 v13, v15, v8
	v_sub_f32_e32 v9, v9, v102
	s_delay_alu instid0(VALU_DEP_1) | instskip(NEXT) | instid1(VALU_DEP_1)
	v_dual_add_f32 v9, v12, v9 :: v_dual_sub_f32 v12, v13, v15
	v_add_f32_e32 v9, v13, v9
	s_delay_alu instid0(VALU_DEP_2) | instskip(NEXT) | instid1(VALU_DEP_2)
	v_sub_f32_e32 v13, v13, v12
	v_dual_sub_f32 v8, v8, v12 :: v_dual_add_f32 v17, v14, v9
	s_delay_alu instid0(VALU_DEP_1) | instskip(NEXT) | instid1(VALU_DEP_1)
	v_dual_sub_f32 v13, v15, v13 :: v_dual_sub_f32 v12, v17, v14
	v_dual_add_f32 v8, v8, v13 :: v_dual_sub_f32 v9, v9, v12
	s_delay_alu instid0(VALU_DEP_1) | instskip(NEXT) | instid1(VALU_DEP_1)
	v_add_f32_e32 v8, v8, v9
	v_add_f32_e32 v8, v17, v8
	s_delay_alu instid0(VALU_DEP_1)
	v_cndmask_b32_e32 v123, v8, v10, vcc_lo
.LBB29_102:                             ;   in Loop: Header=BB29_12 Depth=1
	s_or_b32 exec_lo, exec_lo, s30
	v_lshlrev_b32_e32 v8, 16, v11
	s_delay_alu instid0(VALU_DEP_1) | instskip(NEXT) | instid1(VALU_DEP_1)
	v_add_f32_e32 v124, s69, v8
	v_cmp_ge_f32_e32 vcc_lo, 0x41a00000, v124
	s_and_b32 s29, s80, vcc_lo
	s_delay_alu instid0(SALU_CYCLE_1)
	s_and_saveexec_b32 s30, s29
	s_cbranch_execz .LBB29_104
; %bb.103:                              ;   in Loop: Header=BB29_12 Depth=1
	v_mul_f32_e32 v8, 0x3fb8aa3b, v124
	v_cmp_ngt_f32_e32 vcc_lo, 0xc2ce8ed0, v124
	s_delay_alu instid0(VALU_DEP_2) | instskip(SKIP_1) | instid1(VALU_DEP_2)
	v_rndne_f32_e32 v9, v8
	v_fma_f32 v10, 0x3fb8aa3b, v124, -v8
	v_sub_f32_e32 v8, v8, v9
	s_delay_alu instid0(VALU_DEP_2) | instskip(SKIP_1) | instid1(VALU_DEP_2)
	v_fmac_f32_e32 v10, 0x32a5705f, v124
	v_cvt_i32_f32_e32 v9, v9
	v_add_f32_e32 v8, v8, v10
	s_delay_alu instid0(VALU_DEP_1) | instskip(SKIP_2) | instid1(VALU_DEP_1)
	v_exp_f32_e32 v8, v8
	s_waitcnt_depctr 0xfff
	v_ldexp_f32 v8, v8, v9
	v_cndmask_b32_e32 v8, 0, v8, vcc_lo
	v_cmp_nlt_f32_e32 vcc_lo, 0x42b17218, v124
	s_delay_alu instid0(VALU_DEP_2) | instskip(NEXT) | instid1(VALU_DEP_1)
	v_cndmask_b32_e32 v10, 0x7f800000, v8, vcc_lo
	v_add_f32_e32 v12, 1.0, v10
	s_delay_alu instid0(VALU_DEP_1) | instskip(NEXT) | instid1(VALU_DEP_1)
	v_cvt_f64_f32_e32 v[8:9], v12
	v_frexp_exp_i32_f64_e32 v8, v[8:9]
	v_frexp_mant_f32_e32 v9, v12
	s_delay_alu instid0(VALU_DEP_1) | instskip(SKIP_1) | instid1(VALU_DEP_1)
	v_cmp_gt_f32_e32 vcc_lo, 0x3f2aaaab, v9
	v_add_f32_e32 v9, -1.0, v12
	v_dual_sub_f32 v14, v9, v12 :: v_dual_sub_f32 v9, v10, v9
	v_subrev_co_ci_u32_e32 v8, vcc_lo, 0, v8, vcc_lo
	s_delay_alu instid0(VALU_DEP_1) | instskip(SKIP_1) | instid1(VALU_DEP_2)
	v_sub_nc_u32_e32 v13, 0, v8
	v_cvt_f32_i32_e32 v8, v8
	v_ldexp_f32 v12, v12, v13
	s_delay_alu instid0(VALU_DEP_1) | instskip(NEXT) | instid1(VALU_DEP_1)
	v_dual_add_f32 v14, 1.0, v14 :: v_dual_add_f32 v15, 1.0, v12
	v_add_f32_e32 v9, v9, v14
	s_delay_alu instid0(VALU_DEP_1) | instskip(NEXT) | instid1(VALU_DEP_3)
	v_ldexp_f32 v9, v9, v13
	v_dual_add_f32 v13, -1.0, v12 :: v_dual_add_f32 v14, -1.0, v15
	s_delay_alu instid0(VALU_DEP_1) | instskip(NEXT) | instid1(VALU_DEP_1)
	v_dual_add_f32 v17, 1.0, v13 :: v_dual_sub_f32 v14, v12, v14
	v_sub_f32_e32 v12, v12, v17
	s_delay_alu instid0(VALU_DEP_2) | instskip(NEXT) | instid1(VALU_DEP_2)
	v_add_f32_e32 v14, v9, v14
	v_add_f32_e32 v9, v9, v12
	s_delay_alu instid0(VALU_DEP_2) | instskip(SKIP_2) | instid1(VALU_DEP_4)
	v_add_f32_e32 v17, v15, v14
	v_cmp_eq_f32_e32 vcc_lo, 0x7f800000, v10
	v_cmp_gt_f32_e64 s29, 0x33800000, v10
	v_add_f32_e32 v101, v13, v9
	s_delay_alu instid0(VALU_DEP_4) | instskip(SKIP_1) | instid1(VALU_DEP_3)
	v_rcp_f32_e32 v12, v17
	v_sub_f32_e32 v15, v15, v17
	s_or_b32 vcc_lo, s29, vcc_lo
	s_delay_alu instid0(VALU_DEP_1) | instskip(NEXT) | instid1(VALU_DEP_1)
	v_dual_sub_f32 v13, v13, v101 :: v_dual_add_f32 v14, v14, v15
	v_add_f32_e32 v9, v9, v13
	s_waitcnt_depctr 0xfff
	v_mul_f32_e32 v102, v101, v12
	s_delay_alu instid0(VALU_DEP_1) | instskip(NEXT) | instid1(VALU_DEP_1)
	v_mul_f32_e32 v103, v17, v102
	v_fma_f32 v15, v102, v17, -v103
	s_delay_alu instid0(VALU_DEP_1) | instskip(NEXT) | instid1(VALU_DEP_1)
	v_fmac_f32_e32 v15, v102, v14
	v_add_f32_e32 v104, v103, v15
	s_delay_alu instid0(VALU_DEP_1) | instskip(NEXT) | instid1(VALU_DEP_1)
	v_dual_sub_f32 v106, v101, v104 :: v_dual_sub_f32 v13, v104, v103
	v_sub_f32_e32 v101, v101, v106
	s_delay_alu instid0(VALU_DEP_2) | instskip(NEXT) | instid1(VALU_DEP_2)
	v_sub_f32_e32 v13, v13, v15
	v_sub_f32_e32 v101, v101, v104
	s_delay_alu instid0(VALU_DEP_1) | instskip(NEXT) | instid1(VALU_DEP_1)
	v_add_f32_e32 v9, v9, v101
	v_add_f32_e32 v9, v13, v9
	s_delay_alu instid0(VALU_DEP_1) | instskip(NEXT) | instid1(VALU_DEP_1)
	v_add_f32_e32 v13, v106, v9
	v_mul_f32_e32 v15, v12, v13
	s_delay_alu instid0(VALU_DEP_1) | instskip(NEXT) | instid1(VALU_DEP_1)
	v_dual_sub_f32 v104, v106, v13 :: v_dual_mul_f32 v101, v17, v15
	v_add_f32_e32 v9, v9, v104
	s_delay_alu instid0(VALU_DEP_2) | instskip(NEXT) | instid1(VALU_DEP_1)
	v_fma_f32 v17, v15, v17, -v101
	v_fmac_f32_e32 v17, v15, v14
	s_delay_alu instid0(VALU_DEP_1) | instskip(NEXT) | instid1(VALU_DEP_1)
	v_add_f32_e32 v14, v101, v17
	v_sub_f32_e32 v103, v13, v14
	s_delay_alu instid0(VALU_DEP_1) | instskip(NEXT) | instid1(VALU_DEP_1)
	v_sub_f32_e32 v13, v13, v103
	v_sub_f32_e32 v13, v13, v14
	s_delay_alu instid0(VALU_DEP_1) | instskip(SKIP_2) | instid1(VALU_DEP_1)
	v_add_f32_e32 v9, v9, v13
	v_add_f32_e32 v13, v102, v15
	v_sub_f32_e32 v101, v14, v101
	v_sub_f32_e32 v14, v101, v17
	s_delay_alu instid0(VALU_DEP_1) | instskip(NEXT) | instid1(VALU_DEP_1)
	v_dual_add_f32 v9, v14, v9 :: v_dual_sub_f32 v14, v13, v102
	v_add_f32_e32 v9, v103, v9
	s_delay_alu instid0(VALU_DEP_1) | instskip(NEXT) | instid1(VALU_DEP_1)
	v_dual_sub_f32 v14, v15, v14 :: v_dual_mul_f32 v9, v12, v9
	v_add_f32_e32 v9, v14, v9
	s_delay_alu instid0(VALU_DEP_1) | instskip(NEXT) | instid1(VALU_DEP_1)
	v_add_f32_e32 v12, v13, v9
	v_mul_f32_e32 v14, v12, v12
	s_delay_alu instid0(VALU_DEP_1) | instskip(NEXT) | instid1(VALU_DEP_1)
	v_fmaak_f32 v15, s84, v14, 0x3ecc95a3
	v_dual_mul_f32 v17, v12, v14 :: v_dual_fmaak_f32 v14, v14, v15, 0x3f2aaada
	v_ldexp_f32 v15, v12, 1
	v_sub_f32_e32 v12, v12, v13
	s_delay_alu instid0(VALU_DEP_3) | instskip(NEXT) | instid1(VALU_DEP_2)
	v_dual_mul_f32 v14, v17, v14 :: v_dual_mul_f32 v17, 0x3f317218, v8
	v_sub_f32_e32 v9, v9, v12
	s_delay_alu instid0(VALU_DEP_2) | instskip(NEXT) | instid1(VALU_DEP_2)
	v_add_f32_e32 v13, v15, v14
	v_ldexp_f32 v9, v9, 1
	s_delay_alu instid0(VALU_DEP_2) | instskip(SKIP_1) | instid1(VALU_DEP_2)
	v_sub_f32_e32 v12, v13, v15
	v_fma_f32 v15, 0x3f317218, v8, -v17
	v_sub_f32_e32 v12, v14, v12
	s_delay_alu instid0(VALU_DEP_2) | instskip(NEXT) | instid1(VALU_DEP_2)
	v_fmac_f32_e32 v15, 0xb102e308, v8
	v_add_f32_e32 v8, v9, v12
	s_delay_alu instid0(VALU_DEP_2) | instskip(NEXT) | instid1(VALU_DEP_2)
	v_add_f32_e32 v9, v17, v15
	v_add_f32_e32 v12, v13, v8
	s_delay_alu instid0(VALU_DEP_2) | instskip(NEXT) | instid1(VALU_DEP_2)
	v_sub_f32_e32 v17, v9, v17
	v_dual_add_f32 v14, v9, v12 :: v_dual_sub_f32 v13, v12, v13
	s_delay_alu instid0(VALU_DEP_2) | instskip(NEXT) | instid1(VALU_DEP_2)
	v_sub_f32_e32 v15, v15, v17
	v_sub_f32_e32 v101, v14, v9
	s_delay_alu instid0(VALU_DEP_3) | instskip(NEXT) | instid1(VALU_DEP_2)
	v_sub_f32_e32 v8, v8, v13
	v_sub_f32_e32 v102, v14, v101
	s_delay_alu instid0(VALU_DEP_2) | instskip(NEXT) | instid1(VALU_DEP_2)
	v_dual_sub_f32 v12, v12, v101 :: v_dual_add_f32 v13, v15, v8
	v_sub_f32_e32 v9, v9, v102
	s_delay_alu instid0(VALU_DEP_1) | instskip(NEXT) | instid1(VALU_DEP_1)
	v_dual_add_f32 v9, v12, v9 :: v_dual_sub_f32 v12, v13, v15
	v_add_f32_e32 v9, v13, v9
	s_delay_alu instid0(VALU_DEP_2) | instskip(NEXT) | instid1(VALU_DEP_2)
	v_sub_f32_e32 v13, v13, v12
	v_dual_sub_f32 v8, v8, v12 :: v_dual_add_f32 v17, v14, v9
	s_delay_alu instid0(VALU_DEP_1) | instskip(NEXT) | instid1(VALU_DEP_1)
	v_dual_sub_f32 v13, v15, v13 :: v_dual_sub_f32 v12, v17, v14
	v_dual_add_f32 v8, v8, v13 :: v_dual_sub_f32 v9, v9, v12
	s_delay_alu instid0(VALU_DEP_1) | instskip(NEXT) | instid1(VALU_DEP_1)
	v_add_f32_e32 v8, v8, v9
	v_add_f32_e32 v8, v17, v8
	s_delay_alu instid0(VALU_DEP_1)
	v_cndmask_b32_e32 v124, v8, v10, vcc_lo
.LBB29_104:                             ;   in Loop: Header=BB29_12 Depth=1
	s_or_b32 exec_lo, exec_lo, s30
	v_and_b32_e32 v8, 0xffff0000, v11
	s_delay_alu instid0(VALU_DEP_1) | instskip(NEXT) | instid1(VALU_DEP_1)
	v_add_f32_e32 v125, s69, v8
	v_cmp_ge_f32_e32 vcc_lo, 0x41a00000, v125
	s_and_b32 s29, s80, vcc_lo
	s_delay_alu instid0(SALU_CYCLE_1)
	s_and_saveexec_b32 s30, s29
	s_cbranch_execz .LBB29_106
; %bb.105:                              ;   in Loop: Header=BB29_12 Depth=1
	v_mul_f32_e32 v8, 0x3fb8aa3b, v125
	v_cmp_ngt_f32_e32 vcc_lo, 0xc2ce8ed0, v125
	s_delay_alu instid0(VALU_DEP_2) | instskip(SKIP_1) | instid1(VALU_DEP_2)
	v_rndne_f32_e32 v9, v8
	v_fma_f32 v10, 0x3fb8aa3b, v125, -v8
	v_sub_f32_e32 v8, v8, v9
	s_delay_alu instid0(VALU_DEP_2) | instskip(SKIP_1) | instid1(VALU_DEP_2)
	v_fmac_f32_e32 v10, 0x32a5705f, v125
	v_cvt_i32_f32_e32 v9, v9
	v_add_f32_e32 v8, v8, v10
	s_delay_alu instid0(VALU_DEP_1) | instskip(SKIP_2) | instid1(VALU_DEP_1)
	v_exp_f32_e32 v8, v8
	s_waitcnt_depctr 0xfff
	v_ldexp_f32 v8, v8, v9
	v_cndmask_b32_e32 v8, 0, v8, vcc_lo
	v_cmp_nlt_f32_e32 vcc_lo, 0x42b17218, v125
	s_delay_alu instid0(VALU_DEP_2) | instskip(NEXT) | instid1(VALU_DEP_1)
	v_cndmask_b32_e32 v10, 0x7f800000, v8, vcc_lo
	v_add_f32_e32 v11, 1.0, v10
	s_delay_alu instid0(VALU_DEP_1) | instskip(NEXT) | instid1(VALU_DEP_1)
	v_cvt_f64_f32_e32 v[8:9], v11
	v_frexp_exp_i32_f64_e32 v8, v[8:9]
	v_frexp_mant_f32_e32 v9, v11
	s_delay_alu instid0(VALU_DEP_1) | instskip(SKIP_1) | instid1(VALU_DEP_1)
	v_cmp_gt_f32_e32 vcc_lo, 0x3f2aaaab, v9
	v_add_f32_e32 v9, -1.0, v11
	v_sub_f32_e32 v13, v9, v11
	v_sub_f32_e32 v9, v10, v9
	s_delay_alu instid0(VALU_DEP_2) | instskip(NEXT) | instid1(VALU_DEP_1)
	v_add_f32_e32 v13, 1.0, v13
	v_add_f32_e32 v9, v9, v13
	v_cmp_gt_f32_e64 s29, 0x33800000, v10
	v_subrev_co_ci_u32_e32 v8, vcc_lo, 0, v8, vcc_lo
	v_cmp_eq_f32_e32 vcc_lo, 0x7f800000, v10
	s_delay_alu instid0(VALU_DEP_2) | instskip(SKIP_2) | instid1(VALU_DEP_2)
	v_sub_nc_u32_e32 v12, 0, v8
	v_cvt_f32_i32_e32 v8, v8
	s_or_b32 vcc_lo, s29, vcc_lo
	v_ldexp_f32 v11, v11, v12
	v_ldexp_f32 v9, v9, v12
	s_delay_alu instid0(VALU_DEP_2) | instskip(NEXT) | instid1(VALU_DEP_1)
	v_add_f32_e32 v14, 1.0, v11
	v_dual_add_f32 v12, -1.0, v11 :: v_dual_add_f32 v13, -1.0, v14
	s_delay_alu instid0(VALU_DEP_1) | instskip(NEXT) | instid1(VALU_DEP_2)
	v_add_f32_e32 v15, 1.0, v12
	v_sub_f32_e32 v13, v11, v13
	s_delay_alu instid0(VALU_DEP_2) | instskip(NEXT) | instid1(VALU_DEP_2)
	v_sub_f32_e32 v11, v11, v15
	v_add_f32_e32 v13, v9, v13
	s_delay_alu instid0(VALU_DEP_2) | instskip(NEXT) | instid1(VALU_DEP_1)
	v_add_f32_e32 v9, v9, v11
	v_add_f32_e32 v17, v12, v9
	s_delay_alu instid0(VALU_DEP_3) | instskip(NEXT) | instid1(VALU_DEP_2)
	v_add_f32_e32 v15, v14, v13
	v_sub_f32_e32 v12, v12, v17
	s_delay_alu instid0(VALU_DEP_2) | instskip(SKIP_1) | instid1(VALU_DEP_1)
	v_rcp_f32_e32 v11, v15
	v_sub_f32_e32 v14, v14, v15
	v_add_f32_e32 v13, v13, v14
	s_waitcnt_depctr 0xfff
	v_mul_f32_e32 v101, v17, v11
	s_delay_alu instid0(VALU_DEP_1) | instskip(NEXT) | instid1(VALU_DEP_1)
	v_dual_mul_f32 v102, v15, v101 :: v_dual_add_f32 v9, v9, v12
	v_fma_f32 v14, v101, v15, -v102
	s_delay_alu instid0(VALU_DEP_1) | instskip(NEXT) | instid1(VALU_DEP_1)
	v_fmac_f32_e32 v14, v101, v13
	v_add_f32_e32 v103, v102, v14
	s_delay_alu instid0(VALU_DEP_1) | instskip(SKIP_1) | instid1(VALU_DEP_1)
	v_sub_f32_e32 v12, v103, v102
	v_sub_f32_e32 v104, v17, v103
	v_dual_sub_f32 v12, v12, v14 :: v_dual_sub_f32 v17, v17, v104
	s_delay_alu instid0(VALU_DEP_1) | instskip(NEXT) | instid1(VALU_DEP_1)
	v_sub_f32_e32 v17, v17, v103
	v_add_f32_e32 v9, v9, v17
	s_delay_alu instid0(VALU_DEP_1) | instskip(NEXT) | instid1(VALU_DEP_1)
	v_add_f32_e32 v9, v12, v9
	v_add_f32_e32 v12, v104, v9
	s_delay_alu instid0(VALU_DEP_1) | instskip(SKIP_1) | instid1(VALU_DEP_2)
	v_mul_f32_e32 v14, v11, v12
	v_sub_f32_e32 v103, v104, v12
	v_mul_f32_e32 v17, v15, v14
	s_delay_alu instid0(VALU_DEP_2) | instskip(NEXT) | instid1(VALU_DEP_2)
	v_add_f32_e32 v9, v9, v103
	v_fma_f32 v15, v14, v15, -v17
	s_delay_alu instid0(VALU_DEP_1) | instskip(NEXT) | instid1(VALU_DEP_1)
	v_fmac_f32_e32 v15, v14, v13
	v_add_f32_e32 v13, v17, v15
	s_delay_alu instid0(VALU_DEP_1) | instskip(NEXT) | instid1(VALU_DEP_1)
	v_sub_f32_e32 v102, v12, v13
	v_dual_sub_f32 v17, v13, v17 :: v_dual_sub_f32 v12, v12, v102
	s_delay_alu instid0(VALU_DEP_1) | instskip(NEXT) | instid1(VALU_DEP_1)
	v_dual_sub_f32 v12, v12, v13 :: v_dual_sub_f32 v13, v17, v15
	v_add_f32_e32 v9, v9, v12
	v_add_f32_e32 v12, v101, v14
	s_delay_alu instid0(VALU_DEP_2) | instskip(NEXT) | instid1(VALU_DEP_2)
	v_add_f32_e32 v9, v13, v9
	v_sub_f32_e32 v13, v12, v101
	s_delay_alu instid0(VALU_DEP_2) | instskip(NEXT) | instid1(VALU_DEP_2)
	v_add_f32_e32 v9, v102, v9
	v_sub_f32_e32 v13, v14, v13
	s_delay_alu instid0(VALU_DEP_2) | instskip(NEXT) | instid1(VALU_DEP_1)
	v_mul_f32_e32 v9, v11, v9
	v_add_f32_e32 v9, v13, v9
	s_delay_alu instid0(VALU_DEP_1) | instskip(NEXT) | instid1(VALU_DEP_1)
	v_add_f32_e32 v11, v12, v9
	v_mul_f32_e32 v13, v11, v11
	s_delay_alu instid0(VALU_DEP_1) | instskip(SKIP_1) | instid1(VALU_DEP_2)
	v_fmaak_f32 v14, s84, v13, 0x3ecc95a3
	v_mul_f32_e32 v15, v11, v13
	v_fmaak_f32 v13, v13, v14, 0x3f2aaada
	v_ldexp_f32 v14, v11, 1
	v_sub_f32_e32 v11, v11, v12
	s_delay_alu instid0(VALU_DEP_3) | instskip(SKIP_1) | instid1(VALU_DEP_2)
	v_mul_f32_e32 v13, v15, v13
	v_mul_f32_e32 v15, 0x3f317218, v8
	v_dual_sub_f32 v9, v9, v11 :: v_dual_add_f32 v12, v14, v13
	s_delay_alu instid0(VALU_DEP_1) | instskip(NEXT) | instid1(VALU_DEP_2)
	v_ldexp_f32 v9, v9, 1
	v_sub_f32_e32 v11, v12, v14
	s_delay_alu instid0(VALU_DEP_4) | instskip(NEXT) | instid1(VALU_DEP_1)
	v_fma_f32 v14, 0x3f317218, v8, -v15
	v_dual_sub_f32 v11, v13, v11 :: v_dual_fmac_f32 v14, 0xb102e308, v8
	s_delay_alu instid0(VALU_DEP_1) | instskip(NEXT) | instid1(VALU_DEP_1)
	v_dual_add_f32 v8, v9, v11 :: v_dual_add_f32 v9, v15, v14
	v_add_f32_e32 v11, v12, v8
	s_delay_alu instid0(VALU_DEP_2) | instskip(NEXT) | instid1(VALU_DEP_2)
	v_sub_f32_e32 v15, v9, v15
	v_dual_add_f32 v13, v9, v11 :: v_dual_sub_f32 v12, v11, v12
	s_delay_alu instid0(VALU_DEP_1) | instskip(NEXT) | instid1(VALU_DEP_1)
	v_dual_sub_f32 v14, v14, v15 :: v_dual_sub_f32 v17, v13, v9
	v_dual_sub_f32 v8, v8, v12 :: v_dual_sub_f32 v101, v13, v17
	s_delay_alu instid0(VALU_DEP_1) | instskip(NEXT) | instid1(VALU_DEP_2)
	v_dual_sub_f32 v11, v11, v17 :: v_dual_add_f32 v12, v14, v8
	v_sub_f32_e32 v9, v9, v101
	s_delay_alu instid0(VALU_DEP_1) | instskip(NEXT) | instid1(VALU_DEP_3)
	v_add_f32_e32 v9, v11, v9
	v_sub_f32_e32 v11, v12, v14
	s_delay_alu instid0(VALU_DEP_2) | instskip(NEXT) | instid1(VALU_DEP_2)
	v_add_f32_e32 v9, v12, v9
	v_sub_f32_e32 v12, v12, v11
	s_delay_alu instid0(VALU_DEP_2) | instskip(NEXT) | instid1(VALU_DEP_1)
	v_dual_sub_f32 v8, v8, v11 :: v_dual_add_f32 v15, v13, v9
	v_dual_sub_f32 v12, v14, v12 :: v_dual_sub_f32 v11, v15, v13
	s_delay_alu instid0(VALU_DEP_1) | instskip(NEXT) | instid1(VALU_DEP_1)
	v_dual_add_f32 v8, v8, v12 :: v_dual_sub_f32 v9, v9, v11
	v_add_f32_e32 v8, v8, v9
	s_delay_alu instid0(VALU_DEP_1) | instskip(NEXT) | instid1(VALU_DEP_1)
	v_add_f32_e32 v8, v15, v8
	v_cndmask_b32_e32 v125, v8, v10, vcc_lo
.LBB29_106:                             ;   in Loop: Header=BB29_12 Depth=1
	s_or_b32 exec_lo, exec_lo, s30
	v_and_b32_e32 v10, 0xffff0000, v5
	v_lshlrev_b32_e32 v5, 16, v5
	v_and_b32_e32 v9, 0xffff0000, v6
	v_and_b32_e32 v14, 0xffff0000, v7
	;; [unrolled: 1-line block ×4, first 2 shown]
	v_lshlrev_b32_e32 v1, 16, v1
	v_and_b32_e32 v12, 0xffff0000, v2
	v_lshlrev_b32_e32 v0, 16, v0
	v_lshlrev_b32_e32 v2, 16, v2
	v_mul_f32_e32 v106, s70, v5
	v_dual_mul_f32 v103, s70, v9 :: v_dual_lshlrev_b32 v8, 16, v7
	v_lshlrev_b32_e32 v6, 16, v6
	v_mul_f32_e32 v120, s70, v15
	s_delay_alu instid0(VALU_DEP_3)
	v_dual_mul_f32 v118, s70, v13 :: v_dual_mul_f32 v101, s70, v8
	v_mul_f32_e32 v119, s70, v0
	v_dual_mul_f32 v114, s70, v2 :: v_dual_and_b32 v11, 0xffff0000, v3
	v_and_b32_e32 v7, 0xffff0000, v4
	v_lshlrev_b32_e32 v3, 16, v3
	v_lshlrev_b32_e32 v4, 16, v4
	v_mul_f32_e32 v102, s70, v6
	v_mul_f32_e32 v112, s70, v11
	s_and_b32 vcc_lo, exec_lo, s81
	v_mul_f32_e32 v111, s70, v3
	v_mul_f32_e32 v109, s70, v4
	;; [unrolled: 1-line block ×3, first 2 shown]
	v_dual_mul_f32 v104, s70, v14 :: v_dual_mul_f32 v117, s70, v1
	v_dual_mul_f32 v110, s70, v7 :: v_dual_mul_f32 v115, s70, v12
	s_barrier
	buffer_gl0_inv
	s_cbranch_vccz .LBB29_204
; %bb.107:                              ;   in Loop: Header=BB29_12 Depth=1
	v_dual_mul_f32 v126, v125, v14 :: v_dual_mul_f32 v131, v124, v8
	v_add_co_u32 v14, s29, s61, v16
	s_delay_alu instid0(VALU_DEP_1) | instskip(SKIP_1) | instid1(VALU_DEP_1)
	v_add_co_ci_u32_e64 v17, null, s62, 0, s29
	v_add_co_u32 v16, s29, s75, v16
	v_add_co_ci_u32_e64 v130, null, s76, 0, s29
	s_delay_alu instid0(VALU_DEP_4) | instskip(NEXT) | instid1(VALU_DEP_4)
	v_add_co_u32 v127, vcc_lo, v14, v93
	v_add_co_ci_u32_e32 v128, vcc_lo, 0, v17, vcc_lo
	s_delay_alu instid0(VALU_DEP_4) | instskip(NEXT) | instid1(VALU_DEP_4)
	v_add_co_u32 v129, vcc_lo, v16, v93
	v_add_co_ci_u32_e32 v130, vcc_lo, 0, v130, vcc_lo
	v_cmp_gt_u32_e32 vcc_lo, s41, v18
	s_cmp_lg_u32 s86, 0
	v_cmp_gt_u32_e64 s31, s41, v79
	s_cselect_b32 s51, -1, 0
	s_cmp_eq_u32 s86, s83
	v_cmp_gt_u32_e64 s33, s41, v80
	s_cselect_b32 s87, -1, 0
	s_or_b32 s29, s82, vcc_lo
	v_cmp_gt_u32_e32 vcc_lo, s41, v78
	v_cmp_gt_u32_e64 s34, s41, v81
	v_cmp_gt_u32_e64 s35, s41, v82
	;; [unrolled: 1-line block ×4, first 2 shown]
	s_or_b32 s30, s82, vcc_lo
	v_cmp_gt_u32_e32 vcc_lo, s41, v83
	v_cmp_gt_u32_e64 s39, s41, v86
	v_cmp_gt_u32_e64 s40, s41, v87
	;; [unrolled: 1-line block ×4, first 2 shown]
	s_or_b32 s36, s82, vcc_lo
	v_cmp_gt_u32_e32 vcc_lo, s41, v88
	v_cmp_gt_u32_e64 s44, s41, v91
	v_cmp_gt_u32_e64 s45, s41, v92
	v_dual_mul_f32 v132, v123, v9 :: v_dual_mul_f32 v133, v122, v6
	v_dual_mul_f32 v134, v121, v10 :: v_dual_mul_f32 v135, v116, v5
	;; [unrolled: 1-line block ×7, first 2 shown]
	s_mov_b32 s66, 0
	s_or_b32 s31, s82, s31
	s_or_b32 s33, s82, s33
	s_or_b32 s34, s82, s34
	s_or_b32 s35, s82, s35
	s_or_b32 s37, s82, s37
	s_or_b32 s38, s82, s38
	s_or_b32 s39, s82, s39
	s_or_b32 s40, s82, s40
	s_or_b32 s41, s82, vcc_lo
	s_or_b32 s42, s82, s42
	s_or_b32 s43, s82, s43
	;; [unrolled: 1-line block ×4, first 2 shown]
	s_mov_b32 s52, s66
	s_mov_b32 s54, s66
	;; [unrolled: 1-line block ×5, first 2 shown]
	s_branch .LBB29_109
.LBB29_108:                             ;   in Loop: Header=BB29_109 Depth=2
	s_or_b32 exec_lo, exec_lo, s46
	v_cndmask_b32_e64 v9, v175, v11, s12
	v_cndmask_b32_e64 v10, v174, v10, s12
	s_add_i32 s88, s88, -1
	s_add_i32 s89, s89, 8
	s_add_i32 s58, s58, s49
	v_fma_f32 v9, v9, v149, v148
	v_mul_f32_e32 v10, v10, v149
	s_add_i32 s54, s54, s48
	s_add_i32 s52, s52, s60
	;; [unrolled: 1-line block ×3, first 2 shown]
	v_cndmask_b32_e64 v9, v9, v148, s11
	v_cndmask_b32_e64 v10, v10, v149, s11
	s_cmp_eq_u32 s88, 0
	s_waitcnt lgkmcnt(0)
	s_delay_alu instid0(VALU_DEP_1) | instskip(NEXT) | instid1(VALU_DEP_1)
	v_dual_fmac_f32 v9, v8, v10 :: v_dual_and_b32 v10, 0xffff0000, v5
	v_dual_fmac_f32 v12, v9, v151 :: v_dual_lshlrev_b32 v5, 16, v5
	s_delay_alu instid0(VALU_DEP_1) | instskip(NEXT) | instid1(VALU_DEP_1)
	v_fmac_f32_e32 v13, v12, v152
	v_fmac_f32_e32 v14, v13, v154
	s_delay_alu instid0(VALU_DEP_3) | instskip(NEXT) | instid1(VALU_DEP_2)
	v_fmac_f32_e32 v117, v13, v5
	v_fmac_f32_e32 v15, v14, v157
	s_delay_alu instid0(VALU_DEP_1) | instskip(NEXT) | instid1(VALU_DEP_1)
	v_fmac_f32_e32 v146, v15, v158
	v_fmac_f32_e32 v147, v146, v159
	s_delay_alu instid0(VALU_DEP_1) | instskip(NEXT) | instid1(VALU_DEP_1)
	v_fmac_f32_e32 v150, v147, v160
	v_dual_fmac_f32 v153, v150, v162 :: v_dual_and_b32 v8, 0xffff0000, v4
	v_lshlrev_b32_e32 v4, 16, v4
	s_delay_alu instid0(VALU_DEP_2) | instskip(SKIP_1) | instid1(VALU_DEP_3)
	v_dual_fmac_f32 v120, v12, v8 :: v_dual_fmac_f32 v155, v153, v163
	v_and_b32_e32 v11, 0xffff0000, v6
	v_dual_fmac_f32 v119, v9, v4 :: v_dual_and_b32 v16, 0xffff0000, v7
	s_delay_alu instid0(VALU_DEP_3) | instskip(NEXT) | instid1(VALU_DEP_3)
	v_dual_fmac_f32 v156, v155, v164 :: v_dual_lshlrev_b32 v7, 16, v7
	v_dual_fmac_f32 v115, v146, v11 :: v_dual_and_b32 v148, 0xffff0000, v1
	s_delay_alu instid0(VALU_DEP_2) | instskip(NEXT) | instid1(VALU_DEP_3)
	v_dual_fmac_f32 v112, v150, v16 :: v_dual_fmac_f32 v111, v147, v7
	v_dual_fmac_f32 v161, v156, v172 :: v_dual_lshlrev_b32 v6, 16, v6
	v_dual_fmac_f32 v118, v14, v10 :: v_dual_lshlrev_b32 v1, 16, v1
	s_delay_alu instid0(VALU_DEP_2) | instskip(SKIP_3) | instid1(VALU_DEP_4)
	v_fmac_f32_e32 v165, v161, v167
	v_and_b32_e32 v17, 0xffff0000, v0
	v_lshlrev_b32_e32 v0, 16, v0
	v_dual_fmac_f32 v114, v15, v6 :: v_dual_and_b32 v151, 0xffff0000, v3
	v_dual_fmac_f32 v166, v165, v169 :: v_dual_and_b32 v149, 0xffff0000, v2
	v_lshlrev_b32_e32 v2, 16, v2
	v_lshlrev_b32_e32 v3, 16, v3
	v_dual_fmac_f32 v109, v153, v0 :: v_dual_fmac_f32 v110, v155, v17
	s_delay_alu instid0(VALU_DEP_4) | instskip(SKIP_2) | instid1(VALU_DEP_3)
	v_fmac_f32_e32 v168, v166, v171
	v_dual_fmac_f32 v106, v156, v1 :: v_dual_fmac_f32 v107, v161, v148
	v_dual_fmac_f32 v102, v165, v2 :: v_dual_fmac_f32 v103, v166, v149
	v_fmac_f32_e32 v170, v168, v173
	v_fmac_f32_e32 v101, v168, v3
	s_delay_alu instid0(VALU_DEP_2)
	v_fmac_f32_e32 v104, v170, v151
	s_cbranch_scc1 .LBB29_204
.LBB29_109:                             ;   Parent Loop BB29_12 Depth=1
                                        ; =>  This Inner Loop Header: Depth=2
	s_lshl_b64 s[46:47], s[66:67], 2
	s_mov_b32 s53, s67
	s_add_u32 s46, s73, s46
	s_addc_u32 s47, s74, s47
	v_dual_mov_b32 v2, 0 :: v_dual_mov_b32 v3, 0
	global_load_b32 v146, v21, s[46:47]
	s_lshl_b64 s[46:47], s[52:53], 1
	s_delay_alu instid0(SALU_CYCLE_1)
	v_add_co_u32 v0, vcc_lo, v127, s46
	v_add_co_ci_u32_e32 v1, vcc_lo, s47, v128, vcc_lo
	s_and_saveexec_b32 s46, s13
	s_cbranch_execz .LBB29_111
; %bb.110:                              ;   in Loop: Header=BB29_109 Depth=2
	global_load_u16 v3, v[0:1], off
.LBB29_111:                             ;   in Loop: Header=BB29_109 Depth=2
	s_or_b32 exec_lo, exec_lo, s46
	s_and_saveexec_b32 s46, s14
	s_cbranch_execz .LBB29_113
; %bb.112:                              ;   in Loop: Header=BB29_109 Depth=2
	global_load_u16 v2, v[0:1], off offset:64
.LBB29_113:                             ;   in Loop: Header=BB29_109 Depth=2
	s_or_b32 exec_lo, exec_lo, s46
	v_dual_mov_b32 v4, 0 :: v_dual_mov_b32 v5, 0
	s_and_saveexec_b32 s46, s15
	s_cbranch_execz .LBB29_115
; %bb.114:                              ;   in Loop: Header=BB29_109 Depth=2
	global_load_u16 v5, v[0:1], off offset:128
.LBB29_115:                             ;   in Loop: Header=BB29_109 Depth=2
	s_or_b32 exec_lo, exec_lo, s46
	s_and_saveexec_b32 s46, s16
	s_cbranch_execz .LBB29_117
; %bb.116:                              ;   in Loop: Header=BB29_109 Depth=2
	global_load_u16 v4, v[0:1], off offset:192
.LBB29_117:                             ;   in Loop: Header=BB29_109 Depth=2
	s_or_b32 exec_lo, exec_lo, s46
	v_dual_mov_b32 v6, 0 :: v_dual_mov_b32 v7, 0
	s_and_saveexec_b32 s46, s17
	s_cbranch_execz .LBB29_119
; %bb.118:                              ;   in Loop: Header=BB29_109 Depth=2
	global_load_u16 v7, v[0:1], off offset:256
.LBB29_119:                             ;   in Loop: Header=BB29_109 Depth=2
	;; [unrolled: 13-line block ×7, first 2 shown]
	s_or_b32 exec_lo, exec_lo, s46
	s_and_saveexec_b32 s46, s28
	s_cbranch_execz .LBB29_141
; %bb.140:                              ;   in Loop: Header=BB29_109 Depth=2
	global_load_u16 v16, v[0:1], off offset:960
.LBB29_141:                             ;   in Loop: Header=BB29_109 Depth=2
	s_or_b32 exec_lo, exec_lo, s46
	s_waitcnt vmcnt(0)
	ds_store_b16 v37, v3
	ds_store_b16 v37, v2 offset:64
	ds_store_b16 v38, v5 offset:128
	;; [unrolled: 1-line block ×15, first 2 shown]
	; wave barrier
	ds_load_b128 v[12:15], v52
	ds_load_b128 v[8:11], v52 offset:16
	s_mov_b32 s55, s67
	v_dual_mov_b32 v2, 0 :: v_dual_mov_b32 v3, 0
	s_lshl_b64 s[46:47], s[54:55], 1
	s_delay_alu instid0(SALU_CYCLE_1)
	v_add_co_u32 v0, vcc_lo, v129, s46
	v_add_co_ci_u32_e32 v1, vcc_lo, s47, v130, vcc_lo
	s_and_saveexec_b32 s46, s13
	s_cbranch_execz .LBB29_143
; %bb.142:                              ;   in Loop: Header=BB29_109 Depth=2
	global_load_u16 v3, v[0:1], off
.LBB29_143:                             ;   in Loop: Header=BB29_109 Depth=2
	s_or_b32 exec_lo, exec_lo, s46
	s_and_saveexec_b32 s46, s14
	s_cbranch_execz .LBB29_145
; %bb.144:                              ;   in Loop: Header=BB29_109 Depth=2
	global_load_u16 v2, v[0:1], off offset:64
.LBB29_145:                             ;   in Loop: Header=BB29_109 Depth=2
	s_or_b32 exec_lo, exec_lo, s46
	v_dual_mov_b32 v4, 0 :: v_dual_mov_b32 v5, 0
	s_and_saveexec_b32 s46, s15
	s_cbranch_execz .LBB29_147
; %bb.146:                              ;   in Loop: Header=BB29_109 Depth=2
	global_load_u16 v5, v[0:1], off offset:128
.LBB29_147:                             ;   in Loop: Header=BB29_109 Depth=2
	s_or_b32 exec_lo, exec_lo, s46
	s_and_saveexec_b32 s46, s16
	s_cbranch_execz .LBB29_149
; %bb.148:                              ;   in Loop: Header=BB29_109 Depth=2
	global_load_u16 v4, v[0:1], off offset:192
.LBB29_149:                             ;   in Loop: Header=BB29_109 Depth=2
	s_or_b32 exec_lo, exec_lo, s46
	v_dual_mov_b32 v6, 0 :: v_dual_mov_b32 v7, 0
	s_and_saveexec_b32 s46, s17
	s_cbranch_execz .LBB29_151
; %bb.150:                              ;   in Loop: Header=BB29_109 Depth=2
	global_load_u16 v7, v[0:1], off offset:256
.LBB29_151:                             ;   in Loop: Header=BB29_109 Depth=2
	;; [unrolled: 13-line block ×7, first 2 shown]
	s_or_b32 exec_lo, exec_lo, s46
	s_and_saveexec_b32 s46, s28
	s_cbranch_execz .LBB29_173
; %bb.172:                              ;   in Loop: Header=BB29_109 Depth=2
	global_load_u16 v153, v[0:1], off offset:960
.LBB29_173:                             ;   in Loop: Header=BB29_109 Depth=2
	s_or_b32 exec_lo, exec_lo, s46
	s_waitcnt vmcnt(0)
	ds_store_b16 v37, v3 offset:4224
	ds_store_b16 v53, v2 offset:64
	;; [unrolled: 1-line block ×16, first 2 shown]
	; wave barrier
	ds_load_b128 v[4:7], v52 offset:4224
	ds_load_b128 v[0:3], v68 offset:16
	s_and_not1_b32 vcc_lo, exec_lo, s51
	s_cbranch_vccnz .LBB29_175
; %bb.174:                              ;   in Loop: Header=BB29_109 Depth=2
	v_mov_b32_e32 v16, s89
	ds_load_b64 v[16:17], v16
	s_cbranch_execz .LBB29_176
	s_branch .LBB29_179
.LBB29_175:                             ;   in Loop: Header=BB29_109 Depth=2
                                        ; implicit-def: $vgpr16
.LBB29_176:                             ;   in Loop: Header=BB29_109 Depth=2
	s_waitcnt lgkmcnt(0)
	v_mov_b32_e32 v17, 0
	s_and_not1_b32 vcc_lo, exec_lo, s68
	s_cbranch_vccnz .LBB29_178
; %bb.177:                              ;   in Loop: Header=BB29_109 Depth=2
	s_mov_b32 s59, s67
	s_delay_alu instid0(SALU_CYCLE_1) | instskip(NEXT) | instid1(SALU_CYCLE_1)
	s_lshl_b64 s[46:47], s[58:59], 1
	s_add_u32 s46, s77, s46
	s_addc_u32 s47, s78, s47
	global_load_u16 v16, v21, s[46:47]
	s_waitcnt vmcnt(0)
	v_lshlrev_b32_e32 v17, 16, v16
.LBB29_178:                             ;   in Loop: Header=BB29_109 Depth=2
	v_mov_b32_e32 v16, 1.0
.LBB29_179:                             ;   in Loop: Header=BB29_109 Depth=2
	s_waitcnt lgkmcnt(19)
	v_dual_mul_f32 v168, 0x3fb8aa3b, v146 :: v_dual_lshlrev_b32 v147, 16, v12
	v_and_b32_e32 v12, 0xffff0000, v12
	v_lshlrev_b32_e32 v146, 16, v13
	v_and_b32_e32 v150, 0xffff0000, v13
	v_lshlrev_b32_e32 v153, 16, v14
	v_mul_f32_e32 v13, v168, v94
	v_dual_mul_f32 v14, v168, v95 :: v_dual_and_b32 v155, 0xffff0000, v14
	v_dual_mul_f32 v149, v168, v97 :: v_dual_lshlrev_b32 v156, 16, v15
	s_delay_alu instid0(VALU_DEP_3) | instskip(SKIP_1) | instid1(VALU_DEP_4)
	v_cmp_gt_f32_e32 vcc_lo, 0xc2fc0000, v13
	v_dual_mul_f32 v12, v144, v12 :: v_dual_and_b32 v159, 0xffff0000, v15
	v_cmp_gt_f32_e64 s46, 0xc2fc0000, v14
	v_mul_f32_e32 v15, v168, v96
	v_cndmask_b32_e64 v13, 0, 0x42800000, vcc_lo
	v_cndmask_b32_e64 v148, 1.0, 0x1f800000, vcc_lo
	s_waitcnt lgkmcnt(18)
	v_lshlrev_b32_e32 v165, 16, v10
	v_cndmask_b32_e64 v14, 0, 0x42800000, s46
	v_mul_f32_e32 v147, v145, v147
	v_fmac_f32_e32 v13, v168, v94
	v_dual_mul_f32 v146, v143, v146 :: v_dual_lshlrev_b32 v161, 16, v8
	v_and_b32_e32 v8, 0xffff0000, v8
	v_fmac_f32_e32 v14, v168, v95
	s_delay_alu instid0(VALU_DEP_4) | instskip(SKIP_2) | instid1(VALU_DEP_3)
	v_exp_f32_e32 v13, v13
	v_cmp_gt_f32_e32 vcc_lo, 0xc2fc0000, v15
	v_dual_mul_f32 v155, v140, v155 :: v_dual_and_b32 v10, 0xffff0000, v10
	v_exp_f32_e32 v14, v14
	v_dual_mul_f32 v161, v137, v161 :: v_dual_mul_f32 v8, v136, v8
	v_cndmask_b32_e64 v15, 0, 0x42800000, vcc_lo
	v_lshlrev_b32_e32 v170, 16, v11
	v_and_b32_e32 v11, 0xffff0000, v11
	s_delay_alu instid0(TRANS32_DEP_2)
	v_mul_f32_e32 v13, v13, v148
	v_cndmask_b32_e64 v148, 0, v147, s29
	v_cndmask_b32_e64 v147, 1.0, 0x1f800000, s46
	v_cmp_gt_f32_e64 s46, 0xc2fc0000, v149
	v_fmac_f32_e32 v15, v168, v96
	v_cndmask_b32_e64 v149, 1.0, v13, s29
	v_cndmask_b32_e64 v12, 0, v12, s30
	v_mul_f32_e32 v13, v14, v147
	v_cndmask_b32_e64 v151, 0, 0x42800000, s46
	v_exp_f32_e32 v14, v15
	v_cndmask_b32_e64 v147, 1.0, 0x1f800000, vcc_lo
	v_lshlrev_b32_e32 v163, 16, v9
	v_mul_f32_e32 v15, v168, v98
	v_fmac_f32_e32 v151, v168, v97
	v_and_b32_e32 v9, 0xffff0000, v9
	v_mul_f32_e32 v171, v168, v123
	v_mul_f32_e32 v173, v168, v125
	v_cmp_gt_f32_e32 vcc_lo, 0xc2fc0000, v15
	v_exp_f32_e32 v154, v151
	v_mul_f32_e32 v14, v14, v147
	v_cndmask_b32_e64 v147, 1.0, 0x1f800000, s46
	v_mul_f32_e32 v157, v168, v105
	v_cndmask_b32_e64 v15, 0, 0x42800000, vcc_lo
	v_mul_f32_e32 v160, v168, v108
	v_cndmask_b32_e64 v152, 1.0, v14, s31
	v_mul_f32_e32 v14, v142, v150
	v_mul_f32_e32 v150, v168, v100
	v_fmac_f32_e32 v15, v168, v98
	v_mul_f32_e32 v147, v154, v147
	v_cmp_gt_f32_e64 s47, 0xc2fc0000, v157
	v_cndmask_b32_e64 v14, 0, v14, s33
	v_mul_f32_e32 v162, v168, v116
	v_exp_f32_e32 v15, v15
	v_cndmask_b32_e64 v154, 1.0, v147, s33
	v_cndmask_b32_e64 v147, 1.0, 0x1f800000, vcc_lo
	v_cmp_gt_f32_e32 vcc_lo, 0xc2fc0000, v150
	v_mul_f32_e32 v170, v131, v170
	v_dual_mul_f32 v10, v132, v10 :: v_dual_mul_f32 v11, v126, v11
	v_cndmask_b32_e64 v150, 0, 0x42800000, vcc_lo
	s_delay_alu instid0(TRANS32_DEP_1) | instskip(SKIP_2) | instid1(VALU_DEP_4)
	v_mul_f32_e32 v147, v15, v147
	v_mul_f32_e32 v15, v141, v153
	v_cndmask_b32_e64 v153, 0, 0x42800000, s47
	v_fmac_f32_e32 v150, v168, v100
	v_cndmask_b32_e64 v151, 1.0, v13, s30
	v_cndmask_b32_e64 v13, 0, v146, s31
	v_mul_f32_e32 v146, v168, v99
	v_cndmask_b32_e64 v157, 1.0, v147, s34
	v_exp_f32_e32 v150, v150
	v_fma_f32 v169, v151, v148, v12
	v_cndmask_b32_e64 v15, 0, v15, s34
	v_cmp_gt_f32_e64 s46, 0xc2fc0000, v146
	s_delay_alu instid0(VALU_DEP_1) | instskip(SKIP_1) | instid1(VALU_DEP_2)
	v_cndmask_b32_e64 v146, 0, 0x42800000, s46
	v_cndmask_b32_e64 v158, 1.0, 0x1f800000, s46
	v_fmac_f32_e32 v146, v168, v99
	s_delay_alu instid0(VALU_DEP_1)
	v_exp_f32_e32 v146, v146
	s_waitcnt_depctr 0xfff
	v_mul_f32_e32 v147, v146, v158
	v_cndmask_b32_e64 v146, 0, v155, s35
	v_cndmask_b32_e64 v155, 1.0, 0x1f800000, vcc_lo
	v_cmp_gt_f32_e32 vcc_lo, 0xc2fc0000, v160
	v_mul_f32_e32 v160, v138, v159
	v_cndmask_b32_e64 v158, 1.0, v147, s35
	s_delay_alu instid0(VALU_DEP_4)
	v_dual_mul_f32 v147, v139, v156 :: v_dual_mul_f32 v150, v150, v155
	v_cndmask_b32_e64 v155, 1.0, 0x1f800000, s47
	v_cmp_gt_f32_e64 s47, 0xc2fc0000, v162
	v_mul_f32_e32 v162, v168, v121
	v_cndmask_b32_e64 v156, 0, 0x42800000, vcc_lo
	v_cndmask_b32_e64 v164, 1.0, 0x1f800000, vcc_lo
	v_cndmask_b32_e64 v159, 1.0, v150, s36
	v_cndmask_b32_e64 v150, 0, v160, s37
	v_cmp_gt_f32_e32 vcc_lo, 0xc2fc0000, v162
	v_fmac_f32_e32 v156, v168, v108
	v_cndmask_b32_e64 v147, 0, v147, s36
	v_cndmask_b32_e64 v166, 0, 0x42800000, vcc_lo
	v_cndmask_b32_e64 v167, 1.0, 0x1f800000, vcc_lo
	s_delay_alu instid0(VALU_DEP_2) | instskip(NEXT) | instid1(VALU_DEP_1)
	v_fmac_f32_e32 v166, v168, v121
	v_exp_f32_e32 v166, v166
	v_fmac_f32_e32 v153, v168, v105
	s_delay_alu instid0(VALU_DEP_1) | instskip(SKIP_3) | instid1(VALU_DEP_2)
	v_exp_f32_e32 v153, v153
	s_waitcnt_depctr 0xfff
	v_mul_f32_e32 v153, v153, v155
	v_mul_f32_e32 v155, v168, v113
	v_cndmask_b32_e64 v160, 1.0, v153, s37
	s_delay_alu instid0(VALU_DEP_2) | instskip(SKIP_2) | instid1(VALU_DEP_2)
	v_cmp_gt_f32_e64 s46, 0xc2fc0000, v155
	v_exp_f32_e32 v153, v156
	v_cndmask_b32_e64 v156, 0, 0x42800000, s47
	v_cndmask_b32_e64 v155, 0, 0x42800000, s46
	s_delay_alu instid0(VALU_DEP_2)
	v_fmac_f32_e32 v156, v168, v116
	s_waitcnt_depctr 0xfff
	v_dual_fmac_f32 v155, v168, v113 :: v_dual_mul_f32 v162, v153, v164
	v_cndmask_b32_e64 v153, 0, v161, s38
	v_exp_f32_e32 v156, v156
	v_cndmask_b32_e64 v161, 1.0, 0x1f800000, s46
	s_delay_alu instid0(VALU_DEP_3) | instskip(SKIP_3) | instid1(VALU_DEP_2)
	v_exp_f32_e32 v155, v155
	v_cndmask_b32_e64 v164, 1.0, 0x1f800000, s47
	v_cmp_gt_f32_e64 s46, 0xc2fc0000, v171
	v_cndmask_b32_e64 v162, 1.0, v162, s38
	v_cndmask_b32_e64 v171, 1.0, 0x1f800000, s46
	s_waitcnt_depctr 0xfff
	v_dual_mul_f32 v164, v156, v164 :: v_dual_mul_f32 v161, v155, v161
	v_cndmask_b32_e64 v155, 0, v8, s39
	v_mul_f32_e32 v8, v135, v163
	s_delay_alu instid0(VALU_DEP_3) | instskip(NEXT) | instid1(VALU_DEP_4)
	v_cndmask_b32_e64 v164, 1.0, v164, s40
	v_cndmask_b32_e64 v163, 1.0, v161, s39
	v_mul_f32_e32 v161, v168, v122
	s_delay_alu instid0(VALU_DEP_4) | instskip(SKIP_1) | instid1(VALU_DEP_3)
	v_cndmask_b32_e64 v156, 0, v8, s40
	v_dual_mul_f32 v8, v166, v167 :: v_dual_mul_f32 v167, v151, v149
	v_cmp_gt_f32_e32 vcc_lo, 0xc2fc0000, v161
	s_delay_alu instid0(VALU_DEP_2) | instskip(SKIP_3) | instid1(VALU_DEP_3)
	v_cndmask_b32_e64 v172, 1.0, v8, s41
	v_cndmask_b32_e64 v166, 0, 0x42800000, vcc_lo
	v_mul_f32_e32 v9, v134, v9
	v_cndmask_b32_e64 v8, 1.0, 0x1f800000, vcc_lo
	v_fmac_f32_e32 v166, v168, v122
	s_delay_alu instid0(VALU_DEP_3)
	v_cndmask_b32_e64 v161, 0, v9, s41
	v_mul_f32_e32 v9, v167, v152
	v_fma_f32 v167, v169, v152, v13
	v_cndmask_b32_e64 v169, 0, 0x42800000, s46
	v_exp_f32_e32 v166, v166
	v_cmp_gt_f32_e64 s46, 0xc2fc0000, v173
	v_mul_f32_e32 v9, v9, v154
	v_fma_f32 v167, v167, v154, v14
	v_fmac_f32_e32 v169, v168, v123
	s_delay_alu instid0(VALU_DEP_3) | instskip(NEXT) | instid1(VALU_DEP_3)
	v_mul_f32_e32 v9, v9, v157
	v_fma_f32 v167, v167, v157, v15
	s_delay_alu instid0(VALU_DEP_3)
	v_exp_f32_e32 v169, v169
	s_delay_alu instid0(TRANS32_DEP_2) | instid1(VALU_DEP_2)
	v_dual_mul_f32 v8, v166, v8 :: v_dual_mul_f32 v9, v9, v158
	s_delay_alu instid0(VALU_DEP_2) | instskip(NEXT) | instid1(VALU_DEP_2)
	v_fma_f32 v166, v167, v158, v146
	v_cndmask_b32_e64 v167, 1.0, v8, s42
	s_delay_alu instid0(VALU_DEP_3) | instskip(NEXT) | instid1(VALU_DEP_3)
	v_mul_f32_e32 v8, v9, v159
	v_fma_f32 v9, v166, v159, v147
	v_mul_f32_e32 v166, v168, v124
	s_delay_alu instid0(VALU_DEP_3) | instskip(NEXT) | instid1(VALU_DEP_3)
	v_mul_f32_e32 v8, v8, v160
	v_fma_f32 v9, v9, v160, v150
	s_delay_alu instid0(VALU_DEP_3)
	v_cmp_gt_f32_e32 vcc_lo, 0xc2fc0000, v166
	v_mul_f32_e32 v165, v133, v165
	v_cndmask_b32_e64 v166, 0, v10, s43
	v_mul_f32_e32 v8, v8, v162
	v_fma_f32 v9, v9, v162, v153
	v_cndmask_b32_e64 v10, 0, 0x42800000, s46
	v_mul_f32_e32 v169, v169, v171
	v_cndmask_b32_e64 v171, 0, 0x42800000, vcc_lo
	v_mul_f32_e32 v8, v8, v163
	v_fma_f32 v9, v9, v163, v155
	v_fmac_f32_e32 v10, v168, v125
	v_cndmask_b32_e64 v165, 0, v165, s42
	v_fmac_f32_e32 v171, v168, v124
	v_mul_f32_e32 v8, v8, v164
	v_fma_f32 v9, v9, v164, v156
	v_cndmask_b32_e64 v168, 1.0, 0x1f800000, vcc_lo
	v_exp_f32_e32 v10, v10
	v_exp_f32_e32 v171, v171
	v_mul_f32_e32 v8, v8, v172
	v_fma_f32 v9, v9, v172, v161
	v_cndmask_b32_e64 v169, 1.0, v169, s43
	s_delay_alu instid0(VALU_DEP_3) | instskip(NEXT) | instid1(VALU_DEP_3)
	v_mul_f32_e32 v8, v8, v167
	v_fma_f32 v9, v9, v167, v165
	s_waitcnt_depctr 0xfff
	v_mul_f32_e32 v171, v171, v168
	v_cndmask_b32_e64 v168, 0, v170, s44
	v_cndmask_b32_e64 v170, 1.0, 0x1f800000, s46
	v_mul_f32_e32 v8, v8, v169
	v_fma_f32 v9, v9, v169, v166
	v_cndmask_b32_e64 v171, 1.0, v171, s44
	s_delay_alu instid0(VALU_DEP_4) | instskip(SKIP_1) | instid1(VALU_DEP_3)
	v_mul_f32_e32 v10, v10, v170
	v_cndmask_b32_e64 v170, 0, v11, s45
	v_mul_f32_e32 v8, v8, v171
	v_fma_f32 v9, v9, v171, v168
	s_delay_alu instid0(VALU_DEP_4) | instskip(NEXT) | instid1(VALU_DEP_1)
	v_cndmask_b32_e64 v173, 1.0, v10, s45
	v_mul_f32_e32 v8, v8, v173
	s_delay_alu instid0(VALU_DEP_3) | instskip(NEXT) | instid1(VALU_DEP_2)
	v_fma_f32 v9, v9, v173, v170
	v_mov_b32_dpp v11, v8 row_shr:1 row_mask:0xf bank_mask:0xf
	s_delay_alu instid0(VALU_DEP_2)
	v_mov_b32_dpp v10, v9 row_shr:1 row_mask:0xf bank_mask:0xf
	s_and_saveexec_b32 s46, s0
; %bb.180:                              ;   in Loop: Header=BB29_109 Depth=2
	s_delay_alu instid0(VALU_DEP_2) | instskip(NEXT) | instid1(VALU_DEP_1)
	v_mul_f32_e32 v11, v8, v11
	v_dual_fmac_f32 v9, v8, v10 :: v_dual_mov_b32 v8, v11
; %bb.181:                              ;   in Loop: Header=BB29_109 Depth=2
	s_or_b32 exec_lo, exec_lo, s46
	s_delay_alu instid0(VALU_DEP_1) | instskip(NEXT) | instid1(VALU_DEP_2)
	v_mov_b32_dpp v10, v8 row_shr:2 row_mask:0xf bank_mask:0xf
	v_mov_b32_dpp v11, v9 row_shr:2 row_mask:0xf bank_mask:0xf
	s_and_saveexec_b32 s46, s1
; %bb.182:                              ;   in Loop: Header=BB29_109 Depth=2
	s_delay_alu instid0(VALU_DEP_1) | instskip(NEXT) | instid1(VALU_DEP_3)
	v_fmac_f32_e32 v9, v8, v11
	v_mul_f32_e32 v8, v8, v10
; %bb.183:                              ;   in Loop: Header=BB29_109 Depth=2
	s_or_b32 exec_lo, exec_lo, s46
	s_delay_alu instid0(VALU_DEP_1) | instskip(NEXT) | instid1(VALU_DEP_3)
	v_mov_b32_dpp v10, v8 row_shr:4 row_mask:0xf bank_mask:0xf
	v_mov_b32_dpp v11, v9 row_shr:4 row_mask:0xf bank_mask:0xf
	s_and_saveexec_b32 s46, s2
; %bb.184:                              ;   in Loop: Header=BB29_109 Depth=2
	s_delay_alu instid0(VALU_DEP_1) | instskip(NEXT) | instid1(VALU_DEP_3)
	v_fmac_f32_e32 v9, v8, v11
	v_mul_f32_e32 v8, v8, v10
; %bb.185:                              ;   in Loop: Header=BB29_109 Depth=2
	s_or_b32 exec_lo, exec_lo, s46
	s_delay_alu instid0(VALU_DEP_1) | instskip(NEXT) | instid1(VALU_DEP_3)
	v_mov_b32_dpp v10, v8 row_shr:8 row_mask:0xf bank_mask:0xf
	v_mov_b32_dpp v11, v9 row_shr:8 row_mask:0xf bank_mask:0xf
	s_and_saveexec_b32 s46, s3
; %bb.186:                              ;   in Loop: Header=BB29_109 Depth=2
	s_delay_alu instid0(VALU_DEP_1) | instskip(NEXT) | instid1(VALU_DEP_3)
	v_fmac_f32_e32 v9, v8, v11
	v_mul_f32_e32 v8, v8, v10
; %bb.187:                              ;   in Loop: Header=BB29_109 Depth=2
	s_or_b32 exec_lo, exec_lo, s46
	ds_swizzle_b32 v11, v8 offset:swizzle(BROADCAST,32,15)
	ds_swizzle_b32 v10, v9 offset:swizzle(BROADCAST,32,15)
	s_and_saveexec_b32 s46, s4
	s_cbranch_execz .LBB29_189
; %bb.188:                              ;   in Loop: Header=BB29_109 Depth=2
	s_waitcnt lgkmcnt(1)
	v_mul_f32_e32 v11, v8, v11
	s_waitcnt lgkmcnt(0)
	s_delay_alu instid0(VALU_DEP_1)
	v_dual_fmac_f32 v9, v8, v10 :: v_dual_mov_b32 v8, v11
.LBB29_189:                             ;   in Loop: Header=BB29_109 Depth=2
	s_or_b32 exec_lo, exec_lo, s46
	s_and_saveexec_b32 s46, s5
	s_cbranch_execz .LBB29_191
; %bb.190:                              ;   in Loop: Header=BB29_109 Depth=2
	ds_store_b64 v69, v[8:9] offset:8448
.LBB29_191:                             ;   in Loop: Header=BB29_109 Depth=2
	s_or_b32 exec_lo, exec_lo, s46
	s_waitcnt lgkmcnt(0)
	s_waitcnt_vscnt null, 0x0
	s_barrier
	buffer_gl0_inv
	s_and_saveexec_b32 s46, s6
	s_cbranch_execz .LBB29_195
; %bb.192:                              ;   in Loop: Header=BB29_109 Depth=2
	ds_load_b64 v[10:11], v70 offset:8448
	s_waitcnt lgkmcnt(0)
	v_mov_b32_dpp v176, v10 row_shr:1 row_mask:0xf bank_mask:0xf
	v_mov_b32_dpp v175, v11 row_shr:1 row_mask:0xf bank_mask:0xf
	v_mov_b32_e32 v174, v10
	s_and_saveexec_b32 s47, s7
; %bb.193:                              ;   in Loop: Header=BB29_109 Depth=2
	s_delay_alu instid0(VALU_DEP_3) | instskip(NEXT) | instid1(VALU_DEP_3)
	v_mul_f32_e32 v174, v10, v176
	v_fmac_f32_e32 v11, v10, v175
	s_delay_alu instid0(VALU_DEP_2)
	v_mov_b32_e32 v10, v174
; %bb.194:                              ;   in Loop: Header=BB29_109 Depth=2
	s_or_b32 exec_lo, exec_lo, s47
	v_mov_b32_dpp v174, v174 row_shr:2 row_mask:0xf bank_mask:0xf
	s_delay_alu instid0(VALU_DEP_3) | instskip(NEXT) | instid1(VALU_DEP_2)
	v_mov_b32_dpp v175, v11 row_shr:2 row_mask:0xf bank_mask:0xf
	v_mul_f32_e32 v174, v10, v174
	s_delay_alu instid0(VALU_DEP_2) | instskip(NEXT) | instid1(VALU_DEP_2)
	v_fma_f32 v175, v10, v175, v11
	v_cndmask_b32_e64 v10, v10, v174, s8
	s_delay_alu instid0(VALU_DEP_2)
	v_cndmask_b32_e64 v11, v11, v175, s8
	ds_store_b64 v70, v[10:11] offset:8448
.LBB29_195:                             ;   in Loop: Header=BB29_109 Depth=2
	s_or_b32 exec_lo, exec_lo, s46
	s_waitcnt lgkmcnt(0)
	s_barrier
	buffer_gl0_inv
                                        ; implicit-def: $vgpr11
	s_and_saveexec_b32 s46, s10
	s_cbranch_execz .LBB29_197
; %bb.196:                              ;   in Loop: Header=BB29_109 Depth=2
	ds_load_b64 v[10:11], v69 offset:8440
	s_waitcnt lgkmcnt(0)
	v_mul_f32_e32 v174, v8, v10
	s_delay_alu instid0(VALU_DEP_1)
	v_dual_fmac_f32 v9, v8, v11 :: v_dual_mov_b32 v8, v174
.LBB29_197:                             ;   in Loop: Header=BB29_109 Depth=2
	s_or_b32 exec_lo, exec_lo, s46
	ds_bpermute_b32 v174, v71, v8
	ds_bpermute_b32 v175, v71, v9
	s_and_saveexec_b32 s46, s9
	s_cbranch_execz .LBB29_201
; %bb.198:                              ;   in Loop: Header=BB29_109 Depth=2
	ds_load_b64 v[8:9], v21 offset:8472
	s_and_saveexec_b32 s47, s11
	s_cbranch_execz .LBB29_200
; %bb.199:                              ;   in Loop: Header=BB29_109 Depth=2
	ds_store_b64 v21, v[16:17] offset:8472
.LBB29_200:                             ;   in Loop: Header=BB29_109 Depth=2
	s_or_b32 exec_lo, exec_lo, s47
	s_waitcnt lgkmcnt(0)
	v_fmac_f32_e32 v9, v8, v17
	s_delay_alu instid0(VALU_DEP_1)
	v_dual_mul_f32 v16, v16, v8 :: v_dual_mov_b32 v17, v9
.LBB29_201:                             ;   in Loop: Header=BB29_109 Depth=2
	s_or_b32 exec_lo, exec_lo, s46
	s_waitcnt lgkmcnt(0)
	s_barrier
	buffer_gl0_inv
	ds_load_b32 v8, v21 offset:8476
	s_and_saveexec_b32 s46, s11
	s_cbranch_execz .LBB29_108
; %bb.202:                              ;   in Loop: Header=BB29_109 Depth=2
	v_mov_b32_e32 v9, s89
	s_and_not1_b32 vcc_lo, exec_lo, s87
	ds_store_b64 v9, v[16:17]
	s_cbranch_vccnz .LBB29_108
; %bb.203:                              ;   in Loop: Header=BB29_109 Depth=2
	v_bfe_u32 v9, v17, 16, 1
	v_cmp_o_f32_e32 vcc_lo, v17, v17
	s_mov_b32 s59, s67
	s_delay_alu instid0(SALU_CYCLE_1) | instskip(NEXT) | instid1(VALU_DEP_2)
	s_lshl_b64 s[90:91], s[58:59], 1
	v_add3_u32 v9, v17, v9, 0x7fff
	s_add_u32 s90, s77, s90
	s_addc_u32 s91, s78, s91
	s_delay_alu instid0(VALU_DEP_1) | instskip(NEXT) | instid1(VALU_DEP_1)
	v_lshrrev_b32_e32 v9, 16, v9
	v_cndmask_b32_e32 v9, 0x7fc0, v9, vcc_lo
	global_store_b16 v21, v9, s[90:91]
	s_branch .LBB29_108
.LBB29_204:                             ;   in Loop: Header=BB29_12 Depth=1
	v_bfe_u32 v0, v119, 16, 1
	v_bfe_u32 v1, v120, 16, 1
	v_cmp_o_f32_e32 vcc_lo, v119, v119
	v_bfe_u32 v2, v117, 16, 1
	v_bfe_u32 v4, v115, 16, 1
	v_add3_u32 v0, v119, v0, 0x7fff
	v_add3_u32 v1, v120, v1, 0x7fff
	v_bfe_u32 v7, v111, 16, 1
	v_add3_u32 v2, v117, v2, 0x7fff
	v_bfe_u32 v6, v112, 16, 1
	v_lshrrev_b32_e32 v0, 16, v0
	v_lshrrev_b32_e32 v1, 16, v1
	v_add3_u32 v4, v115, v4, 0x7fff
	v_lshrrev_b32_e32 v2, 16, v2
	v_add3_u32 v7, v111, v7, 0x7fff
	v_cndmask_b32_e32 v0, 0x7fc0, v0, vcc_lo
	v_cmp_o_f32_e32 vcc_lo, v120, v120
	v_add3_u32 v6, v112, v6, 0x7fff
	v_bfe_u32 v3, v118, 16, 1
	v_bfe_u32 v10, v107, 16, 1
	;; [unrolled: 1-line block ×3, first 2 shown]
	v_cndmask_b32_e32 v5, 0x7fc0, v1, vcc_lo
	v_bfe_u32 v1, v114, 16, 1
	v_cmp_o_f32_e32 vcc_lo, v117, v117
	v_lshrrev_b32_e32 v6, 16, v6
	v_add3_u32 v3, v118, v3, 0x7fff
	v_bfe_u32 v12, v104, 16, 1
	v_add3_u32 v1, v114, v1, 0x7fff
	v_cndmask_b32_e32 v8, 0x7fc0, v2, vcc_lo
	v_cmp_o_f32_e32 vcc_lo, v114, v114
	v_lshrrev_b32_e32 v2, 16, v4
	v_lshrrev_b32_e32 v4, 16, v7
	v_lshrrev_b32_e32 v1, 16, v1
	v_lshrrev_b32_e32 v3, 16, v3
	v_bfe_u32 v7, v109, 16, 1
	v_add3_u32 v11, v101, v11, 0x7fff
	v_perm_b32 v0, v5, v0, 0x5040100
	v_cndmask_b32_e32 v1, 0x7fc0, v1, vcc_lo
	v_cmp_o_f32_e32 vcc_lo, v111, v111
	s_waitcnt_vscnt null, 0x0
	s_barrier
	buffer_gl0_inv
	s_mov_b32 s51, s67
	v_cndmask_b32_e32 v4, 0x7fc0, v4, vcc_lo
	v_cmp_o_f32_e32 vcc_lo, v112, v112
	s_lshl_b64 s[34:35], s[50:51], 1
	v_cndmask_b32_e32 v6, 0x7fc0, v6, vcc_lo
	v_cmp_o_f32_e32 vcc_lo, v115, v115
	v_cndmask_b32_e32 v2, 0x7fc0, v2, vcc_lo
	v_cmp_o_f32_e32 vcc_lo, v118, v118
	s_delay_alu instid0(VALU_DEP_2)
	v_perm_b32 v2, v2, v1, 0x5040100
	v_cndmask_b32_e32 v9, 0x7fc0, v3, vcc_lo
	v_perm_b32 v3, v6, v4, 0x5040100
	v_add3_u32 v6, v109, v7, 0x7fff
	v_bfe_u32 v7, v106, 16, 1
	v_cmp_o_f32_e32 vcc_lo, v109, v109
	v_perm_b32 v1, v9, v8, 0x5040100
	v_add3_u32 v8, v107, v10, 0x7fff
	v_lshrrev_b32_e32 v6, 16, v6
	v_add3_u32 v7, v106, v7, 0x7fff
	v_bfe_u32 v10, v103, 16, 1
	v_bfe_u32 v4, v110, 16, 1
	s_delay_alu instid0(VALU_DEP_4) | instskip(NEXT) | instid1(VALU_DEP_4)
	v_cndmask_b32_e32 v9, 0x7fc0, v6, vcc_lo
	v_lshrrev_b32_e32 v6, 16, v7
	v_lshrrev_b32_e32 v7, 16, v8
	v_bfe_u32 v8, v102, 16, 1
	v_cmp_o_f32_e32 vcc_lo, v106, v106
	v_add3_u32 v4, v110, v4, 0x7fff
	s_delay_alu instid0(VALU_DEP_3)
	v_add3_u32 v8, v102, v8, 0x7fff
	v_cndmask_b32_e32 v13, 0x7fc0, v6, vcc_lo
	v_cmp_o_f32_e32 vcc_lo, v107, v107
	v_add3_u32 v6, v103, v10, 0x7fff
	v_add3_u32 v10, v104, v12, 0x7fff
	v_lshrrev_b32_e32 v4, 16, v4
	v_cndmask_b32_e32 v12, 0x7fc0, v7, vcc_lo
	v_lshrrev_b32_e32 v7, 16, v8
	v_cmp_o_f32_e32 vcc_lo, v102, v102
	v_lshrrev_b32_e32 v8, 16, v11
	v_lshrrev_b32_e32 v10, 16, v10
	;; [unrolled: 1-line block ×3, first 2 shown]
	v_perm_b32 v5, v12, v13, 0x5040100
	v_cndmask_b32_e32 v11, 0x7fc0, v7, vcc_lo
	v_cmp_o_f32_e32 vcc_lo, v101, v101
	v_cndmask_b32_e32 v7, 0x7fc0, v8, vcc_lo
	v_cmp_o_f32_e32 vcc_lo, v104, v104
	;; [unrolled: 2-line block ×3, first 2 shown]
	s_delay_alu instid0(VALU_DEP_2) | instskip(SKIP_2) | instid1(VALU_DEP_2)
	v_perm_b32 v7, v8, v7, 0x5040100
	v_cndmask_b32_e32 v6, 0x7fc0, v6, vcc_lo
	v_cmp_o_f32_e32 vcc_lo, v110, v110
	v_perm_b32 v6, v6, v11, 0x5040100
	v_cndmask_b32_e32 v4, 0x7fc0, v4, vcc_lo
	s_delay_alu instid0(VALU_DEP_1)
	v_perm_b32 v4, v4, v9, 0x5040100
	ds_store_b128 v52, v[0:3]
	ds_store_b128 v52, v[4:7] offset:16
	; wave barrier
	ds_load_u16 v16, v37 offset:64
	ds_load_u16 v15, v38 offset:128
	;; [unrolled: 1-line block ×15, first 2 shown]
	v_add_co_u32 v0, vcc_lo, v72, s34
	v_add_co_ci_u32_e32 v1, vcc_lo, s35, v73, vcc_lo
	s_and_saveexec_b32 s29, s13
	s_cbranch_execnz .LBB29_271
; %bb.205:                              ;   in Loop: Header=BB29_12 Depth=1
	s_or_b32 exec_lo, exec_lo, s29
	s_and_saveexec_b32 s29, s14
	s_cbranch_execnz .LBB29_272
.LBB29_206:                             ;   in Loop: Header=BB29_12 Depth=1
	s_or_b32 exec_lo, exec_lo, s29
	s_and_saveexec_b32 s29, s15
	s_cbranch_execnz .LBB29_273
.LBB29_207:                             ;   in Loop: Header=BB29_12 Depth=1
	s_or_b32 exec_lo, exec_lo, s29
	s_and_saveexec_b32 s29, s16
	s_cbranch_execnz .LBB29_274
.LBB29_208:                             ;   in Loop: Header=BB29_12 Depth=1
	s_or_b32 exec_lo, exec_lo, s29
	s_and_saveexec_b32 s29, s17
	s_cbranch_execnz .LBB29_275
.LBB29_209:                             ;   in Loop: Header=BB29_12 Depth=1
	s_or_b32 exec_lo, exec_lo, s29
	s_and_saveexec_b32 s29, s18
	s_cbranch_execnz .LBB29_276
.LBB29_210:                             ;   in Loop: Header=BB29_12 Depth=1
	s_or_b32 exec_lo, exec_lo, s29
	s_and_saveexec_b32 s29, s19
	s_cbranch_execnz .LBB29_277
.LBB29_211:                             ;   in Loop: Header=BB29_12 Depth=1
	s_or_b32 exec_lo, exec_lo, s29
	s_and_saveexec_b32 s29, s20
	s_cbranch_execnz .LBB29_278
.LBB29_212:                             ;   in Loop: Header=BB29_12 Depth=1
	s_or_b32 exec_lo, exec_lo, s29
	s_and_saveexec_b32 s29, s21
	s_cbranch_execnz .LBB29_279
.LBB29_213:                             ;   in Loop: Header=BB29_12 Depth=1
	s_or_b32 exec_lo, exec_lo, s29
	s_and_saveexec_b32 s29, s22
	s_cbranch_execnz .LBB29_280
.LBB29_214:                             ;   in Loop: Header=BB29_12 Depth=1
	s_or_b32 exec_lo, exec_lo, s29
	s_and_saveexec_b32 s29, s23
	s_cbranch_execnz .LBB29_281
.LBB29_215:                             ;   in Loop: Header=BB29_12 Depth=1
	s_or_b32 exec_lo, exec_lo, s29
	s_and_saveexec_b32 s29, s24
	s_cbranch_execnz .LBB29_282
.LBB29_216:                             ;   in Loop: Header=BB29_12 Depth=1
	s_or_b32 exec_lo, exec_lo, s29
	s_and_saveexec_b32 s29, s25
	s_cbranch_execnz .LBB29_283
.LBB29_217:                             ;   in Loop: Header=BB29_12 Depth=1
	s_or_b32 exec_lo, exec_lo, s29
	s_and_saveexec_b32 s29, s26
	s_cbranch_execnz .LBB29_284
.LBB29_218:                             ;   in Loop: Header=BB29_12 Depth=1
	s_or_b32 exec_lo, exec_lo, s29
	s_and_saveexec_b32 s29, s27
	s_cbranch_execnz .LBB29_285
.LBB29_219:                             ;   in Loop: Header=BB29_12 Depth=1
	s_or_b32 exec_lo, exec_lo, s29
	s_and_saveexec_b32 s29, s28
	s_cbranch_execz .LBB29_221
.LBB29_220:                             ;   in Loop: Header=BB29_12 Depth=1
	s_waitcnt lgkmcnt(0)
	global_store_b16 v[0:1], v2, off offset:960
.LBB29_221:                             ;   in Loop: Header=BB29_12 Depth=1
	s_or_b32 exec_lo, exec_lo, s29
	v_add_co_u32 v0, vcc_lo, v74, s34
	v_add_co_ci_u32_e32 v1, vcc_lo, s35, v75, vcc_lo
	s_waitcnt lgkmcnt(0)
	v_dual_mov_b32 v2, 0 :: v_dual_mov_b32 v3, 0
	s_waitcnt_vscnt null, 0x0
	s_barrier
	buffer_gl0_inv
	s_and_saveexec_b32 s29, s13
	s_cbranch_execz .LBB29_223
; %bb.222:                              ;   in Loop: Header=BB29_12 Depth=1
	global_load_u16 v3, v[0:1], off
.LBB29_223:                             ;   in Loop: Header=BB29_12 Depth=1
	s_or_b32 exec_lo, exec_lo, s29
	s_and_saveexec_b32 s29, s14
	s_cbranch_execz .LBB29_225
; %bb.224:                              ;   in Loop: Header=BB29_12 Depth=1
	global_load_u16 v2, v[0:1], off offset:64
.LBB29_225:                             ;   in Loop: Header=BB29_12 Depth=1
	s_or_b32 exec_lo, exec_lo, s29
	v_dual_mov_b32 v4, 0 :: v_dual_mov_b32 v5, 0
	s_and_saveexec_b32 s29, s15
	s_cbranch_execz .LBB29_227
; %bb.226:                              ;   in Loop: Header=BB29_12 Depth=1
	global_load_u16 v5, v[0:1], off offset:128
.LBB29_227:                             ;   in Loop: Header=BB29_12 Depth=1
	s_or_b32 exec_lo, exec_lo, s29
	s_and_saveexec_b32 s29, s16
	s_cbranch_execz .LBB29_229
; %bb.228:                              ;   in Loop: Header=BB29_12 Depth=1
	global_load_u16 v4, v[0:1], off offset:192
.LBB29_229:                             ;   in Loop: Header=BB29_12 Depth=1
	s_or_b32 exec_lo, exec_lo, s29
	v_dual_mov_b32 v6, 0 :: v_dual_mov_b32 v7, 0
	s_and_saveexec_b32 s29, s17
	s_cbranch_execz .LBB29_231
; %bb.230:                              ;   in Loop: Header=BB29_12 Depth=1
	global_load_u16 v7, v[0:1], off offset:256
.LBB29_231:                             ;   in Loop: Header=BB29_12 Depth=1
	;; [unrolled: 13-line block ×7, first 2 shown]
	s_or_b32 exec_lo, exec_lo, s29
	s_and_saveexec_b32 s29, s28
	s_cbranch_execz .LBB29_253
; %bb.252:                              ;   in Loop: Header=BB29_12 Depth=1
	global_load_u16 v16, v[0:1], off offset:960
.LBB29_253:                             ;   in Loop: Header=BB29_12 Depth=1
	s_or_b32 exec_lo, exec_lo, s29
	s_waitcnt vmcnt(0)
	ds_store_b16 v37, v3
	ds_store_b16 v37, v2 offset:64
	ds_store_b16 v38, v5 offset:128
	;; [unrolled: 1-line block ×15, first 2 shown]
	; wave barrier
	ds_load_b128 v[4:7], v52
	ds_load_b128 v[0:3], v52 offset:16
	s_waitcnt lgkmcnt(0)
	s_barrier
	buffer_gl0_inv
	v_and_b32_e32 v8, 0xffff0000, v4
	v_and_b32_e32 v15, 0xffff0000, v5
	;; [unrolled: 1-line block ×3, first 2 shown]
	v_lshlrev_b32_e32 v5, 16, v5
	s_delay_alu instid0(VALU_DEP_4) | instskip(NEXT) | instid1(VALU_DEP_3)
	v_mul_f32_e32 v9, 0xbfb8aa3b, v8
	v_mul_f32_e32 v17, 0xbfb8aa3b, v16
	s_delay_alu instid0(VALU_DEP_3) | instskip(NEXT) | instid1(VALU_DEP_3)
	v_cmp_nlt_f32_e64 s30, 0x42ce8ed0, v5
	v_fma_f32 v11, 0xbfb8aa3b, v8, -v9
	v_rndne_f32_e32 v12, v9
	s_delay_alu instid0(VALU_DEP_4) | instskip(NEXT) | instid1(VALU_DEP_3)
	v_rndne_f32_e32 v100, v17
	v_fmac_f32_e32 v11, 0xb2a5705f, v8
	s_delay_alu instid0(VALU_DEP_3) | instskip(SKIP_1) | instid1(VALU_DEP_2)
	v_sub_f32_e32 v9, v9, v12
	v_cvt_i32_f32_e32 v12, v12
	v_add_f32_e32 v9, v9, v11
	v_cmp_nlt_f32_e32 vcc_lo, 0x42ce8ed0, v8
	v_lshlrev_b32_e32 v11, 16, v6
	s_delay_alu instid0(VALU_DEP_3) | instskip(SKIP_2) | instid1(VALU_DEP_1)
	v_exp_f32_e32 v9, v9
	s_waitcnt_depctr 0xfff
	v_ldexp_f32 v9, v9, v12
	v_dual_cndmask_b32 v9, 0, v9 :: v_dual_lshlrev_b32 v4, 16, v4
	s_delay_alu instid0(VALU_DEP_1) | instskip(SKIP_1) | instid1(VALU_DEP_2)
	v_mul_f32_e32 v10, 0xbfb8aa3b, v4
	v_cmp_nlt_f32_e32 vcc_lo, 0x42ce8ed0, v4
	v_rndne_f32_e32 v13, v10
	v_fma_f32 v14, 0xbfb8aa3b, v4, -v10
	s_delay_alu instid0(VALU_DEP_2) | instskip(NEXT) | instid1(VALU_DEP_2)
	v_sub_f32_e32 v10, v10, v13
	v_fmac_f32_e32 v14, 0xb2a5705f, v4
	v_cvt_i32_f32_e32 v13, v13
	s_delay_alu instid0(VALU_DEP_2) | instskip(SKIP_2) | instid1(VALU_DEP_3)
	v_add_f32_e32 v6, v10, v14
	v_mul_f32_e32 v14, 0xbfb8aa3b, v5
	v_mul_f32_e32 v10, 0xbfb8aa3b, v15
	v_exp_f32_e32 v6, v6
	s_delay_alu instid0(VALU_DEP_1) | instskip(SKIP_1) | instid1(VALU_DEP_2)
	v_fma_f32 v94, 0xbfb8aa3b, v15, -v10
	v_rndne_f32_e32 v95, v10
	v_fmac_f32_e32 v94, 0xb2a5705f, v15
	s_waitcnt_depctr 0xfff
	v_ldexp_f32 v6, v6, v13
	v_mul_f32_e32 v13, 0xbfb8aa3b, v11
	v_rndne_f32_e32 v96, v14
	v_fma_f32 v97, 0xbfb8aa3b, v5, -v14
	v_sub_f32_e32 v10, v10, v95
	v_cndmask_b32_e32 v6, 0, v6, vcc_lo
	v_cmp_ngt_f32_e32 vcc_lo, 0xc2b17218, v8
	s_delay_alu instid0(VALU_DEP_4) | instskip(SKIP_4) | instid1(VALU_DEP_2)
	v_dual_sub_f32 v12, v14, v96 :: v_dual_fmac_f32 v97, 0xb2a5705f, v5
	v_cvt_i32_f32_e32 v95, v95
	v_cvt_i32_f32_e32 v96, v96
	v_cndmask_b32_e32 v9, 0x7f800000, v9, vcc_lo
	v_cmp_ngt_f32_e32 vcc_lo, 0xc2b17218, v4
	v_dual_add_f32 v9, 1.0, v9 :: v_dual_cndmask_b32 v6, 0x7f800000, v6
	v_cmp_nlt_f32_e32 vcc_lo, 0x42ce8ed0, v15
	s_delay_alu instid0(VALU_DEP_2) | instskip(NEXT) | instid1(VALU_DEP_3)
	v_div_scale_f32 v14, null, v9, v9, v8
	v_add_f32_e32 v6, 1.0, v6
	s_delay_alu instid0(VALU_DEP_2) | instskip(NEXT) | instid1(VALU_DEP_1)
	v_rcp_f32_e32 v98, v14
	v_div_scale_f32 v113, s29, v4, v6, v4
	v_add_f32_e32 v12, v12, v97
	v_fma_f32 v97, 0xbfb8aa3b, v16, -v17
	v_dual_add_f32 v10, v10, v94 :: v_dual_sub_f32 v17, v17, v100
	v_div_scale_f32 v94, null, v6, v6, v4
	s_delay_alu instid0(VALU_DEP_3) | instskip(NEXT) | instid1(VALU_DEP_3)
	v_fmac_f32_e32 v97, 0xb2a5705f, v16
	v_exp_f32_e32 v10, v10
	v_cvt_i32_f32_e32 v100, v100
	s_delay_alu instid0(VALU_DEP_3) | instskip(NEXT) | instid1(VALU_DEP_2)
	v_rcp_f32_e32 v99, v94
	v_add_f32_e32 v17, v17, v97
	s_waitcnt_depctr 0xfff
	v_ldexp_f32 v10, v10, v95
	v_rndne_f32_e32 v95, v13
	v_fma_f32 v105, -v94, v99, 1.0
	s_delay_alu instid0(VALU_DEP_1) | instskip(NEXT) | instid1(VALU_DEP_1)
	v_fmac_f32_e32 v99, v105, v99
	v_mul_f32_e32 v105, v113, v99
	v_exp_f32_e32 v12, v12
	s_delay_alu instid0(VALU_DEP_1) | instskip(SKIP_2) | instid1(VALU_DEP_3)
	v_fma_f32 v121, -v94, v105, v113
	v_cndmask_b32_e32 v10, 0, v10, vcc_lo
	v_div_scale_f32 v108, vcc_lo, v8, v9, v8
	v_fmac_f32_e32 v105, v121, v99
	s_waitcnt_depctr 0xfff
	v_ldexp_f32 v12, v12, v96
	v_fma_f32 v96, -v14, v98, 1.0
	v_fma_f32 v94, -v94, v105, v113
	s_delay_alu instid0(VALU_DEP_3) | instskip(SKIP_1) | instid1(VALU_DEP_4)
	v_cndmask_b32_e64 v12, 0, v12, s30
	v_cmp_ngt_f32_e64 s30, 0xc2b17218, v15
	v_fmac_f32_e32 v98, v96, v98
	s_delay_alu instid0(VALU_DEP_2) | instskip(SKIP_1) | instid1(VALU_DEP_2)
	v_cndmask_b32_e64 v10, 0x7f800000, v10, s30
	v_cmp_ngt_f32_e64 s30, 0xc2b17218, v5
	v_add_f32_e32 v10, 1.0, v10
	s_delay_alu instid0(VALU_DEP_2) | instskip(SKIP_1) | instid1(VALU_DEP_3)
	v_cndmask_b32_e64 v12, 0x7f800000, v12, s30
	v_cmp_nlt_f32_e64 s30, 0x42ce8ed0, v16
	v_div_scale_f32 v122, null, v10, v10, v15
	s_delay_alu instid0(VALU_DEP_1) | instskip(SKIP_1) | instid1(VALU_DEP_1)
	v_rcp_f32_e32 v121, v122
	v_mul_f32_e32 v96, v108, v98
	v_fma_f32 v116, -v14, v96, v108
	s_delay_alu instid0(VALU_DEP_1) | instskip(NEXT) | instid1(VALU_DEP_1)
	v_fmac_f32_e32 v96, v116, v98
	v_fma_f32 v14, -v14, v96, v108
	v_sub_f32_e32 v108, v13, v95
	v_fma_f32 v13, 0xbfb8aa3b, v11, -v13
	v_add_f32_e32 v12, 1.0, v12
	v_cvt_i32_f32_e32 v95, v95
	v_div_fmas_f32 v14, v14, v98, v96
	s_mov_b32 vcc_lo, s29
	v_fmac_f32_e32 v13, 0xb2a5705f, v11
	v_div_scale_f32 v116, null, v12, v12, v5
	v_div_fmas_f32 v94, v94, v99, v105
	v_div_fixup_f32 v8, v14, v9, v8
	v_fma_f32 v9, -v122, v121, 1.0
	s_delay_alu instid0(VALU_DEP_4) | instskip(SKIP_2) | instid1(VALU_DEP_3)
	v_rcp_f32_e32 v96, v116
	v_div_scale_f32 v98, s29, v5, v12, v5
	v_div_fixup_f32 v4, v94, v6, v4
	v_fmac_f32_e32 v121, v9, v121
	s_delay_alu instid0(VALU_DEP_2)
	v_mul_f32_e32 v9, v119, v4
	v_div_scale_f32 v6, vcc_lo, v15, v10, v15
	s_waitcnt_depctr 0xfff
	v_fma_f32 v14, -v116, v96, 1.0
	v_exp_f32_e32 v4, v17
	v_bfe_u32 v97, v9, 16, 1
	s_delay_alu instid0(VALU_DEP_2) | instskip(NEXT) | instid1(VALU_DEP_2)
	v_fmac_f32_e32 v96, v14, v96
	v_add3_u32 v14, v9, v97, 0x7fff
	s_delay_alu instid0(VALU_DEP_2) | instskip(SKIP_2) | instid1(VALU_DEP_4)
	v_mul_f32_e32 v97, v98, v96
	v_add_f32_e32 v13, v108, v13
	v_mul_f32_e32 v94, v6, v121
	v_lshrrev_b32_e32 v14, 16, v14
	s_delay_alu instid0(TRANS32_DEP_1) | instskip(NEXT) | instid1(VALU_DEP_4)
	v_ldexp_f32 v4, v4, v100
	v_exp_f32_e32 v13, v13
	s_delay_alu instid0(VALU_DEP_3) | instskip(NEXT) | instid1(VALU_DEP_2)
	v_fma_f32 v99, -v122, v94, v6
	v_cndmask_b32_e64 v4, 0, v4, s30
	s_delay_alu instid0(VALU_DEP_2) | instskip(SKIP_1) | instid1(VALU_DEP_2)
	v_fmac_f32_e32 v94, v99, v121
	v_fma_f32 v99, -v116, v97, v98
	v_fma_f32 v6, -v122, v94, v6
	s_delay_alu instid0(VALU_DEP_2) | instskip(SKIP_1) | instid1(VALU_DEP_3)
	v_fmac_f32_e32 v97, v99, v96
	v_lshlrev_b32_e32 v99, 16, v7
	v_div_fmas_f32 v6, v6, v121, v94
	v_cmp_ngt_f32_e32 vcc_lo, 0xc2b17218, v16
	s_delay_alu instid0(VALU_DEP_3) | instskip(NEXT) | instid1(VALU_DEP_3)
	v_mul_f32_e32 v100, 0xbfb8aa3b, v99
	v_div_fixup_f32 v6, v6, v10, v15
	v_cndmask_b32_e32 v94, 0x7f800000, v4, vcc_lo
	v_mul_f32_e32 v8, v120, v8
	v_ldexp_f32 v10, v13, v95
	v_fma_f32 v113, 0xbfb8aa3b, v99, -v100
	s_delay_alu instid0(VALU_DEP_4) | instskip(NEXT) | instid1(VALU_DEP_4)
	v_add_f32_e32 v13, 1.0, v94
	v_bfe_u32 v17, v8, 16, 1
	v_cmp_o_f32_e32 vcc_lo, v8, v8
	s_delay_alu instid0(VALU_DEP_4) | instskip(NEXT) | instid1(VALU_DEP_4)
	v_fmac_f32_e32 v113, 0xb2a5705f, v99
	v_div_scale_f32 v15, null, v13, v13, v16
	s_delay_alu instid0(VALU_DEP_4) | instskip(SKIP_1) | instid1(VALU_DEP_2)
	v_add3_u32 v17, v8, v17, 0x7fff
	v_fma_f32 v8, -v116, v97, v98
	v_lshrrev_b32_e32 v17, 16, v17
	s_delay_alu instid0(VALU_DEP_1) | instskip(SKIP_1) | instid1(VALU_DEP_3)
	v_cndmask_b32_e32 v4, 0x7fc0, v17, vcc_lo
	s_mov_b32 vcc_lo, s29
	v_div_fmas_f32 v8, v8, v96, v97
	v_cmp_nlt_f32_e32 vcc_lo, 0x42ce8ed0, v11
	s_delay_alu instid0(VALU_DEP_2) | instskip(SKIP_3) | instid1(VALU_DEP_3)
	v_div_fixup_f32 v5, v8, v12, v5
	v_cndmask_b32_e32 v10, 0, v10, vcc_lo
	v_cmp_ngt_f32_e32 vcc_lo, 0xc2b17218, v11
	v_rcp_f32_e32 v8, v15
	v_mul_f32_e32 v12, v117, v5
	s_delay_alu instid0(VALU_DEP_3)
	v_cndmask_b32_e32 v10, 0x7f800000, v10, vcc_lo
	v_cmp_o_f32_e32 vcc_lo, v9, v9
	v_cndmask_b32_e32 v5, 0x7fc0, v14, vcc_lo
	v_and_b32_e32 v14, 0xffff0000, v7
	s_waitcnt_depctr 0xfff
	v_fma_f32 v94, -v15, v8, 1.0
	v_div_scale_f32 v7, vcc_lo, v16, v13, v16
	v_mul_f32_e32 v96, 0xbfb8aa3b, v14
	s_delay_alu instid0(VALU_DEP_3) | instskip(NEXT) | instid1(VALU_DEP_2)
	v_fmac_f32_e32 v8, v94, v8
	v_fma_f32 v97, 0xbfb8aa3b, v14, -v96
	v_rndne_f32_e32 v98, v96
	s_delay_alu instid0(VALU_DEP_3) | instskip(NEXT) | instid1(VALU_DEP_3)
	v_mul_f32_e32 v105, v7, v8
	v_fmac_f32_e32 v97, 0xb2a5705f, v14
	v_bfe_u32 v17, v12, 16, 1
	s_delay_alu instid0(VALU_DEP_3) | instskip(SKIP_1) | instid1(VALU_DEP_3)
	v_fma_f32 v116, -v15, v105, v7
	v_mul_f32_e32 v6, v118, v6
	v_add3_u32 v17, v12, v17, 0x7fff
	s_delay_alu instid0(VALU_DEP_3) | instskip(NEXT) | instid1(VALU_DEP_3)
	v_fmac_f32_e32 v105, v116, v8
	v_bfe_u32 v9, v6, 16, 1
	v_cmp_o_f32_e64 s30, v6, v6
	s_delay_alu instid0(VALU_DEP_4) | instskip(SKIP_1) | instid1(VALU_DEP_4)
	v_lshrrev_b32_e32 v17, 16, v17
	v_sub_f32_e32 v96, v96, v98
	v_add3_u32 v9, v6, v9, 0x7fff
	v_cvt_i32_f32_e32 v98, v98
	v_fma_f32 v7, -v15, v105, v7
	s_delay_alu instid0(VALU_DEP_4) | instskip(NEXT) | instid1(VALU_DEP_4)
	v_add_f32_e32 v96, v96, v97
	v_lshrrev_b32_e32 v9, 16, v9
	v_rndne_f32_e32 v97, v100
	s_delay_alu instid0(VALU_DEP_4)
	v_div_fmas_f32 v7, v7, v8, v105
	v_cmp_ngt_f32_e32 vcc_lo, 0xc2b17218, v14
	v_exp_f32_e32 v96, v96
	v_cndmask_b32_e64 v6, 0x7fc0, v9, s30
	v_cmp_nlt_f32_e64 s30, 0x42ce8ed0, v14
	v_sub_f32_e32 v100, v100, v97
	v_cvt_i32_f32_e32 v97, v97
	v_div_fixup_f32 v13, v7, v13, v16
	s_delay_alu instid0(VALU_DEP_3) | instskip(NEXT) | instid1(TRANS32_DEP_1)
	v_add_f32_e32 v100, v100, v113
	v_ldexp_f32 v9, v96, v98
	s_delay_alu instid0(VALU_DEP_2) | instskip(NEXT) | instid1(VALU_DEP_1)
	v_exp_f32_e32 v96, v100
	v_cndmask_b32_e64 v9, 0, v9, s30
	s_delay_alu instid0(VALU_DEP_1) | instskip(NEXT) | instid1(VALU_DEP_1)
	v_dual_add_f32 v10, 1.0, v10 :: v_dual_cndmask_b32 v9, 0x7f800000, v9
	v_div_scale_f32 v95, null, v10, v10, v11
	s_waitcnt_depctr 0xfff
	v_ldexp_f32 v8, v96, v97
	v_cmp_nlt_f32_e32 vcc_lo, 0x42ce8ed0, v99
	v_add_f32_e32 v9, 1.0, v9
	v_rcp_f32_e32 v94, v95
	s_delay_alu instid0(VALU_DEP_3) | instskip(SKIP_2) | instid1(VALU_DEP_1)
	v_cndmask_b32_e32 v8, 0, v8, vcc_lo
	s_waitcnt_depctr 0xfff
	v_fma_f32 v108, -v95, v94, 1.0
	v_fmac_f32_e32 v94, v108, v94
	v_div_scale_f32 v108, s29, v11, v10, v11
	s_delay_alu instid0(VALU_DEP_1) | instskip(NEXT) | instid1(VALU_DEP_1)
	s_mov_b32 vcc_lo, s29
	v_mul_f32_e32 v113, v108, v94
	v_div_scale_f32 v16, null, v9, v9, v14
	s_delay_alu instid0(VALU_DEP_2) | instskip(NEXT) | instid1(VALU_DEP_1)
	v_fma_f32 v15, -v95, v113, v108
	v_fmac_f32_e32 v113, v15, v94
	s_delay_alu instid0(VALU_DEP_1) | instskip(NEXT) | instid1(VALU_DEP_1)
	v_fma_f32 v7, -v95, v113, v108
	v_div_fmas_f32 v15, v7, v94, v113
	v_cmp_ngt_f32_e32 vcc_lo, 0xc2b17218, v99
	s_delay_alu instid0(VALU_DEP_2)
	v_div_fixup_f32 v10, v15, v10, v11
	v_cndmask_b32_e32 v8, 0x7f800000, v8, vcc_lo
	v_cmp_o_f32_e32 vcc_lo, v12, v12
	v_mul_f32_e32 v11, v115, v13
	v_rcp_f32_e32 v12, v16
	v_and_b32_e32 v13, 0xffff0000, v0
	v_dual_cndmask_b32 v7, 0x7fc0, v17 :: v_dual_lshlrev_b32 v0, 16, v0
	v_div_scale_f32 v105, vcc_lo, v14, v9, v14
	s_delay_alu instid0(VALU_DEP_3) | instskip(SKIP_3) | instid1(TRANS32_DEP_1)
	v_mul_f32_e32 v94, 0xbfb8aa3b, v13
	v_mul_f32_e32 v10, v114, v10
	v_cmp_nlt_f32_e64 s30, 0x42ce8ed0, v13
	v_bfe_u32 v15, v11, 16, 1
	v_fma_f32 v96, -v16, v12, 1.0
	v_fma_f32 v98, 0xbfb8aa3b, v13, -v94
	v_rndne_f32_e32 v100, v94
	s_delay_alu instid0(VALU_DEP_4) | instskip(NEXT) | instid1(VALU_DEP_4)
	v_add3_u32 v15, v11, v15, 0x7fff
	v_fmac_f32_e32 v12, v96, v12
	s_delay_alu instid0(VALU_DEP_4) | instskip(NEXT) | instid1(VALU_DEP_4)
	v_fmac_f32_e32 v98, 0xb2a5705f, v13
	v_sub_f32_e32 v94, v94, v100
	v_mul_f32_e32 v96, 0xbfb8aa3b, v0
	v_cvt_i32_f32_e32 v100, v100
	v_lshrrev_b32_e32 v15, 16, v15
	s_delay_alu instid0(VALU_DEP_4) | instskip(NEXT) | instid1(VALU_DEP_4)
	v_add_f32_e32 v94, v94, v98
	v_rndne_f32_e32 v98, v96
	v_fma_f32 v113, 0xbfb8aa3b, v0, -v96
	s_delay_alu instid0(VALU_DEP_1) | instskip(SKIP_1) | instid1(VALU_DEP_2)
	v_dual_sub_f32 v96, v96, v98 :: v_dual_fmac_f32 v113, 0xb2a5705f, v0
	v_cvt_i32_f32_e32 v98, v98
	v_add_f32_e32 v96, v96, v113
	s_delay_alu instid0(VALU_DEP_1) | instskip(SKIP_4) | instid1(VALU_DEP_1)
	v_exp_f32_e32 v96, v96
	s_waitcnt_depctr 0xfff
	v_ldexp_f32 v96, v96, v98
	v_and_b32_e32 v98, 0xffff0000, v1
	v_dual_mul_f32 v114, v105, v12 :: v_dual_lshlrev_b32 v1, 16, v1
	v_fma_f32 v113, -v16, v114, v105
	s_delay_alu instid0(VALU_DEP_1) | instskip(NEXT) | instid1(VALU_DEP_1)
	v_fmac_f32_e32 v114, v113, v12
	v_fma_f32 v16, -v16, v114, v105
	s_delay_alu instid0(VALU_DEP_1) | instskip(SKIP_1) | instid1(VALU_DEP_2)
	v_div_fmas_f32 v12, v16, v12, v114
	v_cmp_nlt_f32_e32 vcc_lo, 0x42ce8ed0, v0
	v_div_fixup_f32 v9, v12, v9, v14
	s_delay_alu instid0(VALU_DEP_1) | instskip(NEXT) | instid1(VALU_DEP_1)
	v_dual_add_f32 v8, 1.0, v8 :: v_dual_mul_f32 v9, v112, v9
	v_div_scale_f32 v17, null, v8, v8, v99
	v_mul_f32_e32 v112, 0xbfb8aa3b, v1
	s_delay_alu instid0(VALU_DEP_2) | instskip(NEXT) | instid1(VALU_DEP_1)
	v_rcp_f32_e32 v97, v17
	v_fma_f32 v113, 0xbfb8aa3b, v1, -v112
	s_delay_alu instid0(VALU_DEP_1) | instskip(SKIP_3) | instid1(VALU_DEP_1)
	v_fmac_f32_e32 v113, 0xb2a5705f, v1
	v_exp_f32_e32 v94, v94
	s_waitcnt_depctr 0xfff
	v_fma_f32 v108, -v17, v97, 1.0
	v_fmac_f32_e32 v97, v108, v97
	v_div_scale_f32 v108, s29, v99, v8, v99
	v_ldexp_f32 v94, v94, v100
	s_delay_alu instid0(VALU_DEP_2) | instskip(NEXT) | instid1(VALU_DEP_2)
	v_mul_f32_e32 v115, v108, v97
	v_cndmask_b32_e64 v94, 0, v94, s30
	v_cmp_ngt_f32_e64 s30, 0xc2b17218, v13
	s_delay_alu instid0(VALU_DEP_3) | instskip(NEXT) | instid1(VALU_DEP_2)
	v_fma_f32 v100, -v17, v115, v108
	v_cndmask_b32_e64 v94, 0x7f800000, v94, s30
	v_cmp_nlt_f32_e64 s30, 0x42ce8ed0, v98
	s_delay_alu instid0(VALU_DEP_3) | instskip(NEXT) | instid1(VALU_DEP_3)
	v_dual_fmac_f32 v115, v100, v97 :: v_dual_mul_f32 v100, 0xbfb8aa3b, v98
	v_add_f32_e32 v16, 1.0, v94
	v_cndmask_b32_e32 v94, 0, v96, vcc_lo
	s_delay_alu instid0(VALU_DEP_3) | instskip(SKIP_3) | instid1(VALU_DEP_3)
	v_fma_f32 v17, -v17, v115, v108
	s_mov_b32 vcc_lo, s29
	v_fma_f32 v14, 0xbfb8aa3b, v98, -v100
	v_div_scale_f32 v96, null, v16, v16, v13
	v_div_fmas_f32 v17, v17, v97, v115
	v_cmp_ngt_f32_e32 vcc_lo, 0xc2b17218, v0
	s_delay_alu instid0(VALU_DEP_4) | instskip(NEXT) | instid1(VALU_DEP_4)
	v_fmac_f32_e32 v14, 0xb2a5705f, v98
	v_rcp_f32_e32 v97, v96
	s_delay_alu instid0(VALU_DEP_3) | instskip(SKIP_2) | instid1(VALU_DEP_3)
	v_div_fixup_f32 v8, v17, v8, v99
	v_cndmask_b32_e32 v94, 0x7f800000, v94, vcc_lo
	v_cmp_o_f32_e32 vcc_lo, v11, v11
	v_mul_f32_e32 v8, v111, v8
	s_delay_alu instid0(VALU_DEP_3) | instskip(SKIP_1) | instid1(TRANS32_DEP_1)
	v_dual_add_f32 v12, 1.0, v94 :: v_dual_cndmask_b32 v11, 0x7fc0, v15
	v_rndne_f32_e32 v15, v100
	v_fma_f32 v17, -v96, v97, 1.0
	s_delay_alu instid0(VALU_DEP_2) | instskip(NEXT) | instid1(VALU_DEP_2)
	v_sub_f32_e32 v99, v100, v15
	v_fmac_f32_e32 v97, v17, v97
	v_bfe_u32 v95, v10, 16, 1
	v_cmp_o_f32_e64 s29, v10, v10
	v_cvt_i32_f32_e32 v15, v15
	v_add_f32_e32 v14, v99, v14
	v_div_scale_f32 v99, vcc_lo, v13, v16, v13
	v_add3_u32 v95, v10, v95, 0x7fff
	v_bfe_u32 v100, v8, 16, 1
	s_delay_alu instid0(VALU_DEP_4) | instskip(NEXT) | instid1(VALU_DEP_3)
	v_exp_f32_e32 v14, v14
	v_mul_f32_e32 v105, v99, v97
	v_div_scale_f32 v94, null, v12, v12, v0
	v_lshrrev_b32_e32 v95, 16, v95
	v_add3_u32 v100, v8, v100, 0x7fff
	s_delay_alu instid0(VALU_DEP_4) | instskip(NEXT) | instid1(VALU_DEP_4)
	v_fma_f32 v111, -v96, v105, v99
	v_rcp_f32_e32 v17, v94
	s_delay_alu instid0(VALU_DEP_3) | instskip(NEXT) | instid1(TRANS32_DEP_2)
	v_cndmask_b32_e64 v10, 0x7fc0, v95, s29
	v_ldexp_f32 v14, v14, v15
	v_div_scale_f32 v15, s29, v0, v12, v0
	v_fmac_f32_e32 v105, v111, v97
	v_bfe_u32 v95, v9, 16, 1
	s_delay_alu instid0(VALU_DEP_4) | instskip(SKIP_1) | instid1(TRANS32_DEP_1)
	v_cndmask_b32_e64 v14, 0, v14, s30
	v_cmp_ngt_f32_e64 s30, 0xc2b17218, v98
	v_fma_f32 v108, -v94, v17, 1.0
	v_fma_f32 v96, -v96, v105, v99
	v_add3_u32 v95, v9, v95, 0x7fff
	s_delay_alu instid0(VALU_DEP_4) | instskip(NEXT) | instid1(VALU_DEP_4)
	v_cndmask_b32_e64 v14, 0x7f800000, v14, s30
	v_fmac_f32_e32 v17, v108, v17
	v_rndne_f32_e32 v108, v112
	v_div_fmas_f32 v96, v96, v97, v105
	s_mov_b32 vcc_lo, s29
	v_add_f32_e32 v14, 1.0, v14
	v_mul_f32_e32 v114, v15, v17
	v_sub_f32_e32 v112, v112, v108
	v_div_fixup_f32 v13, v96, v16, v13
	v_lshrrev_b32_e32 v16, 16, v95
	v_cmp_o_f32_e64 s29, v9, v9
	v_fma_f32 v111, -v94, v114, v15
	v_add_f32_e32 v112, v112, v113
	s_delay_alu instid0(VALU_DEP_3) | instskip(NEXT) | instid1(VALU_DEP_3)
	v_cndmask_b32_e64 v9, 0x7fc0, v16, s29
	v_fmac_f32_e32 v114, v111, v17
	s_delay_alu instid0(VALU_DEP_3) | instskip(SKIP_2) | instid1(VALU_DEP_3)
	v_exp_f32_e32 v99, v112
	v_div_scale_f32 v111, null, v14, v14, v98
	v_cmp_o_f32_e64 s29, v8, v8
	v_fma_f32 v15, -v94, v114, v15
	v_cvt_i32_f32_e32 v94, v108
	s_delay_alu instid0(VALU_DEP_4) | instskip(NEXT) | instid1(VALU_DEP_2)
	v_rcp_f32_e32 v97, v111
	v_div_fmas_f32 v15, v15, v17, v114
	s_delay_alu instid0(TRANS32_DEP_2) | instid1(VALU_DEP_2)
	v_ldexp_f32 v17, v99, v94
	v_cmp_nlt_f32_e32 vcc_lo, 0x42ce8ed0, v1
	v_lshrrev_b32_e32 v94, 16, v100
	v_and_b32_e32 v100, 0xffff0000, v2
	v_div_fixup_f32 v0, v15, v12, v0
	v_mul_f32_e32 v12, v110, v13
	v_cndmask_b32_e32 v13, 0, v17, vcc_lo
	v_cmp_ngt_f32_e32 vcc_lo, 0xc2b17218, v1
	v_fma_f32 v15, -v111, v97, 1.0
	v_mul_f32_e32 v0, v109, v0
	v_bfe_u32 v17, v12, 16, 1
	v_cndmask_b32_e64 v8, 0x7fc0, v94, s29
	v_cndmask_b32_e32 v13, 0x7f800000, v13, vcc_lo
	v_fmac_f32_e32 v97, v15, v97
	v_div_scale_f32 v15, vcc_lo, v98, v14, v98
	v_add3_u32 v17, v12, v17, 0x7fff
	s_delay_alu instid0(VALU_DEP_4) | instskip(SKIP_1) | instid1(VALU_DEP_4)
	v_add_f32_e32 v13, 1.0, v13
	v_bfe_u32 v16, v0, 16, 1
	v_mul_f32_e32 v95, v15, v97
	v_cmp_o_f32_e64 s29, v12, v12
	v_lshrrev_b32_e32 v17, 16, v17
	v_div_scale_f32 v96, null, v13, v13, v1
	s_delay_alu instid0(VALU_DEP_4) | instskip(SKIP_1) | instid1(VALU_DEP_4)
	v_fma_f32 v94, -v111, v95, v15
	v_add3_u32 v16, v0, v16, 0x7fff
	v_cndmask_b32_e64 v12, 0x7fc0, v17, s29
	s_delay_alu instid0(VALU_DEP_4) | instskip(SKIP_4) | instid1(VALU_DEP_3)
	v_rcp_f32_e32 v99, v96
	v_cmp_o_f32_e64 s29, v0, v0
	v_fmac_f32_e32 v95, v94, v97
	v_mul_f32_e32 v17, 0xbfb8aa3b, v100
	v_lshrrev_b32_e32 v16, 16, v16
	v_fma_f32 v0, -v111, v95, v15
	s_delay_alu instid0(VALU_DEP_3) | instskip(SKIP_1) | instid1(TRANS32_DEP_1)
	v_fma_f32 v94, 0xbfb8aa3b, v100, -v17
	v_rndne_f32_e32 v105, v17
	v_fma_f32 v15, -v96, v99, 1.0
	v_cndmask_b32_e64 v16, 0x7fc0, v16, s29
	v_div_fmas_f32 v0, v0, v97, v95
	v_div_scale_f32 v95, vcc_lo, v1, v13, v1
	s_delay_alu instid0(VALU_DEP_4) | instskip(SKIP_3) | instid1(VALU_DEP_4)
	v_dual_fmac_f32 v99, v15, v99 :: v_dual_fmac_f32 v94, 0xb2a5705f, v100
	v_sub_f32_e32 v17, v17, v105
	v_cvt_i32_f32_e32 v105, v105
	v_cmp_nlt_f32_e64 s29, 0x42ce8ed0, v100
	v_mul_f32_e32 v97, v95, v99
	v_div_fixup_f32 v0, v0, v14, v98
	v_dual_add_f32 v17, v17, v94 :: v_dual_and_b32 v98, 0xffff0000, v3
	v_lshlrev_b32_e32 v3, 16, v3
	s_delay_alu instid0(VALU_DEP_4) | instskip(NEXT) | instid1(VALU_DEP_4)
	v_fma_f32 v108, -v96, v97, v95
	v_mul_f32_e32 v0, v107, v0
	s_delay_alu instid0(VALU_DEP_4) | instskip(SKIP_1) | instid1(VALU_DEP_3)
	v_exp_f32_e32 v17, v17
	v_mul_f32_e32 v109, 0xbfb8aa3b, v98
	v_fmac_f32_e32 v97, v108, v99
	s_delay_alu instid0(VALU_DEP_2) | instskip(NEXT) | instid1(VALU_DEP_2)
	v_rndne_f32_e32 v108, v109
	v_fma_f32 v95, -v96, v97, v95
	s_waitcnt_depctr 0xfff
	v_ldexp_f32 v17, v17, v105
	v_mul_f32_e32 v105, 0xbfb8aa3b, v3
	v_div_fmas_f32 v95, v95, v99, v97
	s_delay_alu instid0(VALU_DEP_3) | instskip(SKIP_1) | instid1(VALU_DEP_4)
	v_cndmask_b32_e64 v17, 0, v17, s29
	v_cmp_ngt_f32_e64 s29, 0xc2b17218, v100
	v_rndne_f32_e32 v110, v105
	s_delay_alu instid0(VALU_DEP_4)
	v_div_fixup_f32 v1, v95, v13, v1
	v_lshlrev_b32_e32 v2, 16, v2
	v_fma_f32 v111, 0xbfb8aa3b, v3, -v105
	v_cndmask_b32_e64 v17, 0x7f800000, v17, s29
	v_sub_f32_e32 v105, v105, v110
	v_mul_f32_e32 v1, v106, v1
	v_mul_f32_e32 v15, 0xbfb8aa3b, v2
	v_fmac_f32_e32 v111, 0xb2a5705f, v3
	v_add_f32_e32 v17, 1.0, v17
	v_cmp_nlt_f32_e64 s29, 0x42ce8ed0, v2
	v_bfe_u32 v116, v1, 16, 1
	v_rndne_f32_e32 v14, v15
	v_fma_f32 v94, 0xbfb8aa3b, v2, -v15
	v_div_scale_f32 v99, vcc_lo, v100, v17, v100
	s_delay_alu instid0(VALU_DEP_3) | instskip(NEXT) | instid1(VALU_DEP_3)
	v_sub_f32_e32 v15, v15, v14
	v_fmac_f32_e32 v94, 0xb2a5705f, v2
	v_cvt_i32_f32_e32 v14, v14
	s_delay_alu instid0(VALU_DEP_2) | instskip(SKIP_2) | instid1(VALU_DEP_3)
	v_add_f32_e32 v15, v15, v94
	v_fma_f32 v94, 0xbfb8aa3b, v98, -v109
	v_sub_f32_e32 v109, v109, v108
	v_exp_f32_e32 v15, v15
	s_delay_alu instid0(VALU_DEP_2)
	v_fmac_f32_e32 v94, 0xb2a5705f, v98
	s_waitcnt_depctr 0xfff
	v_ldexp_f32 v14, v15, v14
	v_add_f32_e32 v15, v109, v94
	v_add_f32_e32 v94, v105, v111
	v_cvt_i32_f32_e32 v105, v108
	v_div_scale_f32 v108, null, v17, v17, v100
	v_cvt_i32_f32_e32 v109, v110
	s_delay_alu instid0(VALU_DEP_4) | instskip(SKIP_1) | instid1(VALU_DEP_2)
	v_exp_f32_e32 v94, v94
	v_exp_f32_e32 v15, v15
	v_rcp_f32_e32 v96, v108
	v_cndmask_b32_e64 v14, 0, v14, s29
	v_cmp_ngt_f32_e64 s29, 0xc2b17218, v2
	s_delay_alu instid0(VALU_DEP_1) | instskip(NEXT) | instid1(TRANS32_DEP_3)
	v_cndmask_b32_e64 v14, 0x7f800000, v14, s29
	v_ldexp_f32 v94, v94, v109
	s_waitcnt_depctr 0xfff
	v_ldexp_f32 v15, v15, v105
	v_fma_f32 v109, -v108, v96, 1.0
	s_delay_alu instid0(VALU_DEP_1) | instskip(NEXT) | instid1(VALU_DEP_1)
	v_fmac_f32_e32 v96, v109, v96
	v_mul_f32_e32 v13, v99, v96
	s_delay_alu instid0(VALU_DEP_1) | instskip(NEXT) | instid1(VALU_DEP_1)
	v_fma_f32 v113, -v108, v13, v99
	v_fmac_f32_e32 v13, v113, v96
	v_cmp_nlt_f32_e64 s29, 0x42ce8ed0, v98
	s_delay_alu instid0(VALU_DEP_2) | instskip(NEXT) | instid1(VALU_DEP_2)
	v_fma_f32 v99, -v108, v13, v99
	v_cndmask_b32_e64 v15, 0, v15, s29
	v_cmp_nlt_f32_e64 s29, 0x42ce8ed0, v3
	s_delay_alu instid0(VALU_DEP_1) | instskip(SKIP_1) | instid1(VALU_DEP_1)
	v_cndmask_b32_e64 v94, 0, v94, s29
	v_cmp_ngt_f32_e64 s29, 0xc2b17218, v98
	v_cndmask_b32_e64 v15, 0x7f800000, v15, s29
	v_cmp_ngt_f32_e64 s29, 0xc2b17218, v3
	s_delay_alu instid0(VALU_DEP_2) | instskip(NEXT) | instid1(VALU_DEP_2)
	v_add_f32_e32 v15, 1.0, v15
	v_cndmask_b32_e64 v94, 0x7f800000, v94, s29
	s_delay_alu instid0(VALU_DEP_2) | instskip(NEXT) | instid1(VALU_DEP_2)
	v_div_scale_f32 v97, null, v15, v15, v98
	v_add_f32_e32 v94, 1.0, v94
	s_delay_alu instid0(VALU_DEP_2) | instskip(NEXT) | instid1(VALU_DEP_1)
	v_rcp_f32_e32 v111, v97
	v_div_scale_f32 v112, null, v94, v94, v3
	s_delay_alu instid0(VALU_DEP_1) | instskip(SKIP_2) | instid1(VALU_DEP_1)
	v_rcp_f32_e32 v95, v112
	s_waitcnt_depctr 0xfff
	v_fma_f32 v115, -v112, v95, 1.0
	v_fmac_f32_e32 v95, v115, v95
	v_div_scale_f32 v115, s31, v3, v94, v3
	v_add_f32_e32 v14, 1.0, v14
	s_delay_alu instid0(VALU_DEP_1) | instskip(SKIP_1) | instid1(VALU_DEP_2)
	v_div_scale_f32 v105, null, v14, v14, v2
	v_div_scale_f32 v107, s29, v2, v14, v2
	v_rcp_f32_e32 v110, v105
	s_waitcnt_depctr 0xfff
	v_fma_f32 v109, -v105, v110, 1.0
	s_delay_alu instid0(VALU_DEP_1) | instskip(SKIP_1) | instid1(VALU_DEP_1)
	v_fmac_f32_e32 v110, v109, v110
	v_fma_f32 v109, -v97, v111, 1.0
	v_dual_mul_f32 v114, v107, v110 :: v_dual_fmac_f32 v111, v109, v111
	v_div_scale_f32 v109, s30, v98, v15, v98
	s_delay_alu instid0(VALU_DEP_2) | instskip(NEXT) | instid1(VALU_DEP_2)
	v_fma_f32 v113, -v105, v114, v107
	v_mul_f32_e32 v117, v109, v111
	s_delay_alu instid0(VALU_DEP_2) | instskip(NEXT) | instid1(VALU_DEP_2)
	v_dual_fmac_f32 v114, v113, v110 :: v_dual_mul_f32 v113, v115, v95
	v_fma_f32 v108, -v97, v117, v109
	s_delay_alu instid0(VALU_DEP_1) | instskip(SKIP_1) | instid1(VALU_DEP_4)
	v_fmac_f32_e32 v117, v108, v111
	v_div_fmas_f32 v13, v99, v96, v13
	v_fma_f32 v96, -v105, v114, v107
	s_mov_b32 vcc_lo, s29
	v_fma_f32 v99, -v112, v113, v115
	s_delay_alu instid0(VALU_DEP_3)
	v_div_fixup_f32 v13, v13, v17, v100
	v_fma_f32 v17, -v97, v117, v109
	v_div_fmas_f32 v96, v96, v110, v114
	s_mov_b32 vcc_lo, s30
	v_fmac_f32_e32 v113, v99, v95
	v_mul_f32_e32 v13, v103, v13
	v_div_fmas_f32 v17, v17, v111, v117
	v_div_fixup_f32 v2, v96, v14, v2
	s_mov_b32 vcc_lo, s31
	v_fma_f32 v14, -v112, v113, v115
	v_add3_u32 v99, v1, v116, 0x7fff
	v_div_fixup_f32 v15, v17, v15, v98
	v_mul_f32_e32 v2, v102, v2
	v_bfe_u32 v17, v13, 16, 1
	v_div_fmas_f32 v14, v14, v95, v113
	s_delay_alu instid0(VALU_DEP_4) | instskip(SKIP_2) | instid1(VALU_DEP_4)
	v_mul_f32_e32 v15, v104, v15
	v_bfe_u32 v106, v0, 16, 1
	v_cmp_o_f32_e32 vcc_lo, v0, v0
	v_div_fixup_f32 v3, v14, v94, v3
	v_lshrrev_b32_e32 v14, 16, v99
	v_bfe_u32 v94, v2, 16, 1
	v_add3_u32 v106, v0, v106, 0x7fff
	v_add3_u32 v0, v13, v17, 0x7fff
	v_mul_f32_e32 v3, v101, v3
	s_delay_alu instid0(VALU_DEP_4) | instskip(NEXT) | instid1(VALU_DEP_4)
	v_add3_u32 v17, v2, v94, 0x7fff
	v_lshrrev_b32_e32 v95, 16, v106
	v_bfe_u32 v94, v15, 16, 1
	v_lshrrev_b32_e32 v0, 16, v0
	v_bfe_u32 v96, v3, 16, 1
	v_lshrrev_b32_e32 v17, 16, v17
	v_cndmask_b32_e32 v95, 0x7fc0, v95, vcc_lo
	v_cmp_o_f32_e32 vcc_lo, v1, v1
	v_add3_u32 v1, v15, v94, 0x7fff
	v_add3_u32 v94, v3, v96, 0x7fff
	v_cndmask_b32_e32 v14, 0x7fc0, v14, vcc_lo
	v_cmp_o_f32_e32 vcc_lo, v13, v13
	v_cndmask_b32_e32 v13, 0x7fc0, v0, vcc_lo
	v_cmp_o_f32_e32 vcc_lo, v2, v2
	v_lshrrev_b32_e32 v0, 16, v1
	v_lshrrev_b32_e32 v1, 16, v94
	v_perm_b32 v2, v11, v10, 0x5040100
	v_cndmask_b32_e32 v17, 0x7fc0, v17, vcc_lo
	v_cmp_o_f32_e32 vcc_lo, v15, v15
	v_cndmask_b32_e32 v15, 0x7fc0, v0, vcc_lo
	v_cmp_o_f32_e32 vcc_lo, v3, v3
	v_perm_b32 v3, v9, v8, 0x5040100
	v_perm_b32 v0, v4, v5, 0x5040100
	v_perm_b32 v5, v95, v14, 0x5040100
	v_perm_b32 v4, v12, v16, 0x5040100
	v_cndmask_b32_e32 v94, 0x7fc0, v1, vcc_lo
	v_perm_b32 v1, v6, v7, 0x5040100
	v_perm_b32 v6, v13, v17, 0x5040100
	s_delay_alu instid0(VALU_DEP_3)
	v_perm_b32 v7, v15, v94, 0x5040100
	ds_store_b128 v52, v[0:3]
	ds_store_b128 v52, v[4:7] offset:16
	; wave barrier
	ds_load_u16 v16, v37 offset:64
	ds_load_u16 v15, v38 offset:128
	ds_load_u16 v14, v39 offset:192
	ds_load_u16 v13, v40 offset:256
	ds_load_u16 v12, v41 offset:320
	ds_load_u16 v11, v42 offset:384
	ds_load_u16 v10, v43 offset:448
	ds_load_u16 v9, v44 offset:512
	ds_load_u16 v8, v45 offset:576
	ds_load_u16 v7, v46 offset:640
	ds_load_u16 v6, v47 offset:704
	ds_load_u16 v5, v48 offset:768
	ds_load_u16 v4, v49 offset:832
	ds_load_u16 v3, v50 offset:896
	ds_load_u16 v2, v51 offset:960
	v_add_co_u32 v0, vcc_lo, v76, s34
	v_add_co_ci_u32_e32 v1, vcc_lo, s35, v77, vcc_lo
	s_and_saveexec_b32 s29, s13
	s_cbranch_execnz .LBB29_286
; %bb.254:                              ;   in Loop: Header=BB29_12 Depth=1
	s_or_b32 exec_lo, exec_lo, s29
	s_and_saveexec_b32 s13, s14
	s_cbranch_execnz .LBB29_287
.LBB29_255:                             ;   in Loop: Header=BB29_12 Depth=1
	s_or_b32 exec_lo, exec_lo, s13
	s_and_saveexec_b32 s13, s15
	s_cbranch_execnz .LBB29_288
.LBB29_256:                             ;   in Loop: Header=BB29_12 Depth=1
	s_or_b32 exec_lo, exec_lo, s13
	s_and_saveexec_b32 s13, s16
	s_cbranch_execnz .LBB29_289
.LBB29_257:                             ;   in Loop: Header=BB29_12 Depth=1
	s_or_b32 exec_lo, exec_lo, s13
	s_and_saveexec_b32 s13, s17
	s_cbranch_execnz .LBB29_290
.LBB29_258:                             ;   in Loop: Header=BB29_12 Depth=1
	s_or_b32 exec_lo, exec_lo, s13
	s_and_saveexec_b32 s13, s18
	s_cbranch_execnz .LBB29_291
.LBB29_259:                             ;   in Loop: Header=BB29_12 Depth=1
	s_or_b32 exec_lo, exec_lo, s13
	s_and_saveexec_b32 s13, s19
	s_cbranch_execnz .LBB29_292
.LBB29_260:                             ;   in Loop: Header=BB29_12 Depth=1
	s_or_b32 exec_lo, exec_lo, s13
	s_and_saveexec_b32 s13, s20
	s_cbranch_execnz .LBB29_293
.LBB29_261:                             ;   in Loop: Header=BB29_12 Depth=1
	s_or_b32 exec_lo, exec_lo, s13
	s_and_saveexec_b32 s13, s21
	s_cbranch_execnz .LBB29_294
.LBB29_262:                             ;   in Loop: Header=BB29_12 Depth=1
	s_or_b32 exec_lo, exec_lo, s13
	s_and_saveexec_b32 s13, s22
	s_cbranch_execnz .LBB29_295
.LBB29_263:                             ;   in Loop: Header=BB29_12 Depth=1
	s_or_b32 exec_lo, exec_lo, s13
	s_and_saveexec_b32 s13, s23
	s_cbranch_execnz .LBB29_296
.LBB29_264:                             ;   in Loop: Header=BB29_12 Depth=1
	s_or_b32 exec_lo, exec_lo, s13
	s_and_saveexec_b32 s13, s24
	s_cbranch_execnz .LBB29_297
.LBB29_265:                             ;   in Loop: Header=BB29_12 Depth=1
	s_or_b32 exec_lo, exec_lo, s13
	s_and_saveexec_b32 s13, s25
	s_cbranch_execnz .LBB29_298
.LBB29_266:                             ;   in Loop: Header=BB29_12 Depth=1
	s_or_b32 exec_lo, exec_lo, s13
	s_and_saveexec_b32 s13, s26
	s_cbranch_execnz .LBB29_299
.LBB29_267:                             ;   in Loop: Header=BB29_12 Depth=1
	s_or_b32 exec_lo, exec_lo, s13
	s_and_saveexec_b32 s13, s27
	s_cbranch_execnz .LBB29_300
.LBB29_268:                             ;   in Loop: Header=BB29_12 Depth=1
	s_or_b32 exec_lo, exec_lo, s13
	s_and_saveexec_b32 s13, s28
	s_cbranch_execz .LBB29_11
	s_branch .LBB29_301
.LBB29_269:                             ;   in Loop: Header=BB29_12 Depth=1
	global_load_u16 v101, v[8:9], off offset:832
	s_or_b32 exec_lo, exec_lo, s29
	s_and_saveexec_b32 s29, s27
	s_cbranch_execz .LBB29_72
.LBB29_270:                             ;   in Loop: Header=BB29_12 Depth=1
	global_load_u16 v100, v[8:9], off offset:896
	s_or_b32 exec_lo, exec_lo, s29
	v_mov_b32_e32 v102, 0
	s_and_saveexec_b32 s29, s28
	s_cbranch_execnz .LBB29_73
	s_branch .LBB29_74
.LBB29_271:                             ;   in Loop: Header=BB29_12 Depth=1
	ds_load_u16 v17, v37
	s_waitcnt lgkmcnt(0)
	global_store_b16 v[0:1], v17, off
	s_or_b32 exec_lo, exec_lo, s29
	s_and_saveexec_b32 s29, s14
	s_cbranch_execz .LBB29_206
.LBB29_272:                             ;   in Loop: Header=BB29_12 Depth=1
	s_waitcnt lgkmcnt(14)
	global_store_b16 v[0:1], v16, off offset:64
	s_or_b32 exec_lo, exec_lo, s29
	s_and_saveexec_b32 s29, s15
	s_cbranch_execz .LBB29_207
.LBB29_273:                             ;   in Loop: Header=BB29_12 Depth=1
	s_waitcnt lgkmcnt(13)
	global_store_b16 v[0:1], v15, off offset:128
	s_or_b32 exec_lo, exec_lo, s29
	s_and_saveexec_b32 s29, s16
	s_cbranch_execz .LBB29_208
.LBB29_274:                             ;   in Loop: Header=BB29_12 Depth=1
	s_waitcnt lgkmcnt(12)
	global_store_b16 v[0:1], v14, off offset:192
	s_or_b32 exec_lo, exec_lo, s29
	s_and_saveexec_b32 s29, s17
	s_cbranch_execz .LBB29_209
.LBB29_275:                             ;   in Loop: Header=BB29_12 Depth=1
	s_waitcnt lgkmcnt(11)
	global_store_b16 v[0:1], v13, off offset:256
	s_or_b32 exec_lo, exec_lo, s29
	s_and_saveexec_b32 s29, s18
	s_cbranch_execz .LBB29_210
.LBB29_276:                             ;   in Loop: Header=BB29_12 Depth=1
	s_waitcnt lgkmcnt(10)
	global_store_b16 v[0:1], v12, off offset:320
	s_or_b32 exec_lo, exec_lo, s29
	s_and_saveexec_b32 s29, s19
	s_cbranch_execz .LBB29_211
.LBB29_277:                             ;   in Loop: Header=BB29_12 Depth=1
	s_waitcnt lgkmcnt(9)
	global_store_b16 v[0:1], v11, off offset:384
	s_or_b32 exec_lo, exec_lo, s29
	s_and_saveexec_b32 s29, s20
	s_cbranch_execz .LBB29_212
.LBB29_278:                             ;   in Loop: Header=BB29_12 Depth=1
	s_waitcnt lgkmcnt(8)
	global_store_b16 v[0:1], v10, off offset:448
	s_or_b32 exec_lo, exec_lo, s29
	s_and_saveexec_b32 s29, s21
	s_cbranch_execz .LBB29_213
.LBB29_279:                             ;   in Loop: Header=BB29_12 Depth=1
	s_waitcnt lgkmcnt(7)
	global_store_b16 v[0:1], v9, off offset:512
	s_or_b32 exec_lo, exec_lo, s29
	s_and_saveexec_b32 s29, s22
	s_cbranch_execz .LBB29_214
.LBB29_280:                             ;   in Loop: Header=BB29_12 Depth=1
	s_waitcnt lgkmcnt(6)
	global_store_b16 v[0:1], v8, off offset:576
	s_or_b32 exec_lo, exec_lo, s29
	s_and_saveexec_b32 s29, s23
	s_cbranch_execz .LBB29_215
.LBB29_281:                             ;   in Loop: Header=BB29_12 Depth=1
	s_waitcnt lgkmcnt(5)
	global_store_b16 v[0:1], v7, off offset:640
	s_or_b32 exec_lo, exec_lo, s29
	s_and_saveexec_b32 s29, s24
	s_cbranch_execz .LBB29_216
.LBB29_282:                             ;   in Loop: Header=BB29_12 Depth=1
	s_waitcnt lgkmcnt(4)
	global_store_b16 v[0:1], v6, off offset:704
	s_or_b32 exec_lo, exec_lo, s29
	s_and_saveexec_b32 s29, s25
	s_cbranch_execz .LBB29_217
.LBB29_283:                             ;   in Loop: Header=BB29_12 Depth=1
	s_waitcnt lgkmcnt(3)
	global_store_b16 v[0:1], v5, off offset:768
	s_or_b32 exec_lo, exec_lo, s29
	s_and_saveexec_b32 s29, s26
	s_cbranch_execz .LBB29_218
.LBB29_284:                             ;   in Loop: Header=BB29_12 Depth=1
	s_waitcnt lgkmcnt(2)
	global_store_b16 v[0:1], v4, off offset:832
	s_or_b32 exec_lo, exec_lo, s29
	s_and_saveexec_b32 s29, s27
	s_cbranch_execz .LBB29_219
.LBB29_285:                             ;   in Loop: Header=BB29_12 Depth=1
	s_waitcnt lgkmcnt(1)
	global_store_b16 v[0:1], v3, off offset:896
	s_or_b32 exec_lo, exec_lo, s29
	s_and_saveexec_b32 s29, s28
	s_cbranch_execnz .LBB29_220
	s_branch .LBB29_221
.LBB29_286:                             ;   in Loop: Header=BB29_12 Depth=1
	ds_load_u16 v17, v37
	s_waitcnt lgkmcnt(0)
	global_store_b16 v[0:1], v17, off
	s_or_b32 exec_lo, exec_lo, s29
	s_and_saveexec_b32 s13, s14
	s_cbranch_execz .LBB29_255
.LBB29_287:                             ;   in Loop: Header=BB29_12 Depth=1
	s_waitcnt lgkmcnt(14)
	global_store_b16 v[0:1], v16, off offset:64
	s_or_b32 exec_lo, exec_lo, s13
	s_and_saveexec_b32 s13, s15
	s_cbranch_execz .LBB29_256
.LBB29_288:                             ;   in Loop: Header=BB29_12 Depth=1
	s_waitcnt lgkmcnt(13)
	global_store_b16 v[0:1], v15, off offset:128
	s_or_b32 exec_lo, exec_lo, s13
	s_and_saveexec_b32 s13, s16
	s_cbranch_execz .LBB29_257
.LBB29_289:                             ;   in Loop: Header=BB29_12 Depth=1
	s_waitcnt lgkmcnt(12)
	global_store_b16 v[0:1], v14, off offset:192
	s_or_b32 exec_lo, exec_lo, s13
	s_and_saveexec_b32 s13, s17
	s_cbranch_execz .LBB29_258
.LBB29_290:                             ;   in Loop: Header=BB29_12 Depth=1
	s_waitcnt lgkmcnt(11)
	global_store_b16 v[0:1], v13, off offset:256
	s_or_b32 exec_lo, exec_lo, s13
	s_and_saveexec_b32 s13, s18
	s_cbranch_execz .LBB29_259
.LBB29_291:                             ;   in Loop: Header=BB29_12 Depth=1
	s_waitcnt lgkmcnt(10)
	global_store_b16 v[0:1], v12, off offset:320
	s_or_b32 exec_lo, exec_lo, s13
	s_and_saveexec_b32 s13, s19
	s_cbranch_execz .LBB29_260
.LBB29_292:                             ;   in Loop: Header=BB29_12 Depth=1
	s_waitcnt lgkmcnt(9)
	global_store_b16 v[0:1], v11, off offset:384
	s_or_b32 exec_lo, exec_lo, s13
	s_and_saveexec_b32 s13, s20
	s_cbranch_execz .LBB29_261
.LBB29_293:                             ;   in Loop: Header=BB29_12 Depth=1
	s_waitcnt lgkmcnt(8)
	global_store_b16 v[0:1], v10, off offset:448
	s_or_b32 exec_lo, exec_lo, s13
	s_and_saveexec_b32 s13, s21
	s_cbranch_execz .LBB29_262
.LBB29_294:                             ;   in Loop: Header=BB29_12 Depth=1
	s_waitcnt lgkmcnt(7)
	global_store_b16 v[0:1], v9, off offset:512
	s_or_b32 exec_lo, exec_lo, s13
	s_and_saveexec_b32 s13, s22
	s_cbranch_execz .LBB29_263
.LBB29_295:                             ;   in Loop: Header=BB29_12 Depth=1
	s_waitcnt lgkmcnt(6)
	global_store_b16 v[0:1], v8, off offset:576
	s_or_b32 exec_lo, exec_lo, s13
	s_and_saveexec_b32 s13, s23
	s_cbranch_execz .LBB29_264
.LBB29_296:                             ;   in Loop: Header=BB29_12 Depth=1
	s_waitcnt lgkmcnt(5)
	global_store_b16 v[0:1], v7, off offset:640
	s_or_b32 exec_lo, exec_lo, s13
	s_and_saveexec_b32 s13, s24
	s_cbranch_execz .LBB29_265
.LBB29_297:                             ;   in Loop: Header=BB29_12 Depth=1
	s_waitcnt lgkmcnt(4)
	global_store_b16 v[0:1], v6, off offset:704
	s_or_b32 exec_lo, exec_lo, s13
	s_and_saveexec_b32 s13, s25
	s_cbranch_execz .LBB29_266
.LBB29_298:                             ;   in Loop: Header=BB29_12 Depth=1
	s_waitcnt lgkmcnt(3)
	global_store_b16 v[0:1], v5, off offset:768
	s_or_b32 exec_lo, exec_lo, s13
	s_and_saveexec_b32 s13, s26
	s_cbranch_execz .LBB29_267
.LBB29_299:                             ;   in Loop: Header=BB29_12 Depth=1
	s_waitcnt lgkmcnt(2)
	global_store_b16 v[0:1], v4, off offset:832
	s_or_b32 exec_lo, exec_lo, s13
	s_and_saveexec_b32 s13, s27
	s_cbranch_execz .LBB29_268
.LBB29_300:                             ;   in Loop: Header=BB29_12 Depth=1
	s_waitcnt lgkmcnt(1)
	global_store_b16 v[0:1], v3, off offset:896
	s_or_b32 exec_lo, exec_lo, s13
	s_and_saveexec_b32 s13, s28
	s_cbranch_execz .LBB29_11
.LBB29_301:                             ;   in Loop: Header=BB29_12 Depth=1
	s_waitcnt lgkmcnt(0)
	global_store_b16 v[0:1], v2, off offset:960
	s_branch .LBB29_11
.LBB29_302:
	s_nop 0
	s_sendmsg sendmsg(MSG_DEALLOC_VGPRS)
	s_endpgm
	.section	.rodata,"a",@progbits
	.p2align	6, 0x0
	.amdhsa_kernel _Z25selective_scan_fwd_kernelI32Selective_Scan_fwd_kernel_traitsILi128ELi16ELi1ELb0ELb1ELb1ELb1ELb0EN3c108BFloat16EfS2_EEv13SSMParamsBase
		.amdhsa_group_segment_fixed_size 0
		.amdhsa_private_segment_fixed_size 0
		.amdhsa_kernarg_size 248
		.amdhsa_user_sgpr_count 14
		.amdhsa_user_sgpr_dispatch_ptr 0
		.amdhsa_user_sgpr_queue_ptr 0
		.amdhsa_user_sgpr_kernarg_segment_ptr 1
		.amdhsa_user_sgpr_dispatch_id 0
		.amdhsa_user_sgpr_private_segment_size 0
		.amdhsa_wavefront_size32 1
		.amdhsa_uses_dynamic_stack 0
		.amdhsa_enable_private_segment 0
		.amdhsa_system_sgpr_workgroup_id_x 1
		.amdhsa_system_sgpr_workgroup_id_y 1
		.amdhsa_system_sgpr_workgroup_id_z 0
		.amdhsa_system_sgpr_workgroup_info 0
		.amdhsa_system_vgpr_workitem_id 0
		.amdhsa_next_free_vgpr 177
		.amdhsa_next_free_sgpr 92
		.amdhsa_reserve_vcc 1
		.amdhsa_float_round_mode_32 0
		.amdhsa_float_round_mode_16_64 0
		.amdhsa_float_denorm_mode_32 3
		.amdhsa_float_denorm_mode_16_64 3
		.amdhsa_dx10_clamp 1
		.amdhsa_ieee_mode 1
		.amdhsa_fp16_overflow 0
		.amdhsa_workgroup_processor_mode 1
		.amdhsa_memory_ordered 1
		.amdhsa_forward_progress 0
		.amdhsa_shared_vgpr_count 0
		.amdhsa_exception_fp_ieee_invalid_op 0
		.amdhsa_exception_fp_denorm_src 0
		.amdhsa_exception_fp_ieee_div_zero 0
		.amdhsa_exception_fp_ieee_overflow 0
		.amdhsa_exception_fp_ieee_underflow 0
		.amdhsa_exception_fp_ieee_inexact 0
		.amdhsa_exception_int_div_zero 0
	.end_amdhsa_kernel
	.section	.text._Z25selective_scan_fwd_kernelI32Selective_Scan_fwd_kernel_traitsILi128ELi16ELi1ELb0ELb1ELb1ELb1ELb0EN3c108BFloat16EfS2_EEv13SSMParamsBase,"axG",@progbits,_Z25selective_scan_fwd_kernelI32Selective_Scan_fwd_kernel_traitsILi128ELi16ELi1ELb0ELb1ELb1ELb1ELb0EN3c108BFloat16EfS2_EEv13SSMParamsBase,comdat
.Lfunc_end29:
	.size	_Z25selective_scan_fwd_kernelI32Selective_Scan_fwd_kernel_traitsILi128ELi16ELi1ELb0ELb1ELb1ELb1ELb0EN3c108BFloat16EfS2_EEv13SSMParamsBase, .Lfunc_end29-_Z25selective_scan_fwd_kernelI32Selective_Scan_fwd_kernel_traitsILi128ELi16ELi1ELb0ELb1ELb1ELb1ELb0EN3c108BFloat16EfS2_EEv13SSMParamsBase
                                        ; -- End function
	.section	.AMDGPU.csdata,"",@progbits
; Kernel info:
; codeLenInByte = 27100
; NumSgprs: 94
; NumVgprs: 177
; ScratchSize: 0
; MemoryBound: 0
; FloatMode: 240
; IeeeMode: 1
; LDSByteSize: 0 bytes/workgroup (compile time only)
; SGPRBlocks: 11
; VGPRBlocks: 22
; NumSGPRsForWavesPerEU: 94
; NumVGPRsForWavesPerEU: 177
; Occupancy: 8
; WaveLimiterHint : 0
; COMPUTE_PGM_RSRC2:SCRATCH_EN: 0
; COMPUTE_PGM_RSRC2:USER_SGPR: 14
; COMPUTE_PGM_RSRC2:TRAP_HANDLER: 0
; COMPUTE_PGM_RSRC2:TGID_X_EN: 1
; COMPUTE_PGM_RSRC2:TGID_Y_EN: 1
; COMPUTE_PGM_RSRC2:TGID_Z_EN: 0
; COMPUTE_PGM_RSRC2:TIDIG_COMP_CNT: 0
	.section	.text._Z25selective_scan_fwd_kernelI32Selective_Scan_fwd_kernel_traitsILi128ELi16ELi1ELb0ELb1ELb1ELb0ELb1EN3c108BFloat16EfS2_EEv13SSMParamsBase,"axG",@progbits,_Z25selective_scan_fwd_kernelI32Selective_Scan_fwd_kernel_traitsILi128ELi16ELi1ELb0ELb1ELb1ELb0ELb1EN3c108BFloat16EfS2_EEv13SSMParamsBase,comdat
	.protected	_Z25selective_scan_fwd_kernelI32Selective_Scan_fwd_kernel_traitsILi128ELi16ELi1ELb0ELb1ELb1ELb0ELb1EN3c108BFloat16EfS2_EEv13SSMParamsBase ; -- Begin function _Z25selective_scan_fwd_kernelI32Selective_Scan_fwd_kernel_traitsILi128ELi16ELi1ELb0ELb1ELb1ELb0ELb1EN3c108BFloat16EfS2_EEv13SSMParamsBase
	.globl	_Z25selective_scan_fwd_kernelI32Selective_Scan_fwd_kernel_traitsILi128ELi16ELi1ELb0ELb1ELb1ELb0ELb1EN3c108BFloat16EfS2_EEv13SSMParamsBase
	.p2align	8
	.type	_Z25selective_scan_fwd_kernelI32Selective_Scan_fwd_kernel_traitsILi128ELi16ELi1ELb0ELb1ELb1ELb0ELb1EN3c108BFloat16EfS2_EEv13SSMParamsBase,@function
_Z25selective_scan_fwd_kernelI32Selective_Scan_fwd_kernel_traitsILi128ELi16ELi1ELb0ELb1ELb1ELb0ELb1EN3c108BFloat16EfS2_EEv13SSMParamsBase: ; @_Z25selective_scan_fwd_kernelI32Selective_Scan_fwd_kernel_traitsILi128ELi16ELi1ELb0ELb1ELb1ELb0ELb1EN3c108BFloat16EfS2_EEv13SSMParamsBase
; %bb.0:
	s_clause 0x2
	s_load_b32 s36, s[0:1], 0x18
	s_load_b128 s[4:7], s[0:1], 0xe0
	s_load_b64 s[10:11], s[0:1], 0xf0
	s_mov_b32 s12, s15
	s_ashr_i32 s15, s14, 31
	s_mov_b32 s66, 0
	s_lshl_b64 s[8:9], s[14:15], 2
	s_waitcnt lgkmcnt(0)
	s_abs_i32 s33, s36
	s_add_u32 s2, s4, s8
	v_cvt_f32_u32_e32 v1, s33
	s_addc_u32 s3, s5, s9
	s_cmp_eq_u64 s[10:11], 0
	s_delay_alu instid0(VALU_DEP_1) | instskip(SKIP_2) | instid1(VALU_DEP_1)
	v_rcp_iflag_f32_e32 v1, v1
	s_waitcnt_depctr 0xfff
	v_mul_f32_e32 v1, 0x4f7ffffe, v1
	v_cvt_u32_f32_e32 v1, v1
	s_delay_alu instid0(VALU_DEP_1)
	v_readfirstlane_b32 s37, v1
	s_cbranch_scc1 .LBB30_2
; %bb.1:
	v_mov_b32_e32 v1, 0
	s_add_u32 s4, s10, s14
	s_addc_u32 s5, s11, s15
	global_load_u8 v1, v1, s[4:5]
	s_waitcnt vmcnt(0)
	v_and_b32_e32 v1, 1, v1
	s_delay_alu instid0(VALU_DEP_1)
	v_cmp_eq_u32_e64 s66, 1, v1
.LBB30_2:
	s_load_b64 s[4:5], s[0:1], 0x20
	s_cmp_eq_u64 s[6:7], 0
	s_cbranch_scc1 .LBB30_4
; %bb.3:
	s_add_u32 s6, s6, s8
	s_addc_u32 s7, s7, s9
	s_load_b32 s14, s[6:7], 0x0
	s_waitcnt lgkmcnt(0)
	s_ashr_i32 s15, s14, 31
.LBB30_4:
	s_waitcnt lgkmcnt(0)
	s_cmp_eq_u64 s[4:5], s[14:15]
	s_cbranch_scc1 .LBB30_238
; %bb.5:
	s_load_b512 s[16:31], s[0:1], 0x88
	s_load_b64 s[34:35], s[2:3], 0x0
	s_mov_b32 s67, 0
	s_mov_b32 s68, 0
	s_waitcnt lgkmcnt(0)
	s_cmp_eq_u64 s[22:23], 0
	s_cbranch_scc1 .LBB30_7
; %bb.6:
	s_ashr_i32 s13, s12, 31
	s_delay_alu instid0(SALU_CYCLE_1) | instskip(NEXT) | instid1(SALU_CYCLE_1)
	s_lshl_b64 s[2:3], s[12:13], 2
	s_add_u32 s2, s22, s2
	s_addc_u32 s3, s23, s3
	s_load_b32 s68, s[2:3], 0x0
.LBB30_7:
	s_cmp_eq_u64 s[28:29], 0
	s_cbranch_scc1 .LBB30_9
; %bb.8:
	s_ashr_i32 s13, s12, 31
	s_delay_alu instid0(SALU_CYCLE_1) | instskip(NEXT) | instid1(SALU_CYCLE_1)
	s_lshl_b64 s[2:3], s[12:13], 2
	s_add_u32 s2, s28, s2
	s_addc_u32 s3, s29, s3
	s_load_b32 s67, s[2:3], 0x0
.LBB30_9:
	s_sub_i32 s69, s35, s34
	s_delay_alu instid0(SALU_CYCLE_1)
	s_cmp_lt_i32 s69, 1
	s_cbranch_scc1 .LBB30_238
; %bb.10:
	s_sub_i32 s2, 0, s33
	s_abs_i32 s5, s12
	s_mul_i32 s4, s2, s37
	s_clause 0x1
	s_load_b64 s[2:3], s[0:1], 0x5c
	s_load_b128 s[56:59], s[0:1], 0x4c
	s_mul_hi_u32 s4, s37, s4
	s_ashr_i32 s7, s36, 31
	s_add_i32 s37, s37, s4
	s_ashr_i32 s4, s12, 31
	s_mul_hi_u32 s6, s5, s37
	s_xor_b32 s7, s4, s7
	s_mul_i32 s8, s6, s33
	s_load_b256 s[48:55], s[0:1], 0x2c
	s_sub_i32 s4, s5, s8
	s_add_i32 s5, s6, 1
	s_sub_i32 s8, s4, s33
	s_cmp_ge_u32 s4, s33
	s_mov_b32 s65, 0
	s_cselect_b32 s5, s5, s6
	s_cselect_b32 s4, s8, s4
	s_add_i32 s6, s5, 1
	s_cmp_ge_u32 s4, s33
	s_load_b128 s[60:63], s[0:1], 0x7c
	s_cselect_b32 s4, s6, s5
	s_waitcnt lgkmcnt(0)
	s_mul_i32 s64, s34, s58
	s_xor_b32 s6, s4, s7
	s_lshl_b64 s[4:5], s[64:65], 1
	s_sub_i32 s6, s6, s7
	s_mul_i32 s64, s59, s12
	s_add_u32 s7, s24, s4
	s_addc_u32 s8, s25, s5
	s_lshl_b64 s[4:5], s[64:65], 1
	s_mul_i32 s64, s34, s2
	s_add_u32 s70, s7, s4
	s_addc_u32 s71, s8, s5
	s_lshl_b64 s[4:5], s[64:65], 1
	;; [unrolled: 4-line block ×3, first 2 shown]
	v_dual_mov_b32 v21, 0 :: v_dual_lshlrev_b32 v18, 4, v0
	s_add_u32 s72, s4, s2
	s_mul_i32 s64, s48, s12
	s_addc_u32 s48, s5, s3
	s_load_b64 s[4:5], s[0:1], 0xc8
	s_lshl_b64 s[2:3], s[64:65], 2
	v_mbcnt_lo_u32_b32 v19, -1, 0
	v_and_b32_e32 v1, 0x600, v18
	s_mul_i32 s64, s34, s50
	s_add_u32 s73, s16, s2
	s_addc_u32 s63, s17, s3
	s_lshl_b64 s[2:3], s[64:65], 1
	s_mul_i32 s64, s6, s53
	s_clause 0x2
	s_load_b64 s[16:17], s[0:1], 0x6c
	s_load_b32 s78, s[0:1], 0xc
	s_load_b32 s0, s[0:1], 0x28
	s_add_u32 s7, s18, s2
	v_or_b32_e32 v20, v19, v1
	s_addc_u32 s8, s19, s3
	s_lshl_b64 s[2:3], s[64:65], 1
	s_mul_i32 s64, s34, s54
	s_add_u32 s53, s7, s2
	s_addc_u32 s74, s8, s3
	s_lshl_b64 s[2:3], s[64:65], 1
	s_mul_i32 s64, s6, s57
	v_or_b32_e32 v24, 0x60, v20
	v_and_b32_e32 v14, 0x60, v0
	s_add_u32 s7, s20, s2
	s_addc_u32 s6, s21, s3
	s_lshl_b64 s[2:3], s[64:65], 1
	s_mul_i32 s64, s14, s60
	s_add_u32 s57, s7, s2
	s_addc_u32 s75, s6, s3
	s_lshl_b64 s[2:3], s[64:65], 1
	v_or_b32_e32 v26, 0xa0, v20
	v_or_b32_e32 v28, 0xe0, v20
	;; [unrolled: 1-line block ×5, first 2 shown]
	v_lshrrev_b32_e32 v2, 5, v24
	v_or_b32_e32 v36, 0x1e0, v20
	v_or_b32_e32 v16, v19, v14
	s_mul_i32 s64, s61, s12
	s_waitcnt lgkmcnt(0)
	s_add_u32 s4, s4, s2
	s_addc_u32 s5, s5, s3
	s_lshl_b64 s[2:3], s[64:65], 1
	v_or_b32_e32 v23, 64, v20
	s_add_u32 s76, s4, s2
	v_or_b32_e32 v25, 0x80, v20
	v_or_b32_e32 v27, 0xc0, v20
	;; [unrolled: 1-line block ×6, first 2 shown]
	v_and_b32_e32 v2, 50, v2
	v_lshrrev_b32_e32 v5, 5, v26
	v_lshrrev_b32_e32 v8, 5, v28
	;; [unrolled: 1-line block ×6, first 2 shown]
	v_lshrrev_b16 v50, 1, v16
	s_addc_u32 s77, s5, s3
	s_add_i32 s2, s69, 0x7ff
	v_lshrrev_b32_e32 v3, 5, v1
	s_lshr_b32 s79, s2, 11
	s_bitcmp1_b32 s0, 0
	v_lshrrev_b32_e32 v4, 5, v23
	v_lshrrev_b32_e32 v6, 5, v25
	v_add_lshl_u32 v2, v2, v20, 1
	v_and_b32_e32 v5, 52, v5
	v_lshrrev_b32_e32 v7, 5, v27
	v_and_b32_e32 v8, 54, v8
	v_lshrrev_b32_e32 v10, 5, v29
	;; [unrolled: 2-line block ×5, first 2 shown]
	v_and_b32_e32 v51, 62, v49
	v_lshlrev_b32_e32 v16, 4, v16
	v_and_b32_e32 v52, 62, v50
	s_cselect_b32 s80, -1, 0
	s_cmp_gt_i32 s78, 0
	v_add_lshl_u32 v3, v3, v20, 1
	s_cselect_b32 s81, -1, 0
	s_add_i32 s0, 0, 0x1080
	v_add_lshl_u32 v4, v4, v20, 1
	v_add_lshl_u32 v6, v6, v20, 1
	v_add_nc_u32_e32 v39, 0, v2
	v_add_lshl_u32 v5, v5, v20, 1
	v_add_lshl_u32 v7, v7, v20, 1
	;; [unrolled: 1-line block ×12, first 2 shown]
	v_add_nc_u32_e32 v55, s0, v2
	v_and_b32_e32 v2, 15, v19
	s_and_b32 s1, s69, 0x7ff
	v_add_nc_u32_e32 v51, 0, v67
	v_add_nc_u32_e32 v53, s0, v3
	;; [unrolled: 1-line block ×15, first 2 shown]
	s_cmp_eq_u32 s1, 0
	v_add_nc_u32_e32 v68, s0, v16
	v_cmp_ne_u32_e64 s0, 0, v2
	v_cmp_lt_u32_e64 s1, 1, v2
	v_cmp_lt_u32_e64 s2, 3, v2
	;; [unrolled: 1-line block ×3, first 2 shown]
	v_add_nc_u32_e32 v2, -1, v19
	v_add_nc_u32_e32 v37, 0, v3
	v_lshrrev_b32_e32 v3, 2, v0
	v_add_nc_u32_e32 v41, 0, v5
	v_or_b32_e32 v5, 31, v14
	v_cmp_gt_i32_e32 vcc_lo, 0, v2
	s_mul_i32 s64, s34, s16
	v_and_b32_e32 v3, 24, v3
	s_cselect_b32 s82, -1, 0
	s_lshl_b64 s[14:15], s[64:65], 1
	v_cndmask_b32_e32 v2, v2, v19, vcc_lo
	s_add_i32 s83, s79, -1
	s_mul_i32 s64, s17, s12
	v_cmp_eq_u32_e64 s5, v5, v0
	v_cmp_gt_u32_e64 s6, 4, v0
	v_lshl_add_u32 v70, v0, 3, 0
	v_cmp_gt_u32_e64 s9, 32, v0
	v_cmp_lt_u32_e64 s10, 31, v0
	v_cmp_eq_u32_e64 s11, 0, v0
	s_add_u32 s14, s30, s14
	v_lshlrev_b32_e32 v0, 1, v19
	s_addc_u32 s15, s31, s15
	s_lshl_b64 s[12:13], s[64:65], 1
	v_add_nc_u32_e32 v69, 0, v3
	v_and_b32_e32 v3, 3, v19
	s_add_u32 s12, s14, s12
	v_lshlrev_b32_e32 v71, 2, v2
	s_addc_u32 s13, s15, s13
	v_lshlrev_b32_e32 v2, 1, v1
	v_add_co_u32 v0, s12, s12, v0
	v_add_nc_u32_e32 v38, 0, v4
	v_and_b32_e32 v4, 16, v19
	v_cmp_ne_u32_e64 s7, 0, v3
	v_cmp_lt_u32_e64 s8, 1, v3
	v_add_co_ci_u32_e64 v3, null, s13, 0, s12
	v_add_co_u32 v72, vcc_lo, v0, v2
	v_or_b32_e32 v22, 32, v20
	v_add_nc_u32_e32 v40, 0, v6
	v_add_nc_u32_e32 v42, 0, v7
	;; [unrolled: 1-line block ×11, first 2 shown]
	v_cmp_ne_u32_e64 s4, 0, v4
	v_cmp_eq_u32_e64 s12, 0, v19
	v_add_co_ci_u32_e32 v73, vcc_lo, 0, v3, vcc_lo
	v_or_b32_e32 v74, 1, v18
	v_or_b32_e32 v75, 2, v18
	;; [unrolled: 1-line block ×15, first 2 shown]
	v_lshlrev_b32_e32 v89, 1, v1
	s_mov_b32 s84, 0x3e9b6dac
	s_add_i32 s85, 0, 0x2120
	s_mov_b32 s86, 0
	s_branch .LBB30_12
.LBB30_11:                              ;   in Loop: Header=BB30_12 Depth=1
	s_or_b32 exec_lo, exec_lo, s13
	s_add_u32 s72, s72, 0x1000
	s_addc_u32 s48, s48, 0
	s_add_u32 s70, s70, 0x1000
	s_addc_u32 s71, s71, 0
	;; [unrolled: 2-line block ×4, first 2 shown]
	s_add_i32 s86, s86, 1
	s_delay_alu instid0(SALU_CYCLE_1)
	s_cmp_eq_u32 s86, s79
	s_cbranch_scc1 .LBB30_238
.LBB30_12:                              ; =>This Loop Header: Depth=1
                                        ;     Child Loop BB30_109 Depth 2
	s_waitcnt lgkmcnt(14)
	v_lshlrev_b32_e32 v16, 1, v19
	s_lshl_b32 s50, s86, 11
	s_waitcnt lgkmcnt(0)
	v_mov_b32_e32 v2, 0
	s_sub_i32 s41, s69, s50
	v_add_co_u32 v0, s13, s70, v16
	s_delay_alu instid0(VALU_DEP_1) | instskip(SKIP_1) | instid1(VALU_DEP_3)
	v_add_co_ci_u32_e64 v1, null, s71, 0, s13
	v_cmp_gt_u32_e64 s13, s41, v20
	v_add_co_u32 v0, vcc_lo, v0, v89
	s_delay_alu instid0(VALU_DEP_3)
	v_add_co_ci_u32_e32 v1, vcc_lo, 0, v1, vcc_lo
	s_waitcnt_vscnt null, 0x0
	s_barrier
	buffer_gl0_inv
	s_and_saveexec_b32 s14, s13
	s_cbranch_execz .LBB30_14
; %bb.13:                               ;   in Loop: Header=BB30_12 Depth=1
	global_load_u16 v2, v[0:1], off
.LBB30_14:                              ;   in Loop: Header=BB30_12 Depth=1
	s_or_b32 exec_lo, exec_lo, s14
	v_cmp_gt_u32_e64 s14, s41, v22
	v_dual_mov_b32 v3, 0 :: v_dual_mov_b32 v4, 0
	s_delay_alu instid0(VALU_DEP_2)
	s_and_saveexec_b32 s15, s14
	s_cbranch_execz .LBB30_16
; %bb.15:                               ;   in Loop: Header=BB30_12 Depth=1
	global_load_u16 v4, v[0:1], off offset:64
.LBB30_16:                              ;   in Loop: Header=BB30_12 Depth=1
	s_or_b32 exec_lo, exec_lo, s15
	v_cmp_gt_u32_e64 s15, s41, v23
	s_delay_alu instid0(VALU_DEP_1)
	s_and_saveexec_b32 s16, s15
	s_cbranch_execz .LBB30_18
; %bb.17:                               ;   in Loop: Header=BB30_12 Depth=1
	global_load_u16 v3, v[0:1], off offset:128
.LBB30_18:                              ;   in Loop: Header=BB30_12 Depth=1
	s_or_b32 exec_lo, exec_lo, s16
	v_cmp_gt_u32_e64 s16, s41, v24
	v_dual_mov_b32 v5, 0 :: v_dual_mov_b32 v6, 0
	s_delay_alu instid0(VALU_DEP_2)
	s_and_saveexec_b32 s17, s16
	s_cbranch_execz .LBB30_20
; %bb.19:                               ;   in Loop: Header=BB30_12 Depth=1
	global_load_u16 v6, v[0:1], off offset:192
.LBB30_20:                              ;   in Loop: Header=BB30_12 Depth=1
	s_or_b32 exec_lo, exec_lo, s17
	v_cmp_gt_u32_e64 s17, s41, v25
	s_delay_alu instid0(VALU_DEP_1)
	s_and_saveexec_b32 s18, s17
	s_cbranch_execz .LBB30_22
; %bb.21:                               ;   in Loop: Header=BB30_12 Depth=1
	global_load_u16 v5, v[0:1], off offset:256
.LBB30_22:                              ;   in Loop: Header=BB30_12 Depth=1
	;; [unrolled: 17-line block ×3, first 2 shown]
	s_or_b32 exec_lo, exec_lo, s20
	v_cmp_gt_u32_e64 s20, s41, v28
	v_mov_b32_e32 v9, 0
	v_mov_b32_e32 v11, 0
	s_delay_alu instid0(VALU_DEP_3)
	s_and_saveexec_b32 s21, s20
	s_cbranch_execz .LBB30_28
; %bb.27:                               ;   in Loop: Header=BB30_12 Depth=1
	global_load_u16 v11, v[0:1], off offset:448
.LBB30_28:                              ;   in Loop: Header=BB30_12 Depth=1
	s_or_b32 exec_lo, exec_lo, s21
	v_cmp_gt_u32_e64 s21, s41, v29
	s_delay_alu instid0(VALU_DEP_1)
	s_and_saveexec_b32 s22, s21
	s_cbranch_execz .LBB30_30
; %bb.29:                               ;   in Loop: Header=BB30_12 Depth=1
	global_load_u16 v9, v[0:1], off offset:512
.LBB30_30:                              ;   in Loop: Header=BB30_12 Depth=1
	s_or_b32 exec_lo, exec_lo, s22
	v_cmp_gt_u32_e64 s22, s41, v30
	v_dual_mov_b32 v12, 0 :: v_dual_mov_b32 v13, 0
	s_delay_alu instid0(VALU_DEP_2)
	s_and_saveexec_b32 s23, s22
	s_cbranch_execz .LBB30_32
; %bb.31:                               ;   in Loop: Header=BB30_12 Depth=1
	global_load_u16 v13, v[0:1], off offset:576
.LBB30_32:                              ;   in Loop: Header=BB30_12 Depth=1
	s_or_b32 exec_lo, exec_lo, s23
	v_cmp_gt_u32_e64 s23, s41, v31
	s_delay_alu instid0(VALU_DEP_1)
	s_and_saveexec_b32 s24, s23
	s_cbranch_execz .LBB30_34
; %bb.33:                               ;   in Loop: Header=BB30_12 Depth=1
	global_load_u16 v12, v[0:1], off offset:640
.LBB30_34:                              ;   in Loop: Header=BB30_12 Depth=1
	s_or_b32 exec_lo, exec_lo, s24
	v_cmp_gt_u32_e64 s24, s41, v32
	v_dual_mov_b32 v14, 0 :: v_dual_mov_b32 v15, 0
	s_delay_alu instid0(VALU_DEP_2)
	;; [unrolled: 17-line block ×4, first 2 shown]
	s_and_saveexec_b32 s29, s28
	s_cbranch_execz .LBB30_44
; %bb.43:                               ;   in Loop: Header=BB30_12 Depth=1
	global_load_u16 v91, v[0:1], off offset:960
.LBB30_44:                              ;   in Loop: Header=BB30_12 Depth=1
	s_or_b32 exec_lo, exec_lo, s29
	s_waitcnt vmcnt(0)
	ds_store_b16 v37, v2
	ds_store_b16 v37, v4 offset:64
	ds_store_b16 v38, v3 offset:128
	;; [unrolled: 1-line block ×15, first 2 shown]
	; wave barrier
	ds_load_b128 v[0:3], v52
	ds_load_b128 v[4:7], v52 offset:16
	v_add_co_u32 v8, s29, s72, v16
	s_delay_alu instid0(VALU_DEP_1) | instskip(SKIP_1) | instid1(VALU_DEP_2)
	v_add_co_ci_u32_e64 v9, null, s48, 0, s29
	s_waitcnt lgkmcnt(0)
	v_add_co_u32 v8, vcc_lo, v8, v89
	s_delay_alu instid0(VALU_DEP_2)
	v_add_co_ci_u32_e32 v9, vcc_lo, 0, v9, vcc_lo
	s_barrier
	buffer_gl0_inv
	s_and_saveexec_b32 s29, s13
	s_cbranch_execz .LBB30_46
; %bb.45:                               ;   in Loop: Header=BB30_12 Depth=1
	global_load_u16 v10, v[8:9], off
.LBB30_46:                              ;   in Loop: Header=BB30_12 Depth=1
	s_or_b32 exec_lo, exec_lo, s29
	v_dual_mov_b32 v11, 0 :: v_dual_mov_b32 v12, 0
	s_and_saveexec_b32 s29, s14
	s_cbranch_execz .LBB30_48
; %bb.47:                               ;   in Loop: Header=BB30_12 Depth=1
	global_load_u16 v12, v[8:9], off offset:64
.LBB30_48:                              ;   in Loop: Header=BB30_12 Depth=1
	s_or_b32 exec_lo, exec_lo, s29
	s_and_saveexec_b32 s29, s15
	s_cbranch_execz .LBB30_50
; %bb.49:                               ;   in Loop: Header=BB30_12 Depth=1
	global_load_u16 v11, v[8:9], off offset:128
.LBB30_50:                              ;   in Loop: Header=BB30_12 Depth=1
	s_or_b32 exec_lo, exec_lo, s29
	v_dual_mov_b32 v13, 0 :: v_dual_mov_b32 v14, 0
	s_and_saveexec_b32 s29, s16
	s_cbranch_execz .LBB30_52
; %bb.51:                               ;   in Loop: Header=BB30_12 Depth=1
	global_load_u16 v14, v[8:9], off offset:192
.LBB30_52:                              ;   in Loop: Header=BB30_12 Depth=1
	s_or_b32 exec_lo, exec_lo, s29
	s_and_saveexec_b32 s29, s17
	s_cbranch_execz .LBB30_54
; %bb.53:                               ;   in Loop: Header=BB30_12 Depth=1
	global_load_u16 v13, v[8:9], off offset:256
.LBB30_54:                              ;   in Loop: Header=BB30_12 Depth=1
	s_or_b32 exec_lo, exec_lo, s29
	v_mov_b32_e32 v15, 0
	v_mov_b32_e32 v17, 0
	s_and_saveexec_b32 s29, s18
	s_cbranch_execz .LBB30_56
; %bb.55:                               ;   in Loop: Header=BB30_12 Depth=1
	global_load_u16 v17, v[8:9], off offset:320
.LBB30_56:                              ;   in Loop: Header=BB30_12 Depth=1
	s_or_b32 exec_lo, exec_lo, s29
	s_and_saveexec_b32 s29, s19
	s_cbranch_execz .LBB30_58
; %bb.57:                               ;   in Loop: Header=BB30_12 Depth=1
	global_load_u16 v15, v[8:9], off offset:384
.LBB30_58:                              ;   in Loop: Header=BB30_12 Depth=1
	s_or_b32 exec_lo, exec_lo, s29
	v_dual_mov_b32 v90, 0 :: v_dual_mov_b32 v91, 0
	s_and_saveexec_b32 s29, s20
	s_cbranch_execz .LBB30_60
; %bb.59:                               ;   in Loop: Header=BB30_12 Depth=1
	global_load_u16 v91, v[8:9], off offset:448
.LBB30_60:                              ;   in Loop: Header=BB30_12 Depth=1
	s_or_b32 exec_lo, exec_lo, s29
	s_and_saveexec_b32 s29, s21
	s_cbranch_execz .LBB30_62
; %bb.61:                               ;   in Loop: Header=BB30_12 Depth=1
	global_load_u16 v90, v[8:9], off offset:512
.LBB30_62:                              ;   in Loop: Header=BB30_12 Depth=1
	s_or_b32 exec_lo, exec_lo, s29
	v_dual_mov_b32 v92, 0 :: v_dual_mov_b32 v93, 0
	;; [unrolled: 13-line block ×4, first 2 shown]
	s_and_saveexec_b32 s29, s26
	s_cbranch_execnz .LBB30_220
; %bb.71:                               ;   in Loop: Header=BB30_12 Depth=1
	s_or_b32 exec_lo, exec_lo, s29
	s_and_saveexec_b32 s29, s27
	s_cbranch_execnz .LBB30_221
.LBB30_72:                              ;   in Loop: Header=BB30_12 Depth=1
	s_or_b32 exec_lo, exec_lo, s29
	v_mov_b32_e32 v98, 0
	s_and_saveexec_b32 s29, s28
	s_cbranch_execz .LBB30_74
.LBB30_73:                              ;   in Loop: Header=BB30_12 Depth=1
	global_load_u16 v98, v[8:9], off offset:960
.LBB30_74:                              ;   in Loop: Header=BB30_12 Depth=1
	s_or_b32 exec_lo, exec_lo, s29
	s_waitcnt vmcnt(0)
	ds_store_b16 v37, v10
	ds_store_b16 v37, v12 offset:64
	ds_store_b16 v38, v11 offset:128
	;; [unrolled: 1-line block ×15, first 2 shown]
	; wave barrier
	ds_load_b128 v[12:15], v52
	ds_load_b128 v[8:11], v52 offset:16
	s_waitcnt lgkmcnt(1)
	v_lshlrev_b32_e32 v17, 16, v12
	s_delay_alu instid0(VALU_DEP_1) | instskip(NEXT) | instid1(VALU_DEP_1)
	v_add_f32_e32 v90, s67, v17
	v_cmp_ge_f32_e32 vcc_lo, 0x41a00000, v90
	s_and_b32 s29, s80, vcc_lo
	s_delay_alu instid0(SALU_CYCLE_1)
	s_and_saveexec_b32 s30, s29
	s_cbranch_execz .LBB30_76
; %bb.75:                               ;   in Loop: Header=BB30_12 Depth=1
	v_mul_f32_e32 v17, 0x3fb8aa3b, v90
	v_cmp_ngt_f32_e32 vcc_lo, 0xc2ce8ed0, v90
	s_delay_alu instid0(VALU_DEP_2) | instskip(SKIP_1) | instid1(VALU_DEP_1)
	v_rndne_f32_e32 v91, v17
	v_fma_f32 v92, 0x3fb8aa3b, v90, -v17
	v_dual_sub_f32 v17, v17, v91 :: v_dual_fmac_f32 v92, 0x32a5705f, v90
	v_cvt_i32_f32_e32 v91, v91
	s_delay_alu instid0(VALU_DEP_2) | instskip(NEXT) | instid1(VALU_DEP_1)
	v_add_f32_e32 v17, v17, v92
	v_exp_f32_e32 v17, v17
	s_waitcnt_depctr 0xfff
	v_ldexp_f32 v17, v17, v91
	s_delay_alu instid0(VALU_DEP_1) | instskip(SKIP_1) | instid1(VALU_DEP_2)
	v_cndmask_b32_e32 v17, 0, v17, vcc_lo
	v_cmp_nlt_f32_e32 vcc_lo, 0x42b17218, v90
	v_cndmask_b32_e32 v17, 0x7f800000, v17, vcc_lo
	s_delay_alu instid0(VALU_DEP_1) | instskip(NEXT) | instid1(VALU_DEP_1)
	v_add_f32_e32 v92, 1.0, v17
	v_cvt_f64_f32_e32 v[90:91], v92
	s_delay_alu instid0(VALU_DEP_1) | instskip(SKIP_1) | instid1(VALU_DEP_1)
	v_frexp_exp_i32_f64_e32 v90, v[90:91]
	v_frexp_mant_f32_e32 v91, v92
	v_cmp_gt_f32_e32 vcc_lo, 0x3f2aaaab, v91
	v_add_f32_e32 v91, -1.0, v92
	s_delay_alu instid0(VALU_DEP_1) | instskip(NEXT) | instid1(VALU_DEP_1)
	v_dual_sub_f32 v94, v91, v92 :: v_dual_sub_f32 v91, v17, v91
	v_add_f32_e32 v94, 1.0, v94
	v_subrev_co_ci_u32_e32 v90, vcc_lo, 0, v90, vcc_lo
	s_delay_alu instid0(VALU_DEP_1) | instskip(SKIP_1) | instid1(VALU_DEP_2)
	v_sub_nc_u32_e32 v93, 0, v90
	v_cvt_f32_i32_e32 v90, v90
	v_ldexp_f32 v92, v92, v93
	v_add_f32_e32 v91, v91, v94
	s_delay_alu instid0(VALU_DEP_1) | instskip(NEXT) | instid1(VALU_DEP_3)
	v_ldexp_f32 v91, v91, v93
	v_add_f32_e32 v95, 1.0, v92
	s_delay_alu instid0(VALU_DEP_1) | instskip(NEXT) | instid1(VALU_DEP_1)
	v_add_f32_e32 v94, -1.0, v95
	v_sub_f32_e32 v94, v92, v94
	v_cmp_eq_f32_e32 vcc_lo, 0x7f800000, v17
	v_cmp_gt_f32_e64 s29, 0x33800000, v17
	s_delay_alu instid0(VALU_DEP_3) | instskip(NEXT) | instid1(VALU_DEP_2)
	v_dual_add_f32 v94, v91, v94 :: v_dual_add_f32 v93, -1.0, v92
	s_or_b32 vcc_lo, s29, vcc_lo
	s_delay_alu instid0(VALU_DEP_1) | instskip(NEXT) | instid1(VALU_DEP_1)
	v_add_f32_e32 v96, 1.0, v93
	v_sub_f32_e32 v92, v92, v96
	s_delay_alu instid0(VALU_DEP_3) | instskip(NEXT) | instid1(VALU_DEP_1)
	v_add_f32_e32 v96, v95, v94
	v_sub_f32_e32 v95, v95, v96
	s_delay_alu instid0(VALU_DEP_3) | instskip(SKIP_1) | instid1(VALU_DEP_2)
	v_add_f32_e32 v91, v91, v92
	v_rcp_f32_e32 v92, v96
	v_add_f32_e32 v94, v94, v95
	s_delay_alu instid0(VALU_DEP_2) | instskip(NEXT) | instid1(VALU_DEP_1)
	v_add_f32_e32 v97, v93, v91
	v_sub_f32_e32 v93, v93, v97
	s_waitcnt_depctr 0xfff
	v_dual_mul_f32 v98, v97, v92 :: v_dual_add_f32 v91, v91, v93
	s_delay_alu instid0(VALU_DEP_1) | instskip(NEXT) | instid1(VALU_DEP_1)
	v_mul_f32_e32 v99, v96, v98
	v_fma_f32 v95, v98, v96, -v99
	s_delay_alu instid0(VALU_DEP_1) | instskip(NEXT) | instid1(VALU_DEP_1)
	v_fmac_f32_e32 v95, v98, v94
	v_add_f32_e32 v100, v99, v95
	s_delay_alu instid0(VALU_DEP_1) | instskip(NEXT) | instid1(VALU_DEP_1)
	v_sub_f32_e32 v101, v97, v100
	v_sub_f32_e32 v97, v97, v101
	;; [unrolled: 1-line block ×3, first 2 shown]
	s_delay_alu instid0(VALU_DEP_2) | instskip(NEXT) | instid1(VALU_DEP_2)
	v_sub_f32_e32 v97, v97, v100
	v_sub_f32_e32 v93, v93, v95
	s_delay_alu instid0(VALU_DEP_2) | instskip(NEXT) | instid1(VALU_DEP_1)
	v_add_f32_e32 v91, v91, v97
	v_add_f32_e32 v91, v93, v91
	s_delay_alu instid0(VALU_DEP_1) | instskip(NEXT) | instid1(VALU_DEP_1)
	v_add_f32_e32 v93, v101, v91
	v_mul_f32_e32 v95, v92, v93
	s_delay_alu instid0(VALU_DEP_1) | instskip(NEXT) | instid1(VALU_DEP_1)
	v_dual_sub_f32 v100, v101, v93 :: v_dual_mul_f32 v97, v96, v95
	v_add_f32_e32 v91, v91, v100
	s_delay_alu instid0(VALU_DEP_2) | instskip(NEXT) | instid1(VALU_DEP_1)
	v_fma_f32 v96, v95, v96, -v97
	v_fmac_f32_e32 v96, v95, v94
	s_delay_alu instid0(VALU_DEP_1) | instskip(NEXT) | instid1(VALU_DEP_1)
	v_add_f32_e32 v94, v97, v96
	v_sub_f32_e32 v99, v93, v94
	v_sub_f32_e32 v97, v94, v97
	s_delay_alu instid0(VALU_DEP_2) | instskip(NEXT) | instid1(VALU_DEP_1)
	v_sub_f32_e32 v93, v93, v99
	v_sub_f32_e32 v93, v93, v94
	s_delay_alu instid0(VALU_DEP_1) | instskip(SKIP_1) | instid1(VALU_DEP_1)
	v_dual_sub_f32 v94, v97, v96 :: v_dual_add_f32 v91, v91, v93
	v_add_f32_e32 v93, v98, v95
	v_dual_add_f32 v91, v94, v91 :: v_dual_sub_f32 v94, v93, v98
	s_delay_alu instid0(VALU_DEP_1) | instskip(NEXT) | instid1(VALU_DEP_1)
	v_add_f32_e32 v91, v99, v91
	v_dual_sub_f32 v94, v95, v94 :: v_dual_mul_f32 v91, v92, v91
	s_delay_alu instid0(VALU_DEP_1) | instskip(NEXT) | instid1(VALU_DEP_1)
	v_add_f32_e32 v91, v94, v91
	v_add_f32_e32 v92, v93, v91
	s_delay_alu instid0(VALU_DEP_1) | instskip(NEXT) | instid1(VALU_DEP_1)
	v_mul_f32_e32 v94, v92, v92
	v_fmaak_f32 v95, s84, v94, 0x3ecc95a3
	v_mul_f32_e32 v96, v92, v94
	s_delay_alu instid0(VALU_DEP_2) | instskip(SKIP_2) | instid1(VALU_DEP_3)
	v_fmaak_f32 v94, v94, v95, 0x3f2aaada
	v_ldexp_f32 v95, v92, 1
	v_sub_f32_e32 v92, v92, v93
	v_mul_f32_e32 v94, v96, v94
	s_delay_alu instid0(VALU_DEP_2) | instskip(NEXT) | instid1(VALU_DEP_2)
	v_dual_mul_f32 v96, 0x3f317218, v90 :: v_dual_sub_f32 v91, v91, v92
	v_add_f32_e32 v93, v95, v94
	s_delay_alu instid0(VALU_DEP_2) | instskip(NEXT) | instid1(VALU_DEP_2)
	v_ldexp_f32 v91, v91, 1
	v_sub_f32_e32 v92, v93, v95
	s_delay_alu instid0(VALU_DEP_4) | instskip(NEXT) | instid1(VALU_DEP_1)
	v_fma_f32 v95, 0x3f317218, v90, -v96
	v_dual_sub_f32 v92, v94, v92 :: v_dual_fmac_f32 v95, 0xb102e308, v90
	s_delay_alu instid0(VALU_DEP_1) | instskip(NEXT) | instid1(VALU_DEP_1)
	v_dual_add_f32 v90, v91, v92 :: v_dual_add_f32 v91, v96, v95
	v_add_f32_e32 v92, v93, v90
	s_delay_alu instid0(VALU_DEP_2) | instskip(NEXT) | instid1(VALU_DEP_2)
	v_sub_f32_e32 v96, v91, v96
	v_dual_add_f32 v94, v91, v92 :: v_dual_sub_f32 v93, v92, v93
	s_delay_alu instid0(VALU_DEP_2) | instskip(NEXT) | instid1(VALU_DEP_2)
	v_sub_f32_e32 v95, v95, v96
	v_sub_f32_e32 v97, v94, v91
	s_delay_alu instid0(VALU_DEP_3) | instskip(NEXT) | instid1(VALU_DEP_2)
	v_sub_f32_e32 v90, v90, v93
	v_sub_f32_e32 v98, v94, v97
	s_delay_alu instid0(VALU_DEP_2) | instskip(NEXT) | instid1(VALU_DEP_2)
	v_dual_sub_f32 v92, v92, v97 :: v_dual_add_f32 v93, v95, v90
	v_sub_f32_e32 v91, v91, v98
	s_delay_alu instid0(VALU_DEP_1) | instskip(NEXT) | instid1(VALU_DEP_3)
	v_add_f32_e32 v91, v92, v91
	v_sub_f32_e32 v92, v93, v95
	s_delay_alu instid0(VALU_DEP_2) | instskip(NEXT) | instid1(VALU_DEP_2)
	v_add_f32_e32 v91, v93, v91
	v_sub_f32_e32 v93, v93, v92
	v_sub_f32_e32 v90, v90, v92
	s_delay_alu instid0(VALU_DEP_2) | instskip(NEXT) | instid1(VALU_DEP_1)
	v_dual_add_f32 v96, v94, v91 :: v_dual_sub_f32 v93, v95, v93
	v_sub_f32_e32 v92, v96, v94
	s_delay_alu instid0(VALU_DEP_1) | instskip(NEXT) | instid1(VALU_DEP_1)
	v_dual_add_f32 v90, v90, v93 :: v_dual_sub_f32 v91, v91, v92
	v_add_f32_e32 v90, v90, v91
	s_delay_alu instid0(VALU_DEP_1) | instskip(NEXT) | instid1(VALU_DEP_1)
	v_add_f32_e32 v90, v96, v90
	v_cndmask_b32_e32 v90, v90, v17, vcc_lo
.LBB30_76:                              ;   in Loop: Header=BB30_12 Depth=1
	s_or_b32 exec_lo, exec_lo, s30
	v_and_b32_e32 v12, 0xffff0000, v12
	s_delay_alu instid0(VALU_DEP_1) | instskip(NEXT) | instid1(VALU_DEP_1)
	v_add_f32_e32 v91, s67, v12
	v_cmp_ge_f32_e32 vcc_lo, 0x41a00000, v91
	s_and_b32 s29, s80, vcc_lo
	s_delay_alu instid0(SALU_CYCLE_1)
	s_and_saveexec_b32 s30, s29
	s_cbranch_execz .LBB30_78
; %bb.77:                               ;   in Loop: Header=BB30_12 Depth=1
	v_mul_f32_e32 v12, 0x3fb8aa3b, v91
	v_cmp_ngt_f32_e32 vcc_lo, 0xc2ce8ed0, v91
	s_delay_alu instid0(VALU_DEP_2) | instskip(SKIP_1) | instid1(VALU_DEP_2)
	v_rndne_f32_e32 v17, v12
	v_fma_f32 v92, 0x3fb8aa3b, v91, -v12
	v_sub_f32_e32 v12, v12, v17
	s_delay_alu instid0(VALU_DEP_2) | instskip(SKIP_1) | instid1(VALU_DEP_2)
	v_fmac_f32_e32 v92, 0x32a5705f, v91
	v_cvt_i32_f32_e32 v17, v17
	v_add_f32_e32 v12, v12, v92
	s_delay_alu instid0(VALU_DEP_1) | instskip(SKIP_2) | instid1(VALU_DEP_1)
	v_exp_f32_e32 v12, v12
	s_waitcnt_depctr 0xfff
	v_ldexp_f32 v12, v12, v17
	v_cndmask_b32_e32 v12, 0, v12, vcc_lo
	v_cmp_nlt_f32_e32 vcc_lo, 0x42b17218, v91
	s_delay_alu instid0(VALU_DEP_2) | instskip(NEXT) | instid1(VALU_DEP_1)
	v_cndmask_b32_e32 v12, 0x7f800000, v12, vcc_lo
	v_add_f32_e32 v17, 1.0, v12
	s_delay_alu instid0(VALU_DEP_1) | instskip(NEXT) | instid1(VALU_DEP_1)
	v_cvt_f64_f32_e32 v[91:92], v17
	v_frexp_exp_i32_f64_e32 v91, v[91:92]
	v_frexp_mant_f32_e32 v92, v17
	s_delay_alu instid0(VALU_DEP_1) | instskip(SKIP_1) | instid1(VALU_DEP_1)
	v_cmp_gt_f32_e32 vcc_lo, 0x3f2aaaab, v92
	v_add_f32_e32 v92, -1.0, v17
	v_sub_f32_e32 v94, v92, v17
	v_sub_f32_e32 v92, v12, v92
	s_delay_alu instid0(VALU_DEP_2) | instskip(NEXT) | instid1(VALU_DEP_1)
	v_add_f32_e32 v94, 1.0, v94
	v_add_f32_e32 v92, v92, v94
	v_subrev_co_ci_u32_e32 v91, vcc_lo, 0, v91, vcc_lo
	s_delay_alu instid0(VALU_DEP_1) | instskip(SKIP_1) | instid1(VALU_DEP_2)
	v_sub_nc_u32_e32 v93, 0, v91
	v_cvt_f32_i32_e32 v91, v91
	v_ldexp_f32 v17, v17, v93
	v_ldexp_f32 v92, v92, v93
	s_delay_alu instid0(VALU_DEP_2) | instskip(NEXT) | instid1(VALU_DEP_1)
	v_add_f32_e32 v95, 1.0, v17
	v_dual_add_f32 v93, -1.0, v17 :: v_dual_add_f32 v94, -1.0, v95
	s_delay_alu instid0(VALU_DEP_1) | instskip(NEXT) | instid1(VALU_DEP_2)
	v_add_f32_e32 v96, 1.0, v93
	v_sub_f32_e32 v94, v17, v94
	s_delay_alu instid0(VALU_DEP_2) | instskip(NEXT) | instid1(VALU_DEP_1)
	v_sub_f32_e32 v17, v17, v96
	v_add_f32_e32 v17, v92, v17
	s_delay_alu instid0(VALU_DEP_1) | instskip(SKIP_2) | instid1(VALU_DEP_3)
	v_add_f32_e32 v97, v93, v17
	v_cmp_eq_f32_e32 vcc_lo, 0x7f800000, v12
	v_cmp_gt_f32_e64 s29, 0x33800000, v12
	v_dual_sub_f32 v93, v93, v97 :: v_dual_add_f32 v94, v92, v94
	s_delay_alu instid0(VALU_DEP_2) | instskip(NEXT) | instid1(VALU_DEP_1)
	s_or_b32 vcc_lo, s29, vcc_lo
	v_dual_add_f32 v17, v17, v93 :: v_dual_add_f32 v96, v95, v94
	s_delay_alu instid0(VALU_DEP_1) | instskip(SKIP_1) | instid1(VALU_DEP_1)
	v_rcp_f32_e32 v92, v96
	v_sub_f32_e32 v95, v95, v96
	v_add_f32_e32 v94, v94, v95
	s_waitcnt_depctr 0xfff
	v_mul_f32_e32 v98, v97, v92
	s_delay_alu instid0(VALU_DEP_1) | instskip(NEXT) | instid1(VALU_DEP_1)
	v_mul_f32_e32 v99, v96, v98
	v_fma_f32 v95, v98, v96, -v99
	s_delay_alu instid0(VALU_DEP_1) | instskip(NEXT) | instid1(VALU_DEP_1)
	v_fmac_f32_e32 v95, v98, v94
	v_add_f32_e32 v100, v99, v95
	s_delay_alu instid0(VALU_DEP_1) | instskip(SKIP_1) | instid1(VALU_DEP_2)
	v_sub_f32_e32 v101, v97, v100
	v_sub_f32_e32 v93, v100, v99
	;; [unrolled: 1-line block ×3, first 2 shown]
	s_delay_alu instid0(VALU_DEP_2) | instskip(NEXT) | instid1(VALU_DEP_2)
	v_sub_f32_e32 v93, v93, v95
	v_sub_f32_e32 v97, v97, v100
	s_delay_alu instid0(VALU_DEP_1) | instskip(NEXT) | instid1(VALU_DEP_1)
	v_add_f32_e32 v17, v17, v97
	v_add_f32_e32 v17, v93, v17
	s_delay_alu instid0(VALU_DEP_1) | instskip(NEXT) | instid1(VALU_DEP_1)
	v_add_f32_e32 v93, v101, v17
	v_mul_f32_e32 v95, v92, v93
	s_delay_alu instid0(VALU_DEP_1) | instskip(NEXT) | instid1(VALU_DEP_1)
	v_mul_f32_e32 v97, v96, v95
	v_fma_f32 v96, v95, v96, -v97
	s_delay_alu instid0(VALU_DEP_1) | instskip(SKIP_1) | instid1(VALU_DEP_2)
	v_fmac_f32_e32 v96, v95, v94
	v_sub_f32_e32 v100, v101, v93
	v_add_f32_e32 v94, v97, v96
	s_delay_alu instid0(VALU_DEP_2) | instskip(NEXT) | instid1(VALU_DEP_2)
	v_add_f32_e32 v17, v17, v100
	v_sub_f32_e32 v99, v93, v94
	s_delay_alu instid0(VALU_DEP_1) | instskip(NEXT) | instid1(VALU_DEP_1)
	v_sub_f32_e32 v93, v93, v99
	v_sub_f32_e32 v93, v93, v94
	s_delay_alu instid0(VALU_DEP_1) | instskip(SKIP_2) | instid1(VALU_DEP_1)
	v_add_f32_e32 v17, v17, v93
	v_add_f32_e32 v93, v98, v95
	v_sub_f32_e32 v97, v94, v97
	v_sub_f32_e32 v94, v97, v96
	s_delay_alu instid0(VALU_DEP_1) | instskip(NEXT) | instid1(VALU_DEP_1)
	v_dual_add_f32 v17, v94, v17 :: v_dual_sub_f32 v94, v93, v98
	v_add_f32_e32 v17, v99, v17
	s_delay_alu instid0(VALU_DEP_1) | instskip(NEXT) | instid1(VALU_DEP_1)
	v_dual_sub_f32 v94, v95, v94 :: v_dual_mul_f32 v17, v92, v17
	v_add_f32_e32 v17, v94, v17
	s_delay_alu instid0(VALU_DEP_1) | instskip(NEXT) | instid1(VALU_DEP_1)
	v_add_f32_e32 v92, v93, v17
	v_mul_f32_e32 v94, v92, v92
	s_delay_alu instid0(VALU_DEP_1) | instskip(SKIP_1) | instid1(VALU_DEP_2)
	v_fmaak_f32 v95, s84, v94, 0x3ecc95a3
	v_mul_f32_e32 v96, v92, v94
	v_fmaak_f32 v94, v94, v95, 0x3f2aaada
	v_ldexp_f32 v95, v92, 1
	s_delay_alu instid0(VALU_DEP_2) | instskip(SKIP_1) | instid1(VALU_DEP_2)
	v_mul_f32_e32 v94, v96, v94
	v_sub_f32_e32 v92, v92, v93
	v_dual_mul_f32 v96, 0x3f317218, v91 :: v_dual_add_f32 v93, v95, v94
	s_delay_alu instid0(VALU_DEP_2) | instskip(NEXT) | instid1(VALU_DEP_2)
	v_sub_f32_e32 v17, v17, v92
	v_sub_f32_e32 v92, v93, v95
	s_delay_alu instid0(VALU_DEP_3) | instskip(NEXT) | instid1(VALU_DEP_3)
	v_fma_f32 v95, 0x3f317218, v91, -v96
	v_ldexp_f32 v17, v17, 1
	s_delay_alu instid0(VALU_DEP_2) | instskip(NEXT) | instid1(VALU_DEP_1)
	v_dual_sub_f32 v92, v94, v92 :: v_dual_fmac_f32 v95, 0xb102e308, v91
	v_add_f32_e32 v17, v17, v92
	s_delay_alu instid0(VALU_DEP_1) | instskip(NEXT) | instid1(VALU_DEP_1)
	v_dual_add_f32 v91, v96, v95 :: v_dual_add_f32 v92, v93, v17
	v_sub_f32_e32 v96, v91, v96
	s_delay_alu instid0(VALU_DEP_2) | instskip(NEXT) | instid1(VALU_DEP_2)
	v_dual_add_f32 v94, v91, v92 :: v_dual_sub_f32 v93, v92, v93
	v_sub_f32_e32 v95, v95, v96
	s_delay_alu instid0(VALU_DEP_2) | instskip(NEXT) | instid1(VALU_DEP_1)
	v_sub_f32_e32 v97, v94, v91
	v_sub_f32_e32 v98, v94, v97
	;; [unrolled: 1-line block ×4, first 2 shown]
	s_delay_alu instid0(VALU_DEP_1) | instskip(NEXT) | instid1(VALU_DEP_4)
	v_add_f32_e32 v93, v95, v17
	v_sub_f32_e32 v91, v91, v98
	s_delay_alu instid0(VALU_DEP_1) | instskip(NEXT) | instid1(VALU_DEP_3)
	v_add_f32_e32 v91, v92, v91
	v_sub_f32_e32 v92, v93, v95
	s_delay_alu instid0(VALU_DEP_2) | instskip(NEXT) | instid1(VALU_DEP_2)
	v_add_f32_e32 v91, v93, v91
	v_sub_f32_e32 v93, v93, v92
	s_delay_alu instid0(VALU_DEP_2) | instskip(NEXT) | instid1(VALU_DEP_1)
	v_dual_sub_f32 v17, v17, v92 :: v_dual_add_f32 v96, v94, v91
	v_dual_sub_f32 v92, v96, v94 :: v_dual_sub_f32 v93, v95, v93
	s_delay_alu instid0(VALU_DEP_1) | instskip(NEXT) | instid1(VALU_DEP_2)
	v_sub_f32_e32 v91, v91, v92
	v_add_f32_e32 v17, v17, v93
	s_delay_alu instid0(VALU_DEP_1) | instskip(NEXT) | instid1(VALU_DEP_1)
	v_add_f32_e32 v17, v17, v91
	v_add_f32_e32 v17, v96, v17
	s_delay_alu instid0(VALU_DEP_1)
	v_cndmask_b32_e32 v91, v17, v12, vcc_lo
.LBB30_78:                              ;   in Loop: Header=BB30_12 Depth=1
	s_or_b32 exec_lo, exec_lo, s30
	v_lshlrev_b32_e32 v12, 16, v13
	s_delay_alu instid0(VALU_DEP_1) | instskip(NEXT) | instid1(VALU_DEP_1)
	v_add_f32_e32 v92, s67, v12
	v_cmp_ge_f32_e32 vcc_lo, 0x41a00000, v92
	s_and_b32 s29, s80, vcc_lo
	s_delay_alu instid0(SALU_CYCLE_1)
	s_and_saveexec_b32 s30, s29
	s_cbranch_execz .LBB30_80
; %bb.79:                               ;   in Loop: Header=BB30_12 Depth=1
	v_mul_f32_e32 v12, 0x3fb8aa3b, v92
	v_cmp_ngt_f32_e32 vcc_lo, 0xc2ce8ed0, v92
	s_delay_alu instid0(VALU_DEP_2) | instskip(SKIP_1) | instid1(VALU_DEP_1)
	v_rndne_f32_e32 v17, v12
	v_fma_f32 v93, 0x3fb8aa3b, v92, -v12
	v_dual_sub_f32 v12, v12, v17 :: v_dual_fmac_f32 v93, 0x32a5705f, v92
	v_cvt_i32_f32_e32 v17, v17
	s_delay_alu instid0(VALU_DEP_2) | instskip(NEXT) | instid1(VALU_DEP_1)
	v_add_f32_e32 v12, v12, v93
	v_exp_f32_e32 v12, v12
	s_waitcnt_depctr 0xfff
	v_ldexp_f32 v12, v12, v17
	s_delay_alu instid0(VALU_DEP_1) | instskip(SKIP_1) | instid1(VALU_DEP_2)
	v_cndmask_b32_e32 v12, 0, v12, vcc_lo
	v_cmp_nlt_f32_e32 vcc_lo, 0x42b17218, v92
	v_cndmask_b32_e32 v12, 0x7f800000, v12, vcc_lo
	s_delay_alu instid0(VALU_DEP_1) | instskip(NEXT) | instid1(VALU_DEP_1)
	v_add_f32_e32 v17, 1.0, v12
	v_cvt_f64_f32_e32 v[92:93], v17
	s_delay_alu instid0(VALU_DEP_1) | instskip(SKIP_1) | instid1(VALU_DEP_1)
	v_frexp_exp_i32_f64_e32 v92, v[92:93]
	v_frexp_mant_f32_e32 v93, v17
	v_cmp_gt_f32_e32 vcc_lo, 0x3f2aaaab, v93
	v_add_f32_e32 v93, -1.0, v17
	s_delay_alu instid0(VALU_DEP_1) | instskip(SKIP_1) | instid1(VALU_DEP_2)
	v_sub_f32_e32 v95, v93, v17
	v_sub_f32_e32 v93, v12, v93
	v_add_f32_e32 v95, 1.0, v95
	s_delay_alu instid0(VALU_DEP_1) | instskip(SKIP_3) | instid1(VALU_DEP_2)
	v_add_f32_e32 v93, v93, v95
	v_cmp_gt_f32_e64 s29, 0x33800000, v12
	v_subrev_co_ci_u32_e32 v92, vcc_lo, 0, v92, vcc_lo
	v_cmp_eq_f32_e32 vcc_lo, 0x7f800000, v12
	v_sub_nc_u32_e32 v94, 0, v92
	v_cvt_f32_i32_e32 v92, v92
	s_or_b32 vcc_lo, s29, vcc_lo
	s_delay_alu instid0(VALU_DEP_2) | instskip(SKIP_1) | instid1(VALU_DEP_2)
	v_ldexp_f32 v17, v17, v94
	v_ldexp_f32 v93, v93, v94
	v_add_f32_e32 v96, 1.0, v17
	s_delay_alu instid0(VALU_DEP_1) | instskip(NEXT) | instid1(VALU_DEP_1)
	v_dual_add_f32 v94, -1.0, v17 :: v_dual_add_f32 v95, -1.0, v96
	v_add_f32_e32 v97, 1.0, v94
	s_delay_alu instid0(VALU_DEP_2) | instskip(NEXT) | instid1(VALU_DEP_2)
	v_sub_f32_e32 v95, v17, v95
	v_sub_f32_e32 v17, v17, v97
	s_delay_alu instid0(VALU_DEP_1) | instskip(NEXT) | instid1(VALU_DEP_1)
	v_add_f32_e32 v17, v93, v17
	v_dual_add_f32 v98, v94, v17 :: v_dual_add_f32 v95, v93, v95
	s_delay_alu instid0(VALU_DEP_1) | instskip(NEXT) | instid1(VALU_DEP_1)
	v_dual_sub_f32 v94, v94, v98 :: v_dual_add_f32 v97, v96, v95
	v_rcp_f32_e32 v93, v97
	v_sub_f32_e32 v96, v96, v97
	s_delay_alu instid0(VALU_DEP_1) | instskip(SKIP_2) | instid1(VALU_DEP_1)
	v_add_f32_e32 v95, v95, v96
	s_waitcnt_depctr 0xfff
	v_mul_f32_e32 v99, v98, v93
	v_mul_f32_e32 v100, v97, v99
	s_delay_alu instid0(VALU_DEP_1) | instskip(NEXT) | instid1(VALU_DEP_1)
	v_fma_f32 v96, v99, v97, -v100
	v_fmac_f32_e32 v96, v99, v95
	s_delay_alu instid0(VALU_DEP_1) | instskip(NEXT) | instid1(VALU_DEP_1)
	v_add_f32_e32 v101, v100, v96
	v_sub_f32_e32 v102, v98, v101
	s_delay_alu instid0(VALU_DEP_1) | instskip(SKIP_2) | instid1(VALU_DEP_3)
	v_sub_f32_e32 v98, v98, v102
	v_add_f32_e32 v17, v17, v94
	v_sub_f32_e32 v94, v101, v100
	v_sub_f32_e32 v98, v98, v101
	s_delay_alu instid0(VALU_DEP_1) | instskip(NEXT) | instid1(VALU_DEP_1)
	v_dual_sub_f32 v94, v94, v96 :: v_dual_add_f32 v17, v17, v98
	v_add_f32_e32 v17, v94, v17
	s_delay_alu instid0(VALU_DEP_1) | instskip(NEXT) | instid1(VALU_DEP_1)
	v_add_f32_e32 v94, v102, v17
	v_mul_f32_e32 v96, v93, v94
	s_delay_alu instid0(VALU_DEP_1) | instskip(NEXT) | instid1(VALU_DEP_1)
	v_dual_sub_f32 v101, v102, v94 :: v_dual_mul_f32 v98, v97, v96
	v_add_f32_e32 v17, v17, v101
	s_delay_alu instid0(VALU_DEP_2) | instskip(NEXT) | instid1(VALU_DEP_1)
	v_fma_f32 v97, v96, v97, -v98
	v_fmac_f32_e32 v97, v96, v95
	s_delay_alu instid0(VALU_DEP_1) | instskip(NEXT) | instid1(VALU_DEP_1)
	v_add_f32_e32 v95, v98, v97
	v_sub_f32_e32 v100, v94, v95
	s_delay_alu instid0(VALU_DEP_1) | instskip(NEXT) | instid1(VALU_DEP_1)
	v_sub_f32_e32 v94, v94, v100
	v_sub_f32_e32 v94, v94, v95
	s_delay_alu instid0(VALU_DEP_1) | instskip(SKIP_1) | instid1(VALU_DEP_1)
	v_dual_add_f32 v17, v17, v94 :: v_dual_add_f32 v94, v99, v96
	v_sub_f32_e32 v98, v95, v98
	v_sub_f32_e32 v95, v98, v97
	s_delay_alu instid0(VALU_DEP_1) | instskip(NEXT) | instid1(VALU_DEP_4)
	v_add_f32_e32 v17, v95, v17
	v_sub_f32_e32 v95, v94, v99
	s_delay_alu instid0(VALU_DEP_2) | instskip(NEXT) | instid1(VALU_DEP_2)
	v_add_f32_e32 v17, v100, v17
	v_sub_f32_e32 v95, v96, v95
	s_delay_alu instid0(VALU_DEP_2) | instskip(NEXT) | instid1(VALU_DEP_1)
	v_mul_f32_e32 v17, v93, v17
	v_add_f32_e32 v17, v95, v17
	s_delay_alu instid0(VALU_DEP_1) | instskip(NEXT) | instid1(VALU_DEP_1)
	v_add_f32_e32 v93, v94, v17
	v_mul_f32_e32 v95, v93, v93
	s_delay_alu instid0(VALU_DEP_1) | instskip(SKIP_1) | instid1(VALU_DEP_2)
	v_fmaak_f32 v96, s84, v95, 0x3ecc95a3
	v_mul_f32_e32 v97, v93, v95
	v_fmaak_f32 v95, v95, v96, 0x3f2aaada
	v_ldexp_f32 v96, v93, 1
	v_sub_f32_e32 v93, v93, v94
	s_delay_alu instid0(VALU_DEP_3) | instskip(SKIP_1) | instid1(VALU_DEP_2)
	v_mul_f32_e32 v95, v97, v95
	v_mul_f32_e32 v97, 0x3f317218, v92
	v_dual_sub_f32 v17, v17, v93 :: v_dual_add_f32 v94, v96, v95
	s_delay_alu instid0(VALU_DEP_1) | instskip(NEXT) | instid1(VALU_DEP_2)
	v_ldexp_f32 v17, v17, 1
	v_sub_f32_e32 v93, v94, v96
	s_delay_alu instid0(VALU_DEP_4) | instskip(NEXT) | instid1(VALU_DEP_1)
	v_fma_f32 v96, 0x3f317218, v92, -v97
	v_dual_sub_f32 v93, v95, v93 :: v_dual_fmac_f32 v96, 0xb102e308, v92
	s_delay_alu instid0(VALU_DEP_1) | instskip(NEXT) | instid1(VALU_DEP_1)
	v_add_f32_e32 v17, v17, v93
	v_dual_add_f32 v92, v97, v96 :: v_dual_add_f32 v93, v94, v17
	s_delay_alu instid0(VALU_DEP_1) | instskip(NEXT) | instid1(VALU_DEP_2)
	v_sub_f32_e32 v97, v92, v97
	v_dual_add_f32 v95, v92, v93 :: v_dual_sub_f32 v94, v93, v94
	s_delay_alu instid0(VALU_DEP_2) | instskip(NEXT) | instid1(VALU_DEP_2)
	v_sub_f32_e32 v96, v96, v97
	v_dual_sub_f32 v98, v95, v92 :: v_dual_sub_f32 v17, v17, v94
	s_delay_alu instid0(VALU_DEP_1) | instskip(NEXT) | instid1(VALU_DEP_2)
	v_sub_f32_e32 v99, v95, v98
	v_dual_sub_f32 v93, v93, v98 :: v_dual_add_f32 v94, v96, v17
	s_delay_alu instid0(VALU_DEP_2) | instskip(NEXT) | instid1(VALU_DEP_1)
	v_sub_f32_e32 v92, v92, v99
	v_add_f32_e32 v92, v93, v92
	s_delay_alu instid0(VALU_DEP_3) | instskip(NEXT) | instid1(VALU_DEP_2)
	v_sub_f32_e32 v93, v94, v96
	v_add_f32_e32 v92, v94, v92
	s_delay_alu instid0(VALU_DEP_2) | instskip(SKIP_1) | instid1(VALU_DEP_2)
	v_sub_f32_e32 v94, v94, v93
	v_sub_f32_e32 v17, v17, v93
	v_dual_add_f32 v97, v95, v92 :: v_dual_sub_f32 v94, v96, v94
	s_delay_alu instid0(VALU_DEP_1) | instskip(NEXT) | instid1(VALU_DEP_1)
	v_sub_f32_e32 v93, v97, v95
	v_dual_add_f32 v17, v17, v94 :: v_dual_sub_f32 v92, v92, v93
	s_delay_alu instid0(VALU_DEP_1) | instskip(NEXT) | instid1(VALU_DEP_1)
	v_add_f32_e32 v17, v17, v92
	v_add_f32_e32 v17, v97, v17
	s_delay_alu instid0(VALU_DEP_1)
	v_cndmask_b32_e32 v92, v17, v12, vcc_lo
.LBB30_80:                              ;   in Loop: Header=BB30_12 Depth=1
	s_or_b32 exec_lo, exec_lo, s30
	v_and_b32_e32 v12, 0xffff0000, v13
	s_delay_alu instid0(VALU_DEP_1) | instskip(NEXT) | instid1(VALU_DEP_1)
	v_add_f32_e32 v93, s67, v12
	v_cmp_ge_f32_e32 vcc_lo, 0x41a00000, v93
	s_and_b32 s29, s80, vcc_lo
	s_delay_alu instid0(SALU_CYCLE_1)
	s_and_saveexec_b32 s30, s29
	s_cbranch_execz .LBB30_82
; %bb.81:                               ;   in Loop: Header=BB30_12 Depth=1
	v_mul_f32_e32 v12, 0x3fb8aa3b, v93
	v_cmp_ngt_f32_e32 vcc_lo, 0xc2ce8ed0, v93
	s_delay_alu instid0(VALU_DEP_2) | instskip(SKIP_1) | instid1(VALU_DEP_2)
	v_rndne_f32_e32 v13, v12
	v_fma_f32 v17, 0x3fb8aa3b, v93, -v12
	v_sub_f32_e32 v12, v12, v13
	s_delay_alu instid0(VALU_DEP_2) | instskip(SKIP_1) | instid1(VALU_DEP_2)
	v_fmac_f32_e32 v17, 0x32a5705f, v93
	v_cvt_i32_f32_e32 v13, v13
	v_add_f32_e32 v12, v12, v17
	s_delay_alu instid0(VALU_DEP_1) | instskip(SKIP_2) | instid1(VALU_DEP_1)
	v_exp_f32_e32 v12, v12
	s_waitcnt_depctr 0xfff
	v_ldexp_f32 v12, v12, v13
	v_cndmask_b32_e32 v12, 0, v12, vcc_lo
	v_cmp_nlt_f32_e32 vcc_lo, 0x42b17218, v93
	s_delay_alu instid0(VALU_DEP_2) | instskip(NEXT) | instid1(VALU_DEP_1)
	v_cndmask_b32_e32 v17, 0x7f800000, v12, vcc_lo
	v_add_f32_e32 v93, 1.0, v17
	s_delay_alu instid0(VALU_DEP_1) | instskip(NEXT) | instid1(VALU_DEP_1)
	v_cvt_f64_f32_e32 v[12:13], v93
	v_frexp_exp_i32_f64_e32 v12, v[12:13]
	v_frexp_mant_f32_e32 v13, v93
	s_delay_alu instid0(VALU_DEP_1) | instskip(SKIP_1) | instid1(VALU_DEP_1)
	v_cmp_gt_f32_e32 vcc_lo, 0x3f2aaaab, v13
	v_add_f32_e32 v13, -1.0, v93
	v_sub_f32_e32 v95, v13, v93
	s_delay_alu instid0(VALU_DEP_1) | instskip(SKIP_1) | instid1(VALU_DEP_1)
	v_add_f32_e32 v95, 1.0, v95
	v_subrev_co_ci_u32_e32 v12, vcc_lo, 0, v12, vcc_lo
	v_sub_nc_u32_e32 v94, 0, v12
	v_cvt_f32_i32_e32 v12, v12
	s_delay_alu instid0(VALU_DEP_2) | instskip(NEXT) | instid1(VALU_DEP_1)
	v_ldexp_f32 v93, v93, v94
	v_add_f32_e32 v96, 1.0, v93
	v_sub_f32_e32 v13, v17, v13
	v_cmp_eq_f32_e32 vcc_lo, 0x7f800000, v17
	v_cmp_gt_f32_e64 s29, 0x33800000, v17
	s_delay_alu instid0(VALU_DEP_3) | instskip(SKIP_1) | instid1(VALU_DEP_3)
	v_add_f32_e32 v13, v13, v95
	v_add_f32_e32 v95, -1.0, v96
	s_or_b32 vcc_lo, s29, vcc_lo
	s_delay_alu instid0(VALU_DEP_2) | instskip(NEXT) | instid1(VALU_DEP_2)
	v_ldexp_f32 v13, v13, v94
	v_dual_add_f32 v94, -1.0, v93 :: v_dual_sub_f32 v95, v93, v95
	s_delay_alu instid0(VALU_DEP_1) | instskip(NEXT) | instid1(VALU_DEP_2)
	v_add_f32_e32 v97, 1.0, v94
	v_add_f32_e32 v95, v13, v95
	s_delay_alu instid0(VALU_DEP_2) | instskip(NEXT) | instid1(VALU_DEP_1)
	v_sub_f32_e32 v93, v93, v97
	v_add_f32_e32 v13, v13, v93
	s_delay_alu instid0(VALU_DEP_1) | instskip(NEXT) | instid1(VALU_DEP_1)
	v_dual_add_f32 v98, v94, v13 :: v_dual_add_f32 v97, v96, v95
	v_sub_f32_e32 v94, v94, v98
	s_delay_alu instid0(VALU_DEP_2) | instskip(NEXT) | instid1(VALU_DEP_1)
	v_rcp_f32_e32 v93, v97
	v_dual_sub_f32 v96, v96, v97 :: v_dual_add_f32 v13, v13, v94
	s_delay_alu instid0(VALU_DEP_1) | instskip(SKIP_2) | instid1(VALU_DEP_1)
	v_add_f32_e32 v95, v95, v96
	s_waitcnt_depctr 0xfff
	v_mul_f32_e32 v99, v98, v93
	v_mul_f32_e32 v100, v97, v99
	s_delay_alu instid0(VALU_DEP_1) | instskip(NEXT) | instid1(VALU_DEP_1)
	v_fma_f32 v96, v99, v97, -v100
	v_fmac_f32_e32 v96, v99, v95
	s_delay_alu instid0(VALU_DEP_1) | instskip(NEXT) | instid1(VALU_DEP_1)
	v_add_f32_e32 v101, v100, v96
	v_sub_f32_e32 v102, v98, v101
	v_sub_f32_e32 v94, v101, v100
	s_delay_alu instid0(VALU_DEP_2) | instskip(NEXT) | instid1(VALU_DEP_2)
	v_sub_f32_e32 v98, v98, v102
	v_sub_f32_e32 v94, v94, v96
	s_delay_alu instid0(VALU_DEP_2) | instskip(NEXT) | instid1(VALU_DEP_1)
	v_sub_f32_e32 v98, v98, v101
	v_add_f32_e32 v13, v13, v98
	s_delay_alu instid0(VALU_DEP_1) | instskip(NEXT) | instid1(VALU_DEP_1)
	v_add_f32_e32 v13, v94, v13
	v_add_f32_e32 v94, v102, v13
	s_delay_alu instid0(VALU_DEP_1) | instskip(NEXT) | instid1(VALU_DEP_1)
	v_mul_f32_e32 v96, v93, v94
	v_dual_sub_f32 v101, v102, v94 :: v_dual_mul_f32 v98, v97, v96
	s_delay_alu instid0(VALU_DEP_1) | instskip(NEXT) | instid1(VALU_DEP_1)
	v_fma_f32 v97, v96, v97, -v98
	v_fmac_f32_e32 v97, v96, v95
	s_delay_alu instid0(VALU_DEP_1) | instskip(NEXT) | instid1(VALU_DEP_1)
	v_add_f32_e32 v95, v98, v97
	v_dual_add_f32 v13, v13, v101 :: v_dual_sub_f32 v100, v94, v95
	s_delay_alu instid0(VALU_DEP_1) | instskip(NEXT) | instid1(VALU_DEP_1)
	v_sub_f32_e32 v94, v94, v100
	v_sub_f32_e32 v94, v94, v95
	s_delay_alu instid0(VALU_DEP_1) | instskip(SKIP_1) | instid1(VALU_DEP_1)
	v_dual_add_f32 v13, v13, v94 :: v_dual_add_f32 v94, v99, v96
	v_sub_f32_e32 v98, v95, v98
	v_sub_f32_e32 v95, v98, v97
	s_delay_alu instid0(VALU_DEP_1) | instskip(NEXT) | instid1(VALU_DEP_4)
	v_add_f32_e32 v13, v95, v13
	v_sub_f32_e32 v95, v94, v99
	s_delay_alu instid0(VALU_DEP_2) | instskip(NEXT) | instid1(VALU_DEP_2)
	v_add_f32_e32 v13, v100, v13
	v_sub_f32_e32 v95, v96, v95
	s_delay_alu instid0(VALU_DEP_2) | instskip(NEXT) | instid1(VALU_DEP_1)
	v_mul_f32_e32 v13, v93, v13
	v_add_f32_e32 v13, v95, v13
	s_delay_alu instid0(VALU_DEP_1) | instskip(NEXT) | instid1(VALU_DEP_1)
	v_add_f32_e32 v93, v94, v13
	v_mul_f32_e32 v95, v93, v93
	s_delay_alu instid0(VALU_DEP_1) | instskip(SKIP_1) | instid1(VALU_DEP_2)
	v_fmaak_f32 v96, s84, v95, 0x3ecc95a3
	v_mul_f32_e32 v97, v93, v95
	v_fmaak_f32 v95, v95, v96, 0x3f2aaada
	v_ldexp_f32 v96, v93, 1
	v_sub_f32_e32 v93, v93, v94
	s_delay_alu instid0(VALU_DEP_3) | instskip(SKIP_1) | instid1(VALU_DEP_2)
	v_mul_f32_e32 v95, v97, v95
	v_mul_f32_e32 v97, 0x3f317218, v12
	v_dual_sub_f32 v13, v13, v93 :: v_dual_add_f32 v94, v96, v95
	s_delay_alu instid0(VALU_DEP_1) | instskip(NEXT) | instid1(VALU_DEP_2)
	v_ldexp_f32 v13, v13, 1
	v_sub_f32_e32 v93, v94, v96
	s_delay_alu instid0(VALU_DEP_4) | instskip(NEXT) | instid1(VALU_DEP_1)
	v_fma_f32 v96, 0x3f317218, v12, -v97
	v_dual_sub_f32 v93, v95, v93 :: v_dual_fmac_f32 v96, 0xb102e308, v12
	s_delay_alu instid0(VALU_DEP_1) | instskip(NEXT) | instid1(VALU_DEP_2)
	v_add_f32_e32 v12, v13, v93
	v_add_f32_e32 v13, v97, v96
	s_delay_alu instid0(VALU_DEP_2) | instskip(NEXT) | instid1(VALU_DEP_2)
	v_add_f32_e32 v93, v94, v12
	v_sub_f32_e32 v97, v13, v97
	s_delay_alu instid0(VALU_DEP_2) | instskip(SKIP_1) | instid1(VALU_DEP_3)
	v_add_f32_e32 v95, v13, v93
	v_sub_f32_e32 v94, v93, v94
	v_sub_f32_e32 v96, v96, v97
	s_delay_alu instid0(VALU_DEP_3) | instskip(NEXT) | instid1(VALU_DEP_3)
	v_sub_f32_e32 v98, v95, v13
	v_sub_f32_e32 v12, v12, v94
	s_delay_alu instid0(VALU_DEP_2) | instskip(NEXT) | instid1(VALU_DEP_2)
	v_sub_f32_e32 v99, v95, v98
	v_dual_sub_f32 v93, v93, v98 :: v_dual_add_f32 v94, v96, v12
	s_delay_alu instid0(VALU_DEP_2) | instskip(NEXT) | instid1(VALU_DEP_1)
	v_sub_f32_e32 v13, v13, v99
	v_add_f32_e32 v13, v93, v13
	s_delay_alu instid0(VALU_DEP_3) | instskip(NEXT) | instid1(VALU_DEP_2)
	v_sub_f32_e32 v93, v94, v96
	v_add_f32_e32 v13, v94, v13
	s_delay_alu instid0(VALU_DEP_2) | instskip(SKIP_1) | instid1(VALU_DEP_1)
	v_sub_f32_e32 v12, v12, v93
	v_sub_f32_e32 v94, v94, v93
	v_dual_add_f32 v97, v95, v13 :: v_dual_sub_f32 v94, v96, v94
	s_delay_alu instid0(VALU_DEP_1) | instskip(NEXT) | instid1(VALU_DEP_1)
	v_dual_sub_f32 v93, v97, v95 :: v_dual_add_f32 v12, v12, v94
	v_sub_f32_e32 v13, v13, v93
	s_delay_alu instid0(VALU_DEP_1) | instskip(NEXT) | instid1(VALU_DEP_1)
	v_add_f32_e32 v12, v12, v13
	v_add_f32_e32 v12, v97, v12
	s_delay_alu instid0(VALU_DEP_1)
	v_cndmask_b32_e32 v93, v12, v17, vcc_lo
.LBB30_82:                              ;   in Loop: Header=BB30_12 Depth=1
	s_or_b32 exec_lo, exec_lo, s30
	v_lshlrev_b32_e32 v12, 16, v14
	s_delay_alu instid0(VALU_DEP_1) | instskip(NEXT) | instid1(VALU_DEP_1)
	v_add_f32_e32 v94, s67, v12
	v_cmp_ge_f32_e32 vcc_lo, 0x41a00000, v94
	s_and_b32 s29, s80, vcc_lo
	s_delay_alu instid0(SALU_CYCLE_1)
	s_and_saveexec_b32 s30, s29
	s_cbranch_execz .LBB30_84
; %bb.83:                               ;   in Loop: Header=BB30_12 Depth=1
	v_mul_f32_e32 v12, 0x3fb8aa3b, v94
	v_cmp_ngt_f32_e32 vcc_lo, 0xc2ce8ed0, v94
	s_delay_alu instid0(VALU_DEP_2) | instskip(SKIP_1) | instid1(VALU_DEP_1)
	v_rndne_f32_e32 v13, v12
	v_fma_f32 v17, 0x3fb8aa3b, v94, -v12
	v_dual_sub_f32 v12, v12, v13 :: v_dual_fmac_f32 v17, 0x32a5705f, v94
	v_cvt_i32_f32_e32 v13, v13
	s_delay_alu instid0(VALU_DEP_2) | instskip(NEXT) | instid1(VALU_DEP_1)
	v_add_f32_e32 v12, v12, v17
	v_exp_f32_e32 v12, v12
	s_waitcnt_depctr 0xfff
	v_ldexp_f32 v12, v12, v13
	s_delay_alu instid0(VALU_DEP_1) | instskip(SKIP_1) | instid1(VALU_DEP_2)
	v_cndmask_b32_e32 v12, 0, v12, vcc_lo
	v_cmp_nlt_f32_e32 vcc_lo, 0x42b17218, v94
	v_cndmask_b32_e32 v17, 0x7f800000, v12, vcc_lo
	s_delay_alu instid0(VALU_DEP_1) | instskip(NEXT) | instid1(VALU_DEP_1)
	v_add_f32_e32 v94, 1.0, v17
	v_cvt_f64_f32_e32 v[12:13], v94
	s_delay_alu instid0(VALU_DEP_1) | instskip(SKIP_1) | instid1(VALU_DEP_1)
	v_frexp_exp_i32_f64_e32 v12, v[12:13]
	v_frexp_mant_f32_e32 v13, v94
	v_cmp_gt_f32_e32 vcc_lo, 0x3f2aaaab, v13
	v_add_f32_e32 v13, -1.0, v94
	s_delay_alu instid0(VALU_DEP_1) | instskip(SKIP_2) | instid1(VALU_DEP_3)
	v_sub_f32_e32 v96, v13, v94
	v_sub_f32_e32 v13, v17, v13
	v_cmp_gt_f32_e64 s29, 0x33800000, v17
	v_add_f32_e32 v96, 1.0, v96
	s_delay_alu instid0(VALU_DEP_1) | instskip(SKIP_2) | instid1(VALU_DEP_2)
	v_add_f32_e32 v13, v13, v96
	v_subrev_co_ci_u32_e32 v12, vcc_lo, 0, v12, vcc_lo
	v_cmp_eq_f32_e32 vcc_lo, 0x7f800000, v17
	v_sub_nc_u32_e32 v95, 0, v12
	v_cvt_f32_i32_e32 v12, v12
	s_or_b32 vcc_lo, s29, vcc_lo
	s_delay_alu instid0(VALU_DEP_2) | instskip(SKIP_1) | instid1(VALU_DEP_2)
	v_ldexp_f32 v94, v94, v95
	v_ldexp_f32 v13, v13, v95
	v_add_f32_e32 v95, -1.0, v94
	s_delay_alu instid0(VALU_DEP_1) | instskip(NEXT) | instid1(VALU_DEP_1)
	v_dual_add_f32 v97, 1.0, v94 :: v_dual_add_f32 v98, 1.0, v95
	v_add_f32_e32 v96, -1.0, v97
	s_delay_alu instid0(VALU_DEP_1) | instskip(NEXT) | instid1(VALU_DEP_3)
	v_sub_f32_e32 v96, v94, v96
	v_sub_f32_e32 v94, v94, v98
	s_delay_alu instid0(VALU_DEP_2) | instskip(NEXT) | instid1(VALU_DEP_2)
	v_add_f32_e32 v96, v13, v96
	v_add_f32_e32 v13, v13, v94
	s_delay_alu instid0(VALU_DEP_1) | instskip(NEXT) | instid1(VALU_DEP_1)
	v_dual_add_f32 v99, v95, v13 :: v_dual_add_f32 v98, v97, v96
	v_sub_f32_e32 v95, v95, v99
	s_delay_alu instid0(VALU_DEP_2) | instskip(SKIP_1) | instid1(VALU_DEP_1)
	v_rcp_f32_e32 v94, v98
	v_sub_f32_e32 v97, v97, v98
	v_dual_add_f32 v13, v13, v95 :: v_dual_add_f32 v96, v96, v97
	s_waitcnt_depctr 0xfff
	v_mul_f32_e32 v100, v99, v94
	s_delay_alu instid0(VALU_DEP_1) | instskip(NEXT) | instid1(VALU_DEP_1)
	v_mul_f32_e32 v101, v98, v100
	v_fma_f32 v97, v100, v98, -v101
	s_delay_alu instid0(VALU_DEP_1) | instskip(NEXT) | instid1(VALU_DEP_1)
	v_fmac_f32_e32 v97, v100, v96
	v_add_f32_e32 v102, v101, v97
	s_delay_alu instid0(VALU_DEP_1) | instskip(SKIP_1) | instid1(VALU_DEP_2)
	v_sub_f32_e32 v103, v99, v102
	v_sub_f32_e32 v95, v102, v101
	;; [unrolled: 1-line block ×3, first 2 shown]
	s_delay_alu instid0(VALU_DEP_2) | instskip(NEXT) | instid1(VALU_DEP_2)
	v_sub_f32_e32 v95, v95, v97
	v_sub_f32_e32 v99, v99, v102
	s_delay_alu instid0(VALU_DEP_1) | instskip(NEXT) | instid1(VALU_DEP_1)
	v_add_f32_e32 v13, v13, v99
	v_add_f32_e32 v13, v95, v13
	s_delay_alu instid0(VALU_DEP_1) | instskip(NEXT) | instid1(VALU_DEP_1)
	v_add_f32_e32 v95, v103, v13
	v_mul_f32_e32 v97, v94, v95
	s_delay_alu instid0(VALU_DEP_1) | instskip(NEXT) | instid1(VALU_DEP_1)
	v_dual_sub_f32 v102, v103, v95 :: v_dual_mul_f32 v99, v98, v97
	v_add_f32_e32 v13, v13, v102
	s_delay_alu instid0(VALU_DEP_2) | instskip(NEXT) | instid1(VALU_DEP_1)
	v_fma_f32 v98, v97, v98, -v99
	v_fmac_f32_e32 v98, v97, v96
	s_delay_alu instid0(VALU_DEP_1) | instskip(NEXT) | instid1(VALU_DEP_1)
	v_add_f32_e32 v96, v99, v98
	v_sub_f32_e32 v101, v95, v96
	s_delay_alu instid0(VALU_DEP_1) | instskip(NEXT) | instid1(VALU_DEP_1)
	v_sub_f32_e32 v95, v95, v101
	v_sub_f32_e32 v95, v95, v96
	s_delay_alu instid0(VALU_DEP_1) | instskip(SKIP_2) | instid1(VALU_DEP_1)
	v_add_f32_e32 v13, v13, v95
	v_add_f32_e32 v95, v100, v97
	v_sub_f32_e32 v99, v96, v99
	v_sub_f32_e32 v96, v99, v98
	s_delay_alu instid0(VALU_DEP_1) | instskip(NEXT) | instid1(VALU_DEP_1)
	v_dual_add_f32 v13, v96, v13 :: v_dual_sub_f32 v96, v95, v100
	v_add_f32_e32 v13, v101, v13
	s_delay_alu instid0(VALU_DEP_1) | instskip(NEXT) | instid1(VALU_DEP_1)
	v_dual_sub_f32 v96, v97, v96 :: v_dual_mul_f32 v13, v94, v13
	v_add_f32_e32 v13, v96, v13
	s_delay_alu instid0(VALU_DEP_1) | instskip(NEXT) | instid1(VALU_DEP_1)
	v_add_f32_e32 v94, v95, v13
	v_mul_f32_e32 v96, v94, v94
	s_delay_alu instid0(VALU_DEP_1) | instskip(SKIP_1) | instid1(VALU_DEP_2)
	v_fmaak_f32 v97, s84, v96, 0x3ecc95a3
	v_mul_f32_e32 v98, v94, v96
	v_fmaak_f32 v96, v96, v97, 0x3f2aaada
	v_ldexp_f32 v97, v94, 1
	v_sub_f32_e32 v94, v94, v95
	s_delay_alu instid0(VALU_DEP_3) | instskip(NEXT) | instid1(VALU_DEP_2)
	v_mul_f32_e32 v96, v98, v96
	v_dual_mul_f32 v98, 0x3f317218, v12 :: v_dual_sub_f32 v13, v13, v94
	s_delay_alu instid0(VALU_DEP_2) | instskip(NEXT) | instid1(VALU_DEP_2)
	v_add_f32_e32 v95, v97, v96
	v_ldexp_f32 v13, v13, 1
	s_delay_alu instid0(VALU_DEP_2) | instskip(NEXT) | instid1(VALU_DEP_4)
	v_sub_f32_e32 v94, v95, v97
	v_fma_f32 v97, 0x3f317218, v12, -v98
	s_delay_alu instid0(VALU_DEP_1) | instskip(NEXT) | instid1(VALU_DEP_1)
	v_dual_sub_f32 v94, v96, v94 :: v_dual_fmac_f32 v97, 0xb102e308, v12
	v_add_f32_e32 v12, v13, v94
	s_delay_alu instid0(VALU_DEP_1) | instskip(NEXT) | instid1(VALU_DEP_1)
	v_add_f32_e32 v94, v95, v12
	v_sub_f32_e32 v95, v94, v95
	s_delay_alu instid0(VALU_DEP_1) | instskip(NEXT) | instid1(VALU_DEP_1)
	v_dual_sub_f32 v12, v12, v95 :: v_dual_add_f32 v13, v98, v97
	v_add_f32_e32 v96, v13, v94
	s_delay_alu instid0(VALU_DEP_1) | instskip(NEXT) | instid1(VALU_DEP_1)
	v_dual_sub_f32 v98, v13, v98 :: v_dual_sub_f32 v99, v96, v13
	v_dual_sub_f32 v97, v97, v98 :: v_dual_sub_f32 v100, v96, v99
	s_delay_alu instid0(VALU_DEP_1) | instskip(NEXT) | instid1(VALU_DEP_2)
	v_dual_sub_f32 v94, v94, v99 :: v_dual_add_f32 v95, v97, v12
	v_sub_f32_e32 v13, v13, v100
	s_delay_alu instid0(VALU_DEP_1) | instskip(NEXT) | instid1(VALU_DEP_3)
	v_add_f32_e32 v13, v94, v13
	v_sub_f32_e32 v94, v95, v97
	s_delay_alu instid0(VALU_DEP_2) | instskip(NEXT) | instid1(VALU_DEP_2)
	v_add_f32_e32 v13, v95, v13
	v_sub_f32_e32 v95, v95, v94
	v_sub_f32_e32 v12, v12, v94
	s_delay_alu instid0(VALU_DEP_2) | instskip(NEXT) | instid1(VALU_DEP_1)
	v_dual_add_f32 v98, v96, v13 :: v_dual_sub_f32 v95, v97, v95
	v_sub_f32_e32 v94, v98, v96
	s_delay_alu instid0(VALU_DEP_1) | instskip(NEXT) | instid1(VALU_DEP_1)
	v_dual_add_f32 v12, v12, v95 :: v_dual_sub_f32 v13, v13, v94
	v_add_f32_e32 v12, v12, v13
	s_delay_alu instid0(VALU_DEP_1) | instskip(NEXT) | instid1(VALU_DEP_1)
	v_add_f32_e32 v12, v98, v12
	v_cndmask_b32_e32 v94, v12, v17, vcc_lo
.LBB30_84:                              ;   in Loop: Header=BB30_12 Depth=1
	s_or_b32 exec_lo, exec_lo, s30
	v_and_b32_e32 v12, 0xffff0000, v14
	s_delay_alu instid0(VALU_DEP_1) | instskip(NEXT) | instid1(VALU_DEP_1)
	v_add_f32_e32 v95, s67, v12
	v_cmp_ge_f32_e32 vcc_lo, 0x41a00000, v95
	s_and_b32 s29, s80, vcc_lo
	s_delay_alu instid0(SALU_CYCLE_1)
	s_and_saveexec_b32 s30, s29
	s_cbranch_execz .LBB30_86
; %bb.85:                               ;   in Loop: Header=BB30_12 Depth=1
	v_mul_f32_e32 v12, 0x3fb8aa3b, v95
	v_cmp_ngt_f32_e32 vcc_lo, 0xc2ce8ed0, v95
	s_delay_alu instid0(VALU_DEP_2) | instskip(SKIP_1) | instid1(VALU_DEP_2)
	v_rndne_f32_e32 v13, v12
	v_fma_f32 v14, 0x3fb8aa3b, v95, -v12
	v_sub_f32_e32 v12, v12, v13
	s_delay_alu instid0(VALU_DEP_2) | instskip(SKIP_1) | instid1(VALU_DEP_2)
	v_fmac_f32_e32 v14, 0x32a5705f, v95
	v_cvt_i32_f32_e32 v13, v13
	v_add_f32_e32 v12, v12, v14
	s_delay_alu instid0(VALU_DEP_1) | instskip(SKIP_2) | instid1(VALU_DEP_1)
	v_exp_f32_e32 v12, v12
	s_waitcnt_depctr 0xfff
	v_ldexp_f32 v12, v12, v13
	v_cndmask_b32_e32 v12, 0, v12, vcc_lo
	v_cmp_nlt_f32_e32 vcc_lo, 0x42b17218, v95
	s_delay_alu instid0(VALU_DEP_2) | instskip(NEXT) | instid1(VALU_DEP_1)
	v_cndmask_b32_e32 v14, 0x7f800000, v12, vcc_lo
	v_add_f32_e32 v17, 1.0, v14
	s_delay_alu instid0(VALU_DEP_1) | instskip(NEXT) | instid1(VALU_DEP_1)
	v_cvt_f64_f32_e32 v[12:13], v17
	v_frexp_exp_i32_f64_e32 v12, v[12:13]
	v_frexp_mant_f32_e32 v13, v17
	s_delay_alu instid0(VALU_DEP_1) | instskip(SKIP_1) | instid1(VALU_DEP_1)
	v_cmp_gt_f32_e32 vcc_lo, 0x3f2aaaab, v13
	v_add_f32_e32 v13, -1.0, v17
	v_sub_f32_e32 v96, v13, v17
	v_sub_f32_e32 v13, v14, v13
	v_subrev_co_ci_u32_e32 v12, vcc_lo, 0, v12, vcc_lo
	s_delay_alu instid0(VALU_DEP_1) | instskip(SKIP_1) | instid1(VALU_DEP_2)
	v_sub_nc_u32_e32 v95, 0, v12
	v_cvt_f32_i32_e32 v12, v12
	v_ldexp_f32 v17, v17, v95
	s_delay_alu instid0(VALU_DEP_1) | instskip(NEXT) | instid1(VALU_DEP_1)
	v_dual_add_f32 v96, 1.0, v96 :: v_dual_add_f32 v97, 1.0, v17
	v_dual_add_f32 v13, v13, v96 :: v_dual_add_f32 v96, -1.0, v97
	s_delay_alu instid0(VALU_DEP_1) | instskip(SKIP_4) | instid1(VALU_DEP_4)
	v_ldexp_f32 v13, v13, v95
	v_add_f32_e32 v95, -1.0, v17
	v_cmp_eq_f32_e32 vcc_lo, 0x7f800000, v14
	v_cmp_gt_f32_e64 s29, 0x33800000, v14
	v_sub_f32_e32 v96, v17, v96
	v_add_f32_e32 v98, 1.0, v95
	s_delay_alu instid0(VALU_DEP_3) | instskip(NEXT) | instid1(VALU_DEP_2)
	s_or_b32 vcc_lo, s29, vcc_lo
	v_add_f32_e32 v96, v13, v96
	s_delay_alu instid0(VALU_DEP_2) | instskip(NEXT) | instid1(VALU_DEP_1)
	v_sub_f32_e32 v17, v17, v98
	v_add_f32_e32 v13, v13, v17
	s_delay_alu instid0(VALU_DEP_1) | instskip(NEXT) | instid1(VALU_DEP_1)
	v_dual_add_f32 v99, v95, v13 :: v_dual_add_f32 v98, v97, v96
	v_sub_f32_e32 v95, v95, v99
	s_delay_alu instid0(VALU_DEP_2) | instskip(SKIP_1) | instid1(VALU_DEP_1)
	v_rcp_f32_e32 v17, v98
	v_sub_f32_e32 v97, v97, v98
	v_dual_add_f32 v13, v13, v95 :: v_dual_add_f32 v96, v96, v97
	s_waitcnt_depctr 0xfff
	v_mul_f32_e32 v100, v99, v17
	s_delay_alu instid0(VALU_DEP_1) | instskip(NEXT) | instid1(VALU_DEP_1)
	v_mul_f32_e32 v101, v98, v100
	v_fma_f32 v97, v100, v98, -v101
	s_delay_alu instid0(VALU_DEP_1) | instskip(NEXT) | instid1(VALU_DEP_1)
	v_fmac_f32_e32 v97, v100, v96
	v_add_f32_e32 v102, v101, v97
	s_delay_alu instid0(VALU_DEP_1) | instskip(NEXT) | instid1(VALU_DEP_1)
	v_sub_f32_e32 v103, v99, v102
	v_sub_f32_e32 v99, v99, v103
	;; [unrolled: 1-line block ×3, first 2 shown]
	s_delay_alu instid0(VALU_DEP_2) | instskip(NEXT) | instid1(VALU_DEP_2)
	v_sub_f32_e32 v99, v99, v102
	v_sub_f32_e32 v95, v95, v97
	s_delay_alu instid0(VALU_DEP_2) | instskip(NEXT) | instid1(VALU_DEP_1)
	v_add_f32_e32 v13, v13, v99
	v_add_f32_e32 v13, v95, v13
	s_delay_alu instid0(VALU_DEP_1) | instskip(NEXT) | instid1(VALU_DEP_1)
	v_add_f32_e32 v95, v103, v13
	v_mul_f32_e32 v97, v17, v95
	s_delay_alu instid0(VALU_DEP_1) | instskip(NEXT) | instid1(VALU_DEP_1)
	v_dual_sub_f32 v102, v103, v95 :: v_dual_mul_f32 v99, v98, v97
	v_add_f32_e32 v13, v13, v102
	s_delay_alu instid0(VALU_DEP_2) | instskip(NEXT) | instid1(VALU_DEP_1)
	v_fma_f32 v98, v97, v98, -v99
	v_fmac_f32_e32 v98, v97, v96
	s_delay_alu instid0(VALU_DEP_1) | instskip(NEXT) | instid1(VALU_DEP_1)
	v_add_f32_e32 v96, v99, v98
	v_sub_f32_e32 v101, v95, v96
	v_sub_f32_e32 v99, v96, v99
	s_delay_alu instid0(VALU_DEP_2) | instskip(NEXT) | instid1(VALU_DEP_1)
	v_sub_f32_e32 v95, v95, v101
	v_sub_f32_e32 v95, v95, v96
	s_delay_alu instid0(VALU_DEP_1) | instskip(SKIP_1) | instid1(VALU_DEP_1)
	v_dual_sub_f32 v96, v99, v98 :: v_dual_add_f32 v13, v13, v95
	v_add_f32_e32 v95, v100, v97
	v_dual_add_f32 v13, v96, v13 :: v_dual_sub_f32 v96, v95, v100
	s_delay_alu instid0(VALU_DEP_1) | instskip(NEXT) | instid1(VALU_DEP_2)
	v_add_f32_e32 v13, v101, v13
	v_sub_f32_e32 v96, v97, v96
	s_delay_alu instid0(VALU_DEP_2) | instskip(NEXT) | instid1(VALU_DEP_1)
	v_mul_f32_e32 v13, v17, v13
	v_add_f32_e32 v13, v96, v13
	s_delay_alu instid0(VALU_DEP_1) | instskip(NEXT) | instid1(VALU_DEP_1)
	v_add_f32_e32 v17, v95, v13
	v_mul_f32_e32 v96, v17, v17
	s_delay_alu instid0(VALU_DEP_1) | instskip(SKIP_1) | instid1(VALU_DEP_2)
	v_fmaak_f32 v97, s84, v96, 0x3ecc95a3
	v_mul_f32_e32 v98, v17, v96
	v_fmaak_f32 v96, v96, v97, 0x3f2aaada
	v_ldexp_f32 v97, v17, 1
	s_delay_alu instid0(VALU_DEP_2) | instskip(NEXT) | instid1(VALU_DEP_1)
	v_dual_sub_f32 v17, v17, v95 :: v_dual_mul_f32 v96, v98, v96
	v_dual_mul_f32 v98, 0x3f317218, v12 :: v_dual_sub_f32 v13, v13, v17
	s_delay_alu instid0(VALU_DEP_2) | instskip(NEXT) | instid1(VALU_DEP_2)
	v_add_f32_e32 v95, v97, v96
	v_ldexp_f32 v13, v13, 1
	s_delay_alu instid0(VALU_DEP_2) | instskip(NEXT) | instid1(VALU_DEP_4)
	v_sub_f32_e32 v17, v95, v97
	v_fma_f32 v97, 0x3f317218, v12, -v98
	s_delay_alu instid0(VALU_DEP_2) | instskip(NEXT) | instid1(VALU_DEP_1)
	v_sub_f32_e32 v17, v96, v17
	v_dual_fmac_f32 v97, 0xb102e308, v12 :: v_dual_add_f32 v12, v13, v17
	s_delay_alu instid0(VALU_DEP_1) | instskip(NEXT) | instid1(VALU_DEP_1)
	v_add_f32_e32 v13, v98, v97
	v_dual_add_f32 v17, v95, v12 :: v_dual_sub_f32 v98, v13, v98
	s_delay_alu instid0(VALU_DEP_1) | instskip(SKIP_1) | instid1(VALU_DEP_3)
	v_add_f32_e32 v96, v13, v17
	v_sub_f32_e32 v95, v17, v95
	v_sub_f32_e32 v97, v97, v98
	s_delay_alu instid0(VALU_DEP_3) | instskip(NEXT) | instid1(VALU_DEP_3)
	v_sub_f32_e32 v99, v96, v13
	v_sub_f32_e32 v12, v12, v95
	s_delay_alu instid0(VALU_DEP_2) | instskip(SKIP_1) | instid1(VALU_DEP_3)
	v_sub_f32_e32 v100, v96, v99
	v_sub_f32_e32 v17, v17, v99
	v_add_f32_e32 v95, v97, v12
	s_delay_alu instid0(VALU_DEP_3) | instskip(NEXT) | instid1(VALU_DEP_1)
	v_sub_f32_e32 v13, v13, v100
	v_add_f32_e32 v13, v17, v13
	s_delay_alu instid0(VALU_DEP_3) | instskip(NEXT) | instid1(VALU_DEP_2)
	v_sub_f32_e32 v17, v95, v97
	v_add_f32_e32 v13, v95, v13
	s_delay_alu instid0(VALU_DEP_2) | instskip(SKIP_1) | instid1(VALU_DEP_2)
	v_sub_f32_e32 v95, v95, v17
	v_sub_f32_e32 v12, v12, v17
	v_dual_add_f32 v98, v96, v13 :: v_dual_sub_f32 v95, v97, v95
	s_delay_alu instid0(VALU_DEP_1) | instskip(NEXT) | instid1(VALU_DEP_1)
	v_dual_sub_f32 v17, v98, v96 :: v_dual_add_f32 v12, v12, v95
	v_sub_f32_e32 v13, v13, v17
	s_delay_alu instid0(VALU_DEP_1) | instskip(NEXT) | instid1(VALU_DEP_1)
	v_add_f32_e32 v12, v12, v13
	v_add_f32_e32 v12, v98, v12
	s_delay_alu instid0(VALU_DEP_1)
	v_cndmask_b32_e32 v95, v12, v14, vcc_lo
.LBB30_86:                              ;   in Loop: Header=BB30_12 Depth=1
	s_or_b32 exec_lo, exec_lo, s30
	v_lshlrev_b32_e32 v12, 16, v15
	s_delay_alu instid0(VALU_DEP_1) | instskip(NEXT) | instid1(VALU_DEP_1)
	v_add_f32_e32 v96, s67, v12
	v_cmp_ge_f32_e32 vcc_lo, 0x41a00000, v96
	s_and_b32 s29, s80, vcc_lo
	s_delay_alu instid0(SALU_CYCLE_1)
	s_and_saveexec_b32 s30, s29
	s_cbranch_execz .LBB30_88
; %bb.87:                               ;   in Loop: Header=BB30_12 Depth=1
	v_mul_f32_e32 v12, 0x3fb8aa3b, v96
	v_cmp_ngt_f32_e32 vcc_lo, 0xc2ce8ed0, v96
	s_delay_alu instid0(VALU_DEP_2) | instskip(SKIP_1) | instid1(VALU_DEP_2)
	v_rndne_f32_e32 v13, v12
	v_fma_f32 v14, 0x3fb8aa3b, v96, -v12
	v_sub_f32_e32 v12, v12, v13
	s_delay_alu instid0(VALU_DEP_2) | instskip(SKIP_1) | instid1(VALU_DEP_2)
	v_fmac_f32_e32 v14, 0x32a5705f, v96
	v_cvt_i32_f32_e32 v13, v13
	v_add_f32_e32 v12, v12, v14
	s_delay_alu instid0(VALU_DEP_1) | instskip(SKIP_2) | instid1(VALU_DEP_1)
	v_exp_f32_e32 v12, v12
	s_waitcnt_depctr 0xfff
	v_ldexp_f32 v12, v12, v13
	v_cndmask_b32_e32 v12, 0, v12, vcc_lo
	v_cmp_nlt_f32_e32 vcc_lo, 0x42b17218, v96
	s_delay_alu instid0(VALU_DEP_2) | instskip(NEXT) | instid1(VALU_DEP_1)
	v_cndmask_b32_e32 v14, 0x7f800000, v12, vcc_lo
	v_add_f32_e32 v17, 1.0, v14
	s_delay_alu instid0(VALU_DEP_1) | instskip(NEXT) | instid1(VALU_DEP_1)
	v_cvt_f64_f32_e32 v[12:13], v17
	v_frexp_exp_i32_f64_e32 v12, v[12:13]
	v_frexp_mant_f32_e32 v13, v17
	s_delay_alu instid0(VALU_DEP_1) | instskip(SKIP_1) | instid1(VALU_DEP_1)
	v_cmp_gt_f32_e32 vcc_lo, 0x3f2aaaab, v13
	v_add_f32_e32 v13, -1.0, v17
	v_sub_f32_e32 v97, v13, v17
	s_delay_alu instid0(VALU_DEP_1) | instskip(SKIP_2) | instid1(VALU_DEP_2)
	v_add_f32_e32 v97, 1.0, v97
	v_sub_f32_e32 v13, v14, v13
	v_cmp_gt_f32_e64 s29, 0x33800000, v14
	v_add_f32_e32 v13, v13, v97
	v_subrev_co_ci_u32_e32 v12, vcc_lo, 0, v12, vcc_lo
	v_cmp_eq_f32_e32 vcc_lo, 0x7f800000, v14
	s_delay_alu instid0(VALU_DEP_2) | instskip(SKIP_2) | instid1(VALU_DEP_2)
	v_sub_nc_u32_e32 v96, 0, v12
	v_cvt_f32_i32_e32 v12, v12
	s_or_b32 vcc_lo, s29, vcc_lo
	v_ldexp_f32 v17, v17, v96
	v_ldexp_f32 v13, v13, v96
	s_delay_alu instid0(VALU_DEP_2) | instskip(NEXT) | instid1(VALU_DEP_1)
	v_add_f32_e32 v96, -1.0, v17
	v_dual_add_f32 v98, 1.0, v17 :: v_dual_add_f32 v99, 1.0, v96
	s_delay_alu instid0(VALU_DEP_1) | instskip(NEXT) | instid1(VALU_DEP_1)
	v_add_f32_e32 v97, -1.0, v98
	v_sub_f32_e32 v97, v17, v97
	s_delay_alu instid0(VALU_DEP_3) | instskip(NEXT) | instid1(VALU_DEP_2)
	v_sub_f32_e32 v17, v17, v99
	v_add_f32_e32 v97, v13, v97
	s_delay_alu instid0(VALU_DEP_2) | instskip(NEXT) | instid1(VALU_DEP_1)
	v_add_f32_e32 v13, v13, v17
	v_add_f32_e32 v100, v96, v13
	s_delay_alu instid0(VALU_DEP_1) | instskip(NEXT) | instid1(VALU_DEP_1)
	v_dual_sub_f32 v96, v96, v100 :: v_dual_add_f32 v99, v98, v97
	v_add_f32_e32 v13, v13, v96
	s_delay_alu instid0(VALU_DEP_2) | instskip(SKIP_1) | instid1(VALU_DEP_1)
	v_rcp_f32_e32 v17, v99
	v_sub_f32_e32 v98, v98, v99
	v_add_f32_e32 v97, v97, v98
	s_waitcnt_depctr 0xfff
	v_mul_f32_e32 v101, v100, v17
	s_delay_alu instid0(VALU_DEP_1) | instskip(NEXT) | instid1(VALU_DEP_1)
	v_mul_f32_e32 v102, v99, v101
	v_fma_f32 v98, v101, v99, -v102
	s_delay_alu instid0(VALU_DEP_1) | instskip(NEXT) | instid1(VALU_DEP_1)
	v_fmac_f32_e32 v98, v101, v97
	v_add_f32_e32 v103, v102, v98
	s_delay_alu instid0(VALU_DEP_1) | instskip(SKIP_1) | instid1(VALU_DEP_2)
	v_sub_f32_e32 v104, v100, v103
	v_sub_f32_e32 v96, v103, v102
	;; [unrolled: 1-line block ×3, first 2 shown]
	s_delay_alu instid0(VALU_DEP_1) | instskip(NEXT) | instid1(VALU_DEP_1)
	v_sub_f32_e32 v100, v100, v103
	v_dual_sub_f32 v96, v96, v98 :: v_dual_add_f32 v13, v13, v100
	s_delay_alu instid0(VALU_DEP_1) | instskip(NEXT) | instid1(VALU_DEP_1)
	v_add_f32_e32 v13, v96, v13
	v_add_f32_e32 v96, v104, v13
	s_delay_alu instid0(VALU_DEP_1) | instskip(NEXT) | instid1(VALU_DEP_1)
	v_mul_f32_e32 v98, v17, v96
	v_dual_sub_f32 v103, v104, v96 :: v_dual_mul_f32 v100, v99, v98
	s_delay_alu instid0(VALU_DEP_1) | instskip(NEXT) | instid1(VALU_DEP_2)
	v_add_f32_e32 v13, v13, v103
	v_fma_f32 v99, v98, v99, -v100
	s_delay_alu instid0(VALU_DEP_1) | instskip(NEXT) | instid1(VALU_DEP_1)
	v_fmac_f32_e32 v99, v98, v97
	v_add_f32_e32 v97, v100, v99
	s_delay_alu instid0(VALU_DEP_1) | instskip(NEXT) | instid1(VALU_DEP_1)
	v_sub_f32_e32 v102, v96, v97
	v_sub_f32_e32 v96, v96, v102
	s_delay_alu instid0(VALU_DEP_1) | instskip(NEXT) | instid1(VALU_DEP_1)
	v_sub_f32_e32 v96, v96, v97
	v_add_f32_e32 v13, v13, v96
	v_add_f32_e32 v96, v101, v98
	v_sub_f32_e32 v100, v97, v100
	s_delay_alu instid0(VALU_DEP_1) | instskip(NEXT) | instid1(VALU_DEP_1)
	v_sub_f32_e32 v97, v100, v99
	v_add_f32_e32 v13, v97, v13
	s_delay_alu instid0(VALU_DEP_4) | instskip(NEXT) | instid1(VALU_DEP_2)
	v_sub_f32_e32 v97, v96, v101
	v_add_f32_e32 v13, v102, v13
	s_delay_alu instid0(VALU_DEP_2) | instskip(NEXT) | instid1(VALU_DEP_2)
	v_sub_f32_e32 v97, v98, v97
	v_mul_f32_e32 v13, v17, v13
	s_delay_alu instid0(VALU_DEP_1) | instskip(NEXT) | instid1(VALU_DEP_1)
	v_add_f32_e32 v13, v97, v13
	v_add_f32_e32 v17, v96, v13
	s_delay_alu instid0(VALU_DEP_1) | instskip(NEXT) | instid1(VALU_DEP_1)
	v_mul_f32_e32 v97, v17, v17
	v_fmaak_f32 v98, s84, v97, 0x3ecc95a3
	v_mul_f32_e32 v99, v17, v97
	s_delay_alu instid0(VALU_DEP_2) | instskip(SKIP_1) | instid1(VALU_DEP_2)
	v_fmaak_f32 v97, v97, v98, 0x3f2aaada
	v_ldexp_f32 v98, v17, 1
	v_mul_f32_e32 v97, v99, v97
	s_delay_alu instid0(VALU_DEP_1) | instskip(NEXT) | instid1(VALU_DEP_1)
	v_dual_sub_f32 v17, v17, v96 :: v_dual_add_f32 v96, v98, v97
	v_sub_f32_e32 v13, v13, v17
	s_delay_alu instid0(VALU_DEP_2) | instskip(NEXT) | instid1(VALU_DEP_2)
	v_sub_f32_e32 v17, v96, v98
	v_ldexp_f32 v13, v13, 1
	s_delay_alu instid0(VALU_DEP_2) | instskip(SKIP_1) | instid1(VALU_DEP_1)
	v_sub_f32_e32 v17, v97, v17
	v_mul_f32_e32 v99, 0x3f317218, v12
	v_fma_f32 v98, 0x3f317218, v12, -v99
	s_delay_alu instid0(VALU_DEP_1) | instskip(NEXT) | instid1(VALU_DEP_1)
	v_fmac_f32_e32 v98, 0xb102e308, v12
	v_dual_add_f32 v12, v13, v17 :: v_dual_add_f32 v13, v99, v98
	s_delay_alu instid0(VALU_DEP_1) | instskip(NEXT) | instid1(VALU_DEP_1)
	v_add_f32_e32 v17, v96, v12
	v_add_f32_e32 v97, v13, v17
	v_sub_f32_e32 v96, v17, v96
	s_delay_alu instid0(VALU_DEP_2) | instskip(NEXT) | instid1(VALU_DEP_2)
	v_sub_f32_e32 v100, v97, v13
	v_dual_sub_f32 v12, v12, v96 :: v_dual_sub_f32 v99, v13, v99
	s_delay_alu instid0(VALU_DEP_2) | instskip(NEXT) | instid1(VALU_DEP_2)
	v_sub_f32_e32 v101, v97, v100
	v_dual_sub_f32 v17, v17, v100 :: v_dual_sub_f32 v98, v98, v99
	s_delay_alu instid0(VALU_DEP_1) | instskip(NEXT) | instid1(VALU_DEP_1)
	v_dual_sub_f32 v13, v13, v101 :: v_dual_add_f32 v96, v98, v12
	v_add_f32_e32 v13, v17, v13
	s_delay_alu instid0(VALU_DEP_2) | instskip(NEXT) | instid1(VALU_DEP_2)
	v_sub_f32_e32 v17, v96, v98
	v_add_f32_e32 v13, v96, v13
	s_delay_alu instid0(VALU_DEP_2) | instskip(SKIP_1) | instid1(VALU_DEP_2)
	v_sub_f32_e32 v96, v96, v17
	v_sub_f32_e32 v12, v12, v17
	v_dual_add_f32 v99, v97, v13 :: v_dual_sub_f32 v96, v98, v96
	s_delay_alu instid0(VALU_DEP_1) | instskip(NEXT) | instid1(VALU_DEP_1)
	v_dual_sub_f32 v17, v99, v97 :: v_dual_add_f32 v12, v12, v96
	v_sub_f32_e32 v13, v13, v17
	s_delay_alu instid0(VALU_DEP_1) | instskip(NEXT) | instid1(VALU_DEP_1)
	v_add_f32_e32 v12, v12, v13
	v_add_f32_e32 v12, v99, v12
	s_delay_alu instid0(VALU_DEP_1)
	v_cndmask_b32_e32 v96, v12, v14, vcc_lo
.LBB30_88:                              ;   in Loop: Header=BB30_12 Depth=1
	s_or_b32 exec_lo, exec_lo, s30
	v_and_b32_e32 v12, 0xffff0000, v15
	s_delay_alu instid0(VALU_DEP_1) | instskip(NEXT) | instid1(VALU_DEP_1)
	v_add_f32_e32 v97, s67, v12
	v_cmp_ge_f32_e32 vcc_lo, 0x41a00000, v97
	s_and_b32 s29, s80, vcc_lo
	s_delay_alu instid0(SALU_CYCLE_1)
	s_and_saveexec_b32 s30, s29
	s_cbranch_execz .LBB30_90
; %bb.89:                               ;   in Loop: Header=BB30_12 Depth=1
	v_mul_f32_e32 v12, 0x3fb8aa3b, v97
	v_cmp_ngt_f32_e32 vcc_lo, 0xc2ce8ed0, v97
	s_delay_alu instid0(VALU_DEP_2) | instskip(SKIP_1) | instid1(VALU_DEP_2)
	v_rndne_f32_e32 v13, v12
	v_fma_f32 v14, 0x3fb8aa3b, v97, -v12
	v_sub_f32_e32 v12, v12, v13
	s_delay_alu instid0(VALU_DEP_2) | instskip(SKIP_1) | instid1(VALU_DEP_2)
	v_fmac_f32_e32 v14, 0x32a5705f, v97
	v_cvt_i32_f32_e32 v13, v13
	v_add_f32_e32 v12, v12, v14
	s_delay_alu instid0(VALU_DEP_1) | instskip(SKIP_2) | instid1(VALU_DEP_1)
	v_exp_f32_e32 v12, v12
	s_waitcnt_depctr 0xfff
	v_ldexp_f32 v12, v12, v13
	v_cndmask_b32_e32 v12, 0, v12, vcc_lo
	v_cmp_nlt_f32_e32 vcc_lo, 0x42b17218, v97
	s_delay_alu instid0(VALU_DEP_2) | instskip(NEXT) | instid1(VALU_DEP_1)
	v_cndmask_b32_e32 v14, 0x7f800000, v12, vcc_lo
	v_add_f32_e32 v15, 1.0, v14
	s_delay_alu instid0(VALU_DEP_1) | instskip(NEXT) | instid1(VALU_DEP_1)
	v_cvt_f64_f32_e32 v[12:13], v15
	v_frexp_exp_i32_f64_e32 v12, v[12:13]
	v_frexp_mant_f32_e32 v13, v15
	s_delay_alu instid0(VALU_DEP_1) | instskip(SKIP_1) | instid1(VALU_DEP_1)
	v_cmp_gt_f32_e32 vcc_lo, 0x3f2aaaab, v13
	v_add_f32_e32 v13, -1.0, v15
	v_sub_f32_e32 v97, v13, v15
	v_sub_f32_e32 v13, v14, v13
	s_delay_alu instid0(VALU_DEP_2) | instskip(NEXT) | instid1(VALU_DEP_1)
	v_add_f32_e32 v97, 1.0, v97
	v_add_f32_e32 v13, v13, v97
	v_cmp_gt_f32_e64 s29, 0x33800000, v14
	v_subrev_co_ci_u32_e32 v12, vcc_lo, 0, v12, vcc_lo
	v_cmp_eq_f32_e32 vcc_lo, 0x7f800000, v14
	s_delay_alu instid0(VALU_DEP_2) | instskip(SKIP_2) | instid1(VALU_DEP_2)
	v_sub_nc_u32_e32 v17, 0, v12
	v_cvt_f32_i32_e32 v12, v12
	s_or_b32 vcc_lo, s29, vcc_lo
	v_ldexp_f32 v15, v15, v17
	v_ldexp_f32 v13, v13, v17
	s_delay_alu instid0(VALU_DEP_2) | instskip(SKIP_1) | instid1(VALU_DEP_2)
	v_add_f32_e32 v98, 1.0, v15
	v_add_f32_e32 v17, -1.0, v15
	v_add_f32_e32 v97, -1.0, v98
	s_delay_alu instid0(VALU_DEP_2) | instskip(NEXT) | instid1(VALU_DEP_2)
	v_add_f32_e32 v99, 1.0, v17
	v_sub_f32_e32 v97, v15, v97
	s_delay_alu instid0(VALU_DEP_2) | instskip(NEXT) | instid1(VALU_DEP_2)
	v_sub_f32_e32 v15, v15, v99
	v_add_f32_e32 v97, v13, v97
	s_delay_alu instid0(VALU_DEP_2) | instskip(NEXT) | instid1(VALU_DEP_1)
	v_add_f32_e32 v13, v13, v15
	v_add_f32_e32 v100, v17, v13
	s_delay_alu instid0(VALU_DEP_3) | instskip(NEXT) | instid1(VALU_DEP_1)
	v_add_f32_e32 v99, v98, v97
	v_rcp_f32_e32 v15, v99
	v_sub_f32_e32 v98, v98, v99
	s_delay_alu instid0(VALU_DEP_1) | instskip(SKIP_2) | instid1(VALU_DEP_1)
	v_add_f32_e32 v97, v97, v98
	s_waitcnt_depctr 0xfff
	v_mul_f32_e32 v101, v100, v15
	v_dual_mul_f32 v102, v99, v101 :: v_dual_sub_f32 v17, v17, v100
	s_delay_alu instid0(VALU_DEP_1) | instskip(NEXT) | instid1(VALU_DEP_2)
	v_fma_f32 v98, v101, v99, -v102
	v_add_f32_e32 v13, v13, v17
	s_delay_alu instid0(VALU_DEP_2) | instskip(NEXT) | instid1(VALU_DEP_1)
	v_fmac_f32_e32 v98, v101, v97
	v_add_f32_e32 v103, v102, v98
	s_delay_alu instid0(VALU_DEP_1) | instskip(NEXT) | instid1(VALU_DEP_1)
	v_dual_sub_f32 v104, v100, v103 :: v_dual_sub_f32 v17, v103, v102
	v_dual_sub_f32 v100, v100, v104 :: v_dual_sub_f32 v17, v17, v98
	s_delay_alu instid0(VALU_DEP_1) | instskip(NEXT) | instid1(VALU_DEP_1)
	v_sub_f32_e32 v100, v100, v103
	v_add_f32_e32 v13, v13, v100
	s_delay_alu instid0(VALU_DEP_1) | instskip(NEXT) | instid1(VALU_DEP_1)
	v_add_f32_e32 v13, v17, v13
	v_add_f32_e32 v17, v104, v13
	s_delay_alu instid0(VALU_DEP_1) | instskip(NEXT) | instid1(VALU_DEP_1)
	v_mul_f32_e32 v98, v15, v17
	v_dual_sub_f32 v103, v104, v17 :: v_dual_mul_f32 v100, v99, v98
	s_delay_alu instid0(VALU_DEP_1) | instskip(NEXT) | instid1(VALU_DEP_2)
	v_add_f32_e32 v13, v13, v103
	v_fma_f32 v99, v98, v99, -v100
	s_delay_alu instid0(VALU_DEP_1) | instskip(NEXT) | instid1(VALU_DEP_1)
	v_fmac_f32_e32 v99, v98, v97
	v_add_f32_e32 v97, v100, v99
	s_delay_alu instid0(VALU_DEP_1) | instskip(SKIP_1) | instid1(VALU_DEP_2)
	v_sub_f32_e32 v102, v17, v97
	v_sub_f32_e32 v100, v97, v100
	v_sub_f32_e32 v17, v17, v102
	s_delay_alu instid0(VALU_DEP_1) | instskip(NEXT) | instid1(VALU_DEP_3)
	v_sub_f32_e32 v17, v17, v97
	v_sub_f32_e32 v97, v100, v99
	s_delay_alu instid0(VALU_DEP_2) | instskip(SKIP_1) | instid1(VALU_DEP_2)
	v_add_f32_e32 v13, v13, v17
	v_add_f32_e32 v17, v101, v98
	;; [unrolled: 1-line block ×3, first 2 shown]
	s_delay_alu instid0(VALU_DEP_2) | instskip(NEXT) | instid1(VALU_DEP_2)
	v_sub_f32_e32 v97, v17, v101
	v_add_f32_e32 v13, v102, v13
	s_delay_alu instid0(VALU_DEP_2) | instskip(NEXT) | instid1(VALU_DEP_2)
	v_sub_f32_e32 v97, v98, v97
	v_mul_f32_e32 v13, v15, v13
	s_delay_alu instid0(VALU_DEP_1) | instskip(NEXT) | instid1(VALU_DEP_1)
	v_add_f32_e32 v13, v97, v13
	v_add_f32_e32 v15, v17, v13
	s_delay_alu instid0(VALU_DEP_1) | instskip(NEXT) | instid1(VALU_DEP_1)
	v_mul_f32_e32 v97, v15, v15
	v_fmaak_f32 v98, s84, v97, 0x3ecc95a3
	v_mul_f32_e32 v99, v15, v97
	s_delay_alu instid0(VALU_DEP_2) | instskip(SKIP_2) | instid1(VALU_DEP_3)
	v_fmaak_f32 v97, v97, v98, 0x3f2aaada
	v_ldexp_f32 v98, v15, 1
	v_sub_f32_e32 v15, v15, v17
	v_mul_f32_e32 v97, v99, v97
	v_mul_f32_e32 v99, 0x3f317218, v12
	s_delay_alu instid0(VALU_DEP_3) | instskip(NEXT) | instid1(VALU_DEP_3)
	v_sub_f32_e32 v13, v13, v15
	v_add_f32_e32 v17, v98, v97
	s_delay_alu instid0(VALU_DEP_2) | instskip(NEXT) | instid1(VALU_DEP_2)
	v_ldexp_f32 v13, v13, 1
	v_sub_f32_e32 v15, v17, v98
	v_fma_f32 v98, 0x3f317218, v12, -v99
	s_delay_alu instid0(VALU_DEP_1) | instskip(NEXT) | instid1(VALU_DEP_1)
	v_dual_sub_f32 v15, v97, v15 :: v_dual_fmac_f32 v98, 0xb102e308, v12
	v_dual_add_f32 v12, v13, v15 :: v_dual_add_f32 v13, v99, v98
	s_delay_alu instid0(VALU_DEP_1) | instskip(NEXT) | instid1(VALU_DEP_1)
	v_add_f32_e32 v15, v17, v12
	v_add_f32_e32 v97, v13, v15
	v_sub_f32_e32 v17, v15, v17
	s_delay_alu instid0(VALU_DEP_2) | instskip(NEXT) | instid1(VALU_DEP_2)
	v_sub_f32_e32 v100, v97, v13
	v_dual_sub_f32 v99, v13, v99 :: v_dual_sub_f32 v12, v12, v17
	s_delay_alu instid0(VALU_DEP_1) | instskip(SKIP_1) | instid1(VALU_DEP_2)
	v_dual_sub_f32 v101, v97, v100 :: v_dual_sub_f32 v98, v98, v99
	v_sub_f32_e32 v15, v15, v100
	v_sub_f32_e32 v13, v13, v101
	s_delay_alu instid0(VALU_DEP_3) | instskip(NEXT) | instid1(VALU_DEP_2)
	v_add_f32_e32 v17, v98, v12
	v_add_f32_e32 v13, v15, v13
	s_delay_alu instid0(VALU_DEP_2) | instskip(NEXT) | instid1(VALU_DEP_2)
	v_sub_f32_e32 v15, v17, v98
	v_add_f32_e32 v13, v17, v13
	s_delay_alu instid0(VALU_DEP_2) | instskip(NEXT) | instid1(VALU_DEP_2)
	v_sub_f32_e32 v17, v17, v15
	v_dual_sub_f32 v12, v12, v15 :: v_dual_add_f32 v99, v97, v13
	s_delay_alu instid0(VALU_DEP_2) | instskip(NEXT) | instid1(VALU_DEP_2)
	v_sub_f32_e32 v17, v98, v17
	v_sub_f32_e32 v15, v99, v97
	s_delay_alu instid0(VALU_DEP_1) | instskip(NEXT) | instid1(VALU_DEP_1)
	v_dual_add_f32 v12, v12, v17 :: v_dual_sub_f32 v13, v13, v15
	v_add_f32_e32 v12, v12, v13
	s_delay_alu instid0(VALU_DEP_1) | instskip(NEXT) | instid1(VALU_DEP_1)
	v_add_f32_e32 v12, v99, v12
	v_cndmask_b32_e32 v97, v12, v14, vcc_lo
.LBB30_90:                              ;   in Loop: Header=BB30_12 Depth=1
	s_or_b32 exec_lo, exec_lo, s30
	s_waitcnt lgkmcnt(0)
	v_lshlrev_b32_e32 v12, 16, v8
	s_delay_alu instid0(VALU_DEP_1) | instskip(NEXT) | instid1(VALU_DEP_1)
	v_add_f32_e32 v98, s67, v12
	v_cmp_ge_f32_e32 vcc_lo, 0x41a00000, v98
	s_and_b32 s29, s80, vcc_lo
	s_delay_alu instid0(SALU_CYCLE_1)
	s_and_saveexec_b32 s30, s29
	s_cbranch_execz .LBB30_92
; %bb.91:                               ;   in Loop: Header=BB30_12 Depth=1
	v_mul_f32_e32 v12, 0x3fb8aa3b, v98
	v_cmp_ngt_f32_e32 vcc_lo, 0xc2ce8ed0, v98
	s_delay_alu instid0(VALU_DEP_2) | instskip(SKIP_1) | instid1(VALU_DEP_2)
	v_rndne_f32_e32 v13, v12
	v_fma_f32 v14, 0x3fb8aa3b, v98, -v12
	v_sub_f32_e32 v12, v12, v13
	s_delay_alu instid0(VALU_DEP_2) | instskip(SKIP_1) | instid1(VALU_DEP_2)
	v_fmac_f32_e32 v14, 0x32a5705f, v98
	v_cvt_i32_f32_e32 v13, v13
	v_add_f32_e32 v12, v12, v14
	s_delay_alu instid0(VALU_DEP_1) | instskip(SKIP_2) | instid1(VALU_DEP_1)
	v_exp_f32_e32 v12, v12
	s_waitcnt_depctr 0xfff
	v_ldexp_f32 v12, v12, v13
	v_cndmask_b32_e32 v12, 0, v12, vcc_lo
	v_cmp_nlt_f32_e32 vcc_lo, 0x42b17218, v98
	s_delay_alu instid0(VALU_DEP_2) | instskip(NEXT) | instid1(VALU_DEP_1)
	v_cndmask_b32_e32 v14, 0x7f800000, v12, vcc_lo
	v_add_f32_e32 v15, 1.0, v14
	s_delay_alu instid0(VALU_DEP_1) | instskip(NEXT) | instid1(VALU_DEP_1)
	v_cvt_f64_f32_e32 v[12:13], v15
	v_frexp_exp_i32_f64_e32 v12, v[12:13]
	v_frexp_mant_f32_e32 v13, v15
	s_delay_alu instid0(VALU_DEP_1) | instskip(SKIP_1) | instid1(VALU_DEP_1)
	v_cmp_gt_f32_e32 vcc_lo, 0x3f2aaaab, v13
	v_add_f32_e32 v13, -1.0, v15
	v_dual_sub_f32 v98, v13, v15 :: v_dual_sub_f32 v13, v14, v13
	s_delay_alu instid0(VALU_DEP_1) | instskip(NEXT) | instid1(VALU_DEP_1)
	v_add_f32_e32 v98, 1.0, v98
	v_add_f32_e32 v13, v13, v98
	v_subrev_co_ci_u32_e32 v12, vcc_lo, 0, v12, vcc_lo
	s_delay_alu instid0(VALU_DEP_1) | instskip(SKIP_1) | instid1(VALU_DEP_2)
	v_sub_nc_u32_e32 v17, 0, v12
	v_cvt_f32_i32_e32 v12, v12
	v_ldexp_f32 v15, v15, v17
	v_ldexp_f32 v13, v13, v17
	s_delay_alu instid0(VALU_DEP_2) | instskip(SKIP_3) | instid1(VALU_DEP_4)
	v_add_f32_e32 v99, 1.0, v15
	v_add_f32_e32 v17, -1.0, v15
	v_cmp_eq_f32_e32 vcc_lo, 0x7f800000, v14
	v_cmp_gt_f32_e64 s29, 0x33800000, v14
	v_add_f32_e32 v98, -1.0, v99
	s_delay_alu instid0(VALU_DEP_4) | instskip(NEXT) | instid1(VALU_DEP_3)
	v_add_f32_e32 v100, 1.0, v17
	s_or_b32 vcc_lo, s29, vcc_lo
	s_delay_alu instid0(VALU_DEP_2) | instskip(NEXT) | instid1(VALU_DEP_1)
	v_sub_f32_e32 v98, v15, v98
	v_dual_sub_f32 v15, v15, v100 :: v_dual_add_f32 v98, v13, v98
	s_delay_alu instid0(VALU_DEP_1) | instskip(NEXT) | instid1(VALU_DEP_1)
	v_add_f32_e32 v13, v13, v15
	v_dual_add_f32 v101, v17, v13 :: v_dual_add_f32 v100, v99, v98
	s_delay_alu instid0(VALU_DEP_1) | instskip(NEXT) | instid1(VALU_DEP_2)
	v_sub_f32_e32 v17, v17, v101
	v_rcp_f32_e32 v15, v100
	v_sub_f32_e32 v99, v99, v100
	s_delay_alu instid0(VALU_DEP_1) | instskip(SKIP_2) | instid1(VALU_DEP_1)
	v_dual_add_f32 v98, v98, v99 :: v_dual_add_f32 v13, v13, v17
	s_waitcnt_depctr 0xfff
	v_mul_f32_e32 v102, v101, v15
	v_mul_f32_e32 v103, v100, v102
	s_delay_alu instid0(VALU_DEP_1) | instskip(NEXT) | instid1(VALU_DEP_1)
	v_fma_f32 v99, v102, v100, -v103
	v_fmac_f32_e32 v99, v102, v98
	s_delay_alu instid0(VALU_DEP_1) | instskip(NEXT) | instid1(VALU_DEP_1)
	v_add_f32_e32 v104, v103, v99
	v_sub_f32_e32 v105, v101, v104
	s_delay_alu instid0(VALU_DEP_1) | instskip(SKIP_1) | instid1(VALU_DEP_2)
	v_sub_f32_e32 v101, v101, v105
	v_sub_f32_e32 v17, v104, v103
	v_sub_f32_e32 v101, v101, v104
	s_delay_alu instid0(VALU_DEP_2) | instskip(NEXT) | instid1(VALU_DEP_2)
	v_sub_f32_e32 v17, v17, v99
	v_add_f32_e32 v13, v13, v101
	s_delay_alu instid0(VALU_DEP_1) | instskip(NEXT) | instid1(VALU_DEP_1)
	v_add_f32_e32 v13, v17, v13
	v_add_f32_e32 v17, v105, v13
	s_delay_alu instid0(VALU_DEP_1) | instskip(NEXT) | instid1(VALU_DEP_1)
	v_mul_f32_e32 v99, v15, v17
	v_dual_sub_f32 v104, v105, v17 :: v_dual_mul_f32 v101, v100, v99
	s_delay_alu instid0(VALU_DEP_1) | instskip(NEXT) | instid1(VALU_DEP_2)
	v_add_f32_e32 v13, v13, v104
	v_fma_f32 v100, v99, v100, -v101
	s_delay_alu instid0(VALU_DEP_1) | instskip(NEXT) | instid1(VALU_DEP_1)
	v_fmac_f32_e32 v100, v99, v98
	v_add_f32_e32 v98, v101, v100
	s_delay_alu instid0(VALU_DEP_1) | instskip(NEXT) | instid1(VALU_DEP_1)
	v_sub_f32_e32 v103, v17, v98
	v_sub_f32_e32 v17, v17, v103
	s_delay_alu instid0(VALU_DEP_1) | instskip(NEXT) | instid1(VALU_DEP_1)
	v_sub_f32_e32 v17, v17, v98
	v_add_f32_e32 v13, v13, v17
	v_add_f32_e32 v17, v102, v99
	v_sub_f32_e32 v101, v98, v101
	s_delay_alu instid0(VALU_DEP_1) | instskip(NEXT) | instid1(VALU_DEP_1)
	v_sub_f32_e32 v98, v101, v100
	v_dual_add_f32 v13, v98, v13 :: v_dual_sub_f32 v98, v17, v102
	s_delay_alu instid0(VALU_DEP_1) | instskip(NEXT) | instid1(VALU_DEP_2)
	v_add_f32_e32 v13, v103, v13
	v_sub_f32_e32 v98, v99, v98
	s_delay_alu instid0(VALU_DEP_2) | instskip(NEXT) | instid1(VALU_DEP_1)
	v_mul_f32_e32 v13, v15, v13
	v_add_f32_e32 v13, v98, v13
	s_delay_alu instid0(VALU_DEP_1) | instskip(NEXT) | instid1(VALU_DEP_1)
	v_add_f32_e32 v15, v17, v13
	v_mul_f32_e32 v98, v15, v15
	s_delay_alu instid0(VALU_DEP_1) | instskip(SKIP_1) | instid1(VALU_DEP_2)
	v_fmaak_f32 v99, s84, v98, 0x3ecc95a3
	v_mul_f32_e32 v100, v15, v98
	v_fmaak_f32 v98, v98, v99, 0x3f2aaada
	v_ldexp_f32 v99, v15, 1
	s_delay_alu instid0(VALU_DEP_2) | instskip(NEXT) | instid1(VALU_DEP_1)
	v_dual_sub_f32 v15, v15, v17 :: v_dual_mul_f32 v98, v100, v98
	v_dual_mul_f32 v100, 0x3f317218, v12 :: v_dual_sub_f32 v13, v13, v15
	s_delay_alu instid0(VALU_DEP_2) | instskip(NEXT) | instid1(VALU_DEP_2)
	v_add_f32_e32 v17, v99, v98
	v_ldexp_f32 v13, v13, 1
	s_delay_alu instid0(VALU_DEP_2) | instskip(NEXT) | instid1(VALU_DEP_4)
	v_sub_f32_e32 v15, v17, v99
	v_fma_f32 v99, 0x3f317218, v12, -v100
	s_delay_alu instid0(VALU_DEP_2) | instskip(NEXT) | instid1(VALU_DEP_1)
	v_sub_f32_e32 v15, v98, v15
	v_dual_fmac_f32 v99, 0xb102e308, v12 :: v_dual_add_f32 v12, v13, v15
	s_delay_alu instid0(VALU_DEP_1) | instskip(NEXT) | instid1(VALU_DEP_2)
	v_add_f32_e32 v13, v100, v99
	v_add_f32_e32 v15, v17, v12
	s_delay_alu instid0(VALU_DEP_2) | instskip(NEXT) | instid1(VALU_DEP_2)
	v_sub_f32_e32 v100, v13, v100
	v_dual_add_f32 v98, v13, v15 :: v_dual_sub_f32 v17, v15, v17
	s_delay_alu instid0(VALU_DEP_2) | instskip(NEXT) | instid1(VALU_DEP_2)
	v_sub_f32_e32 v99, v99, v100
	v_sub_f32_e32 v101, v98, v13
	s_delay_alu instid0(VALU_DEP_3) | instskip(NEXT) | instid1(VALU_DEP_2)
	v_sub_f32_e32 v12, v12, v17
	v_sub_f32_e32 v102, v98, v101
	v_sub_f32_e32 v15, v15, v101
	s_delay_alu instid0(VALU_DEP_3) | instskip(NEXT) | instid1(VALU_DEP_3)
	v_add_f32_e32 v17, v99, v12
	v_sub_f32_e32 v13, v13, v102
	s_delay_alu instid0(VALU_DEP_1) | instskip(NEXT) | instid1(VALU_DEP_3)
	v_add_f32_e32 v13, v15, v13
	v_sub_f32_e32 v15, v17, v99
	s_delay_alu instid0(VALU_DEP_2) | instskip(NEXT) | instid1(VALU_DEP_2)
	v_add_f32_e32 v13, v17, v13
	v_sub_f32_e32 v17, v17, v15
	v_sub_f32_e32 v12, v12, v15
	s_delay_alu instid0(VALU_DEP_3) | instskip(NEXT) | instid1(VALU_DEP_3)
	v_add_f32_e32 v100, v98, v13
	v_sub_f32_e32 v17, v99, v17
	s_delay_alu instid0(VALU_DEP_2) | instskip(NEXT) | instid1(VALU_DEP_1)
	v_sub_f32_e32 v15, v100, v98
	v_dual_add_f32 v12, v12, v17 :: v_dual_sub_f32 v13, v13, v15
	s_delay_alu instid0(VALU_DEP_1) | instskip(NEXT) | instid1(VALU_DEP_1)
	v_add_f32_e32 v12, v12, v13
	v_add_f32_e32 v12, v100, v12
	s_delay_alu instid0(VALU_DEP_1)
	v_cndmask_b32_e32 v98, v12, v14, vcc_lo
.LBB30_92:                              ;   in Loop: Header=BB30_12 Depth=1
	s_or_b32 exec_lo, exec_lo, s30
	v_and_b32_e32 v8, 0xffff0000, v8
	s_delay_alu instid0(VALU_DEP_1) | instskip(NEXT) | instid1(VALU_DEP_1)
	v_add_f32_e32 v99, s67, v8
	v_cmp_ge_f32_e32 vcc_lo, 0x41a00000, v99
	s_and_b32 s29, s80, vcc_lo
	s_delay_alu instid0(SALU_CYCLE_1)
	s_and_saveexec_b32 s30, s29
	s_cbranch_execz .LBB30_94
; %bb.93:                               ;   in Loop: Header=BB30_12 Depth=1
	v_mul_f32_e32 v8, 0x3fb8aa3b, v99
	v_cmp_ngt_f32_e32 vcc_lo, 0xc2ce8ed0, v99
	s_delay_alu instid0(VALU_DEP_2) | instskip(SKIP_1) | instid1(VALU_DEP_1)
	v_rndne_f32_e32 v12, v8
	v_fma_f32 v13, 0x3fb8aa3b, v99, -v8
	v_dual_sub_f32 v8, v8, v12 :: v_dual_fmac_f32 v13, 0x32a5705f, v99
	v_cvt_i32_f32_e32 v12, v12
	s_delay_alu instid0(VALU_DEP_2) | instskip(NEXT) | instid1(VALU_DEP_1)
	v_add_f32_e32 v8, v8, v13
	v_exp_f32_e32 v8, v8
	s_waitcnt_depctr 0xfff
	v_ldexp_f32 v8, v8, v12
	s_delay_alu instid0(VALU_DEP_1) | instskip(SKIP_1) | instid1(VALU_DEP_2)
	v_cndmask_b32_e32 v8, 0, v8, vcc_lo
	v_cmp_nlt_f32_e32 vcc_lo, 0x42b17218, v99
	v_cndmask_b32_e32 v8, 0x7f800000, v8, vcc_lo
	s_delay_alu instid0(VALU_DEP_1) | instskip(NEXT) | instid1(VALU_DEP_1)
	v_add_f32_e32 v14, 1.0, v8
	v_cvt_f64_f32_e32 v[12:13], v14
	s_delay_alu instid0(VALU_DEP_1) | instskip(SKIP_1) | instid1(VALU_DEP_1)
	v_frexp_exp_i32_f64_e32 v12, v[12:13]
	v_frexp_mant_f32_e32 v13, v14
	v_cmp_gt_f32_e32 vcc_lo, 0x3f2aaaab, v13
	v_add_f32_e32 v13, -1.0, v14
	s_delay_alu instid0(VALU_DEP_1) | instskip(NEXT) | instid1(VALU_DEP_1)
	v_sub_f32_e32 v17, v13, v14
	v_add_f32_e32 v17, 1.0, v17
	v_subrev_co_ci_u32_e32 v12, vcc_lo, 0, v12, vcc_lo
	s_delay_alu instid0(VALU_DEP_1) | instskip(SKIP_1) | instid1(VALU_DEP_2)
	v_sub_nc_u32_e32 v15, 0, v12
	v_cvt_f32_i32_e32 v12, v12
	v_ldexp_f32 v14, v14, v15
	s_delay_alu instid0(VALU_DEP_1) | instskip(SKIP_3) | instid1(VALU_DEP_3)
	v_add_f32_e32 v99, 1.0, v14
	v_sub_f32_e32 v13, v8, v13
	v_cmp_eq_f32_e32 vcc_lo, 0x7f800000, v8
	v_cmp_gt_f32_e64 s29, 0x33800000, v8
	v_add_f32_e32 v13, v13, v17
	s_delay_alu instid0(VALU_DEP_2) | instskip(NEXT) | instid1(VALU_DEP_1)
	s_or_b32 vcc_lo, s29, vcc_lo
	v_ldexp_f32 v13, v13, v15
	v_add_f32_e32 v15, -1.0, v14
	s_delay_alu instid0(VALU_DEP_1) | instskip(SKIP_1) | instid1(VALU_DEP_1)
	v_add_f32_e32 v100, 1.0, v15
	v_add_f32_e32 v17, -1.0, v99
	v_sub_f32_e32 v17, v14, v17
	s_delay_alu instid0(VALU_DEP_1) | instskip(NEXT) | instid1(VALU_DEP_1)
	v_dual_sub_f32 v14, v14, v100 :: v_dual_add_f32 v17, v13, v17
	v_add_f32_e32 v100, v99, v17
	s_delay_alu instid0(VALU_DEP_1) | instskip(NEXT) | instid1(VALU_DEP_1)
	v_sub_f32_e32 v99, v99, v100
	v_add_f32_e32 v17, v17, v99
	s_delay_alu instid0(VALU_DEP_4) | instskip(SKIP_1) | instid1(VALU_DEP_1)
	v_add_f32_e32 v13, v13, v14
	v_rcp_f32_e32 v14, v100
	v_add_f32_e32 v101, v15, v13
	s_waitcnt_depctr 0xfff
	v_dual_sub_f32 v15, v15, v101 :: v_dual_mul_f32 v102, v101, v14
	s_delay_alu instid0(VALU_DEP_1) | instskip(NEXT) | instid1(VALU_DEP_2)
	v_add_f32_e32 v13, v13, v15
	v_mul_f32_e32 v103, v100, v102
	s_delay_alu instid0(VALU_DEP_1) | instskip(NEXT) | instid1(VALU_DEP_1)
	v_fma_f32 v99, v102, v100, -v103
	v_fmac_f32_e32 v99, v102, v17
	s_delay_alu instid0(VALU_DEP_1) | instskip(NEXT) | instid1(VALU_DEP_1)
	v_add_f32_e32 v104, v103, v99
	v_sub_f32_e32 v105, v101, v104
	v_sub_f32_e32 v15, v104, v103
	s_delay_alu instid0(VALU_DEP_2) | instskip(NEXT) | instid1(VALU_DEP_2)
	v_sub_f32_e32 v101, v101, v105
	v_sub_f32_e32 v15, v15, v99
	s_delay_alu instid0(VALU_DEP_2) | instskip(NEXT) | instid1(VALU_DEP_1)
	v_sub_f32_e32 v101, v101, v104
	v_add_f32_e32 v13, v13, v101
	s_delay_alu instid0(VALU_DEP_1) | instskip(NEXT) | instid1(VALU_DEP_1)
	v_add_f32_e32 v13, v15, v13
	v_add_f32_e32 v15, v105, v13
	s_delay_alu instid0(VALU_DEP_1) | instskip(SKIP_1) | instid1(VALU_DEP_2)
	v_mul_f32_e32 v99, v14, v15
	v_sub_f32_e32 v104, v105, v15
	v_mul_f32_e32 v101, v100, v99
	s_delay_alu instid0(VALU_DEP_2) | instskip(NEXT) | instid1(VALU_DEP_2)
	v_add_f32_e32 v13, v13, v104
	v_fma_f32 v100, v99, v100, -v101
	s_delay_alu instid0(VALU_DEP_1) | instskip(NEXT) | instid1(VALU_DEP_1)
	v_fmac_f32_e32 v100, v99, v17
	v_add_f32_e32 v17, v101, v100
	s_delay_alu instid0(VALU_DEP_1) | instskip(SKIP_1) | instid1(VALU_DEP_2)
	v_sub_f32_e32 v103, v15, v17
	v_sub_f32_e32 v101, v17, v101
	;; [unrolled: 1-line block ×3, first 2 shown]
	s_delay_alu instid0(VALU_DEP_1) | instskip(NEXT) | instid1(VALU_DEP_3)
	v_sub_f32_e32 v15, v15, v17
	v_sub_f32_e32 v17, v101, v100
	s_delay_alu instid0(VALU_DEP_2) | instskip(SKIP_1) | instid1(VALU_DEP_2)
	v_add_f32_e32 v13, v13, v15
	v_add_f32_e32 v15, v102, v99
	;; [unrolled: 1-line block ×3, first 2 shown]
	s_delay_alu instid0(VALU_DEP_2) | instskip(NEXT) | instid1(VALU_DEP_2)
	v_sub_f32_e32 v17, v15, v102
	v_add_f32_e32 v13, v103, v13
	s_delay_alu instid0(VALU_DEP_2) | instskip(NEXT) | instid1(VALU_DEP_2)
	v_sub_f32_e32 v17, v99, v17
	v_mul_f32_e32 v13, v14, v13
	s_delay_alu instid0(VALU_DEP_1) | instskip(NEXT) | instid1(VALU_DEP_1)
	v_add_f32_e32 v13, v17, v13
	v_add_f32_e32 v14, v15, v13
	s_delay_alu instid0(VALU_DEP_1) | instskip(NEXT) | instid1(VALU_DEP_1)
	v_mul_f32_e32 v17, v14, v14
	v_fmaak_f32 v99, s84, v17, 0x3ecc95a3
	s_delay_alu instid0(VALU_DEP_1) | instskip(SKIP_1) | instid1(VALU_DEP_2)
	v_dual_mul_f32 v100, v14, v17 :: v_dual_fmaak_f32 v17, v17, v99, 0x3f2aaada
	v_ldexp_f32 v99, v14, 1
	v_dual_sub_f32 v14, v14, v15 :: v_dual_mul_f32 v17, v100, v17
	s_delay_alu instid0(VALU_DEP_1) | instskip(NEXT) | instid1(VALU_DEP_2)
	v_dual_mul_f32 v100, 0x3f317218, v12 :: v_dual_sub_f32 v13, v13, v14
	v_add_f32_e32 v15, v99, v17
	s_delay_alu instid0(VALU_DEP_2) | instskip(NEXT) | instid1(VALU_DEP_2)
	v_ldexp_f32 v13, v13, 1
	v_sub_f32_e32 v14, v15, v99
	s_delay_alu instid0(VALU_DEP_4) | instskip(NEXT) | instid1(VALU_DEP_1)
	v_fma_f32 v99, 0x3f317218, v12, -v100
	v_dual_sub_f32 v14, v17, v14 :: v_dual_fmac_f32 v99, 0xb102e308, v12
	s_delay_alu instid0(VALU_DEP_1) | instskip(NEXT) | instid1(VALU_DEP_1)
	v_dual_add_f32 v12, v13, v14 :: v_dual_add_f32 v13, v100, v99
	v_add_f32_e32 v14, v15, v12
	s_delay_alu instid0(VALU_DEP_2) | instskip(NEXT) | instid1(VALU_DEP_2)
	v_sub_f32_e32 v100, v13, v100
	v_add_f32_e32 v17, v13, v14
	v_sub_f32_e32 v15, v14, v15
	s_delay_alu instid0(VALU_DEP_3) | instskip(NEXT) | instid1(VALU_DEP_2)
	v_sub_f32_e32 v99, v99, v100
	v_dual_sub_f32 v101, v17, v13 :: v_dual_sub_f32 v12, v12, v15
	s_delay_alu instid0(VALU_DEP_1) | instskip(NEXT) | instid1(VALU_DEP_2)
	v_sub_f32_e32 v102, v17, v101
	v_dual_sub_f32 v14, v14, v101 :: v_dual_add_f32 v15, v99, v12
	s_delay_alu instid0(VALU_DEP_2) | instskip(NEXT) | instid1(VALU_DEP_1)
	v_sub_f32_e32 v13, v13, v102
	v_dual_add_f32 v13, v14, v13 :: v_dual_sub_f32 v14, v15, v99
	s_delay_alu instid0(VALU_DEP_1) | instskip(NEXT) | instid1(VALU_DEP_2)
	v_add_f32_e32 v13, v15, v13
	v_sub_f32_e32 v15, v15, v14
	v_sub_f32_e32 v12, v12, v14
	s_delay_alu instid0(VALU_DEP_2) | instskip(NEXT) | instid1(VALU_DEP_1)
	v_dual_add_f32 v100, v17, v13 :: v_dual_sub_f32 v15, v99, v15
	v_sub_f32_e32 v14, v100, v17
	s_delay_alu instid0(VALU_DEP_1) | instskip(NEXT) | instid1(VALU_DEP_1)
	v_dual_add_f32 v12, v12, v15 :: v_dual_sub_f32 v13, v13, v14
	v_add_f32_e32 v12, v12, v13
	s_delay_alu instid0(VALU_DEP_1) | instskip(NEXT) | instid1(VALU_DEP_1)
	v_add_f32_e32 v12, v100, v12
	v_cndmask_b32_e32 v99, v12, v8, vcc_lo
.LBB30_94:                              ;   in Loop: Header=BB30_12 Depth=1
	s_or_b32 exec_lo, exec_lo, s30
	v_lshlrev_b32_e32 v8, 16, v9
	s_delay_alu instid0(VALU_DEP_1) | instskip(NEXT) | instid1(VALU_DEP_1)
	v_add_f32_e32 v100, s67, v8
	v_cmp_ge_f32_e32 vcc_lo, 0x41a00000, v100
	s_and_b32 s29, s80, vcc_lo
	s_delay_alu instid0(SALU_CYCLE_1)
	s_and_saveexec_b32 s30, s29
	s_cbranch_execz .LBB30_96
; %bb.95:                               ;   in Loop: Header=BB30_12 Depth=1
	v_mul_f32_e32 v8, 0x3fb8aa3b, v100
	v_cmp_ngt_f32_e32 vcc_lo, 0xc2ce8ed0, v100
	s_delay_alu instid0(VALU_DEP_2) | instskip(SKIP_1) | instid1(VALU_DEP_2)
	v_rndne_f32_e32 v12, v8
	v_fma_f32 v13, 0x3fb8aa3b, v100, -v8
	v_sub_f32_e32 v8, v8, v12
	s_delay_alu instid0(VALU_DEP_2) | instskip(SKIP_1) | instid1(VALU_DEP_2)
	v_fmac_f32_e32 v13, 0x32a5705f, v100
	v_cvt_i32_f32_e32 v12, v12
	v_add_f32_e32 v8, v8, v13
	s_delay_alu instid0(VALU_DEP_1) | instskip(SKIP_2) | instid1(VALU_DEP_1)
	v_exp_f32_e32 v8, v8
	s_waitcnt_depctr 0xfff
	v_ldexp_f32 v8, v8, v12
	v_cndmask_b32_e32 v8, 0, v8, vcc_lo
	v_cmp_nlt_f32_e32 vcc_lo, 0x42b17218, v100
	s_delay_alu instid0(VALU_DEP_2) | instskip(NEXT) | instid1(VALU_DEP_1)
	v_cndmask_b32_e32 v8, 0x7f800000, v8, vcc_lo
	v_add_f32_e32 v14, 1.0, v8
	s_delay_alu instid0(VALU_DEP_1) | instskip(NEXT) | instid1(VALU_DEP_1)
	v_cvt_f64_f32_e32 v[12:13], v14
	v_frexp_exp_i32_f64_e32 v12, v[12:13]
	v_frexp_mant_f32_e32 v13, v14
	s_delay_alu instid0(VALU_DEP_1) | instskip(SKIP_1) | instid1(VALU_DEP_1)
	v_cmp_gt_f32_e32 vcc_lo, 0x3f2aaaab, v13
	v_add_f32_e32 v13, -1.0, v14
	v_sub_f32_e32 v17, v13, v14
	v_sub_f32_e32 v13, v8, v13
	s_delay_alu instid0(VALU_DEP_2) | instskip(NEXT) | instid1(VALU_DEP_1)
	v_add_f32_e32 v17, 1.0, v17
	v_add_f32_e32 v13, v13, v17
	v_cmp_gt_f32_e64 s29, 0x33800000, v8
	v_subrev_co_ci_u32_e32 v12, vcc_lo, 0, v12, vcc_lo
	v_cmp_eq_f32_e32 vcc_lo, 0x7f800000, v8
	s_delay_alu instid0(VALU_DEP_2) | instskip(SKIP_2) | instid1(VALU_DEP_2)
	v_sub_nc_u32_e32 v15, 0, v12
	v_cvt_f32_i32_e32 v12, v12
	s_or_b32 vcc_lo, s29, vcc_lo
	v_ldexp_f32 v14, v14, v15
	v_ldexp_f32 v13, v13, v15
	s_delay_alu instid0(VALU_DEP_2) | instskip(SKIP_1) | instid1(VALU_DEP_2)
	v_add_f32_e32 v100, 1.0, v14
	v_add_f32_e32 v15, -1.0, v14
	v_add_f32_e32 v17, -1.0, v100
	s_delay_alu instid0(VALU_DEP_2) | instskip(NEXT) | instid1(VALU_DEP_2)
	v_add_f32_e32 v101, 1.0, v15
	v_sub_f32_e32 v17, v14, v17
	s_delay_alu instid0(VALU_DEP_2) | instskip(NEXT) | instid1(VALU_DEP_2)
	v_sub_f32_e32 v14, v14, v101
	v_add_f32_e32 v17, v13, v17
	s_delay_alu instid0(VALU_DEP_1) | instskip(NEXT) | instid1(VALU_DEP_1)
	v_add_f32_e32 v101, v100, v17
	v_dual_add_f32 v13, v13, v14 :: v_dual_sub_f32 v100, v100, v101
	v_rcp_f32_e32 v14, v101
	s_delay_alu instid0(VALU_DEP_1) | instskip(NEXT) | instid1(VALU_DEP_1)
	v_dual_add_f32 v102, v15, v13 :: v_dual_add_f32 v17, v17, v100
	v_sub_f32_e32 v15, v15, v102
	s_waitcnt_depctr 0xfff
	v_mul_f32_e32 v103, v102, v14
	v_add_f32_e32 v13, v13, v15
	s_delay_alu instid0(VALU_DEP_2) | instskip(NEXT) | instid1(VALU_DEP_1)
	v_mul_f32_e32 v104, v101, v103
	v_fma_f32 v100, v103, v101, -v104
	s_delay_alu instid0(VALU_DEP_1) | instskip(NEXT) | instid1(VALU_DEP_1)
	v_fmac_f32_e32 v100, v103, v17
	v_add_f32_e32 v105, v104, v100
	s_delay_alu instid0(VALU_DEP_1) | instskip(NEXT) | instid1(VALU_DEP_1)
	v_dual_sub_f32 v106, v102, v105 :: v_dual_sub_f32 v15, v105, v104
	v_dual_sub_f32 v102, v102, v106 :: v_dual_sub_f32 v15, v15, v100
	s_delay_alu instid0(VALU_DEP_1) | instskip(NEXT) | instid1(VALU_DEP_1)
	v_sub_f32_e32 v102, v102, v105
	v_add_f32_e32 v13, v13, v102
	s_delay_alu instid0(VALU_DEP_1) | instskip(NEXT) | instid1(VALU_DEP_1)
	v_add_f32_e32 v13, v15, v13
	v_add_f32_e32 v15, v106, v13
	s_delay_alu instid0(VALU_DEP_1) | instskip(NEXT) | instid1(VALU_DEP_1)
	v_mul_f32_e32 v100, v14, v15
	v_dual_sub_f32 v105, v106, v15 :: v_dual_mul_f32 v102, v101, v100
	s_delay_alu instid0(VALU_DEP_1) | instskip(NEXT) | instid1(VALU_DEP_2)
	v_add_f32_e32 v13, v13, v105
	v_fma_f32 v101, v100, v101, -v102
	s_delay_alu instid0(VALU_DEP_1) | instskip(NEXT) | instid1(VALU_DEP_1)
	v_fmac_f32_e32 v101, v100, v17
	v_add_f32_e32 v17, v102, v101
	s_delay_alu instid0(VALU_DEP_1) | instskip(NEXT) | instid1(VALU_DEP_1)
	v_sub_f32_e32 v104, v15, v17
	v_dual_sub_f32 v102, v17, v102 :: v_dual_sub_f32 v15, v15, v104
	s_delay_alu instid0(VALU_DEP_1) | instskip(NEXT) | instid1(VALU_DEP_2)
	v_sub_f32_e32 v15, v15, v17
	v_sub_f32_e32 v17, v102, v101
	s_delay_alu instid0(VALU_DEP_2) | instskip(SKIP_1) | instid1(VALU_DEP_2)
	v_add_f32_e32 v13, v13, v15
	v_add_f32_e32 v15, v103, v100
	;; [unrolled: 1-line block ×3, first 2 shown]
	s_delay_alu instid0(VALU_DEP_2) | instskip(NEXT) | instid1(VALU_DEP_2)
	v_sub_f32_e32 v17, v15, v103
	v_add_f32_e32 v13, v104, v13
	s_delay_alu instid0(VALU_DEP_2) | instskip(NEXT) | instid1(VALU_DEP_2)
	v_sub_f32_e32 v17, v100, v17
	v_mul_f32_e32 v13, v14, v13
	s_delay_alu instid0(VALU_DEP_1) | instskip(NEXT) | instid1(VALU_DEP_1)
	v_add_f32_e32 v13, v17, v13
	v_add_f32_e32 v14, v15, v13
	s_delay_alu instid0(VALU_DEP_1) | instskip(NEXT) | instid1(VALU_DEP_1)
	v_mul_f32_e32 v17, v14, v14
	v_fmaak_f32 v100, s84, v17, 0x3ecc95a3
	v_mul_f32_e32 v101, v14, v17
	s_delay_alu instid0(VALU_DEP_2) | instskip(SKIP_1) | instid1(VALU_DEP_2)
	v_fmaak_f32 v17, v17, v100, 0x3f2aaada
	v_ldexp_f32 v100, v14, 1
	v_dual_sub_f32 v14, v14, v15 :: v_dual_mul_f32 v17, v101, v17
	v_mul_f32_e32 v101, 0x3f317218, v12
	s_delay_alu instid0(VALU_DEP_2) | instskip(NEXT) | instid1(VALU_DEP_3)
	v_sub_f32_e32 v13, v13, v14
	v_add_f32_e32 v15, v100, v17
	s_delay_alu instid0(VALU_DEP_2) | instskip(NEXT) | instid1(VALU_DEP_2)
	v_ldexp_f32 v13, v13, 1
	v_sub_f32_e32 v14, v15, v100
	v_fma_f32 v100, 0x3f317218, v12, -v101
	s_delay_alu instid0(VALU_DEP_2) | instskip(NEXT) | instid1(VALU_DEP_2)
	v_sub_f32_e32 v14, v17, v14
	v_fmac_f32_e32 v100, 0xb102e308, v12
	s_delay_alu instid0(VALU_DEP_2) | instskip(NEXT) | instid1(VALU_DEP_2)
	v_add_f32_e32 v12, v13, v14
	v_add_f32_e32 v13, v101, v100
	s_delay_alu instid0(VALU_DEP_1) | instskip(NEXT) | instid1(VALU_DEP_1)
	v_dual_add_f32 v14, v15, v12 :: v_dual_sub_f32 v101, v13, v101
	v_add_f32_e32 v17, v13, v14
	s_delay_alu instid0(VALU_DEP_2) | instskip(NEXT) | instid1(VALU_DEP_2)
	v_dual_sub_f32 v15, v14, v15 :: v_dual_sub_f32 v100, v100, v101
	v_sub_f32_e32 v102, v17, v13
	s_delay_alu instid0(VALU_DEP_1) | instskip(NEXT) | instid1(VALU_DEP_1)
	v_dual_sub_f32 v12, v12, v15 :: v_dual_sub_f32 v103, v17, v102
	v_dual_sub_f32 v14, v14, v102 :: v_dual_add_f32 v15, v100, v12
	s_delay_alu instid0(VALU_DEP_2) | instskip(NEXT) | instid1(VALU_DEP_1)
	v_sub_f32_e32 v13, v13, v103
	v_dual_add_f32 v13, v14, v13 :: v_dual_sub_f32 v14, v15, v100
	s_delay_alu instid0(VALU_DEP_1) | instskip(NEXT) | instid1(VALU_DEP_2)
	v_add_f32_e32 v13, v15, v13
	v_sub_f32_e32 v15, v15, v14
	s_delay_alu instid0(VALU_DEP_2) | instskip(NEXT) | instid1(VALU_DEP_1)
	v_dual_sub_f32 v12, v12, v14 :: v_dual_add_f32 v101, v17, v13
	v_dual_sub_f32 v15, v100, v15 :: v_dual_sub_f32 v14, v101, v17
	s_delay_alu instid0(VALU_DEP_1) | instskip(NEXT) | instid1(VALU_DEP_1)
	v_dual_add_f32 v12, v12, v15 :: v_dual_sub_f32 v13, v13, v14
	v_add_f32_e32 v12, v12, v13
	s_delay_alu instid0(VALU_DEP_1) | instskip(NEXT) | instid1(VALU_DEP_1)
	v_add_f32_e32 v12, v101, v12
	v_cndmask_b32_e32 v100, v12, v8, vcc_lo
.LBB30_96:                              ;   in Loop: Header=BB30_12 Depth=1
	s_or_b32 exec_lo, exec_lo, s30
	v_and_b32_e32 v8, 0xffff0000, v9
	s_delay_alu instid0(VALU_DEP_1) | instskip(NEXT) | instid1(VALU_DEP_1)
	v_add_f32_e32 v101, s67, v8
	v_cmp_ge_f32_e32 vcc_lo, 0x41a00000, v101
	s_and_b32 s29, s80, vcc_lo
	s_delay_alu instid0(SALU_CYCLE_1)
	s_and_saveexec_b32 s30, s29
	s_cbranch_execz .LBB30_98
; %bb.97:                               ;   in Loop: Header=BB30_12 Depth=1
	v_mul_f32_e32 v8, 0x3fb8aa3b, v101
	v_cmp_ngt_f32_e32 vcc_lo, 0xc2ce8ed0, v101
	s_delay_alu instid0(VALU_DEP_2) | instskip(SKIP_1) | instid1(VALU_DEP_2)
	v_rndne_f32_e32 v9, v8
	v_fma_f32 v12, 0x3fb8aa3b, v101, -v8
	v_sub_f32_e32 v8, v8, v9
	s_delay_alu instid0(VALU_DEP_2) | instskip(SKIP_1) | instid1(VALU_DEP_2)
	v_fmac_f32_e32 v12, 0x32a5705f, v101
	v_cvt_i32_f32_e32 v9, v9
	v_add_f32_e32 v8, v8, v12
	s_delay_alu instid0(VALU_DEP_1) | instskip(SKIP_2) | instid1(VALU_DEP_1)
	v_exp_f32_e32 v8, v8
	s_waitcnt_depctr 0xfff
	v_ldexp_f32 v8, v8, v9
	v_cndmask_b32_e32 v8, 0, v8, vcc_lo
	v_cmp_nlt_f32_e32 vcc_lo, 0x42b17218, v101
	s_delay_alu instid0(VALU_DEP_2) | instskip(NEXT) | instid1(VALU_DEP_1)
	v_cndmask_b32_e32 v12, 0x7f800000, v8, vcc_lo
	v_add_f32_e32 v13, 1.0, v12
	s_delay_alu instid0(VALU_DEP_1) | instskip(NEXT) | instid1(VALU_DEP_1)
	v_cvt_f64_f32_e32 v[8:9], v13
	v_frexp_exp_i32_f64_e32 v8, v[8:9]
	v_frexp_mant_f32_e32 v9, v13
	s_delay_alu instid0(VALU_DEP_1) | instskip(SKIP_1) | instid1(VALU_DEP_1)
	v_cmp_gt_f32_e32 vcc_lo, 0x3f2aaaab, v9
	v_add_f32_e32 v9, -1.0, v13
	v_sub_f32_e32 v15, v9, v13
	s_delay_alu instid0(VALU_DEP_1) | instskip(SKIP_1) | instid1(VALU_DEP_1)
	v_add_f32_e32 v15, 1.0, v15
	v_subrev_co_ci_u32_e32 v8, vcc_lo, 0, v8, vcc_lo
	v_sub_nc_u32_e32 v14, 0, v8
	v_cvt_f32_i32_e32 v8, v8
	s_delay_alu instid0(VALU_DEP_2) | instskip(NEXT) | instid1(VALU_DEP_1)
	v_ldexp_f32 v13, v13, v14
	v_add_f32_e32 v17, 1.0, v13
	v_sub_f32_e32 v9, v12, v9
	v_cmp_eq_f32_e32 vcc_lo, 0x7f800000, v12
	v_cmp_gt_f32_e64 s29, 0x33800000, v12
	s_delay_alu instid0(VALU_DEP_3) | instskip(NEXT) | instid1(VALU_DEP_2)
	v_add_f32_e32 v9, v9, v15
	s_or_b32 vcc_lo, s29, vcc_lo
	s_delay_alu instid0(VALU_DEP_1) | instskip(SKIP_2) | instid1(VALU_DEP_1)
	v_ldexp_f32 v9, v9, v14
	v_add_f32_e32 v14, -1.0, v13
	v_add_f32_e32 v15, -1.0, v17
	v_sub_f32_e32 v15, v13, v15
	s_delay_alu instid0(VALU_DEP_3) | instskip(NEXT) | instid1(VALU_DEP_2)
	v_add_f32_e32 v101, 1.0, v14
	v_add_f32_e32 v15, v9, v15
	s_delay_alu instid0(VALU_DEP_2) | instskip(NEXT) | instid1(VALU_DEP_2)
	v_sub_f32_e32 v13, v13, v101
	v_add_f32_e32 v101, v17, v15
	s_delay_alu instid0(VALU_DEP_2) | instskip(NEXT) | instid1(VALU_DEP_2)
	v_add_f32_e32 v9, v9, v13
	v_rcp_f32_e32 v13, v101
	s_delay_alu instid0(VALU_DEP_1) | instskip(NEXT) | instid1(VALU_DEP_1)
	v_add_f32_e32 v102, v14, v9
	v_dual_sub_f32 v17, v17, v101 :: v_dual_sub_f32 v14, v14, v102
	s_delay_alu instid0(VALU_DEP_1) | instskip(SKIP_2) | instid1(VALU_DEP_1)
	v_add_f32_e32 v15, v15, v17
	s_waitcnt_depctr 0xfff
	v_mul_f32_e32 v103, v102, v13
	v_mul_f32_e32 v104, v101, v103
	s_delay_alu instid0(VALU_DEP_1) | instskip(NEXT) | instid1(VALU_DEP_1)
	v_fma_f32 v17, v103, v101, -v104
	v_fmac_f32_e32 v17, v103, v15
	v_add_f32_e32 v9, v9, v14
	s_delay_alu instid0(VALU_DEP_2) | instskip(NEXT) | instid1(VALU_DEP_1)
	v_add_f32_e32 v105, v104, v17
	v_sub_f32_e32 v106, v102, v105
	v_sub_f32_e32 v14, v105, v104
	s_delay_alu instid0(VALU_DEP_2) | instskip(NEXT) | instid1(VALU_DEP_2)
	v_sub_f32_e32 v102, v102, v106
	v_sub_f32_e32 v14, v14, v17
	s_delay_alu instid0(VALU_DEP_2) | instskip(NEXT) | instid1(VALU_DEP_1)
	v_sub_f32_e32 v102, v102, v105
	v_add_f32_e32 v9, v9, v102
	s_delay_alu instid0(VALU_DEP_1) | instskip(NEXT) | instid1(VALU_DEP_1)
	v_add_f32_e32 v9, v14, v9
	v_add_f32_e32 v14, v106, v9
	s_delay_alu instid0(VALU_DEP_1) | instskip(NEXT) | instid1(VALU_DEP_1)
	v_mul_f32_e32 v17, v13, v14
	v_dual_sub_f32 v105, v106, v14 :: v_dual_mul_f32 v102, v101, v17
	s_delay_alu instid0(VALU_DEP_1) | instskip(NEXT) | instid1(VALU_DEP_2)
	v_add_f32_e32 v9, v9, v105
	v_fma_f32 v101, v17, v101, -v102
	s_delay_alu instid0(VALU_DEP_1) | instskip(NEXT) | instid1(VALU_DEP_1)
	v_fmac_f32_e32 v101, v17, v15
	v_add_f32_e32 v15, v102, v101
	s_delay_alu instid0(VALU_DEP_1) | instskip(SKIP_1) | instid1(VALU_DEP_2)
	v_sub_f32_e32 v104, v14, v15
	v_sub_f32_e32 v102, v15, v102
	;; [unrolled: 1-line block ×3, first 2 shown]
	s_delay_alu instid0(VALU_DEP_1) | instskip(NEXT) | instid1(VALU_DEP_1)
	v_sub_f32_e32 v14, v14, v15
	v_dual_add_f32 v9, v9, v14 :: v_dual_add_f32 v14, v103, v17
	s_delay_alu instid0(VALU_DEP_4) | instskip(NEXT) | instid1(VALU_DEP_1)
	v_sub_f32_e32 v15, v102, v101
	v_add_f32_e32 v9, v15, v9
	s_delay_alu instid0(VALU_DEP_3) | instskip(NEXT) | instid1(VALU_DEP_2)
	v_sub_f32_e32 v15, v14, v103
	v_add_f32_e32 v9, v104, v9
	s_delay_alu instid0(VALU_DEP_2) | instskip(NEXT) | instid1(VALU_DEP_2)
	v_sub_f32_e32 v15, v17, v15
	v_mul_f32_e32 v9, v13, v9
	s_delay_alu instid0(VALU_DEP_1) | instskip(NEXT) | instid1(VALU_DEP_1)
	v_add_f32_e32 v9, v15, v9
	v_add_f32_e32 v13, v14, v9
	s_delay_alu instid0(VALU_DEP_1) | instskip(NEXT) | instid1(VALU_DEP_1)
	v_mul_f32_e32 v15, v13, v13
	v_fmaak_f32 v17, s84, v15, 0x3ecc95a3
	v_mul_f32_e32 v101, v13, v15
	s_delay_alu instid0(VALU_DEP_2) | instskip(SKIP_2) | instid1(VALU_DEP_3)
	v_fmaak_f32 v15, v15, v17, 0x3f2aaada
	v_ldexp_f32 v17, v13, 1
	v_sub_f32_e32 v13, v13, v14
	v_mul_f32_e32 v15, v101, v15
	v_mul_f32_e32 v101, 0x3f317218, v8
	s_delay_alu instid0(VALU_DEP_3) | instskip(NEXT) | instid1(VALU_DEP_3)
	v_sub_f32_e32 v9, v9, v13
	v_add_f32_e32 v14, v17, v15
	s_delay_alu instid0(VALU_DEP_2) | instskip(NEXT) | instid1(VALU_DEP_2)
	v_ldexp_f32 v9, v9, 1
	v_sub_f32_e32 v13, v14, v17
	v_fma_f32 v17, 0x3f317218, v8, -v101
	s_delay_alu instid0(VALU_DEP_2) | instskip(NEXT) | instid1(VALU_DEP_1)
	v_sub_f32_e32 v13, v15, v13
	v_dual_fmac_f32 v17, 0xb102e308, v8 :: v_dual_add_f32 v8, v9, v13
	s_delay_alu instid0(VALU_DEP_1) | instskip(NEXT) | instid1(VALU_DEP_2)
	v_add_f32_e32 v9, v101, v17
	v_add_f32_e32 v13, v14, v8
	s_delay_alu instid0(VALU_DEP_2) | instskip(NEXT) | instid1(VALU_DEP_2)
	v_sub_f32_e32 v101, v9, v101
	v_add_f32_e32 v15, v9, v13
	v_sub_f32_e32 v14, v13, v14
	s_delay_alu instid0(VALU_DEP_3) | instskip(NEXT) | instid1(VALU_DEP_3)
	v_sub_f32_e32 v17, v17, v101
	v_sub_f32_e32 v102, v15, v9
	s_delay_alu instid0(VALU_DEP_3) | instskip(NEXT) | instid1(VALU_DEP_2)
	v_sub_f32_e32 v8, v8, v14
	v_sub_f32_e32 v103, v15, v102
	;; [unrolled: 1-line block ×3, first 2 shown]
	s_delay_alu instid0(VALU_DEP_3) | instskip(NEXT) | instid1(VALU_DEP_3)
	v_add_f32_e32 v14, v17, v8
	v_sub_f32_e32 v9, v9, v103
	s_delay_alu instid0(VALU_DEP_1) | instskip(NEXT) | instid1(VALU_DEP_3)
	v_add_f32_e32 v9, v13, v9
	v_sub_f32_e32 v13, v14, v17
	s_delay_alu instid0(VALU_DEP_2) | instskip(NEXT) | instid1(VALU_DEP_2)
	v_add_f32_e32 v9, v14, v9
	v_sub_f32_e32 v14, v14, v13
	v_sub_f32_e32 v8, v8, v13
	s_delay_alu instid0(VALU_DEP_2) | instskip(NEXT) | instid1(VALU_DEP_1)
	v_dual_add_f32 v101, v15, v9 :: v_dual_sub_f32 v14, v17, v14
	v_dual_sub_f32 v13, v101, v15 :: v_dual_add_f32 v8, v8, v14
	s_delay_alu instid0(VALU_DEP_1) | instskip(NEXT) | instid1(VALU_DEP_1)
	v_sub_f32_e32 v9, v9, v13
	v_add_f32_e32 v8, v8, v9
	s_delay_alu instid0(VALU_DEP_1) | instskip(NEXT) | instid1(VALU_DEP_1)
	v_add_f32_e32 v8, v101, v8
	v_cndmask_b32_e32 v101, v8, v12, vcc_lo
.LBB30_98:                              ;   in Loop: Header=BB30_12 Depth=1
	s_or_b32 exec_lo, exec_lo, s30
	v_lshlrev_b32_e32 v8, 16, v10
	s_delay_alu instid0(VALU_DEP_1) | instskip(NEXT) | instid1(VALU_DEP_1)
	v_add_f32_e32 v102, s67, v8
	v_cmp_ge_f32_e32 vcc_lo, 0x41a00000, v102
	s_and_b32 s29, s80, vcc_lo
	s_delay_alu instid0(SALU_CYCLE_1)
	s_and_saveexec_b32 s30, s29
	s_cbranch_execz .LBB30_100
; %bb.99:                               ;   in Loop: Header=BB30_12 Depth=1
	v_mul_f32_e32 v8, 0x3fb8aa3b, v102
	v_cmp_ngt_f32_e32 vcc_lo, 0xc2ce8ed0, v102
	s_delay_alu instid0(VALU_DEP_2) | instskip(SKIP_1) | instid1(VALU_DEP_2)
	v_rndne_f32_e32 v9, v8
	v_fma_f32 v12, 0x3fb8aa3b, v102, -v8
	v_sub_f32_e32 v8, v8, v9
	s_delay_alu instid0(VALU_DEP_2) | instskip(SKIP_1) | instid1(VALU_DEP_2)
	v_fmac_f32_e32 v12, 0x32a5705f, v102
	v_cvt_i32_f32_e32 v9, v9
	v_add_f32_e32 v8, v8, v12
	s_delay_alu instid0(VALU_DEP_1) | instskip(SKIP_2) | instid1(VALU_DEP_1)
	v_exp_f32_e32 v8, v8
	s_waitcnt_depctr 0xfff
	v_ldexp_f32 v8, v8, v9
	v_cndmask_b32_e32 v8, 0, v8, vcc_lo
	v_cmp_nlt_f32_e32 vcc_lo, 0x42b17218, v102
	s_delay_alu instid0(VALU_DEP_2) | instskip(NEXT) | instid1(VALU_DEP_1)
	v_cndmask_b32_e32 v12, 0x7f800000, v8, vcc_lo
	v_add_f32_e32 v13, 1.0, v12
	s_delay_alu instid0(VALU_DEP_1) | instskip(NEXT) | instid1(VALU_DEP_1)
	v_cvt_f64_f32_e32 v[8:9], v13
	v_frexp_exp_i32_f64_e32 v8, v[8:9]
	v_frexp_mant_f32_e32 v9, v13
	s_delay_alu instid0(VALU_DEP_1) | instskip(SKIP_1) | instid1(VALU_DEP_1)
	v_cmp_gt_f32_e32 vcc_lo, 0x3f2aaaab, v9
	v_add_f32_e32 v9, -1.0, v13
	v_sub_f32_e32 v15, v9, v13
	s_delay_alu instid0(VALU_DEP_1) | instskip(SKIP_1) | instid1(VALU_DEP_1)
	v_add_f32_e32 v15, 1.0, v15
	v_subrev_co_ci_u32_e32 v8, vcc_lo, 0, v8, vcc_lo
	v_sub_nc_u32_e32 v14, 0, v8
	v_cvt_f32_i32_e32 v8, v8
	s_delay_alu instid0(VALU_DEP_2) | instskip(NEXT) | instid1(VALU_DEP_1)
	v_ldexp_f32 v13, v13, v14
	v_add_f32_e32 v17, 1.0, v13
	v_sub_f32_e32 v9, v12, v9
	v_cmp_eq_f32_e32 vcc_lo, 0x7f800000, v12
	v_cmp_gt_f32_e64 s29, 0x33800000, v12
	s_delay_alu instid0(VALU_DEP_3) | instskip(NEXT) | instid1(VALU_DEP_2)
	v_add_f32_e32 v9, v9, v15
	s_or_b32 vcc_lo, s29, vcc_lo
	s_delay_alu instid0(VALU_DEP_1) | instskip(SKIP_1) | instid1(VALU_DEP_1)
	v_ldexp_f32 v9, v9, v14
	v_add_f32_e32 v14, -1.0, v13
	v_dual_add_f32 v15, -1.0, v17 :: v_dual_add_f32 v102, 1.0, v14
	s_delay_alu instid0(VALU_DEP_1) | instskip(NEXT) | instid1(VALU_DEP_2)
	v_sub_f32_e32 v15, v13, v15
	v_sub_f32_e32 v13, v13, v102
	s_delay_alu instid0(VALU_DEP_2) | instskip(NEXT) | instid1(VALU_DEP_2)
	v_add_f32_e32 v15, v9, v15
	v_add_f32_e32 v9, v9, v13
	s_delay_alu instid0(VALU_DEP_1) | instskip(NEXT) | instid1(VALU_DEP_1)
	v_dual_add_f32 v102, v17, v15 :: v_dual_add_f32 v103, v14, v9
	v_rcp_f32_e32 v13, v102
	s_delay_alu instid0(VALU_DEP_1) | instskip(NEXT) | instid1(VALU_DEP_1)
	v_dual_sub_f32 v17, v17, v102 :: v_dual_sub_f32 v14, v14, v103
	v_add_f32_e32 v15, v15, v17
	s_waitcnt_depctr 0xfff
	v_dual_add_f32 v9, v9, v14 :: v_dual_mul_f32 v104, v103, v13
	s_delay_alu instid0(VALU_DEP_1) | instskip(NEXT) | instid1(VALU_DEP_1)
	v_mul_f32_e32 v105, v102, v104
	v_fma_f32 v17, v104, v102, -v105
	s_delay_alu instid0(VALU_DEP_1) | instskip(NEXT) | instid1(VALU_DEP_1)
	v_fmac_f32_e32 v17, v104, v15
	v_add_f32_e32 v106, v105, v17
	s_delay_alu instid0(VALU_DEP_1) | instskip(NEXT) | instid1(VALU_DEP_1)
	v_sub_f32_e32 v107, v103, v106
	v_dual_sub_f32 v103, v103, v107 :: v_dual_sub_f32 v14, v106, v105
	s_delay_alu instid0(VALU_DEP_1) | instskip(NEXT) | instid1(VALU_DEP_1)
	v_dual_sub_f32 v103, v103, v106 :: v_dual_sub_f32 v14, v14, v17
	v_add_f32_e32 v9, v9, v103
	s_delay_alu instid0(VALU_DEP_1) | instskip(NEXT) | instid1(VALU_DEP_1)
	v_add_f32_e32 v9, v14, v9
	v_add_f32_e32 v14, v107, v9
	s_delay_alu instid0(VALU_DEP_1) | instskip(NEXT) | instid1(VALU_DEP_1)
	v_mul_f32_e32 v17, v13, v14
	v_dual_sub_f32 v106, v107, v14 :: v_dual_mul_f32 v103, v102, v17
	s_delay_alu instid0(VALU_DEP_1) | instskip(NEXT) | instid1(VALU_DEP_2)
	v_add_f32_e32 v9, v9, v106
	v_fma_f32 v102, v17, v102, -v103
	s_delay_alu instid0(VALU_DEP_1) | instskip(NEXT) | instid1(VALU_DEP_1)
	v_fmac_f32_e32 v102, v17, v15
	v_add_f32_e32 v15, v103, v102
	s_delay_alu instid0(VALU_DEP_1) | instskip(NEXT) | instid1(VALU_DEP_1)
	v_sub_f32_e32 v105, v14, v15
	v_dual_sub_f32 v103, v15, v103 :: v_dual_sub_f32 v14, v14, v105
	s_delay_alu instid0(VALU_DEP_1) | instskip(NEXT) | instid1(VALU_DEP_1)
	v_dual_sub_f32 v14, v14, v15 :: v_dual_sub_f32 v15, v103, v102
	v_dual_add_f32 v9, v9, v14 :: v_dual_add_f32 v14, v104, v17
	s_delay_alu instid0(VALU_DEP_1) | instskip(NEXT) | instid1(VALU_DEP_2)
	v_add_f32_e32 v9, v15, v9
	v_sub_f32_e32 v15, v14, v104
	s_delay_alu instid0(VALU_DEP_2) | instskip(NEXT) | instid1(VALU_DEP_2)
	v_add_f32_e32 v9, v105, v9
	v_sub_f32_e32 v15, v17, v15
	s_delay_alu instid0(VALU_DEP_2) | instskip(NEXT) | instid1(VALU_DEP_1)
	v_mul_f32_e32 v9, v13, v9
	v_add_f32_e32 v9, v15, v9
	s_delay_alu instid0(VALU_DEP_1) | instskip(NEXT) | instid1(VALU_DEP_1)
	v_add_f32_e32 v13, v14, v9
	v_mul_f32_e32 v15, v13, v13
	s_delay_alu instid0(VALU_DEP_1) | instskip(NEXT) | instid1(VALU_DEP_1)
	v_fmaak_f32 v17, s84, v15, 0x3ecc95a3
	v_dual_mul_f32 v102, v13, v15 :: v_dual_fmaak_f32 v15, v15, v17, 0x3f2aaada
	v_ldexp_f32 v17, v13, 1
	v_sub_f32_e32 v13, v13, v14
	s_delay_alu instid0(VALU_DEP_3) | instskip(NEXT) | instid1(VALU_DEP_2)
	v_dual_mul_f32 v15, v102, v15 :: v_dual_mul_f32 v102, 0x3f317218, v8
	v_sub_f32_e32 v9, v9, v13
	s_delay_alu instid0(VALU_DEP_2) | instskip(NEXT) | instid1(VALU_DEP_2)
	v_add_f32_e32 v14, v17, v15
	v_ldexp_f32 v9, v9, 1
	s_delay_alu instid0(VALU_DEP_2) | instskip(SKIP_1) | instid1(VALU_DEP_2)
	v_sub_f32_e32 v13, v14, v17
	v_fma_f32 v17, 0x3f317218, v8, -v102
	v_sub_f32_e32 v13, v15, v13
	s_delay_alu instid0(VALU_DEP_1) | instskip(NEXT) | instid1(VALU_DEP_1)
	v_dual_fmac_f32 v17, 0xb102e308, v8 :: v_dual_add_f32 v8, v9, v13
	v_add_f32_e32 v9, v102, v17
	s_delay_alu instid0(VALU_DEP_1) | instskip(NEXT) | instid1(VALU_DEP_1)
	v_dual_add_f32 v13, v14, v8 :: v_dual_sub_f32 v102, v9, v102
	v_add_f32_e32 v15, v9, v13
	v_sub_f32_e32 v14, v13, v14
	s_delay_alu instid0(VALU_DEP_3) | instskip(NEXT) | instid1(VALU_DEP_2)
	v_sub_f32_e32 v17, v17, v102
	v_dual_sub_f32 v103, v15, v9 :: v_dual_sub_f32 v8, v8, v14
	s_delay_alu instid0(VALU_DEP_1) | instskip(SKIP_1) | instid1(VALU_DEP_3)
	v_sub_f32_e32 v104, v15, v103
	v_sub_f32_e32 v13, v13, v103
	v_add_f32_e32 v14, v17, v8
	s_delay_alu instid0(VALU_DEP_3) | instskip(NEXT) | instid1(VALU_DEP_1)
	v_sub_f32_e32 v9, v9, v104
	v_add_f32_e32 v9, v13, v9
	s_delay_alu instid0(VALU_DEP_3) | instskip(NEXT) | instid1(VALU_DEP_2)
	v_sub_f32_e32 v13, v14, v17
	v_add_f32_e32 v9, v14, v9
	s_delay_alu instid0(VALU_DEP_2) | instskip(SKIP_1) | instid1(VALU_DEP_3)
	v_sub_f32_e32 v14, v14, v13
	v_sub_f32_e32 v8, v8, v13
	v_add_f32_e32 v102, v15, v9
	s_delay_alu instid0(VALU_DEP_1) | instskip(NEXT) | instid1(VALU_DEP_1)
	v_dual_sub_f32 v14, v17, v14 :: v_dual_sub_f32 v13, v102, v15
	v_dual_add_f32 v8, v8, v14 :: v_dual_sub_f32 v9, v9, v13
	s_delay_alu instid0(VALU_DEP_1) | instskip(NEXT) | instid1(VALU_DEP_1)
	v_add_f32_e32 v8, v8, v9
	v_add_f32_e32 v8, v102, v8
	s_delay_alu instid0(VALU_DEP_1)
	v_cndmask_b32_e32 v102, v8, v12, vcc_lo
.LBB30_100:                             ;   in Loop: Header=BB30_12 Depth=1
	s_or_b32 exec_lo, exec_lo, s30
	v_and_b32_e32 v8, 0xffff0000, v10
	s_delay_alu instid0(VALU_DEP_1) | instskip(NEXT) | instid1(VALU_DEP_1)
	v_add_f32_e32 v103, s67, v8
	v_cmp_ge_f32_e32 vcc_lo, 0x41a00000, v103
	s_and_b32 s29, s80, vcc_lo
	s_delay_alu instid0(SALU_CYCLE_1)
	s_and_saveexec_b32 s30, s29
	s_cbranch_execz .LBB30_102
; %bb.101:                              ;   in Loop: Header=BB30_12 Depth=1
	v_mul_f32_e32 v8, 0x3fb8aa3b, v103
	v_cmp_ngt_f32_e32 vcc_lo, 0xc2ce8ed0, v103
	s_delay_alu instid0(VALU_DEP_2) | instskip(SKIP_1) | instid1(VALU_DEP_2)
	v_rndne_f32_e32 v9, v8
	v_fma_f32 v10, 0x3fb8aa3b, v103, -v8
	v_sub_f32_e32 v8, v8, v9
	s_delay_alu instid0(VALU_DEP_2) | instskip(SKIP_1) | instid1(VALU_DEP_2)
	v_fmac_f32_e32 v10, 0x32a5705f, v103
	v_cvt_i32_f32_e32 v9, v9
	v_add_f32_e32 v8, v8, v10
	s_delay_alu instid0(VALU_DEP_1) | instskip(SKIP_2) | instid1(VALU_DEP_1)
	v_exp_f32_e32 v8, v8
	s_waitcnt_depctr 0xfff
	v_ldexp_f32 v8, v8, v9
	v_cndmask_b32_e32 v8, 0, v8, vcc_lo
	v_cmp_nlt_f32_e32 vcc_lo, 0x42b17218, v103
	s_delay_alu instid0(VALU_DEP_2) | instskip(NEXT) | instid1(VALU_DEP_1)
	v_cndmask_b32_e32 v10, 0x7f800000, v8, vcc_lo
	v_add_f32_e32 v12, 1.0, v10
	s_delay_alu instid0(VALU_DEP_1) | instskip(NEXT) | instid1(VALU_DEP_1)
	v_cvt_f64_f32_e32 v[8:9], v12
	v_frexp_exp_i32_f64_e32 v8, v[8:9]
	v_frexp_mant_f32_e32 v9, v12
	s_delay_alu instid0(VALU_DEP_1) | instskip(SKIP_1) | instid1(VALU_DEP_1)
	v_cmp_gt_f32_e32 vcc_lo, 0x3f2aaaab, v9
	v_add_f32_e32 v9, -1.0, v12
	v_dual_sub_f32 v14, v9, v12 :: v_dual_sub_f32 v9, v10, v9
	v_subrev_co_ci_u32_e32 v8, vcc_lo, 0, v8, vcc_lo
	s_delay_alu instid0(VALU_DEP_1) | instskip(SKIP_1) | instid1(VALU_DEP_2)
	v_sub_nc_u32_e32 v13, 0, v8
	v_cvt_f32_i32_e32 v8, v8
	v_ldexp_f32 v12, v12, v13
	s_delay_alu instid0(VALU_DEP_1) | instskip(NEXT) | instid1(VALU_DEP_1)
	v_dual_add_f32 v14, 1.0, v14 :: v_dual_add_f32 v15, 1.0, v12
	v_add_f32_e32 v9, v9, v14
	s_delay_alu instid0(VALU_DEP_1) | instskip(NEXT) | instid1(VALU_DEP_3)
	v_ldexp_f32 v9, v9, v13
	v_dual_add_f32 v13, -1.0, v12 :: v_dual_add_f32 v14, -1.0, v15
	s_delay_alu instid0(VALU_DEP_1) | instskip(NEXT) | instid1(VALU_DEP_1)
	v_dual_add_f32 v17, 1.0, v13 :: v_dual_sub_f32 v14, v12, v14
	v_sub_f32_e32 v12, v12, v17
	s_delay_alu instid0(VALU_DEP_2) | instskip(NEXT) | instid1(VALU_DEP_2)
	v_add_f32_e32 v14, v9, v14
	v_add_f32_e32 v9, v9, v12
	s_delay_alu instid0(VALU_DEP_2) | instskip(SKIP_2) | instid1(VALU_DEP_4)
	v_add_f32_e32 v17, v15, v14
	v_cmp_eq_f32_e32 vcc_lo, 0x7f800000, v10
	v_cmp_gt_f32_e64 s29, 0x33800000, v10
	v_add_f32_e32 v103, v13, v9
	s_delay_alu instid0(VALU_DEP_4) | instskip(SKIP_1) | instid1(VALU_DEP_3)
	v_rcp_f32_e32 v12, v17
	v_sub_f32_e32 v15, v15, v17
	s_or_b32 vcc_lo, s29, vcc_lo
	s_delay_alu instid0(VALU_DEP_2) | instskip(NEXT) | instid1(VALU_DEP_1)
	v_sub_f32_e32 v13, v13, v103
	v_dual_add_f32 v14, v14, v15 :: v_dual_add_f32 v9, v9, v13
	s_waitcnt_depctr 0xfff
	v_mul_f32_e32 v104, v103, v12
	s_delay_alu instid0(VALU_DEP_1) | instskip(NEXT) | instid1(VALU_DEP_1)
	v_mul_f32_e32 v105, v17, v104
	v_fma_f32 v15, v104, v17, -v105
	s_delay_alu instid0(VALU_DEP_1) | instskip(NEXT) | instid1(VALU_DEP_1)
	v_fmac_f32_e32 v15, v104, v14
	v_add_f32_e32 v106, v105, v15
	s_delay_alu instid0(VALU_DEP_1) | instskip(SKIP_1) | instid1(VALU_DEP_2)
	v_sub_f32_e32 v107, v103, v106
	v_sub_f32_e32 v13, v106, v105
	;; [unrolled: 1-line block ×3, first 2 shown]
	s_delay_alu instid0(VALU_DEP_2) | instskip(NEXT) | instid1(VALU_DEP_2)
	v_sub_f32_e32 v13, v13, v15
	v_sub_f32_e32 v103, v103, v106
	s_delay_alu instid0(VALU_DEP_1) | instskip(NEXT) | instid1(VALU_DEP_1)
	v_add_f32_e32 v9, v9, v103
	v_add_f32_e32 v9, v13, v9
	s_delay_alu instid0(VALU_DEP_1) | instskip(NEXT) | instid1(VALU_DEP_1)
	v_add_f32_e32 v13, v107, v9
	v_mul_f32_e32 v15, v12, v13
	s_delay_alu instid0(VALU_DEP_1) | instskip(NEXT) | instid1(VALU_DEP_1)
	v_dual_sub_f32 v106, v107, v13 :: v_dual_mul_f32 v103, v17, v15
	v_add_f32_e32 v9, v9, v106
	s_delay_alu instid0(VALU_DEP_2) | instskip(NEXT) | instid1(VALU_DEP_1)
	v_fma_f32 v17, v15, v17, -v103
	v_fmac_f32_e32 v17, v15, v14
	s_delay_alu instid0(VALU_DEP_1) | instskip(NEXT) | instid1(VALU_DEP_1)
	v_add_f32_e32 v14, v103, v17
	v_sub_f32_e32 v105, v13, v14
	v_sub_f32_e32 v103, v14, v103
	s_delay_alu instid0(VALU_DEP_2) | instskip(NEXT) | instid1(VALU_DEP_1)
	v_sub_f32_e32 v13, v13, v105
	v_dual_sub_f32 v13, v13, v14 :: v_dual_sub_f32 v14, v103, v17
	s_delay_alu instid0(VALU_DEP_1) | instskip(SKIP_1) | instid1(VALU_DEP_1)
	v_add_f32_e32 v9, v9, v13
	v_add_f32_e32 v13, v104, v15
	v_dual_add_f32 v9, v14, v9 :: v_dual_sub_f32 v14, v13, v104
	s_delay_alu instid0(VALU_DEP_1) | instskip(NEXT) | instid1(VALU_DEP_1)
	v_dual_add_f32 v9, v105, v9 :: v_dual_sub_f32 v14, v15, v14
	v_mul_f32_e32 v9, v12, v9
	s_delay_alu instid0(VALU_DEP_1) | instskip(NEXT) | instid1(VALU_DEP_1)
	v_add_f32_e32 v9, v14, v9
	v_add_f32_e32 v12, v13, v9
	s_delay_alu instid0(VALU_DEP_1) | instskip(NEXT) | instid1(VALU_DEP_1)
	v_mul_f32_e32 v14, v12, v12
	v_fmaak_f32 v15, s84, v14, 0x3ecc95a3
	s_delay_alu instid0(VALU_DEP_1) | instskip(SKIP_2) | instid1(VALU_DEP_3)
	v_dual_mul_f32 v17, v12, v14 :: v_dual_fmaak_f32 v14, v14, v15, 0x3f2aaada
	v_ldexp_f32 v15, v12, 1
	v_sub_f32_e32 v12, v12, v13
	v_dual_mul_f32 v14, v17, v14 :: v_dual_mul_f32 v17, 0x3f317218, v8
	s_delay_alu instid0(VALU_DEP_2) | instskip(NEXT) | instid1(VALU_DEP_2)
	v_sub_f32_e32 v9, v9, v12
	v_add_f32_e32 v13, v15, v14
	s_delay_alu instid0(VALU_DEP_2) | instskip(NEXT) | instid1(VALU_DEP_2)
	v_ldexp_f32 v9, v9, 1
	v_sub_f32_e32 v12, v13, v15
	v_fma_f32 v15, 0x3f317218, v8, -v17
	s_delay_alu instid0(VALU_DEP_2) | instskip(NEXT) | instid1(VALU_DEP_2)
	v_sub_f32_e32 v12, v14, v12
	v_fmac_f32_e32 v15, 0xb102e308, v8
	s_delay_alu instid0(VALU_DEP_2) | instskip(NEXT) | instid1(VALU_DEP_2)
	v_add_f32_e32 v8, v9, v12
	v_add_f32_e32 v9, v17, v15
	s_delay_alu instid0(VALU_DEP_2) | instskip(NEXT) | instid1(VALU_DEP_2)
	v_add_f32_e32 v12, v13, v8
	v_sub_f32_e32 v17, v9, v17
	s_delay_alu instid0(VALU_DEP_2) | instskip(NEXT) | instid1(VALU_DEP_2)
	v_dual_add_f32 v14, v9, v12 :: v_dual_sub_f32 v13, v12, v13
	v_sub_f32_e32 v15, v15, v17
	s_delay_alu instid0(VALU_DEP_2) | instskip(NEXT) | instid1(VALU_DEP_3)
	v_sub_f32_e32 v103, v14, v9
	v_sub_f32_e32 v8, v8, v13
	s_delay_alu instid0(VALU_DEP_2) | instskip(NEXT) | instid1(VALU_DEP_2)
	v_sub_f32_e32 v104, v14, v103
	v_dual_sub_f32 v12, v12, v103 :: v_dual_add_f32 v13, v15, v8
	s_delay_alu instid0(VALU_DEP_2) | instskip(NEXT) | instid1(VALU_DEP_1)
	v_sub_f32_e32 v9, v9, v104
	v_dual_add_f32 v9, v12, v9 :: v_dual_sub_f32 v12, v13, v15
	s_delay_alu instid0(VALU_DEP_1) | instskip(NEXT) | instid1(VALU_DEP_2)
	v_add_f32_e32 v9, v13, v9
	v_sub_f32_e32 v13, v13, v12
	s_delay_alu instid0(VALU_DEP_2) | instskip(NEXT) | instid1(VALU_DEP_1)
	v_dual_sub_f32 v8, v8, v12 :: v_dual_add_f32 v17, v14, v9
	v_dual_sub_f32 v13, v15, v13 :: v_dual_sub_f32 v12, v17, v14
	s_delay_alu instid0(VALU_DEP_1) | instskip(NEXT) | instid1(VALU_DEP_1)
	v_dual_add_f32 v8, v8, v13 :: v_dual_sub_f32 v9, v9, v12
	v_add_f32_e32 v8, v8, v9
	s_delay_alu instid0(VALU_DEP_1) | instskip(NEXT) | instid1(VALU_DEP_1)
	v_add_f32_e32 v8, v17, v8
	v_cndmask_b32_e32 v103, v8, v10, vcc_lo
.LBB30_102:                             ;   in Loop: Header=BB30_12 Depth=1
	s_or_b32 exec_lo, exec_lo, s30
	v_lshlrev_b32_e32 v8, 16, v11
	s_delay_alu instid0(VALU_DEP_1) | instskip(NEXT) | instid1(VALU_DEP_1)
	v_add_f32_e32 v104, s67, v8
	v_cmp_ge_f32_e32 vcc_lo, 0x41a00000, v104
	s_and_b32 s29, s80, vcc_lo
	s_delay_alu instid0(SALU_CYCLE_1)
	s_and_saveexec_b32 s30, s29
	s_cbranch_execz .LBB30_104
; %bb.103:                              ;   in Loop: Header=BB30_12 Depth=1
	v_mul_f32_e32 v8, 0x3fb8aa3b, v104
	v_cmp_ngt_f32_e32 vcc_lo, 0xc2ce8ed0, v104
	s_delay_alu instid0(VALU_DEP_2) | instskip(SKIP_1) | instid1(VALU_DEP_2)
	v_rndne_f32_e32 v9, v8
	v_fma_f32 v10, 0x3fb8aa3b, v104, -v8
	v_sub_f32_e32 v8, v8, v9
	s_delay_alu instid0(VALU_DEP_2) | instskip(SKIP_1) | instid1(VALU_DEP_2)
	v_fmac_f32_e32 v10, 0x32a5705f, v104
	v_cvt_i32_f32_e32 v9, v9
	v_add_f32_e32 v8, v8, v10
	s_delay_alu instid0(VALU_DEP_1) | instskip(SKIP_2) | instid1(VALU_DEP_1)
	v_exp_f32_e32 v8, v8
	s_waitcnt_depctr 0xfff
	v_ldexp_f32 v8, v8, v9
	v_cndmask_b32_e32 v8, 0, v8, vcc_lo
	v_cmp_nlt_f32_e32 vcc_lo, 0x42b17218, v104
	s_delay_alu instid0(VALU_DEP_2) | instskip(NEXT) | instid1(VALU_DEP_1)
	v_cndmask_b32_e32 v10, 0x7f800000, v8, vcc_lo
	v_add_f32_e32 v12, 1.0, v10
	s_delay_alu instid0(VALU_DEP_1) | instskip(NEXT) | instid1(VALU_DEP_1)
	v_cvt_f64_f32_e32 v[8:9], v12
	v_frexp_exp_i32_f64_e32 v8, v[8:9]
	v_frexp_mant_f32_e32 v9, v12
	s_delay_alu instid0(VALU_DEP_1) | instskip(SKIP_1) | instid1(VALU_DEP_1)
	v_cmp_gt_f32_e32 vcc_lo, 0x3f2aaaab, v9
	v_add_f32_e32 v9, -1.0, v12
	v_dual_sub_f32 v14, v9, v12 :: v_dual_sub_f32 v9, v10, v9
	v_subrev_co_ci_u32_e32 v8, vcc_lo, 0, v8, vcc_lo
	s_delay_alu instid0(VALU_DEP_1) | instskip(SKIP_1) | instid1(VALU_DEP_2)
	v_sub_nc_u32_e32 v13, 0, v8
	v_cvt_f32_i32_e32 v8, v8
	v_ldexp_f32 v12, v12, v13
	s_delay_alu instid0(VALU_DEP_1) | instskip(NEXT) | instid1(VALU_DEP_1)
	v_dual_add_f32 v14, 1.0, v14 :: v_dual_add_f32 v15, 1.0, v12
	v_add_f32_e32 v9, v9, v14
	s_delay_alu instid0(VALU_DEP_1) | instskip(NEXT) | instid1(VALU_DEP_3)
	v_ldexp_f32 v9, v9, v13
	v_dual_add_f32 v13, -1.0, v12 :: v_dual_add_f32 v14, -1.0, v15
	s_delay_alu instid0(VALU_DEP_1) | instskip(NEXT) | instid1(VALU_DEP_1)
	v_dual_add_f32 v17, 1.0, v13 :: v_dual_sub_f32 v14, v12, v14
	v_sub_f32_e32 v12, v12, v17
	s_delay_alu instid0(VALU_DEP_2) | instskip(NEXT) | instid1(VALU_DEP_2)
	v_add_f32_e32 v14, v9, v14
	v_add_f32_e32 v9, v9, v12
	s_delay_alu instid0(VALU_DEP_2) | instskip(SKIP_2) | instid1(VALU_DEP_4)
	v_add_f32_e32 v17, v15, v14
	v_cmp_eq_f32_e32 vcc_lo, 0x7f800000, v10
	v_cmp_gt_f32_e64 s29, 0x33800000, v10
	v_add_f32_e32 v104, v13, v9
	s_delay_alu instid0(VALU_DEP_4) | instskip(SKIP_1) | instid1(VALU_DEP_3)
	v_rcp_f32_e32 v12, v17
	v_sub_f32_e32 v15, v15, v17
	s_or_b32 vcc_lo, s29, vcc_lo
	s_delay_alu instid0(VALU_DEP_2) | instskip(NEXT) | instid1(VALU_DEP_1)
	v_sub_f32_e32 v13, v13, v104
	v_add_f32_e32 v9, v9, v13
	s_waitcnt_depctr 0xfff
	v_dual_mul_f32 v105, v104, v12 :: v_dual_add_f32 v14, v14, v15
	s_delay_alu instid0(VALU_DEP_1) | instskip(NEXT) | instid1(VALU_DEP_1)
	v_mul_f32_e32 v106, v17, v105
	v_fma_f32 v15, v105, v17, -v106
	s_delay_alu instid0(VALU_DEP_1) | instskip(NEXT) | instid1(VALU_DEP_1)
	v_fmac_f32_e32 v15, v105, v14
	v_add_f32_e32 v107, v106, v15
	s_delay_alu instid0(VALU_DEP_1) | instskip(NEXT) | instid1(VALU_DEP_1)
	v_dual_sub_f32 v13, v107, v106 :: v_dual_sub_f32 v108, v104, v107
	v_dual_sub_f32 v13, v13, v15 :: v_dual_sub_f32 v104, v104, v108
	s_delay_alu instid0(VALU_DEP_1) | instskip(NEXT) | instid1(VALU_DEP_1)
	v_sub_f32_e32 v104, v104, v107
	v_add_f32_e32 v9, v9, v104
	s_delay_alu instid0(VALU_DEP_1) | instskip(NEXT) | instid1(VALU_DEP_1)
	v_add_f32_e32 v9, v13, v9
	v_add_f32_e32 v13, v108, v9
	s_delay_alu instid0(VALU_DEP_1) | instskip(NEXT) | instid1(VALU_DEP_1)
	v_mul_f32_e32 v15, v12, v13
	v_mul_f32_e32 v104, v17, v15
	s_delay_alu instid0(VALU_DEP_1) | instskip(NEXT) | instid1(VALU_DEP_1)
	v_fma_f32 v17, v15, v17, -v104
	v_fmac_f32_e32 v17, v15, v14
	s_delay_alu instid0(VALU_DEP_1) | instskip(NEXT) | instid1(VALU_DEP_1)
	v_add_f32_e32 v14, v104, v17
	v_dual_sub_f32 v107, v108, v13 :: v_dual_sub_f32 v106, v13, v14
	s_delay_alu instid0(VALU_DEP_1) | instskip(NEXT) | instid1(VALU_DEP_2)
	v_dual_sub_f32 v13, v13, v106 :: v_dual_sub_f32 v104, v14, v104
	v_add_f32_e32 v9, v9, v107
	s_delay_alu instid0(VALU_DEP_2) | instskip(NEXT) | instid1(VALU_DEP_1)
	v_dual_sub_f32 v13, v13, v14 :: v_dual_sub_f32 v14, v104, v17
	v_add_f32_e32 v9, v9, v13
	v_add_f32_e32 v13, v105, v15
	s_delay_alu instid0(VALU_DEP_2) | instskip(NEXT) | instid1(VALU_DEP_2)
	v_add_f32_e32 v9, v14, v9
	v_sub_f32_e32 v14, v13, v105
	s_delay_alu instid0(VALU_DEP_1) | instskip(NEXT) | instid1(VALU_DEP_1)
	v_dual_add_f32 v9, v106, v9 :: v_dual_sub_f32 v14, v15, v14
	v_mul_f32_e32 v9, v12, v9
	s_delay_alu instid0(VALU_DEP_1) | instskip(NEXT) | instid1(VALU_DEP_1)
	v_add_f32_e32 v9, v14, v9
	v_add_f32_e32 v12, v13, v9
	s_delay_alu instid0(VALU_DEP_1) | instskip(NEXT) | instid1(VALU_DEP_1)
	v_mul_f32_e32 v14, v12, v12
	v_fmaak_f32 v15, s84, v14, 0x3ecc95a3
	s_delay_alu instid0(VALU_DEP_1) | instskip(SKIP_1) | instid1(VALU_DEP_2)
	v_dual_mul_f32 v17, v12, v14 :: v_dual_fmaak_f32 v14, v14, v15, 0x3f2aaada
	v_ldexp_f32 v15, v12, 1
	v_mul_f32_e32 v14, v17, v14
	v_dual_sub_f32 v12, v12, v13 :: v_dual_mul_f32 v17, 0x3f317218, v8
	s_delay_alu instid0(VALU_DEP_2) | instskip(NEXT) | instid1(VALU_DEP_2)
	v_add_f32_e32 v13, v15, v14
	v_sub_f32_e32 v9, v9, v12
	s_delay_alu instid0(VALU_DEP_2) | instskip(NEXT) | instid1(VALU_DEP_4)
	v_sub_f32_e32 v12, v13, v15
	v_fma_f32 v15, 0x3f317218, v8, -v17
	s_delay_alu instid0(VALU_DEP_3) | instskip(NEXT) | instid1(VALU_DEP_3)
	v_ldexp_f32 v9, v9, 1
	v_sub_f32_e32 v12, v14, v12
	s_delay_alu instid0(VALU_DEP_3) | instskip(NEXT) | instid1(VALU_DEP_2)
	v_fmac_f32_e32 v15, 0xb102e308, v8
	v_add_f32_e32 v8, v9, v12
	s_delay_alu instid0(VALU_DEP_1) | instskip(NEXT) | instid1(VALU_DEP_3)
	v_add_f32_e32 v12, v13, v8
	v_add_f32_e32 v9, v17, v15
	s_delay_alu instid0(VALU_DEP_1) | instskip(NEXT) | instid1(VALU_DEP_1)
	v_dual_sub_f32 v13, v12, v13 :: v_dual_add_f32 v14, v9, v12
	v_sub_f32_e32 v8, v8, v13
	s_delay_alu instid0(VALU_DEP_2) | instskip(NEXT) | instid1(VALU_DEP_1)
	v_sub_f32_e32 v104, v14, v9
	v_dual_sub_f32 v12, v12, v104 :: v_dual_sub_f32 v17, v9, v17
	s_delay_alu instid0(VALU_DEP_1) | instskip(NEXT) | instid1(VALU_DEP_1)
	v_sub_f32_e32 v15, v15, v17
	v_add_f32_e32 v13, v15, v8
	v_sub_f32_e32 v105, v14, v104
	s_delay_alu instid0(VALU_DEP_1) | instskip(NEXT) | instid1(VALU_DEP_1)
	v_sub_f32_e32 v9, v9, v105
	v_dual_add_f32 v9, v12, v9 :: v_dual_sub_f32 v12, v13, v15
	s_delay_alu instid0(VALU_DEP_1) | instskip(NEXT) | instid1(VALU_DEP_2)
	v_add_f32_e32 v9, v13, v9
	v_sub_f32_e32 v13, v13, v12
	s_delay_alu instid0(VALU_DEP_2) | instskip(NEXT) | instid1(VALU_DEP_1)
	v_dual_sub_f32 v8, v8, v12 :: v_dual_add_f32 v17, v14, v9
	v_dual_sub_f32 v12, v17, v14 :: v_dual_sub_f32 v13, v15, v13
	s_delay_alu instid0(VALU_DEP_1) | instskip(NEXT) | instid1(VALU_DEP_1)
	v_dual_sub_f32 v9, v9, v12 :: v_dual_add_f32 v8, v8, v13
	v_add_f32_e32 v8, v8, v9
	s_delay_alu instid0(VALU_DEP_1) | instskip(NEXT) | instid1(VALU_DEP_1)
	v_add_f32_e32 v8, v17, v8
	v_cndmask_b32_e32 v104, v8, v10, vcc_lo
.LBB30_104:                             ;   in Loop: Header=BB30_12 Depth=1
	s_or_b32 exec_lo, exec_lo, s30
	v_and_b32_e32 v8, 0xffff0000, v11
	s_delay_alu instid0(VALU_DEP_1) | instskip(NEXT) | instid1(VALU_DEP_1)
	v_add_f32_e32 v121, s67, v8
	v_cmp_ge_f32_e32 vcc_lo, 0x41a00000, v121
	s_and_b32 s29, s80, vcc_lo
	s_delay_alu instid0(SALU_CYCLE_1)
	s_and_saveexec_b32 s30, s29
	s_cbranch_execz .LBB30_106
; %bb.105:                              ;   in Loop: Header=BB30_12 Depth=1
	v_mul_f32_e32 v8, 0x3fb8aa3b, v121
	v_cmp_ngt_f32_e32 vcc_lo, 0xc2ce8ed0, v121
	s_delay_alu instid0(VALU_DEP_2) | instskip(SKIP_1) | instid1(VALU_DEP_2)
	v_rndne_f32_e32 v9, v8
	v_fma_f32 v10, 0x3fb8aa3b, v121, -v8
	v_sub_f32_e32 v8, v8, v9
	s_delay_alu instid0(VALU_DEP_2) | instskip(SKIP_1) | instid1(VALU_DEP_2)
	v_fmac_f32_e32 v10, 0x32a5705f, v121
	v_cvt_i32_f32_e32 v9, v9
	v_add_f32_e32 v8, v8, v10
	s_delay_alu instid0(VALU_DEP_1) | instskip(SKIP_2) | instid1(VALU_DEP_1)
	v_exp_f32_e32 v8, v8
	s_waitcnt_depctr 0xfff
	v_ldexp_f32 v8, v8, v9
	v_cndmask_b32_e32 v8, 0, v8, vcc_lo
	v_cmp_nlt_f32_e32 vcc_lo, 0x42b17218, v121
	s_delay_alu instid0(VALU_DEP_2) | instskip(NEXT) | instid1(VALU_DEP_1)
	v_cndmask_b32_e32 v10, 0x7f800000, v8, vcc_lo
	v_add_f32_e32 v11, 1.0, v10
	s_delay_alu instid0(VALU_DEP_1) | instskip(NEXT) | instid1(VALU_DEP_1)
	v_cvt_f64_f32_e32 v[8:9], v11
	v_frexp_exp_i32_f64_e32 v8, v[8:9]
	v_frexp_mant_f32_e32 v9, v11
	s_delay_alu instid0(VALU_DEP_1) | instskip(SKIP_1) | instid1(VALU_DEP_1)
	v_cmp_gt_f32_e32 vcc_lo, 0x3f2aaaab, v9
	v_add_f32_e32 v9, -1.0, v11
	v_sub_f32_e32 v13, v9, v11
	v_sub_f32_e32 v9, v10, v9
	s_delay_alu instid0(VALU_DEP_2) | instskip(NEXT) | instid1(VALU_DEP_1)
	v_add_f32_e32 v13, 1.0, v13
	v_add_f32_e32 v9, v9, v13
	v_cmp_gt_f32_e64 s29, 0x33800000, v10
	v_subrev_co_ci_u32_e32 v8, vcc_lo, 0, v8, vcc_lo
	v_cmp_eq_f32_e32 vcc_lo, 0x7f800000, v10
	s_delay_alu instid0(VALU_DEP_2) | instskip(SKIP_2) | instid1(VALU_DEP_2)
	v_sub_nc_u32_e32 v12, 0, v8
	v_cvt_f32_i32_e32 v8, v8
	s_or_b32 vcc_lo, s29, vcc_lo
	v_ldexp_f32 v11, v11, v12
	v_ldexp_f32 v9, v9, v12
	s_delay_alu instid0(VALU_DEP_2) | instskip(NEXT) | instid1(VALU_DEP_1)
	v_add_f32_e32 v14, 1.0, v11
	v_dual_add_f32 v12, -1.0, v11 :: v_dual_add_f32 v13, -1.0, v14
	s_delay_alu instid0(VALU_DEP_1) | instskip(NEXT) | instid1(VALU_DEP_2)
	v_add_f32_e32 v15, 1.0, v12
	v_sub_f32_e32 v13, v11, v13
	s_delay_alu instid0(VALU_DEP_2) | instskip(NEXT) | instid1(VALU_DEP_2)
	v_sub_f32_e32 v11, v11, v15
	v_add_f32_e32 v13, v9, v13
	s_delay_alu instid0(VALU_DEP_2) | instskip(NEXT) | instid1(VALU_DEP_1)
	v_add_f32_e32 v9, v9, v11
	v_add_f32_e32 v17, v12, v9
	s_delay_alu instid0(VALU_DEP_3) | instskip(NEXT) | instid1(VALU_DEP_2)
	v_add_f32_e32 v15, v14, v13
	v_sub_f32_e32 v12, v12, v17
	s_delay_alu instid0(VALU_DEP_2) | instskip(SKIP_1) | instid1(VALU_DEP_1)
	v_rcp_f32_e32 v11, v15
	v_sub_f32_e32 v14, v14, v15
	v_add_f32_e32 v13, v13, v14
	s_waitcnt_depctr 0xfff
	v_mul_f32_e32 v105, v17, v11
	s_delay_alu instid0(VALU_DEP_1) | instskip(NEXT) | instid1(VALU_DEP_1)
	v_dual_mul_f32 v106, v15, v105 :: v_dual_add_f32 v9, v9, v12
	v_fma_f32 v14, v105, v15, -v106
	s_delay_alu instid0(VALU_DEP_1) | instskip(NEXT) | instid1(VALU_DEP_1)
	v_fmac_f32_e32 v14, v105, v13
	v_add_f32_e32 v107, v106, v14
	s_delay_alu instid0(VALU_DEP_1) | instskip(SKIP_1) | instid1(VALU_DEP_1)
	v_sub_f32_e32 v12, v107, v106
	v_sub_f32_e32 v108, v17, v107
	v_dual_sub_f32 v12, v12, v14 :: v_dual_sub_f32 v17, v17, v108
	s_delay_alu instid0(VALU_DEP_1) | instskip(NEXT) | instid1(VALU_DEP_1)
	v_sub_f32_e32 v17, v17, v107
	v_add_f32_e32 v9, v9, v17
	s_delay_alu instid0(VALU_DEP_1) | instskip(NEXT) | instid1(VALU_DEP_1)
	v_add_f32_e32 v9, v12, v9
	v_add_f32_e32 v12, v108, v9
	s_delay_alu instid0(VALU_DEP_1) | instskip(SKIP_1) | instid1(VALU_DEP_2)
	v_mul_f32_e32 v14, v11, v12
	v_sub_f32_e32 v107, v108, v12
	v_mul_f32_e32 v17, v15, v14
	s_delay_alu instid0(VALU_DEP_2) | instskip(NEXT) | instid1(VALU_DEP_2)
	v_add_f32_e32 v9, v9, v107
	v_fma_f32 v15, v14, v15, -v17
	s_delay_alu instid0(VALU_DEP_1) | instskip(NEXT) | instid1(VALU_DEP_1)
	v_fmac_f32_e32 v15, v14, v13
	v_add_f32_e32 v13, v17, v15
	s_delay_alu instid0(VALU_DEP_1) | instskip(NEXT) | instid1(VALU_DEP_1)
	v_sub_f32_e32 v106, v12, v13
	v_dual_sub_f32 v17, v13, v17 :: v_dual_sub_f32 v12, v12, v106
	s_delay_alu instid0(VALU_DEP_1) | instskip(NEXT) | instid1(VALU_DEP_1)
	v_dual_sub_f32 v12, v12, v13 :: v_dual_sub_f32 v13, v17, v15
	v_add_f32_e32 v9, v9, v12
	v_add_f32_e32 v12, v105, v14
	s_delay_alu instid0(VALU_DEP_2) | instskip(NEXT) | instid1(VALU_DEP_2)
	v_add_f32_e32 v9, v13, v9
	v_sub_f32_e32 v13, v12, v105
	s_delay_alu instid0(VALU_DEP_2) | instskip(NEXT) | instid1(VALU_DEP_2)
	v_add_f32_e32 v9, v106, v9
	v_sub_f32_e32 v13, v14, v13
	s_delay_alu instid0(VALU_DEP_2) | instskip(NEXT) | instid1(VALU_DEP_1)
	v_mul_f32_e32 v9, v11, v9
	v_add_f32_e32 v9, v13, v9
	s_delay_alu instid0(VALU_DEP_1) | instskip(NEXT) | instid1(VALU_DEP_1)
	v_add_f32_e32 v11, v12, v9
	v_mul_f32_e32 v13, v11, v11
	s_delay_alu instid0(VALU_DEP_1) | instskip(SKIP_1) | instid1(VALU_DEP_2)
	v_fmaak_f32 v14, s84, v13, 0x3ecc95a3
	v_mul_f32_e32 v15, v11, v13
	v_fmaak_f32 v13, v13, v14, 0x3f2aaada
	v_ldexp_f32 v14, v11, 1
	v_sub_f32_e32 v11, v11, v12
	s_delay_alu instid0(VALU_DEP_3) | instskip(SKIP_1) | instid1(VALU_DEP_2)
	v_mul_f32_e32 v13, v15, v13
	v_mul_f32_e32 v15, 0x3f317218, v8
	v_dual_sub_f32 v9, v9, v11 :: v_dual_add_f32 v12, v14, v13
	s_delay_alu instid0(VALU_DEP_1) | instskip(NEXT) | instid1(VALU_DEP_2)
	v_ldexp_f32 v9, v9, 1
	v_sub_f32_e32 v11, v12, v14
	s_delay_alu instid0(VALU_DEP_4) | instskip(NEXT) | instid1(VALU_DEP_1)
	v_fma_f32 v14, 0x3f317218, v8, -v15
	v_dual_sub_f32 v11, v13, v11 :: v_dual_fmac_f32 v14, 0xb102e308, v8
	s_delay_alu instid0(VALU_DEP_1) | instskip(NEXT) | instid1(VALU_DEP_1)
	v_dual_add_f32 v8, v9, v11 :: v_dual_add_f32 v9, v15, v14
	v_add_f32_e32 v11, v12, v8
	s_delay_alu instid0(VALU_DEP_2) | instskip(NEXT) | instid1(VALU_DEP_2)
	v_sub_f32_e32 v15, v9, v15
	v_dual_add_f32 v13, v9, v11 :: v_dual_sub_f32 v12, v11, v12
	s_delay_alu instid0(VALU_DEP_1) | instskip(NEXT) | instid1(VALU_DEP_1)
	v_dual_sub_f32 v14, v14, v15 :: v_dual_sub_f32 v17, v13, v9
	v_dual_sub_f32 v8, v8, v12 :: v_dual_sub_f32 v105, v13, v17
	s_delay_alu instid0(VALU_DEP_1) | instskip(NEXT) | instid1(VALU_DEP_2)
	v_dual_sub_f32 v11, v11, v17 :: v_dual_add_f32 v12, v14, v8
	v_sub_f32_e32 v9, v9, v105
	s_delay_alu instid0(VALU_DEP_1) | instskip(NEXT) | instid1(VALU_DEP_3)
	v_add_f32_e32 v9, v11, v9
	v_sub_f32_e32 v11, v12, v14
	s_delay_alu instid0(VALU_DEP_2) | instskip(NEXT) | instid1(VALU_DEP_2)
	v_add_f32_e32 v9, v12, v9
	v_sub_f32_e32 v12, v12, v11
	s_delay_alu instid0(VALU_DEP_2) | instskip(NEXT) | instid1(VALU_DEP_1)
	v_dual_sub_f32 v8, v8, v11 :: v_dual_add_f32 v15, v13, v9
	v_dual_sub_f32 v12, v14, v12 :: v_dual_sub_f32 v11, v15, v13
	s_delay_alu instid0(VALU_DEP_1) | instskip(NEXT) | instid1(VALU_DEP_1)
	v_dual_add_f32 v8, v8, v12 :: v_dual_sub_f32 v9, v9, v11
	v_add_f32_e32 v8, v8, v9
	s_delay_alu instid0(VALU_DEP_1) | instskip(NEXT) | instid1(VALU_DEP_1)
	v_add_f32_e32 v8, v15, v8
	v_cndmask_b32_e32 v121, v8, v10, vcc_lo
.LBB30_106:                             ;   in Loop: Header=BB30_12 Depth=1
	s_or_b32 exec_lo, exec_lo, s30
	v_and_b32_e32 v11, 0xffff0000, v3
	v_and_b32_e32 v9, 0xffff0000, v6
	v_lshlrev_b32_e32 v6, 16, v6
	v_and_b32_e32 v15, 0xffff0000, v0
	v_lshlrev_b32_e32 v8, 16, v7
	v_mul_f32_e32 v115, s68, v11
	v_mul_f32_e32 v105, s68, v9
	v_dual_mul_f32 v107, s68, v6 :: v_dual_and_b32 v10, 0xffff0000, v5
	v_and_b32_e32 v14, 0xffff0000, v7
	v_and_b32_e32 v7, 0xffff0000, v4
	v_lshlrev_b32_e32 v5, 16, v5
	s_delay_alu instid0(VALU_DEP_4) | instskip(NEXT) | instid1(VALU_DEP_4)
	v_dual_mul_f32 v109, s68, v10 :: v_dual_lshlrev_b32 v0, 16, v0
	v_mul_f32_e32 v111, s68, v14
	v_and_b32_e32 v13, 0xffff0000, v1
	v_lshlrev_b32_e32 v3, 16, v3
	v_mul_f32_e32 v108, s68, v7
	v_mul_f32_e32 v120, s68, v0
	s_delay_alu instid0(VALU_DEP_4) | instskip(SKIP_3) | instid1(VALU_DEP_4)
	v_dual_mul_f32 v113, s68, v13 :: v_dual_and_b32 v12, 0xffff0000, v2
	v_lshlrev_b32_e32 v1, 16, v1
	v_mul_f32_e32 v110, s68, v5
	v_mul_f32_e32 v106, s68, v8
	v_mul_f32_e32 v114, s68, v12
	v_mul_f32_e32 v116, s68, v3
	v_mul_f32_e32 v118, s68, v1
	v_dual_mul_f32 v119, s68, v15 :: v_dual_lshlrev_b32 v2, 16, v2
	v_lshlrev_b32_e32 v4, 16, v4
	s_and_b32 vcc_lo, exec_lo, s81
	s_delay_alu instid0(VALU_DEP_2) | instskip(SKIP_1) | instid1(VALU_DEP_2)
	v_mul_f32_e32 v117, s68, v2
	s_barrier
	v_mul_f32_e32 v112, s68, v4
	buffer_gl0_inv
	s_cbranch_vccz .LBB30_204
; %bb.107:                              ;   in Loop: Header=BB30_12 Depth=1
	v_dual_mul_f32 v122, v121, v14 :: v_dual_mul_f32 v127, v104, v8
	v_add_co_u32 v14, s29, s53, v16
	s_delay_alu instid0(VALU_DEP_1) | instskip(SKIP_1) | instid1(VALU_DEP_1)
	v_add_co_ci_u32_e64 v17, null, s74, 0, s29
	v_add_co_u32 v16, s29, s57, v16
	v_add_co_ci_u32_e64 v126, null, s75, 0, s29
	s_delay_alu instid0(VALU_DEP_4) | instskip(NEXT) | instid1(VALU_DEP_4)
	v_add_co_u32 v123, vcc_lo, v14, v89
	v_add_co_ci_u32_e32 v124, vcc_lo, 0, v17, vcc_lo
	s_delay_alu instid0(VALU_DEP_4) | instskip(NEXT) | instid1(VALU_DEP_4)
	v_add_co_u32 v125, vcc_lo, v16, v89
	v_add_co_ci_u32_e32 v126, vcc_lo, 0, v126, vcc_lo
	v_cmp_gt_u32_e32 vcc_lo, s41, v18
	s_cmp_lg_u32 s86, 0
	v_cmp_gt_u32_e64 s31, s41, v75
	s_cselect_b32 s51, -1, 0
	s_cmp_eq_u32 s86, s83
	v_cmp_gt_u32_e64 s33, s41, v76
	s_cselect_b32 s87, -1, 0
	s_or_b32 s29, s82, vcc_lo
	v_cmp_gt_u32_e32 vcc_lo, s41, v74
	v_cmp_gt_u32_e64 s34, s41, v77
	v_cmp_gt_u32_e64 s35, s41, v78
	;; [unrolled: 1-line block ×4, first 2 shown]
	s_or_b32 s30, s82, vcc_lo
	v_cmp_gt_u32_e32 vcc_lo, s41, v79
	v_cmp_gt_u32_e64 s39, s41, v82
	v_cmp_gt_u32_e64 s40, s41, v83
	;; [unrolled: 1-line block ×4, first 2 shown]
	s_or_b32 s36, s82, vcc_lo
	v_cmp_gt_u32_e32 vcc_lo, s41, v84
	v_cmp_gt_u32_e64 s44, s41, v87
	v_cmp_gt_u32_e64 s45, s41, v88
	v_dual_mul_f32 v128, v103, v9 :: v_dual_mul_f32 v129, v102, v6
	v_dual_mul_f32 v130, v101, v10 :: v_dual_mul_f32 v131, v100, v5
	;; [unrolled: 1-line block ×7, first 2 shown]
	s_mov_b32 s64, 0
	s_or_b32 s31, s82, s31
	s_or_b32 s33, s82, s33
	;; [unrolled: 1-line block ×8, first 2 shown]
	s_or_b32 s41, s82, vcc_lo
	s_or_b32 s42, s82, s42
	s_or_b32 s43, s82, s43
	;; [unrolled: 1-line block ×4, first 2 shown]
	s_mov_b32 s54, s64
	s_mov_b32 s58, s64
	;; [unrolled: 1-line block ×5, first 2 shown]
	s_branch .LBB30_109
.LBB30_108:                             ;   in Loop: Header=BB30_109 Depth=2
	s_or_b32 exec_lo, exec_lo, s46
	v_cndmask_b32_e64 v9, v171, v11, s12
	v_cndmask_b32_e64 v10, v170, v10, s12
	s_add_i32 s88, s88, -1
	s_add_i32 s89, s89, 8
	s_add_i32 s60, s60, s62
	v_fma_f32 v9, v9, v145, v144
	v_mul_f32_e32 v10, v10, v145
	s_add_i32 s58, s58, s56
	s_add_i32 s54, s54, s52
	;; [unrolled: 1-line block ×3, first 2 shown]
	v_cndmask_b32_e64 v9, v9, v144, s11
	v_cndmask_b32_e64 v10, v10, v145, s11
	s_cmp_eq_u32 s88, 0
	s_waitcnt lgkmcnt(0)
	s_delay_alu instid0(VALU_DEP_1) | instskip(NEXT) | instid1(VALU_DEP_1)
	v_dual_fmac_f32 v9, v8, v10 :: v_dual_and_b32 v10, 0xffff0000, v5
	v_dual_fmac_f32 v12, v9, v147 :: v_dual_lshlrev_b32 v5, 16, v5
	s_delay_alu instid0(VALU_DEP_1) | instskip(NEXT) | instid1(VALU_DEP_1)
	v_fmac_f32_e32 v13, v12, v148
	v_dual_fmac_f32 v118, v13, v5 :: v_dual_and_b32 v17, 0xffff0000, v0
	v_fmac_f32_e32 v14, v13, v150
	s_delay_alu instid0(VALU_DEP_1) | instskip(NEXT) | instid1(VALU_DEP_1)
	v_fmac_f32_e32 v15, v14, v153
	v_fmac_f32_e32 v142, v15, v154
	s_delay_alu instid0(VALU_DEP_1) | instskip(NEXT) | instid1(VALU_DEP_1)
	v_fmac_f32_e32 v143, v142, v155
	v_fmac_f32_e32 v146, v143, v156
	s_delay_alu instid0(VALU_DEP_1) | instskip(SKIP_1) | instid1(VALU_DEP_2)
	v_dual_fmac_f32 v149, v146, v158 :: v_dual_and_b32 v8, 0xffff0000, v4
	v_lshlrev_b32_e32 v4, 16, v4
	v_dual_fmac_f32 v119, v12, v8 :: v_dual_and_b32 v16, 0xffff0000, v7
	s_delay_alu instid0(VALU_DEP_3) | instskip(SKIP_1) | instid1(VALU_DEP_4)
	v_fmac_f32_e32 v151, v149, v159
	v_and_b32_e32 v11, 0xffff0000, v6
	v_dual_fmac_f32 v120, v9, v4 :: v_dual_lshlrev_b32 v7, 16, v7
	s_delay_alu instid0(VALU_DEP_4) | instskip(NEXT) | instid1(VALU_DEP_4)
	v_fmac_f32_e32 v115, v146, v16
	v_fmac_f32_e32 v152, v151, v160
	s_delay_alu instid0(VALU_DEP_4) | instskip(NEXT) | instid1(VALU_DEP_2)
	v_fmac_f32_e32 v114, v142, v11
	v_dual_fmac_f32 v108, v151, v17 :: v_dual_fmac_f32 v157, v152, v168
	v_lshlrev_b32_e32 v6, 16, v6
	v_dual_fmac_f32 v113, v14, v10 :: v_dual_lshlrev_b32 v0, 16, v0
	v_and_b32_e32 v147, 0xffff0000, v3
	s_delay_alu instid0(VALU_DEP_4) | instskip(SKIP_3) | instid1(VALU_DEP_4)
	v_fmac_f32_e32 v161, v157, v163
	v_and_b32_e32 v145, 0xffff0000, v2
	v_lshlrev_b32_e32 v2, 16, v2
	v_dual_fmac_f32 v117, v15, v6 :: v_dual_and_b32 v144, 0xffff0000, v1
	v_fmac_f32_e32 v162, v161, v165
	v_lshlrev_b32_e32 v1, 16, v1
	v_lshlrev_b32_e32 v3, 16, v3
	v_dual_fmac_f32 v107, v161, v2 :: v_dual_fmac_f32 v116, v143, v7
	s_delay_alu instid0(VALU_DEP_4) | instskip(SKIP_1) | instid1(VALU_DEP_2)
	v_dual_fmac_f32 v109, v157, v144 :: v_dual_fmac_f32 v164, v162, v167
	v_dual_fmac_f32 v112, v149, v0 :: v_dual_fmac_f32 v105, v162, v145
	v_fmac_f32_e32 v106, v164, v3
	v_fmac_f32_e32 v166, v164, v169
	s_delay_alu instid0(VALU_DEP_1)
	v_dual_fmac_f32 v110, v152, v1 :: v_dual_fmac_f32 v111, v166, v147
	s_cbranch_scc1 .LBB30_204
.LBB30_109:                             ;   Parent Loop BB30_12 Depth=1
                                        ; =>  This Inner Loop Header: Depth=2
	s_lshl_b64 s[46:47], s[64:65], 2
	s_mov_b32 s55, s65
	s_add_u32 s46, s73, s46
	s_addc_u32 s47, s63, s47
	v_dual_mov_b32 v2, 0 :: v_dual_mov_b32 v3, 0
	global_load_b32 v142, v21, s[46:47]
	s_lshl_b64 s[46:47], s[54:55], 1
	s_delay_alu instid0(SALU_CYCLE_1)
	v_add_co_u32 v0, vcc_lo, v123, s46
	v_add_co_ci_u32_e32 v1, vcc_lo, s47, v124, vcc_lo
	s_and_saveexec_b32 s46, s13
	s_cbranch_execz .LBB30_111
; %bb.110:                              ;   in Loop: Header=BB30_109 Depth=2
	global_load_u16 v3, v[0:1], off
.LBB30_111:                             ;   in Loop: Header=BB30_109 Depth=2
	s_or_b32 exec_lo, exec_lo, s46
	s_and_saveexec_b32 s46, s14
	s_cbranch_execz .LBB30_113
; %bb.112:                              ;   in Loop: Header=BB30_109 Depth=2
	global_load_u16 v2, v[0:1], off offset:64
.LBB30_113:                             ;   in Loop: Header=BB30_109 Depth=2
	s_or_b32 exec_lo, exec_lo, s46
	v_dual_mov_b32 v4, 0 :: v_dual_mov_b32 v5, 0
	s_and_saveexec_b32 s46, s15
	s_cbranch_execz .LBB30_115
; %bb.114:                              ;   in Loop: Header=BB30_109 Depth=2
	global_load_u16 v5, v[0:1], off offset:128
.LBB30_115:                             ;   in Loop: Header=BB30_109 Depth=2
	s_or_b32 exec_lo, exec_lo, s46
	s_and_saveexec_b32 s46, s16
	s_cbranch_execz .LBB30_117
; %bb.116:                              ;   in Loop: Header=BB30_109 Depth=2
	global_load_u16 v4, v[0:1], off offset:192
.LBB30_117:                             ;   in Loop: Header=BB30_109 Depth=2
	s_or_b32 exec_lo, exec_lo, s46
	v_dual_mov_b32 v6, 0 :: v_dual_mov_b32 v7, 0
	s_and_saveexec_b32 s46, s17
	s_cbranch_execz .LBB30_119
; %bb.118:                              ;   in Loop: Header=BB30_109 Depth=2
	global_load_u16 v7, v[0:1], off offset:256
.LBB30_119:                             ;   in Loop: Header=BB30_109 Depth=2
	;; [unrolled: 13-line block ×7, first 2 shown]
	s_or_b32 exec_lo, exec_lo, s46
	s_and_saveexec_b32 s46, s28
	s_cbranch_execz .LBB30_141
; %bb.140:                              ;   in Loop: Header=BB30_109 Depth=2
	global_load_u16 v16, v[0:1], off offset:960
.LBB30_141:                             ;   in Loop: Header=BB30_109 Depth=2
	s_or_b32 exec_lo, exec_lo, s46
	s_waitcnt vmcnt(0)
	ds_store_b16 v37, v3
	ds_store_b16 v37, v2 offset:64
	ds_store_b16 v38, v5 offset:128
	;; [unrolled: 1-line block ×15, first 2 shown]
	; wave barrier
	ds_load_b128 v[12:15], v52
	ds_load_b128 v[8:11], v52 offset:16
	s_mov_b32 s59, s65
	v_dual_mov_b32 v2, 0 :: v_dual_mov_b32 v3, 0
	s_lshl_b64 s[46:47], s[58:59], 1
	s_delay_alu instid0(SALU_CYCLE_1)
	v_add_co_u32 v0, vcc_lo, v125, s46
	v_add_co_ci_u32_e32 v1, vcc_lo, s47, v126, vcc_lo
	s_and_saveexec_b32 s46, s13
	s_cbranch_execz .LBB30_143
; %bb.142:                              ;   in Loop: Header=BB30_109 Depth=2
	global_load_u16 v3, v[0:1], off
.LBB30_143:                             ;   in Loop: Header=BB30_109 Depth=2
	s_or_b32 exec_lo, exec_lo, s46
	s_and_saveexec_b32 s46, s14
	s_cbranch_execz .LBB30_145
; %bb.144:                              ;   in Loop: Header=BB30_109 Depth=2
	global_load_u16 v2, v[0:1], off offset:64
.LBB30_145:                             ;   in Loop: Header=BB30_109 Depth=2
	s_or_b32 exec_lo, exec_lo, s46
	v_dual_mov_b32 v4, 0 :: v_dual_mov_b32 v5, 0
	s_and_saveexec_b32 s46, s15
	s_cbranch_execz .LBB30_147
; %bb.146:                              ;   in Loop: Header=BB30_109 Depth=2
	global_load_u16 v5, v[0:1], off offset:128
.LBB30_147:                             ;   in Loop: Header=BB30_109 Depth=2
	s_or_b32 exec_lo, exec_lo, s46
	s_and_saveexec_b32 s46, s16
	s_cbranch_execz .LBB30_149
; %bb.148:                              ;   in Loop: Header=BB30_109 Depth=2
	global_load_u16 v4, v[0:1], off offset:192
.LBB30_149:                             ;   in Loop: Header=BB30_109 Depth=2
	s_or_b32 exec_lo, exec_lo, s46
	v_dual_mov_b32 v6, 0 :: v_dual_mov_b32 v7, 0
	s_and_saveexec_b32 s46, s17
	s_cbranch_execz .LBB30_151
; %bb.150:                              ;   in Loop: Header=BB30_109 Depth=2
	global_load_u16 v7, v[0:1], off offset:256
.LBB30_151:                             ;   in Loop: Header=BB30_109 Depth=2
	;; [unrolled: 13-line block ×7, first 2 shown]
	s_or_b32 exec_lo, exec_lo, s46
	s_and_saveexec_b32 s46, s28
	s_cbranch_execz .LBB30_173
; %bb.172:                              ;   in Loop: Header=BB30_109 Depth=2
	global_load_u16 v149, v[0:1], off offset:960
.LBB30_173:                             ;   in Loop: Header=BB30_109 Depth=2
	s_or_b32 exec_lo, exec_lo, s46
	s_waitcnt vmcnt(0)
	ds_store_b16 v37, v3 offset:4224
	ds_store_b16 v53, v2 offset:64
	;; [unrolled: 1-line block ×16, first 2 shown]
	; wave barrier
	ds_load_b128 v[4:7], v52 offset:4224
	ds_load_b128 v[0:3], v68 offset:16
	s_and_not1_b32 vcc_lo, exec_lo, s51
	s_cbranch_vccnz .LBB30_175
; %bb.174:                              ;   in Loop: Header=BB30_109 Depth=2
	v_mov_b32_e32 v16, s89
	ds_load_b64 v[16:17], v16
	s_cbranch_execz .LBB30_176
	s_branch .LBB30_179
.LBB30_175:                             ;   in Loop: Header=BB30_109 Depth=2
                                        ; implicit-def: $vgpr16
.LBB30_176:                             ;   in Loop: Header=BB30_109 Depth=2
	s_waitcnt lgkmcnt(0)
	v_mov_b32_e32 v17, 0
	s_and_not1_b32 vcc_lo, exec_lo, s66
	s_cbranch_vccnz .LBB30_178
; %bb.177:                              ;   in Loop: Header=BB30_109 Depth=2
	s_mov_b32 s61, s65
	s_delay_alu instid0(SALU_CYCLE_1) | instskip(NEXT) | instid1(SALU_CYCLE_1)
	s_lshl_b64 s[46:47], s[60:61], 1
	s_add_u32 s46, s76, s46
	s_addc_u32 s47, s77, s47
	global_load_u16 v16, v21, s[46:47]
	s_waitcnt vmcnt(0)
	v_lshlrev_b32_e32 v17, 16, v16
.LBB30_178:                             ;   in Loop: Header=BB30_109 Depth=2
	v_mov_b32_e32 v16, 1.0
.LBB30_179:                             ;   in Loop: Header=BB30_109 Depth=2
	s_waitcnt lgkmcnt(19)
	v_dual_mul_f32 v164, 0x3fb8aa3b, v142 :: v_dual_lshlrev_b32 v143, 16, v12
	v_and_b32_e32 v12, 0xffff0000, v12
	v_lshlrev_b32_e32 v142, 16, v13
	v_and_b32_e32 v146, 0xffff0000, v13
	v_lshlrev_b32_e32 v149, 16, v14
	v_mul_f32_e32 v13, v164, v90
	v_dual_mul_f32 v14, v164, v91 :: v_dual_and_b32 v151, 0xffff0000, v14
	v_dual_mul_f32 v145, v164, v93 :: v_dual_lshlrev_b32 v152, 16, v15
	s_delay_alu instid0(VALU_DEP_3) | instskip(SKIP_1) | instid1(VALU_DEP_4)
	v_cmp_gt_f32_e32 vcc_lo, 0xc2fc0000, v13
	v_dual_mul_f32 v12, v140, v12 :: v_dual_and_b32 v155, 0xffff0000, v15
	v_cmp_gt_f32_e64 s46, 0xc2fc0000, v14
	v_mul_f32_e32 v15, v164, v92
	v_cndmask_b32_e64 v13, 0, 0x42800000, vcc_lo
	v_cndmask_b32_e64 v144, 1.0, 0x1f800000, vcc_lo
	s_waitcnt lgkmcnt(18)
	v_lshlrev_b32_e32 v161, 16, v10
	v_cndmask_b32_e64 v14, 0, 0x42800000, s46
	v_mul_f32_e32 v143, v141, v143
	v_fmac_f32_e32 v13, v164, v90
	v_dual_mul_f32 v142, v139, v142 :: v_dual_lshlrev_b32 v157, 16, v8
	v_and_b32_e32 v8, 0xffff0000, v8
	v_fmac_f32_e32 v14, v164, v91
	s_delay_alu instid0(VALU_DEP_4) | instskip(SKIP_2) | instid1(VALU_DEP_3)
	v_exp_f32_e32 v13, v13
	v_cmp_gt_f32_e32 vcc_lo, 0xc2fc0000, v15
	v_dual_mul_f32 v151, v136, v151 :: v_dual_and_b32 v10, 0xffff0000, v10
	v_exp_f32_e32 v14, v14
	v_dual_mul_f32 v157, v133, v157 :: v_dual_mul_f32 v8, v132, v8
	v_cndmask_b32_e64 v15, 0, 0x42800000, vcc_lo
	v_lshlrev_b32_e32 v166, 16, v11
	v_and_b32_e32 v11, 0xffff0000, v11
	s_delay_alu instid0(TRANS32_DEP_2)
	v_mul_f32_e32 v13, v13, v144
	v_cndmask_b32_e64 v144, 0, v143, s29
	v_cndmask_b32_e64 v143, 1.0, 0x1f800000, s46
	v_cmp_gt_f32_e64 s46, 0xc2fc0000, v145
	v_fmac_f32_e32 v15, v164, v92
	v_cndmask_b32_e64 v145, 1.0, v13, s29
	v_cndmask_b32_e64 v12, 0, v12, s30
	v_mul_f32_e32 v13, v14, v143
	v_cndmask_b32_e64 v147, 0, 0x42800000, s46
	v_exp_f32_e32 v14, v15
	v_cndmask_b32_e64 v143, 1.0, 0x1f800000, vcc_lo
	v_lshlrev_b32_e32 v159, 16, v9
	v_mul_f32_e32 v15, v164, v94
	v_fmac_f32_e32 v147, v164, v93
	v_and_b32_e32 v9, 0xffff0000, v9
	v_mul_f32_e32 v167, v164, v103
	v_mul_f32_e32 v169, v164, v121
	v_cmp_gt_f32_e32 vcc_lo, 0xc2fc0000, v15
	v_exp_f32_e32 v150, v147
	v_mul_f32_e32 v14, v14, v143
	v_cndmask_b32_e64 v143, 1.0, 0x1f800000, s46
	v_mul_f32_e32 v153, v164, v97
	v_cndmask_b32_e64 v15, 0, 0x42800000, vcc_lo
	v_mul_f32_e32 v156, v164, v98
	v_cndmask_b32_e64 v148, 1.0, v14, s31
	v_mul_f32_e32 v14, v138, v146
	v_mul_f32_e32 v146, v164, v96
	v_fmac_f32_e32 v15, v164, v94
	v_mul_f32_e32 v143, v150, v143
	v_cmp_gt_f32_e64 s47, 0xc2fc0000, v153
	v_cndmask_b32_e64 v14, 0, v14, s33
	v_mul_f32_e32 v158, v164, v100
	v_exp_f32_e32 v15, v15
	v_cndmask_b32_e64 v150, 1.0, v143, s33
	v_cndmask_b32_e64 v143, 1.0, 0x1f800000, vcc_lo
	v_cmp_gt_f32_e32 vcc_lo, 0xc2fc0000, v146
	v_mul_f32_e32 v166, v127, v166
	v_dual_mul_f32 v10, v128, v10 :: v_dual_mul_f32 v11, v122, v11
	v_cndmask_b32_e64 v146, 0, 0x42800000, vcc_lo
	s_delay_alu instid0(TRANS32_DEP_1) | instskip(SKIP_2) | instid1(VALU_DEP_4)
	v_mul_f32_e32 v143, v15, v143
	v_mul_f32_e32 v15, v137, v149
	v_cndmask_b32_e64 v149, 0, 0x42800000, s47
	v_fmac_f32_e32 v146, v164, v96
	v_cndmask_b32_e64 v147, 1.0, v13, s30
	v_cndmask_b32_e64 v13, 0, v142, s31
	v_mul_f32_e32 v142, v164, v95
	v_cndmask_b32_e64 v153, 1.0, v143, s34
	v_exp_f32_e32 v146, v146
	v_fma_f32 v165, v147, v144, v12
	v_cndmask_b32_e64 v15, 0, v15, s34
	v_cmp_gt_f32_e64 s46, 0xc2fc0000, v142
	s_delay_alu instid0(VALU_DEP_1) | instskip(SKIP_1) | instid1(VALU_DEP_2)
	v_cndmask_b32_e64 v142, 0, 0x42800000, s46
	v_cndmask_b32_e64 v154, 1.0, 0x1f800000, s46
	v_fmac_f32_e32 v142, v164, v95
	s_delay_alu instid0(VALU_DEP_1)
	v_exp_f32_e32 v142, v142
	s_waitcnt_depctr 0xfff
	v_mul_f32_e32 v143, v142, v154
	v_cndmask_b32_e64 v142, 0, v151, s35
	v_cndmask_b32_e64 v151, 1.0, 0x1f800000, vcc_lo
	v_cmp_gt_f32_e32 vcc_lo, 0xc2fc0000, v156
	v_mul_f32_e32 v156, v134, v155
	v_cndmask_b32_e64 v154, 1.0, v143, s35
	s_delay_alu instid0(VALU_DEP_4)
	v_dual_mul_f32 v143, v135, v152 :: v_dual_mul_f32 v146, v146, v151
	v_cndmask_b32_e64 v151, 1.0, 0x1f800000, s47
	v_cmp_gt_f32_e64 s47, 0xc2fc0000, v158
	v_mul_f32_e32 v158, v164, v101
	v_cndmask_b32_e64 v152, 0, 0x42800000, vcc_lo
	v_cndmask_b32_e64 v160, 1.0, 0x1f800000, vcc_lo
	v_cndmask_b32_e64 v155, 1.0, v146, s36
	v_cndmask_b32_e64 v146, 0, v156, s37
	v_cmp_gt_f32_e32 vcc_lo, 0xc2fc0000, v158
	v_fmac_f32_e32 v152, v164, v98
	v_cndmask_b32_e64 v143, 0, v143, s36
	v_cndmask_b32_e64 v162, 0, 0x42800000, vcc_lo
	v_cndmask_b32_e64 v163, 1.0, 0x1f800000, vcc_lo
	s_delay_alu instid0(VALU_DEP_2) | instskip(NEXT) | instid1(VALU_DEP_1)
	v_fmac_f32_e32 v162, v164, v101
	v_exp_f32_e32 v162, v162
	v_fmac_f32_e32 v149, v164, v97
	s_delay_alu instid0(VALU_DEP_1) | instskip(SKIP_3) | instid1(VALU_DEP_2)
	v_exp_f32_e32 v149, v149
	s_waitcnt_depctr 0xfff
	v_mul_f32_e32 v149, v149, v151
	v_mul_f32_e32 v151, v164, v99
	v_cndmask_b32_e64 v156, 1.0, v149, s37
	s_delay_alu instid0(VALU_DEP_2) | instskip(SKIP_2) | instid1(VALU_DEP_2)
	v_cmp_gt_f32_e64 s46, 0xc2fc0000, v151
	v_exp_f32_e32 v149, v152
	v_cndmask_b32_e64 v152, 0, 0x42800000, s47
	v_cndmask_b32_e64 v151, 0, 0x42800000, s46
	s_delay_alu instid0(VALU_DEP_2)
	v_fmac_f32_e32 v152, v164, v100
	s_waitcnt_depctr 0xfff
	v_dual_fmac_f32 v151, v164, v99 :: v_dual_mul_f32 v158, v149, v160
	v_cndmask_b32_e64 v149, 0, v157, s38
	v_exp_f32_e32 v152, v152
	v_cndmask_b32_e64 v157, 1.0, 0x1f800000, s46
	s_delay_alu instid0(VALU_DEP_3) | instskip(SKIP_3) | instid1(VALU_DEP_2)
	v_exp_f32_e32 v151, v151
	v_cndmask_b32_e64 v160, 1.0, 0x1f800000, s47
	v_cmp_gt_f32_e64 s46, 0xc2fc0000, v167
	v_cndmask_b32_e64 v158, 1.0, v158, s38
	v_cndmask_b32_e64 v167, 1.0, 0x1f800000, s46
	s_waitcnt_depctr 0xfff
	v_dual_mul_f32 v160, v152, v160 :: v_dual_mul_f32 v157, v151, v157
	v_cndmask_b32_e64 v151, 0, v8, s39
	v_mul_f32_e32 v8, v131, v159
	s_delay_alu instid0(VALU_DEP_3) | instskip(NEXT) | instid1(VALU_DEP_4)
	v_cndmask_b32_e64 v160, 1.0, v160, s40
	v_cndmask_b32_e64 v159, 1.0, v157, s39
	v_mul_f32_e32 v157, v164, v102
	s_delay_alu instid0(VALU_DEP_4) | instskip(SKIP_1) | instid1(VALU_DEP_3)
	v_cndmask_b32_e64 v152, 0, v8, s40
	v_dual_mul_f32 v8, v162, v163 :: v_dual_mul_f32 v163, v147, v145
	v_cmp_gt_f32_e32 vcc_lo, 0xc2fc0000, v157
	s_delay_alu instid0(VALU_DEP_2) | instskip(SKIP_3) | instid1(VALU_DEP_3)
	v_cndmask_b32_e64 v168, 1.0, v8, s41
	v_cndmask_b32_e64 v162, 0, 0x42800000, vcc_lo
	v_mul_f32_e32 v9, v130, v9
	v_cndmask_b32_e64 v8, 1.0, 0x1f800000, vcc_lo
	v_fmac_f32_e32 v162, v164, v102
	s_delay_alu instid0(VALU_DEP_3)
	v_cndmask_b32_e64 v157, 0, v9, s41
	v_mul_f32_e32 v9, v163, v148
	v_fma_f32 v163, v165, v148, v13
	v_cndmask_b32_e64 v165, 0, 0x42800000, s46
	v_exp_f32_e32 v162, v162
	v_cmp_gt_f32_e64 s46, 0xc2fc0000, v169
	v_mul_f32_e32 v9, v9, v150
	v_fma_f32 v163, v163, v150, v14
	v_fmac_f32_e32 v165, v164, v103
	s_delay_alu instid0(VALU_DEP_3) | instskip(NEXT) | instid1(VALU_DEP_3)
	v_mul_f32_e32 v9, v9, v153
	v_fma_f32 v163, v163, v153, v15
	s_delay_alu instid0(VALU_DEP_3)
	v_exp_f32_e32 v165, v165
	s_delay_alu instid0(TRANS32_DEP_2) | instid1(VALU_DEP_2)
	v_dual_mul_f32 v8, v162, v8 :: v_dual_mul_f32 v9, v9, v154
	s_delay_alu instid0(VALU_DEP_2) | instskip(NEXT) | instid1(VALU_DEP_2)
	v_fma_f32 v162, v163, v154, v142
	v_cndmask_b32_e64 v163, 1.0, v8, s42
	s_delay_alu instid0(VALU_DEP_3) | instskip(NEXT) | instid1(VALU_DEP_3)
	v_mul_f32_e32 v8, v9, v155
	v_fma_f32 v9, v162, v155, v143
	v_mul_f32_e32 v162, v164, v104
	s_delay_alu instid0(VALU_DEP_3) | instskip(NEXT) | instid1(VALU_DEP_3)
	v_mul_f32_e32 v8, v8, v156
	v_fma_f32 v9, v9, v156, v146
	s_delay_alu instid0(VALU_DEP_3)
	v_cmp_gt_f32_e32 vcc_lo, 0xc2fc0000, v162
	v_mul_f32_e32 v161, v129, v161
	v_cndmask_b32_e64 v162, 0, v10, s43
	v_mul_f32_e32 v8, v8, v158
	v_fma_f32 v9, v9, v158, v149
	v_cndmask_b32_e64 v10, 0, 0x42800000, s46
	v_mul_f32_e32 v165, v165, v167
	v_cndmask_b32_e64 v167, 0, 0x42800000, vcc_lo
	v_mul_f32_e32 v8, v8, v159
	v_fma_f32 v9, v9, v159, v151
	v_fmac_f32_e32 v10, v164, v121
	v_cndmask_b32_e64 v161, 0, v161, s42
	v_fmac_f32_e32 v167, v164, v104
	v_mul_f32_e32 v8, v8, v160
	v_fma_f32 v9, v9, v160, v152
	v_cndmask_b32_e64 v164, 1.0, 0x1f800000, vcc_lo
	v_exp_f32_e32 v10, v10
	v_exp_f32_e32 v167, v167
	v_mul_f32_e32 v8, v8, v168
	v_fma_f32 v9, v9, v168, v157
	v_cndmask_b32_e64 v165, 1.0, v165, s43
	s_delay_alu instid0(VALU_DEP_3) | instskip(NEXT) | instid1(VALU_DEP_3)
	v_mul_f32_e32 v8, v8, v163
	v_fma_f32 v9, v9, v163, v161
	s_waitcnt_depctr 0xfff
	v_mul_f32_e32 v167, v167, v164
	v_cndmask_b32_e64 v164, 0, v166, s44
	v_cndmask_b32_e64 v166, 1.0, 0x1f800000, s46
	v_mul_f32_e32 v8, v8, v165
	v_fma_f32 v9, v9, v165, v162
	v_cndmask_b32_e64 v167, 1.0, v167, s44
	s_delay_alu instid0(VALU_DEP_4) | instskip(SKIP_1) | instid1(VALU_DEP_3)
	v_mul_f32_e32 v10, v10, v166
	v_cndmask_b32_e64 v166, 0, v11, s45
	v_mul_f32_e32 v8, v8, v167
	v_fma_f32 v9, v9, v167, v164
	s_delay_alu instid0(VALU_DEP_4) | instskip(NEXT) | instid1(VALU_DEP_1)
	v_cndmask_b32_e64 v169, 1.0, v10, s45
	v_mul_f32_e32 v8, v8, v169
	s_delay_alu instid0(VALU_DEP_3) | instskip(NEXT) | instid1(VALU_DEP_2)
	v_fma_f32 v9, v9, v169, v166
	v_mov_b32_dpp v11, v8 row_shr:1 row_mask:0xf bank_mask:0xf
	s_delay_alu instid0(VALU_DEP_2)
	v_mov_b32_dpp v10, v9 row_shr:1 row_mask:0xf bank_mask:0xf
	s_and_saveexec_b32 s46, s0
; %bb.180:                              ;   in Loop: Header=BB30_109 Depth=2
	s_delay_alu instid0(VALU_DEP_2) | instskip(NEXT) | instid1(VALU_DEP_1)
	v_mul_f32_e32 v11, v8, v11
	v_dual_fmac_f32 v9, v8, v10 :: v_dual_mov_b32 v8, v11
; %bb.181:                              ;   in Loop: Header=BB30_109 Depth=2
	s_or_b32 exec_lo, exec_lo, s46
	s_delay_alu instid0(VALU_DEP_1) | instskip(NEXT) | instid1(VALU_DEP_2)
	v_mov_b32_dpp v10, v8 row_shr:2 row_mask:0xf bank_mask:0xf
	v_mov_b32_dpp v11, v9 row_shr:2 row_mask:0xf bank_mask:0xf
	s_and_saveexec_b32 s46, s1
; %bb.182:                              ;   in Loop: Header=BB30_109 Depth=2
	s_delay_alu instid0(VALU_DEP_1) | instskip(NEXT) | instid1(VALU_DEP_3)
	v_fmac_f32_e32 v9, v8, v11
	v_mul_f32_e32 v8, v8, v10
; %bb.183:                              ;   in Loop: Header=BB30_109 Depth=2
	s_or_b32 exec_lo, exec_lo, s46
	s_delay_alu instid0(VALU_DEP_1) | instskip(NEXT) | instid1(VALU_DEP_3)
	v_mov_b32_dpp v10, v8 row_shr:4 row_mask:0xf bank_mask:0xf
	v_mov_b32_dpp v11, v9 row_shr:4 row_mask:0xf bank_mask:0xf
	s_and_saveexec_b32 s46, s2
; %bb.184:                              ;   in Loop: Header=BB30_109 Depth=2
	s_delay_alu instid0(VALU_DEP_1) | instskip(NEXT) | instid1(VALU_DEP_3)
	v_fmac_f32_e32 v9, v8, v11
	v_mul_f32_e32 v8, v8, v10
; %bb.185:                              ;   in Loop: Header=BB30_109 Depth=2
	s_or_b32 exec_lo, exec_lo, s46
	s_delay_alu instid0(VALU_DEP_1) | instskip(NEXT) | instid1(VALU_DEP_3)
	v_mov_b32_dpp v10, v8 row_shr:8 row_mask:0xf bank_mask:0xf
	v_mov_b32_dpp v11, v9 row_shr:8 row_mask:0xf bank_mask:0xf
	s_and_saveexec_b32 s46, s3
; %bb.186:                              ;   in Loop: Header=BB30_109 Depth=2
	s_delay_alu instid0(VALU_DEP_1) | instskip(NEXT) | instid1(VALU_DEP_3)
	v_fmac_f32_e32 v9, v8, v11
	v_mul_f32_e32 v8, v8, v10
; %bb.187:                              ;   in Loop: Header=BB30_109 Depth=2
	s_or_b32 exec_lo, exec_lo, s46
	ds_swizzle_b32 v11, v8 offset:swizzle(BROADCAST,32,15)
	ds_swizzle_b32 v10, v9 offset:swizzle(BROADCAST,32,15)
	s_and_saveexec_b32 s46, s4
	s_cbranch_execz .LBB30_189
; %bb.188:                              ;   in Loop: Header=BB30_109 Depth=2
	s_waitcnt lgkmcnt(1)
	v_mul_f32_e32 v11, v8, v11
	s_waitcnt lgkmcnt(0)
	s_delay_alu instid0(VALU_DEP_1)
	v_dual_fmac_f32 v9, v8, v10 :: v_dual_mov_b32 v8, v11
.LBB30_189:                             ;   in Loop: Header=BB30_109 Depth=2
	s_or_b32 exec_lo, exec_lo, s46
	s_and_saveexec_b32 s46, s5
	s_cbranch_execz .LBB30_191
; %bb.190:                              ;   in Loop: Header=BB30_109 Depth=2
	ds_store_b64 v69, v[8:9] offset:8448
.LBB30_191:                             ;   in Loop: Header=BB30_109 Depth=2
	s_or_b32 exec_lo, exec_lo, s46
	s_waitcnt lgkmcnt(0)
	s_waitcnt_vscnt null, 0x0
	s_barrier
	buffer_gl0_inv
	s_and_saveexec_b32 s46, s6
	s_cbranch_execz .LBB30_195
; %bb.192:                              ;   in Loop: Header=BB30_109 Depth=2
	ds_load_b64 v[10:11], v70 offset:8448
	s_waitcnt lgkmcnt(0)
	v_mov_b32_dpp v172, v10 row_shr:1 row_mask:0xf bank_mask:0xf
	v_mov_b32_dpp v171, v11 row_shr:1 row_mask:0xf bank_mask:0xf
	v_mov_b32_e32 v170, v10
	s_and_saveexec_b32 s47, s7
; %bb.193:                              ;   in Loop: Header=BB30_109 Depth=2
	s_delay_alu instid0(VALU_DEP_3) | instskip(NEXT) | instid1(VALU_DEP_3)
	v_mul_f32_e32 v170, v10, v172
	v_fmac_f32_e32 v11, v10, v171
	s_delay_alu instid0(VALU_DEP_2)
	v_mov_b32_e32 v10, v170
; %bb.194:                              ;   in Loop: Header=BB30_109 Depth=2
	s_or_b32 exec_lo, exec_lo, s47
	v_mov_b32_dpp v170, v170 row_shr:2 row_mask:0xf bank_mask:0xf
	s_delay_alu instid0(VALU_DEP_3) | instskip(NEXT) | instid1(VALU_DEP_2)
	v_mov_b32_dpp v171, v11 row_shr:2 row_mask:0xf bank_mask:0xf
	v_mul_f32_e32 v170, v10, v170
	s_delay_alu instid0(VALU_DEP_2) | instskip(NEXT) | instid1(VALU_DEP_2)
	v_fma_f32 v171, v10, v171, v11
	v_cndmask_b32_e64 v10, v10, v170, s8
	s_delay_alu instid0(VALU_DEP_2)
	v_cndmask_b32_e64 v11, v11, v171, s8
	ds_store_b64 v70, v[10:11] offset:8448
.LBB30_195:                             ;   in Loop: Header=BB30_109 Depth=2
	s_or_b32 exec_lo, exec_lo, s46
	s_waitcnt lgkmcnt(0)
	s_barrier
	buffer_gl0_inv
                                        ; implicit-def: $vgpr11
	s_and_saveexec_b32 s46, s10
	s_cbranch_execz .LBB30_197
; %bb.196:                              ;   in Loop: Header=BB30_109 Depth=2
	ds_load_b64 v[10:11], v69 offset:8440
	s_waitcnt lgkmcnt(0)
	v_mul_f32_e32 v170, v8, v10
	s_delay_alu instid0(VALU_DEP_1)
	v_dual_fmac_f32 v9, v8, v11 :: v_dual_mov_b32 v8, v170
.LBB30_197:                             ;   in Loop: Header=BB30_109 Depth=2
	s_or_b32 exec_lo, exec_lo, s46
	ds_bpermute_b32 v170, v71, v8
	ds_bpermute_b32 v171, v71, v9
	s_and_saveexec_b32 s46, s9
	s_cbranch_execz .LBB30_201
; %bb.198:                              ;   in Loop: Header=BB30_109 Depth=2
	ds_load_b64 v[8:9], v21 offset:8472
	s_and_saveexec_b32 s47, s11
	s_cbranch_execz .LBB30_200
; %bb.199:                              ;   in Loop: Header=BB30_109 Depth=2
	ds_store_b64 v21, v[16:17] offset:8472
.LBB30_200:                             ;   in Loop: Header=BB30_109 Depth=2
	s_or_b32 exec_lo, exec_lo, s47
	s_waitcnt lgkmcnt(0)
	v_fmac_f32_e32 v9, v8, v17
	s_delay_alu instid0(VALU_DEP_1)
	v_dual_mul_f32 v16, v16, v8 :: v_dual_mov_b32 v17, v9
.LBB30_201:                             ;   in Loop: Header=BB30_109 Depth=2
	s_or_b32 exec_lo, exec_lo, s46
	s_waitcnt lgkmcnt(0)
	s_barrier
	buffer_gl0_inv
	ds_load_b32 v8, v21 offset:8476
	s_and_saveexec_b32 s46, s11
	s_cbranch_execz .LBB30_108
; %bb.202:                              ;   in Loop: Header=BB30_109 Depth=2
	v_mov_b32_e32 v9, s89
	s_and_not1_b32 vcc_lo, exec_lo, s87
	ds_store_b64 v9, v[16:17]
	s_cbranch_vccnz .LBB30_108
; %bb.203:                              ;   in Loop: Header=BB30_109 Depth=2
	v_bfe_u32 v9, v17, 16, 1
	v_cmp_o_f32_e32 vcc_lo, v17, v17
	s_mov_b32 s61, s65
	s_delay_alu instid0(SALU_CYCLE_1) | instskip(NEXT) | instid1(VALU_DEP_2)
	s_lshl_b64 s[90:91], s[60:61], 1
	v_add3_u32 v9, v17, v9, 0x7fff
	s_add_u32 s90, s76, s90
	s_addc_u32 s91, s77, s91
	s_delay_alu instid0(VALU_DEP_1) | instskip(NEXT) | instid1(VALU_DEP_1)
	v_lshrrev_b32_e32 v9, 16, v9
	v_cndmask_b32_e32 v9, 0x7fc0, v9, vcc_lo
	global_store_b16 v21, v9, s[90:91]
	s_branch .LBB30_108
.LBB30_204:                             ;   in Loop: Header=BB30_12 Depth=1
	v_bfe_u32 v0, v120, 16, 1
	v_bfe_u32 v1, v119, 16, 1
	v_cmp_o_f32_e32 vcc_lo, v120, v120
	v_bfe_u32 v2, v118, 16, 1
	v_bfe_u32 v4, v114, 16, 1
	v_add3_u32 v0, v120, v0, 0x7fff
	v_add3_u32 v1, v119, v1, 0x7fff
	v_bfe_u32 v7, v116, 16, 1
	v_add3_u32 v2, v118, v2, 0x7fff
	v_bfe_u32 v6, v115, 16, 1
	v_lshrrev_b32_e32 v0, 16, v0
	v_lshrrev_b32_e32 v1, 16, v1
	v_add3_u32 v4, v114, v4, 0x7fff
	v_lshrrev_b32_e32 v2, 16, v2
	v_add3_u32 v7, v116, v7, 0x7fff
	v_cndmask_b32_e32 v0, 0x7fc0, v0, vcc_lo
	v_cmp_o_f32_e32 vcc_lo, v119, v119
	v_add3_u32 v6, v115, v6, 0x7fff
	v_bfe_u32 v3, v113, 16, 1
	v_bfe_u32 v10, v109, 16, 1
	;; [unrolled: 1-line block ×3, first 2 shown]
	v_cndmask_b32_e32 v5, 0x7fc0, v1, vcc_lo
	v_bfe_u32 v1, v117, 16, 1
	v_cmp_o_f32_e32 vcc_lo, v118, v118
	v_lshrrev_b32_e32 v6, 16, v6
	v_add3_u32 v3, v113, v3, 0x7fff
	v_bfe_u32 v12, v111, 16, 1
	v_add3_u32 v1, v117, v1, 0x7fff
	v_cndmask_b32_e32 v8, 0x7fc0, v2, vcc_lo
	v_cmp_o_f32_e32 vcc_lo, v117, v117
	v_lshrrev_b32_e32 v2, 16, v4
	v_lshrrev_b32_e32 v4, 16, v7
	;; [unrolled: 1-line block ×4, first 2 shown]
	v_bfe_u32 v7, v112, 16, 1
	v_add3_u32 v11, v106, v11, 0x7fff
	v_perm_b32 v0, v5, v0, 0x5040100
	v_cndmask_b32_e32 v1, 0x7fc0, v1, vcc_lo
	v_cmp_o_f32_e32 vcc_lo, v116, v116
	s_waitcnt_vscnt null, 0x0
	s_barrier
	buffer_gl0_inv
	s_mov_b32 s51, s65
	v_cndmask_b32_e32 v4, 0x7fc0, v4, vcc_lo
	v_cmp_o_f32_e32 vcc_lo, v115, v115
	s_lshl_b64 s[30:31], s[50:51], 1
	v_cndmask_b32_e32 v6, 0x7fc0, v6, vcc_lo
	v_cmp_o_f32_e32 vcc_lo, v114, v114
	v_cndmask_b32_e32 v2, 0x7fc0, v2, vcc_lo
	v_cmp_o_f32_e32 vcc_lo, v113, v113
	s_delay_alu instid0(VALU_DEP_2)
	v_perm_b32 v2, v2, v1, 0x5040100
	v_cndmask_b32_e32 v9, 0x7fc0, v3, vcc_lo
	v_perm_b32 v3, v6, v4, 0x5040100
	v_add3_u32 v6, v112, v7, 0x7fff
	v_bfe_u32 v7, v110, 16, 1
	v_cmp_o_f32_e32 vcc_lo, v112, v112
	v_perm_b32 v1, v9, v8, 0x5040100
	v_add3_u32 v8, v109, v10, 0x7fff
	v_lshrrev_b32_e32 v6, 16, v6
	v_add3_u32 v7, v110, v7, 0x7fff
	v_bfe_u32 v10, v105, 16, 1
	v_bfe_u32 v4, v108, 16, 1
	s_delay_alu instid0(VALU_DEP_4) | instskip(NEXT) | instid1(VALU_DEP_4)
	v_cndmask_b32_e32 v9, 0x7fc0, v6, vcc_lo
	v_lshrrev_b32_e32 v6, 16, v7
	v_lshrrev_b32_e32 v7, 16, v8
	v_bfe_u32 v8, v107, 16, 1
	v_cmp_o_f32_e32 vcc_lo, v110, v110
	v_add3_u32 v4, v108, v4, 0x7fff
	s_delay_alu instid0(VALU_DEP_3)
	v_add3_u32 v8, v107, v8, 0x7fff
	v_cndmask_b32_e32 v13, 0x7fc0, v6, vcc_lo
	v_cmp_o_f32_e32 vcc_lo, v109, v109
	v_add3_u32 v6, v105, v10, 0x7fff
	v_add3_u32 v10, v111, v12, 0x7fff
	v_lshrrev_b32_e32 v4, 16, v4
	v_cndmask_b32_e32 v12, 0x7fc0, v7, vcc_lo
	v_lshrrev_b32_e32 v7, 16, v8
	v_cmp_o_f32_e32 vcc_lo, v107, v107
	v_lshrrev_b32_e32 v8, 16, v11
	v_lshrrev_b32_e32 v10, 16, v10
	;; [unrolled: 1-line block ×3, first 2 shown]
	v_perm_b32 v5, v12, v13, 0x5040100
	v_cndmask_b32_e32 v11, 0x7fc0, v7, vcc_lo
	v_cmp_o_f32_e32 vcc_lo, v106, v106
	v_cndmask_b32_e32 v7, 0x7fc0, v8, vcc_lo
	v_cmp_o_f32_e32 vcc_lo, v111, v111
	;; [unrolled: 2-line block ×3, first 2 shown]
	s_delay_alu instid0(VALU_DEP_2) | instskip(SKIP_2) | instid1(VALU_DEP_2)
	v_perm_b32 v7, v8, v7, 0x5040100
	v_cndmask_b32_e32 v6, 0x7fc0, v6, vcc_lo
	v_cmp_o_f32_e32 vcc_lo, v108, v108
	v_perm_b32 v6, v6, v11, 0x5040100
	v_cndmask_b32_e32 v4, 0x7fc0, v4, vcc_lo
	s_delay_alu instid0(VALU_DEP_1)
	v_perm_b32 v4, v4, v9, 0x5040100
	ds_store_b128 v52, v[0:3]
	ds_store_b128 v52, v[4:7] offset:16
	; wave barrier
	ds_load_u16 v16, v37 offset:64
	ds_load_u16 v15, v38 offset:128
	;; [unrolled: 1-line block ×15, first 2 shown]
	v_add_co_u32 v0, vcc_lo, v72, s30
	v_add_co_ci_u32_e32 v1, vcc_lo, s31, v73, vcc_lo
	s_and_saveexec_b32 s29, s13
	s_cbranch_execnz .LBB30_222
; %bb.205:                              ;   in Loop: Header=BB30_12 Depth=1
	s_or_b32 exec_lo, exec_lo, s29
	s_and_saveexec_b32 s13, s14
	s_cbranch_execnz .LBB30_223
.LBB30_206:                             ;   in Loop: Header=BB30_12 Depth=1
	s_or_b32 exec_lo, exec_lo, s13
	s_and_saveexec_b32 s13, s15
	s_cbranch_execnz .LBB30_224
.LBB30_207:                             ;   in Loop: Header=BB30_12 Depth=1
	s_or_b32 exec_lo, exec_lo, s13
	s_and_saveexec_b32 s13, s16
	s_cbranch_execnz .LBB30_225
.LBB30_208:                             ;   in Loop: Header=BB30_12 Depth=1
	s_or_b32 exec_lo, exec_lo, s13
	s_and_saveexec_b32 s13, s17
	s_cbranch_execnz .LBB30_226
.LBB30_209:                             ;   in Loop: Header=BB30_12 Depth=1
	s_or_b32 exec_lo, exec_lo, s13
	s_and_saveexec_b32 s13, s18
	s_cbranch_execnz .LBB30_227
.LBB30_210:                             ;   in Loop: Header=BB30_12 Depth=1
	s_or_b32 exec_lo, exec_lo, s13
	s_and_saveexec_b32 s13, s19
	s_cbranch_execnz .LBB30_228
.LBB30_211:                             ;   in Loop: Header=BB30_12 Depth=1
	s_or_b32 exec_lo, exec_lo, s13
	s_and_saveexec_b32 s13, s20
	s_cbranch_execnz .LBB30_229
.LBB30_212:                             ;   in Loop: Header=BB30_12 Depth=1
	s_or_b32 exec_lo, exec_lo, s13
	s_and_saveexec_b32 s13, s21
	s_cbranch_execnz .LBB30_230
.LBB30_213:                             ;   in Loop: Header=BB30_12 Depth=1
	s_or_b32 exec_lo, exec_lo, s13
	s_and_saveexec_b32 s13, s22
	s_cbranch_execnz .LBB30_231
.LBB30_214:                             ;   in Loop: Header=BB30_12 Depth=1
	s_or_b32 exec_lo, exec_lo, s13
	s_and_saveexec_b32 s13, s23
	s_cbranch_execnz .LBB30_232
.LBB30_215:                             ;   in Loop: Header=BB30_12 Depth=1
	s_or_b32 exec_lo, exec_lo, s13
	s_and_saveexec_b32 s13, s24
	s_cbranch_execnz .LBB30_233
.LBB30_216:                             ;   in Loop: Header=BB30_12 Depth=1
	s_or_b32 exec_lo, exec_lo, s13
	s_and_saveexec_b32 s13, s25
	s_cbranch_execnz .LBB30_234
.LBB30_217:                             ;   in Loop: Header=BB30_12 Depth=1
	s_or_b32 exec_lo, exec_lo, s13
	s_and_saveexec_b32 s13, s26
	s_cbranch_execnz .LBB30_235
.LBB30_218:                             ;   in Loop: Header=BB30_12 Depth=1
	s_or_b32 exec_lo, exec_lo, s13
	s_and_saveexec_b32 s13, s27
	s_cbranch_execnz .LBB30_236
.LBB30_219:                             ;   in Loop: Header=BB30_12 Depth=1
	s_or_b32 exec_lo, exec_lo, s13
	s_and_saveexec_b32 s13, s28
	s_cbranch_execz .LBB30_11
	s_branch .LBB30_237
.LBB30_220:                             ;   in Loop: Header=BB30_12 Depth=1
	global_load_u16 v97, v[8:9], off offset:832
	s_or_b32 exec_lo, exec_lo, s29
	s_and_saveexec_b32 s29, s27
	s_cbranch_execz .LBB30_72
.LBB30_221:                             ;   in Loop: Header=BB30_12 Depth=1
	global_load_u16 v96, v[8:9], off offset:896
	s_or_b32 exec_lo, exec_lo, s29
	v_mov_b32_e32 v98, 0
	s_and_saveexec_b32 s29, s28
	s_cbranch_execnz .LBB30_73
	s_branch .LBB30_74
.LBB30_222:                             ;   in Loop: Header=BB30_12 Depth=1
	ds_load_u16 v17, v37
	s_waitcnt lgkmcnt(0)
	global_store_b16 v[0:1], v17, off
	s_or_b32 exec_lo, exec_lo, s29
	s_and_saveexec_b32 s13, s14
	s_cbranch_execz .LBB30_206
.LBB30_223:                             ;   in Loop: Header=BB30_12 Depth=1
	s_waitcnt lgkmcnt(14)
	global_store_b16 v[0:1], v16, off offset:64
	s_or_b32 exec_lo, exec_lo, s13
	s_and_saveexec_b32 s13, s15
	s_cbranch_execz .LBB30_207
.LBB30_224:                             ;   in Loop: Header=BB30_12 Depth=1
	s_waitcnt lgkmcnt(13)
	global_store_b16 v[0:1], v15, off offset:128
	s_or_b32 exec_lo, exec_lo, s13
	s_and_saveexec_b32 s13, s16
	s_cbranch_execz .LBB30_208
.LBB30_225:                             ;   in Loop: Header=BB30_12 Depth=1
	s_waitcnt lgkmcnt(12)
	global_store_b16 v[0:1], v14, off offset:192
	s_or_b32 exec_lo, exec_lo, s13
	s_and_saveexec_b32 s13, s17
	s_cbranch_execz .LBB30_209
.LBB30_226:                             ;   in Loop: Header=BB30_12 Depth=1
	s_waitcnt lgkmcnt(11)
	global_store_b16 v[0:1], v13, off offset:256
	s_or_b32 exec_lo, exec_lo, s13
	s_and_saveexec_b32 s13, s18
	s_cbranch_execz .LBB30_210
.LBB30_227:                             ;   in Loop: Header=BB30_12 Depth=1
	s_waitcnt lgkmcnt(10)
	global_store_b16 v[0:1], v12, off offset:320
	s_or_b32 exec_lo, exec_lo, s13
	s_and_saveexec_b32 s13, s19
	s_cbranch_execz .LBB30_211
.LBB30_228:                             ;   in Loop: Header=BB30_12 Depth=1
	s_waitcnt lgkmcnt(9)
	global_store_b16 v[0:1], v11, off offset:384
	s_or_b32 exec_lo, exec_lo, s13
	s_and_saveexec_b32 s13, s20
	s_cbranch_execz .LBB30_212
.LBB30_229:                             ;   in Loop: Header=BB30_12 Depth=1
	s_waitcnt lgkmcnt(8)
	global_store_b16 v[0:1], v10, off offset:448
	s_or_b32 exec_lo, exec_lo, s13
	s_and_saveexec_b32 s13, s21
	s_cbranch_execz .LBB30_213
.LBB30_230:                             ;   in Loop: Header=BB30_12 Depth=1
	s_waitcnt lgkmcnt(7)
	global_store_b16 v[0:1], v9, off offset:512
	s_or_b32 exec_lo, exec_lo, s13
	s_and_saveexec_b32 s13, s22
	s_cbranch_execz .LBB30_214
.LBB30_231:                             ;   in Loop: Header=BB30_12 Depth=1
	s_waitcnt lgkmcnt(6)
	global_store_b16 v[0:1], v8, off offset:576
	s_or_b32 exec_lo, exec_lo, s13
	s_and_saveexec_b32 s13, s23
	s_cbranch_execz .LBB30_215
.LBB30_232:                             ;   in Loop: Header=BB30_12 Depth=1
	s_waitcnt lgkmcnt(5)
	global_store_b16 v[0:1], v7, off offset:640
	s_or_b32 exec_lo, exec_lo, s13
	s_and_saveexec_b32 s13, s24
	s_cbranch_execz .LBB30_216
.LBB30_233:                             ;   in Loop: Header=BB30_12 Depth=1
	s_waitcnt lgkmcnt(4)
	global_store_b16 v[0:1], v6, off offset:704
	s_or_b32 exec_lo, exec_lo, s13
	s_and_saveexec_b32 s13, s25
	s_cbranch_execz .LBB30_217
.LBB30_234:                             ;   in Loop: Header=BB30_12 Depth=1
	s_waitcnt lgkmcnt(3)
	global_store_b16 v[0:1], v5, off offset:768
	s_or_b32 exec_lo, exec_lo, s13
	s_and_saveexec_b32 s13, s26
	s_cbranch_execz .LBB30_218
.LBB30_235:                             ;   in Loop: Header=BB30_12 Depth=1
	s_waitcnt lgkmcnt(2)
	global_store_b16 v[0:1], v4, off offset:832
	s_or_b32 exec_lo, exec_lo, s13
	s_and_saveexec_b32 s13, s27
	s_cbranch_execz .LBB30_219
.LBB30_236:                             ;   in Loop: Header=BB30_12 Depth=1
	s_waitcnt lgkmcnt(1)
	global_store_b16 v[0:1], v3, off offset:896
	s_or_b32 exec_lo, exec_lo, s13
	s_and_saveexec_b32 s13, s28
	s_cbranch_execz .LBB30_11
.LBB30_237:                             ;   in Loop: Header=BB30_12 Depth=1
	s_waitcnt lgkmcnt(0)
	global_store_b16 v[0:1], v2, off offset:960
	s_branch .LBB30_11
.LBB30_238:
	s_nop 0
	s_sendmsg sendmsg(MSG_DEALLOC_VGPRS)
	s_endpgm
	.section	.rodata,"a",@progbits
	.p2align	6, 0x0
	.amdhsa_kernel _Z25selective_scan_fwd_kernelI32Selective_Scan_fwd_kernel_traitsILi128ELi16ELi1ELb0ELb1ELb1ELb0ELb1EN3c108BFloat16EfS2_EEv13SSMParamsBase
		.amdhsa_group_segment_fixed_size 0
		.amdhsa_private_segment_fixed_size 0
		.amdhsa_kernarg_size 248
		.amdhsa_user_sgpr_count 14
		.amdhsa_user_sgpr_dispatch_ptr 0
		.amdhsa_user_sgpr_queue_ptr 0
		.amdhsa_user_sgpr_kernarg_segment_ptr 1
		.amdhsa_user_sgpr_dispatch_id 0
		.amdhsa_user_sgpr_private_segment_size 0
		.amdhsa_wavefront_size32 1
		.amdhsa_uses_dynamic_stack 0
		.amdhsa_enable_private_segment 0
		.amdhsa_system_sgpr_workgroup_id_x 1
		.amdhsa_system_sgpr_workgroup_id_y 1
		.amdhsa_system_sgpr_workgroup_id_z 0
		.amdhsa_system_sgpr_workgroup_info 0
		.amdhsa_system_vgpr_workitem_id 0
		.amdhsa_next_free_vgpr 173
		.amdhsa_next_free_sgpr 92
		.amdhsa_reserve_vcc 1
		.amdhsa_float_round_mode_32 0
		.amdhsa_float_round_mode_16_64 0
		.amdhsa_float_denorm_mode_32 3
		.amdhsa_float_denorm_mode_16_64 3
		.amdhsa_dx10_clamp 1
		.amdhsa_ieee_mode 1
		.amdhsa_fp16_overflow 0
		.amdhsa_workgroup_processor_mode 1
		.amdhsa_memory_ordered 1
		.amdhsa_forward_progress 0
		.amdhsa_shared_vgpr_count 0
		.amdhsa_exception_fp_ieee_invalid_op 0
		.amdhsa_exception_fp_denorm_src 0
		.amdhsa_exception_fp_ieee_div_zero 0
		.amdhsa_exception_fp_ieee_overflow 0
		.amdhsa_exception_fp_ieee_underflow 0
		.amdhsa_exception_fp_ieee_inexact 0
		.amdhsa_exception_int_div_zero 0
	.end_amdhsa_kernel
	.section	.text._Z25selective_scan_fwd_kernelI32Selective_Scan_fwd_kernel_traitsILi128ELi16ELi1ELb0ELb1ELb1ELb0ELb1EN3c108BFloat16EfS2_EEv13SSMParamsBase,"axG",@progbits,_Z25selective_scan_fwd_kernelI32Selective_Scan_fwd_kernel_traitsILi128ELi16ELi1ELb0ELb1ELb1ELb0ELb1EN3c108BFloat16EfS2_EEv13SSMParamsBase,comdat
.Lfunc_end30:
	.size	_Z25selective_scan_fwd_kernelI32Selective_Scan_fwd_kernel_traitsILi128ELi16ELi1ELb0ELb1ELb1ELb0ELb1EN3c108BFloat16EfS2_EEv13SSMParamsBase, .Lfunc_end30-_Z25selective_scan_fwd_kernelI32Selective_Scan_fwd_kernel_traitsILi128ELi16ELi1ELb0ELb1ELb1ELb0ELb1EN3c108BFloat16EfS2_EEv13SSMParamsBase
                                        ; -- End function
	.section	.AMDGPU.csdata,"",@progbits
; Kernel info:
; codeLenInByte = 21556
; NumSgprs: 94
; NumVgprs: 173
; ScratchSize: 0
; MemoryBound: 0
; FloatMode: 240
; IeeeMode: 1
; LDSByteSize: 0 bytes/workgroup (compile time only)
; SGPRBlocks: 11
; VGPRBlocks: 21
; NumSGPRsForWavesPerEU: 94
; NumVGPRsForWavesPerEU: 173
; Occupancy: 8
; WaveLimiterHint : 1
; COMPUTE_PGM_RSRC2:SCRATCH_EN: 0
; COMPUTE_PGM_RSRC2:USER_SGPR: 14
; COMPUTE_PGM_RSRC2:TRAP_HANDLER: 0
; COMPUTE_PGM_RSRC2:TGID_X_EN: 1
; COMPUTE_PGM_RSRC2:TGID_Y_EN: 1
; COMPUTE_PGM_RSRC2:TGID_Z_EN: 0
; COMPUTE_PGM_RSRC2:TIDIG_COMP_CNT: 0
	.section	.text._Z25selective_scan_fwd_kernelI32Selective_Scan_fwd_kernel_traitsILi128ELi16ELi1ELb0ELb1ELb1ELb0ELb0EN3c108BFloat16EfS2_EEv13SSMParamsBase,"axG",@progbits,_Z25selective_scan_fwd_kernelI32Selective_Scan_fwd_kernel_traitsILi128ELi16ELi1ELb0ELb1ELb1ELb0ELb0EN3c108BFloat16EfS2_EEv13SSMParamsBase,comdat
	.protected	_Z25selective_scan_fwd_kernelI32Selective_Scan_fwd_kernel_traitsILi128ELi16ELi1ELb0ELb1ELb1ELb0ELb0EN3c108BFloat16EfS2_EEv13SSMParamsBase ; -- Begin function _Z25selective_scan_fwd_kernelI32Selective_Scan_fwd_kernel_traitsILi128ELi16ELi1ELb0ELb1ELb1ELb0ELb0EN3c108BFloat16EfS2_EEv13SSMParamsBase
	.globl	_Z25selective_scan_fwd_kernelI32Selective_Scan_fwd_kernel_traitsILi128ELi16ELi1ELb0ELb1ELb1ELb0ELb0EN3c108BFloat16EfS2_EEv13SSMParamsBase
	.p2align	8
	.type	_Z25selective_scan_fwd_kernelI32Selective_Scan_fwd_kernel_traitsILi128ELi16ELi1ELb0ELb1ELb1ELb0ELb0EN3c108BFloat16EfS2_EEv13SSMParamsBase,@function
_Z25selective_scan_fwd_kernelI32Selective_Scan_fwd_kernel_traitsILi128ELi16ELi1ELb0ELb1ELb1ELb0ELb0EN3c108BFloat16EfS2_EEv13SSMParamsBase: ; @_Z25selective_scan_fwd_kernelI32Selective_Scan_fwd_kernel_traitsILi128ELi16ELi1ELb0ELb1ELb1ELb0ELb0EN3c108BFloat16EfS2_EEv13SSMParamsBase
; %bb.0:
	s_clause 0x1
	s_load_b32 s9, s[0:1], 0x18
	s_load_b128 s[4:7], s[0:1], 0xe8
	s_mov_b32 s12, s15
	s_mov_b32 s68, 0
	s_waitcnt lgkmcnt(0)
	s_abs_i32 s8, s9
	s_cmp_eq_u64 s[6:7], 0
	v_cvt_f32_u32_e32 v1, s8
	s_delay_alu instid0(VALU_DEP_1) | instskip(SKIP_2) | instid1(VALU_DEP_1)
	v_rcp_iflag_f32_e32 v1, v1
	s_waitcnt_depctr 0xfff
	v_mul_f32_e32 v1, 0x4f7ffffe, v1
	v_cvt_u32_f32_e32 v1, v1
	s_delay_alu instid0(VALU_DEP_1)
	v_readfirstlane_b32 s10, v1
	s_cbranch_scc1 .LBB31_2
; %bb.1:
	v_mov_b32_e32 v1, 0
	s_ashr_i32 s3, s14, 31
	s_add_u32 s2, s6, s14
	s_addc_u32 s3, s7, s3
	global_load_u8 v1, v1, s[2:3]
	s_waitcnt vmcnt(0)
	v_and_b32_e32 v1, 1, v1
	s_delay_alu instid0(VALU_DEP_1)
	v_cmp_eq_u32_e64 s68, 1, v1
.LBB31_2:
	s_load_b64 s[6:7], s[0:1], 0x20
	s_cmp_eq_u64 s[4:5], 0
	s_cbranch_scc1 .LBB31_4
; %bb.3:
	s_ashr_i32 s15, s14, 31
	s_delay_alu instid0(SALU_CYCLE_1) | instskip(NEXT) | instid1(SALU_CYCLE_1)
	s_lshl_b64 s[2:3], s[14:15], 2
	s_add_u32 s2, s4, s2
	s_addc_u32 s3, s5, s3
	s_load_b32 s2, s[2:3], 0x0
	s_waitcnt lgkmcnt(0)
	s_ashr_i32 s3, s2, 31
	s_delay_alu instid0(SALU_CYCLE_1)
	s_cmp_eq_u64 s[6:7], s[2:3]
	s_cbranch_scc0 .LBB31_5
	s_branch .LBB31_238
.LBB31_4:
	s_mov_b32 s2, s14
	s_delay_alu instid0(SALU_CYCLE_1)
	s_ashr_i32 s3, s2, 31
	s_waitcnt lgkmcnt(0)
	s_cmp_eq_u64 s[6:7], s[2:3]
	s_cbranch_scc1 .LBB31_238
.LBB31_5:
	s_clause 0x1
	s_load_b512 s[16:31], s[0:1], 0x88
	s_load_b64 s[64:65], s[0:1], 0x8
	s_mov_b32 s69, 0
	s_mov_b32 s70, 0
	s_waitcnt lgkmcnt(0)
	s_cmp_eq_u64 s[22:23], 0
	s_cbranch_scc1 .LBB31_7
; %bb.6:
	s_ashr_i32 s13, s12, 31
	s_delay_alu instid0(SALU_CYCLE_1) | instskip(NEXT) | instid1(SALU_CYCLE_1)
	s_lshl_b64 s[4:5], s[12:13], 2
	s_add_u32 s4, s22, s4
	s_addc_u32 s5, s23, s5
	s_load_b32 s70, s[4:5], 0x0
.LBB31_7:
	s_cmp_eq_u64 s[28:29], 0
	s_cbranch_scc1 .LBB31_9
; %bb.8:
	s_ashr_i32 s13, s12, 31
	s_delay_alu instid0(SALU_CYCLE_1) | instskip(NEXT) | instid1(SALU_CYCLE_1)
	s_lshl_b64 s[4:5], s[12:13], 2
	s_add_u32 s4, s28, s4
	s_addc_u32 s5, s29, s5
	s_load_b32 s69, s[4:5], 0x0
.LBB31_9:
	s_cmp_lt_i32 s64, 1
	s_cbranch_scc1 .LBB31_238
; %bb.10:
	s_sub_i32 s3, 0, s8
	s_clause 0x1
	s_load_b64 s[4:5], s[0:1], 0x5c
	s_load_b128 s[56:59], s[0:1], 0x4c
	s_mul_i32 s3, s3, s10
	s_abs_i32 s6, s12
	s_mul_hi_u32 s3, s10, s3
	s_ashr_i32 s9, s9, 31
	s_add_i32 s10, s10, s3
	s_ashr_i32 s3, s12, 31
	s_mul_hi_u32 s7, s6, s10
	s_xor_b32 s3, s3, s9
	s_mul_i32 s10, s7, s8
	s_add_i32 s9, s7, 1
	s_sub_i32 s6, s6, s10
	s_load_b256 s[48:55], s[0:1], 0x2c
	s_sub_i32 s10, s6, s8
	s_cmp_ge_u32 s6, s8
	s_mov_b32 s67, 0
	s_cselect_b32 s7, s9, s7
	s_cselect_b32 s6, s10, s6
	s_add_i32 s9, s7, 1
	s_cmp_ge_u32 s6, s8
	s_waitcnt lgkmcnt(0)
	s_mul_i32 s66, s58, s14
	s_cselect_b32 s6, s9, s7
	s_load_b128 s[60:63], s[0:1], 0x7c
	s_xor_b32 s8, s6, s3
	s_lshl_b64 s[6:7], s[66:67], 1
	s_sub_i32 s3, s8, s3
	s_mul_i32 s66, s59, s12
	s_add_u32 s8, s24, s6
	s_addc_u32 s9, s25, s7
	s_lshl_b64 s[6:7], s[66:67], 1
	s_mul_i32 s66, s4, s14
	s_add_u32 s71, s8, s6
	s_addc_u32 s72, s9, s7
	s_lshl_b64 s[6:7], s[66:67], 1
	;; [unrolled: 4-line block ×3, first 2 shown]
	v_dual_mov_b32 v21, 0 :: v_dual_lshlrev_b32 v18, 4, v0
	s_add_u32 s73, s6, s4
	s_mul_i32 s66, s48, s12
	s_addc_u32 s48, s7, s5
	s_load_b64 s[6:7], s[0:1], 0xc8
	s_lshl_b64 s[4:5], s[66:67], 2
	v_mbcnt_lo_u32_b32 v19, -1, 0
	v_and_b32_e32 v1, 0x600, v18
	s_mul_i32 s66, s50, s14
	s_add_u32 s74, s16, s4
	s_waitcnt lgkmcnt(0)
	s_addc_u32 s63, s17, s5
	s_lshl_b64 s[4:5], s[66:67], 1
	s_mul_i32 s66, s3, s53
	s_clause 0x1
	s_load_b64 s[16:17], s[0:1], 0x6c
	s_load_b32 s0, s[0:1], 0x28
	s_add_u32 s8, s18, s4
	v_or_b32_e32 v20, v19, v1
	s_addc_u32 s9, s19, s5
	s_lshl_b64 s[4:5], s[66:67], 1
	s_mul_i32 s66, s54, s14
	s_add_u32 s53, s8, s4
	s_addc_u32 s75, s9, s5
	s_lshl_b64 s[4:5], s[66:67], 1
	s_mul_i32 s66, s3, s57
	v_or_b32_e32 v24, 0x60, v20
	v_and_b32_e32 v14, 0x60, v0
	s_add_u32 s8, s20, s4
	s_addc_u32 s3, s21, s5
	s_lshl_b64 s[4:5], s[66:67], 1
	s_mul_i32 s66, s2, s60
	s_add_u32 s57, s8, s4
	s_addc_u32 s76, s3, s5
	s_lshl_b64 s[2:3], s[66:67], 1
	v_or_b32_e32 v26, 0xa0, v20
	v_or_b32_e32 v28, 0xe0, v20
	;; [unrolled: 1-line block ×5, first 2 shown]
	v_lshrrev_b32_e32 v2, 5, v24
	v_or_b32_e32 v36, 0x1e0, v20
	v_or_b32_e32 v16, v19, v14
	s_mul_i32 s66, s61, s12
	s_add_u32 s4, s6, s2
	s_addc_u32 s5, s7, s3
	s_lshl_b64 s[2:3], s[66:67], 1
	v_or_b32_e32 v23, 64, v20
	s_add_u32 s77, s4, s2
	v_or_b32_e32 v25, 0x80, v20
	v_or_b32_e32 v27, 0xc0, v20
	;; [unrolled: 1-line block ×6, first 2 shown]
	v_and_b32_e32 v2, 50, v2
	v_lshrrev_b32_e32 v5, 5, v26
	v_lshrrev_b32_e32 v8, 5, v28
	;; [unrolled: 1-line block ×6, first 2 shown]
	v_lshrrev_b16 v50, 1, v16
	s_addc_u32 s78, s5, s3
	s_add_i32 s2, s64, 0x7ff
	v_lshrrev_b32_e32 v3, 5, v1
	s_lshr_b32 s79, s2, 11
	s_waitcnt lgkmcnt(0)
	s_bitcmp1_b32 s0, 0
	v_lshrrev_b32_e32 v4, 5, v23
	v_lshrrev_b32_e32 v6, 5, v25
	v_add_lshl_u32 v2, v2, v20, 1
	v_and_b32_e32 v5, 52, v5
	v_lshrrev_b32_e32 v7, 5, v27
	v_and_b32_e32 v8, 54, v8
	v_lshrrev_b32_e32 v10, 5, v29
	;; [unrolled: 2-line block ×5, first 2 shown]
	v_and_b32_e32 v51, 62, v49
	v_lshlrev_b32_e32 v16, 4, v16
	v_and_b32_e32 v52, 62, v50
	s_cselect_b32 s80, -1, 0
	s_cmp_gt_i32 s65, 0
	v_add_lshl_u32 v3, v3, v20, 1
	s_cselect_b32 s81, -1, 0
	s_add_i32 s0, 0, 0x1080
	v_add_lshl_u32 v4, v4, v20, 1
	v_add_lshl_u32 v6, v6, v20, 1
	v_add_nc_u32_e32 v39, 0, v2
	v_add_lshl_u32 v5, v5, v20, 1
	v_add_lshl_u32 v7, v7, v20, 1
	v_add_lshl_u32 v8, v8, v20, 1
	v_add_lshl_u32 v10, v10, v20, 1
	v_add_lshl_u32 v9, v9, v20, 1
	v_add_lshl_u32 v12, v12, v20, 1
	v_add_lshl_u32 v11, v11, v20, 1
	v_add_lshl_u32 v13, v13, v20, 1
	v_add_lshl_u32 v15, v15, v20, 1
	v_add_lshl_u32 v17, v17, v20, 1
	v_add_lshl_u32 v67, v51, v20, 1
	v_add_lshl_u32 v16, v52, v16, 1
	v_add_nc_u32_e32 v55, s0, v2
	v_and_b32_e32 v2, 15, v19
	s_and_b32 s1, s64, 0x7ff
	v_add_nc_u32_e32 v51, 0, v67
	v_add_nc_u32_e32 v53, s0, v3
	;; [unrolled: 1-line block ×15, first 2 shown]
	s_cmp_eq_u32 s1, 0
	v_add_nc_u32_e32 v68, s0, v16
	v_cmp_ne_u32_e64 s0, 0, v2
	v_cmp_lt_u32_e64 s1, 1, v2
	v_cmp_lt_u32_e64 s2, 3, v2
	;; [unrolled: 1-line block ×3, first 2 shown]
	v_add_nc_u32_e32 v2, -1, v19
	v_add_nc_u32_e32 v37, 0, v3
	v_lshrrev_b32_e32 v3, 2, v0
	v_add_nc_u32_e32 v41, 0, v5
	v_or_b32_e32 v5, 31, v14
	v_cmp_gt_i32_e32 vcc_lo, 0, v2
	s_mul_i32 s66, s16, s14
	v_and_b32_e32 v3, 24, v3
	s_cselect_b32 s82, -1, 0
	s_lshl_b64 s[14:15], s[66:67], 1
	v_cndmask_b32_e32 v2, v2, v19, vcc_lo
	s_add_i32 s83, s79, -1
	s_mul_i32 s66, s17, s12
	v_cmp_eq_u32_e64 s5, v5, v0
	v_cmp_gt_u32_e64 s6, 4, v0
	v_lshl_add_u32 v70, v0, 3, 0
	v_cmp_gt_u32_e64 s9, 32, v0
	v_cmp_lt_u32_e64 s10, 31, v0
	v_cmp_eq_u32_e64 s11, 0, v0
	s_add_u32 s14, s30, s14
	v_lshlrev_b32_e32 v0, 1, v19
	s_addc_u32 s15, s31, s15
	s_lshl_b64 s[12:13], s[66:67], 1
	v_add_nc_u32_e32 v69, 0, v3
	v_and_b32_e32 v3, 3, v19
	s_add_u32 s12, s14, s12
	v_lshlrev_b32_e32 v71, 2, v2
	s_addc_u32 s13, s15, s13
	v_lshlrev_b32_e32 v2, 1, v1
	v_add_co_u32 v0, s12, s12, v0
	v_add_nc_u32_e32 v38, 0, v4
	v_and_b32_e32 v4, 16, v19
	v_cmp_ne_u32_e64 s7, 0, v3
	v_cmp_lt_u32_e64 s8, 1, v3
	v_add_co_ci_u32_e64 v3, null, s13, 0, s12
	v_add_co_u32 v72, vcc_lo, v0, v2
	v_or_b32_e32 v22, 32, v20
	v_add_nc_u32_e32 v40, 0, v6
	v_add_nc_u32_e32 v42, 0, v7
	;; [unrolled: 1-line block ×11, first 2 shown]
	v_cmp_ne_u32_e64 s4, 0, v4
	v_cmp_eq_u32_e64 s12, 0, v19
	v_add_co_ci_u32_e32 v73, vcc_lo, 0, v3, vcc_lo
	v_or_b32_e32 v74, 1, v18
	v_or_b32_e32 v75, 2, v18
	;; [unrolled: 1-line block ×15, first 2 shown]
	v_lshlrev_b32_e32 v89, 1, v1
	s_mov_b32 s84, 0x3e9b6dac
	s_add_i32 s85, 0, 0x2120
	s_mov_b32 s86, 0
	s_branch .LBB31_12
.LBB31_11:                              ;   in Loop: Header=BB31_12 Depth=1
	s_or_b32 exec_lo, exec_lo, s13
	s_add_u32 s73, s73, 0x1000
	s_addc_u32 s48, s48, 0
	s_add_u32 s71, s71, 0x1000
	s_addc_u32 s72, s72, 0
	s_add_u32 s53, s53, 0x1000
	s_addc_u32 s75, s75, 0
	s_add_u32 s57, s57, 0x1000
	s_addc_u32 s76, s76, 0
	s_add_i32 s86, s86, 1
	s_delay_alu instid0(SALU_CYCLE_1)
	s_cmp_eq_u32 s86, s79
	s_cbranch_scc1 .LBB31_238
.LBB31_12:                              ; =>This Loop Header: Depth=1
                                        ;     Child Loop BB31_109 Depth 2
	s_waitcnt lgkmcnt(14)
	v_lshlrev_b32_e32 v16, 1, v19
	s_lshl_b32 s50, s86, 11
	s_waitcnt lgkmcnt(0)
	v_mov_b32_e32 v2, 0
	s_sub_i32 s41, s64, s50
	v_add_co_u32 v0, s13, s71, v16
	s_delay_alu instid0(VALU_DEP_1) | instskip(SKIP_1) | instid1(VALU_DEP_3)
	v_add_co_ci_u32_e64 v1, null, s72, 0, s13
	v_cmp_gt_u32_e64 s13, s41, v20
	v_add_co_u32 v0, vcc_lo, v0, v89
	s_delay_alu instid0(VALU_DEP_3)
	v_add_co_ci_u32_e32 v1, vcc_lo, 0, v1, vcc_lo
	s_waitcnt_vscnt null, 0x0
	s_barrier
	buffer_gl0_inv
	s_and_saveexec_b32 s14, s13
	s_cbranch_execz .LBB31_14
; %bb.13:                               ;   in Loop: Header=BB31_12 Depth=1
	global_load_u16 v2, v[0:1], off
.LBB31_14:                              ;   in Loop: Header=BB31_12 Depth=1
	s_or_b32 exec_lo, exec_lo, s14
	v_cmp_gt_u32_e64 s14, s41, v22
	v_dual_mov_b32 v3, 0 :: v_dual_mov_b32 v4, 0
	s_delay_alu instid0(VALU_DEP_2)
	s_and_saveexec_b32 s15, s14
	s_cbranch_execz .LBB31_16
; %bb.15:                               ;   in Loop: Header=BB31_12 Depth=1
	global_load_u16 v4, v[0:1], off offset:64
.LBB31_16:                              ;   in Loop: Header=BB31_12 Depth=1
	s_or_b32 exec_lo, exec_lo, s15
	v_cmp_gt_u32_e64 s15, s41, v23
	s_delay_alu instid0(VALU_DEP_1)
	s_and_saveexec_b32 s16, s15
	s_cbranch_execz .LBB31_18
; %bb.17:                               ;   in Loop: Header=BB31_12 Depth=1
	global_load_u16 v3, v[0:1], off offset:128
.LBB31_18:                              ;   in Loop: Header=BB31_12 Depth=1
	s_or_b32 exec_lo, exec_lo, s16
	v_cmp_gt_u32_e64 s16, s41, v24
	v_dual_mov_b32 v5, 0 :: v_dual_mov_b32 v6, 0
	s_delay_alu instid0(VALU_DEP_2)
	s_and_saveexec_b32 s17, s16
	s_cbranch_execz .LBB31_20
; %bb.19:                               ;   in Loop: Header=BB31_12 Depth=1
	global_load_u16 v6, v[0:1], off offset:192
.LBB31_20:                              ;   in Loop: Header=BB31_12 Depth=1
	s_or_b32 exec_lo, exec_lo, s17
	v_cmp_gt_u32_e64 s17, s41, v25
	s_delay_alu instid0(VALU_DEP_1)
	s_and_saveexec_b32 s18, s17
	s_cbranch_execz .LBB31_22
; %bb.21:                               ;   in Loop: Header=BB31_12 Depth=1
	global_load_u16 v5, v[0:1], off offset:256
.LBB31_22:                              ;   in Loop: Header=BB31_12 Depth=1
	;; [unrolled: 17-line block ×3, first 2 shown]
	s_or_b32 exec_lo, exec_lo, s20
	v_cmp_gt_u32_e64 s20, s41, v28
	v_mov_b32_e32 v9, 0
	v_mov_b32_e32 v11, 0
	s_delay_alu instid0(VALU_DEP_3)
	s_and_saveexec_b32 s21, s20
	s_cbranch_execz .LBB31_28
; %bb.27:                               ;   in Loop: Header=BB31_12 Depth=1
	global_load_u16 v11, v[0:1], off offset:448
.LBB31_28:                              ;   in Loop: Header=BB31_12 Depth=1
	s_or_b32 exec_lo, exec_lo, s21
	v_cmp_gt_u32_e64 s21, s41, v29
	s_delay_alu instid0(VALU_DEP_1)
	s_and_saveexec_b32 s22, s21
	s_cbranch_execz .LBB31_30
; %bb.29:                               ;   in Loop: Header=BB31_12 Depth=1
	global_load_u16 v9, v[0:1], off offset:512
.LBB31_30:                              ;   in Loop: Header=BB31_12 Depth=1
	s_or_b32 exec_lo, exec_lo, s22
	v_cmp_gt_u32_e64 s22, s41, v30
	v_dual_mov_b32 v12, 0 :: v_dual_mov_b32 v13, 0
	s_delay_alu instid0(VALU_DEP_2)
	s_and_saveexec_b32 s23, s22
	s_cbranch_execz .LBB31_32
; %bb.31:                               ;   in Loop: Header=BB31_12 Depth=1
	global_load_u16 v13, v[0:1], off offset:576
.LBB31_32:                              ;   in Loop: Header=BB31_12 Depth=1
	s_or_b32 exec_lo, exec_lo, s23
	v_cmp_gt_u32_e64 s23, s41, v31
	s_delay_alu instid0(VALU_DEP_1)
	s_and_saveexec_b32 s24, s23
	s_cbranch_execz .LBB31_34
; %bb.33:                               ;   in Loop: Header=BB31_12 Depth=1
	global_load_u16 v12, v[0:1], off offset:640
.LBB31_34:                              ;   in Loop: Header=BB31_12 Depth=1
	s_or_b32 exec_lo, exec_lo, s24
	v_cmp_gt_u32_e64 s24, s41, v32
	v_dual_mov_b32 v14, 0 :: v_dual_mov_b32 v15, 0
	s_delay_alu instid0(VALU_DEP_2)
	;; [unrolled: 17-line block ×4, first 2 shown]
	s_and_saveexec_b32 s29, s28
	s_cbranch_execz .LBB31_44
; %bb.43:                               ;   in Loop: Header=BB31_12 Depth=1
	global_load_u16 v91, v[0:1], off offset:960
.LBB31_44:                              ;   in Loop: Header=BB31_12 Depth=1
	s_or_b32 exec_lo, exec_lo, s29
	s_waitcnt vmcnt(0)
	ds_store_b16 v37, v2
	ds_store_b16 v37, v4 offset:64
	ds_store_b16 v38, v3 offset:128
	;; [unrolled: 1-line block ×15, first 2 shown]
	; wave barrier
	ds_load_b128 v[0:3], v52
	ds_load_b128 v[4:7], v52 offset:16
	v_add_co_u32 v8, s29, s73, v16
	s_delay_alu instid0(VALU_DEP_1) | instskip(SKIP_1) | instid1(VALU_DEP_2)
	v_add_co_ci_u32_e64 v9, null, s48, 0, s29
	s_waitcnt lgkmcnt(0)
	v_add_co_u32 v8, vcc_lo, v8, v89
	s_delay_alu instid0(VALU_DEP_2)
	v_add_co_ci_u32_e32 v9, vcc_lo, 0, v9, vcc_lo
	s_barrier
	buffer_gl0_inv
	s_and_saveexec_b32 s29, s13
	s_cbranch_execz .LBB31_46
; %bb.45:                               ;   in Loop: Header=BB31_12 Depth=1
	global_load_u16 v10, v[8:9], off
.LBB31_46:                              ;   in Loop: Header=BB31_12 Depth=1
	s_or_b32 exec_lo, exec_lo, s29
	v_dual_mov_b32 v11, 0 :: v_dual_mov_b32 v12, 0
	s_and_saveexec_b32 s29, s14
	s_cbranch_execz .LBB31_48
; %bb.47:                               ;   in Loop: Header=BB31_12 Depth=1
	global_load_u16 v12, v[8:9], off offset:64
.LBB31_48:                              ;   in Loop: Header=BB31_12 Depth=1
	s_or_b32 exec_lo, exec_lo, s29
	s_and_saveexec_b32 s29, s15
	s_cbranch_execz .LBB31_50
; %bb.49:                               ;   in Loop: Header=BB31_12 Depth=1
	global_load_u16 v11, v[8:9], off offset:128
.LBB31_50:                              ;   in Loop: Header=BB31_12 Depth=1
	s_or_b32 exec_lo, exec_lo, s29
	v_dual_mov_b32 v13, 0 :: v_dual_mov_b32 v14, 0
	s_and_saveexec_b32 s29, s16
	s_cbranch_execz .LBB31_52
; %bb.51:                               ;   in Loop: Header=BB31_12 Depth=1
	global_load_u16 v14, v[8:9], off offset:192
.LBB31_52:                              ;   in Loop: Header=BB31_12 Depth=1
	s_or_b32 exec_lo, exec_lo, s29
	s_and_saveexec_b32 s29, s17
	s_cbranch_execz .LBB31_54
; %bb.53:                               ;   in Loop: Header=BB31_12 Depth=1
	global_load_u16 v13, v[8:9], off offset:256
.LBB31_54:                              ;   in Loop: Header=BB31_12 Depth=1
	s_or_b32 exec_lo, exec_lo, s29
	v_mov_b32_e32 v15, 0
	v_mov_b32_e32 v17, 0
	s_and_saveexec_b32 s29, s18
	s_cbranch_execz .LBB31_56
; %bb.55:                               ;   in Loop: Header=BB31_12 Depth=1
	global_load_u16 v17, v[8:9], off offset:320
.LBB31_56:                              ;   in Loop: Header=BB31_12 Depth=1
	s_or_b32 exec_lo, exec_lo, s29
	s_and_saveexec_b32 s29, s19
	s_cbranch_execz .LBB31_58
; %bb.57:                               ;   in Loop: Header=BB31_12 Depth=1
	global_load_u16 v15, v[8:9], off offset:384
.LBB31_58:                              ;   in Loop: Header=BB31_12 Depth=1
	s_or_b32 exec_lo, exec_lo, s29
	v_dual_mov_b32 v90, 0 :: v_dual_mov_b32 v91, 0
	s_and_saveexec_b32 s29, s20
	s_cbranch_execz .LBB31_60
; %bb.59:                               ;   in Loop: Header=BB31_12 Depth=1
	global_load_u16 v91, v[8:9], off offset:448
.LBB31_60:                              ;   in Loop: Header=BB31_12 Depth=1
	s_or_b32 exec_lo, exec_lo, s29
	s_and_saveexec_b32 s29, s21
	s_cbranch_execz .LBB31_62
; %bb.61:                               ;   in Loop: Header=BB31_12 Depth=1
	global_load_u16 v90, v[8:9], off offset:512
.LBB31_62:                              ;   in Loop: Header=BB31_12 Depth=1
	s_or_b32 exec_lo, exec_lo, s29
	v_dual_mov_b32 v92, 0 :: v_dual_mov_b32 v93, 0
	;; [unrolled: 13-line block ×4, first 2 shown]
	s_and_saveexec_b32 s29, s26
	s_cbranch_execnz .LBB31_220
; %bb.71:                               ;   in Loop: Header=BB31_12 Depth=1
	s_or_b32 exec_lo, exec_lo, s29
	s_and_saveexec_b32 s29, s27
	s_cbranch_execnz .LBB31_221
.LBB31_72:                              ;   in Loop: Header=BB31_12 Depth=1
	s_or_b32 exec_lo, exec_lo, s29
	v_mov_b32_e32 v98, 0
	s_and_saveexec_b32 s29, s28
	s_cbranch_execz .LBB31_74
.LBB31_73:                              ;   in Loop: Header=BB31_12 Depth=1
	global_load_u16 v98, v[8:9], off offset:960
.LBB31_74:                              ;   in Loop: Header=BB31_12 Depth=1
	s_or_b32 exec_lo, exec_lo, s29
	s_waitcnt vmcnt(0)
	ds_store_b16 v37, v10
	ds_store_b16 v37, v12 offset:64
	ds_store_b16 v38, v11 offset:128
	;; [unrolled: 1-line block ×15, first 2 shown]
	; wave barrier
	ds_load_b128 v[12:15], v52
	ds_load_b128 v[8:11], v52 offset:16
	s_waitcnt lgkmcnt(1)
	v_lshlrev_b32_e32 v17, 16, v12
	s_delay_alu instid0(VALU_DEP_1) | instskip(NEXT) | instid1(VALU_DEP_1)
	v_add_f32_e32 v90, s69, v17
	v_cmp_ge_f32_e32 vcc_lo, 0x41a00000, v90
	s_and_b32 s29, s80, vcc_lo
	s_delay_alu instid0(SALU_CYCLE_1)
	s_and_saveexec_b32 s30, s29
	s_cbranch_execz .LBB31_76
; %bb.75:                               ;   in Loop: Header=BB31_12 Depth=1
	v_mul_f32_e32 v17, 0x3fb8aa3b, v90
	v_cmp_ngt_f32_e32 vcc_lo, 0xc2ce8ed0, v90
	s_delay_alu instid0(VALU_DEP_2) | instskip(SKIP_1) | instid1(VALU_DEP_1)
	v_rndne_f32_e32 v91, v17
	v_fma_f32 v92, 0x3fb8aa3b, v90, -v17
	v_dual_sub_f32 v17, v17, v91 :: v_dual_fmac_f32 v92, 0x32a5705f, v90
	v_cvt_i32_f32_e32 v91, v91
	s_delay_alu instid0(VALU_DEP_2) | instskip(NEXT) | instid1(VALU_DEP_1)
	v_add_f32_e32 v17, v17, v92
	v_exp_f32_e32 v17, v17
	s_waitcnt_depctr 0xfff
	v_ldexp_f32 v17, v17, v91
	s_delay_alu instid0(VALU_DEP_1) | instskip(SKIP_1) | instid1(VALU_DEP_2)
	v_cndmask_b32_e32 v17, 0, v17, vcc_lo
	v_cmp_nlt_f32_e32 vcc_lo, 0x42b17218, v90
	v_cndmask_b32_e32 v17, 0x7f800000, v17, vcc_lo
	s_delay_alu instid0(VALU_DEP_1) | instskip(NEXT) | instid1(VALU_DEP_1)
	v_add_f32_e32 v92, 1.0, v17
	v_cvt_f64_f32_e32 v[90:91], v92
	s_delay_alu instid0(VALU_DEP_1) | instskip(SKIP_1) | instid1(VALU_DEP_1)
	v_frexp_exp_i32_f64_e32 v90, v[90:91]
	v_frexp_mant_f32_e32 v91, v92
	v_cmp_gt_f32_e32 vcc_lo, 0x3f2aaaab, v91
	v_add_f32_e32 v91, -1.0, v92
	s_delay_alu instid0(VALU_DEP_1) | instskip(NEXT) | instid1(VALU_DEP_1)
	v_dual_sub_f32 v94, v91, v92 :: v_dual_sub_f32 v91, v17, v91
	v_add_f32_e32 v94, 1.0, v94
	v_subrev_co_ci_u32_e32 v90, vcc_lo, 0, v90, vcc_lo
	s_delay_alu instid0(VALU_DEP_1) | instskip(SKIP_1) | instid1(VALU_DEP_2)
	v_sub_nc_u32_e32 v93, 0, v90
	v_cvt_f32_i32_e32 v90, v90
	v_ldexp_f32 v92, v92, v93
	v_add_f32_e32 v91, v91, v94
	s_delay_alu instid0(VALU_DEP_1) | instskip(NEXT) | instid1(VALU_DEP_3)
	v_ldexp_f32 v91, v91, v93
	v_add_f32_e32 v95, 1.0, v92
	s_delay_alu instid0(VALU_DEP_1) | instskip(NEXT) | instid1(VALU_DEP_1)
	v_add_f32_e32 v94, -1.0, v95
	v_sub_f32_e32 v94, v92, v94
	v_cmp_eq_f32_e32 vcc_lo, 0x7f800000, v17
	v_cmp_gt_f32_e64 s29, 0x33800000, v17
	s_delay_alu instid0(VALU_DEP_3) | instskip(NEXT) | instid1(VALU_DEP_2)
	v_dual_add_f32 v94, v91, v94 :: v_dual_add_f32 v93, -1.0, v92
	s_or_b32 vcc_lo, s29, vcc_lo
	s_delay_alu instid0(VALU_DEP_1) | instskip(NEXT) | instid1(VALU_DEP_1)
	v_add_f32_e32 v96, 1.0, v93
	v_sub_f32_e32 v92, v92, v96
	s_delay_alu instid0(VALU_DEP_3) | instskip(NEXT) | instid1(VALU_DEP_1)
	v_add_f32_e32 v96, v95, v94
	v_sub_f32_e32 v95, v95, v96
	s_delay_alu instid0(VALU_DEP_3) | instskip(SKIP_1) | instid1(VALU_DEP_2)
	v_add_f32_e32 v91, v91, v92
	v_rcp_f32_e32 v92, v96
	v_add_f32_e32 v94, v94, v95
	s_delay_alu instid0(VALU_DEP_2) | instskip(NEXT) | instid1(VALU_DEP_1)
	v_add_f32_e32 v97, v93, v91
	v_sub_f32_e32 v93, v93, v97
	s_waitcnt_depctr 0xfff
	v_dual_mul_f32 v98, v97, v92 :: v_dual_add_f32 v91, v91, v93
	s_delay_alu instid0(VALU_DEP_1) | instskip(NEXT) | instid1(VALU_DEP_1)
	v_mul_f32_e32 v99, v96, v98
	v_fma_f32 v95, v98, v96, -v99
	s_delay_alu instid0(VALU_DEP_1) | instskip(NEXT) | instid1(VALU_DEP_1)
	v_fmac_f32_e32 v95, v98, v94
	v_add_f32_e32 v100, v99, v95
	s_delay_alu instid0(VALU_DEP_1) | instskip(NEXT) | instid1(VALU_DEP_1)
	v_sub_f32_e32 v101, v97, v100
	v_sub_f32_e32 v97, v97, v101
	;; [unrolled: 1-line block ×3, first 2 shown]
	s_delay_alu instid0(VALU_DEP_2) | instskip(NEXT) | instid1(VALU_DEP_2)
	v_sub_f32_e32 v97, v97, v100
	v_sub_f32_e32 v93, v93, v95
	s_delay_alu instid0(VALU_DEP_2) | instskip(NEXT) | instid1(VALU_DEP_1)
	v_add_f32_e32 v91, v91, v97
	v_add_f32_e32 v91, v93, v91
	s_delay_alu instid0(VALU_DEP_1) | instskip(NEXT) | instid1(VALU_DEP_1)
	v_add_f32_e32 v93, v101, v91
	v_mul_f32_e32 v95, v92, v93
	s_delay_alu instid0(VALU_DEP_1) | instskip(NEXT) | instid1(VALU_DEP_1)
	v_dual_sub_f32 v100, v101, v93 :: v_dual_mul_f32 v97, v96, v95
	v_add_f32_e32 v91, v91, v100
	s_delay_alu instid0(VALU_DEP_2) | instskip(NEXT) | instid1(VALU_DEP_1)
	v_fma_f32 v96, v95, v96, -v97
	v_fmac_f32_e32 v96, v95, v94
	s_delay_alu instid0(VALU_DEP_1) | instskip(NEXT) | instid1(VALU_DEP_1)
	v_add_f32_e32 v94, v97, v96
	v_sub_f32_e32 v99, v93, v94
	v_sub_f32_e32 v97, v94, v97
	s_delay_alu instid0(VALU_DEP_2) | instskip(NEXT) | instid1(VALU_DEP_1)
	v_sub_f32_e32 v93, v93, v99
	v_sub_f32_e32 v93, v93, v94
	s_delay_alu instid0(VALU_DEP_1) | instskip(SKIP_1) | instid1(VALU_DEP_1)
	v_dual_sub_f32 v94, v97, v96 :: v_dual_add_f32 v91, v91, v93
	v_add_f32_e32 v93, v98, v95
	v_dual_add_f32 v91, v94, v91 :: v_dual_sub_f32 v94, v93, v98
	s_delay_alu instid0(VALU_DEP_1) | instskip(NEXT) | instid1(VALU_DEP_1)
	v_add_f32_e32 v91, v99, v91
	v_dual_sub_f32 v94, v95, v94 :: v_dual_mul_f32 v91, v92, v91
	s_delay_alu instid0(VALU_DEP_1) | instskip(NEXT) | instid1(VALU_DEP_1)
	v_add_f32_e32 v91, v94, v91
	v_add_f32_e32 v92, v93, v91
	s_delay_alu instid0(VALU_DEP_1) | instskip(NEXT) | instid1(VALU_DEP_1)
	v_mul_f32_e32 v94, v92, v92
	v_fmaak_f32 v95, s84, v94, 0x3ecc95a3
	v_mul_f32_e32 v96, v92, v94
	s_delay_alu instid0(VALU_DEP_2) | instskip(SKIP_2) | instid1(VALU_DEP_3)
	v_fmaak_f32 v94, v94, v95, 0x3f2aaada
	v_ldexp_f32 v95, v92, 1
	v_sub_f32_e32 v92, v92, v93
	v_mul_f32_e32 v94, v96, v94
	s_delay_alu instid0(VALU_DEP_2) | instskip(NEXT) | instid1(VALU_DEP_2)
	v_dual_mul_f32 v96, 0x3f317218, v90 :: v_dual_sub_f32 v91, v91, v92
	v_add_f32_e32 v93, v95, v94
	s_delay_alu instid0(VALU_DEP_2) | instskip(NEXT) | instid1(VALU_DEP_2)
	v_ldexp_f32 v91, v91, 1
	v_sub_f32_e32 v92, v93, v95
	s_delay_alu instid0(VALU_DEP_4) | instskip(NEXT) | instid1(VALU_DEP_1)
	v_fma_f32 v95, 0x3f317218, v90, -v96
	v_dual_sub_f32 v92, v94, v92 :: v_dual_fmac_f32 v95, 0xb102e308, v90
	s_delay_alu instid0(VALU_DEP_1) | instskip(NEXT) | instid1(VALU_DEP_1)
	v_dual_add_f32 v90, v91, v92 :: v_dual_add_f32 v91, v96, v95
	v_add_f32_e32 v92, v93, v90
	s_delay_alu instid0(VALU_DEP_2) | instskip(NEXT) | instid1(VALU_DEP_2)
	v_sub_f32_e32 v96, v91, v96
	v_dual_add_f32 v94, v91, v92 :: v_dual_sub_f32 v93, v92, v93
	s_delay_alu instid0(VALU_DEP_2) | instskip(NEXT) | instid1(VALU_DEP_2)
	v_sub_f32_e32 v95, v95, v96
	v_sub_f32_e32 v97, v94, v91
	s_delay_alu instid0(VALU_DEP_3) | instskip(NEXT) | instid1(VALU_DEP_2)
	v_sub_f32_e32 v90, v90, v93
	v_sub_f32_e32 v98, v94, v97
	s_delay_alu instid0(VALU_DEP_2) | instskip(NEXT) | instid1(VALU_DEP_2)
	v_dual_sub_f32 v92, v92, v97 :: v_dual_add_f32 v93, v95, v90
	v_sub_f32_e32 v91, v91, v98
	s_delay_alu instid0(VALU_DEP_1) | instskip(NEXT) | instid1(VALU_DEP_3)
	v_add_f32_e32 v91, v92, v91
	v_sub_f32_e32 v92, v93, v95
	s_delay_alu instid0(VALU_DEP_2) | instskip(NEXT) | instid1(VALU_DEP_2)
	v_add_f32_e32 v91, v93, v91
	v_sub_f32_e32 v93, v93, v92
	v_sub_f32_e32 v90, v90, v92
	s_delay_alu instid0(VALU_DEP_2) | instskip(NEXT) | instid1(VALU_DEP_1)
	v_dual_add_f32 v96, v94, v91 :: v_dual_sub_f32 v93, v95, v93
	v_sub_f32_e32 v92, v96, v94
	s_delay_alu instid0(VALU_DEP_1) | instskip(NEXT) | instid1(VALU_DEP_1)
	v_dual_add_f32 v90, v90, v93 :: v_dual_sub_f32 v91, v91, v92
	v_add_f32_e32 v90, v90, v91
	s_delay_alu instid0(VALU_DEP_1) | instskip(NEXT) | instid1(VALU_DEP_1)
	v_add_f32_e32 v90, v96, v90
	v_cndmask_b32_e32 v90, v90, v17, vcc_lo
.LBB31_76:                              ;   in Loop: Header=BB31_12 Depth=1
	s_or_b32 exec_lo, exec_lo, s30
	v_and_b32_e32 v12, 0xffff0000, v12
	s_delay_alu instid0(VALU_DEP_1) | instskip(NEXT) | instid1(VALU_DEP_1)
	v_add_f32_e32 v91, s69, v12
	v_cmp_ge_f32_e32 vcc_lo, 0x41a00000, v91
	s_and_b32 s29, s80, vcc_lo
	s_delay_alu instid0(SALU_CYCLE_1)
	s_and_saveexec_b32 s30, s29
	s_cbranch_execz .LBB31_78
; %bb.77:                               ;   in Loop: Header=BB31_12 Depth=1
	v_mul_f32_e32 v12, 0x3fb8aa3b, v91
	v_cmp_ngt_f32_e32 vcc_lo, 0xc2ce8ed0, v91
	s_delay_alu instid0(VALU_DEP_2) | instskip(SKIP_1) | instid1(VALU_DEP_2)
	v_rndne_f32_e32 v17, v12
	v_fma_f32 v92, 0x3fb8aa3b, v91, -v12
	v_sub_f32_e32 v12, v12, v17
	s_delay_alu instid0(VALU_DEP_2) | instskip(SKIP_1) | instid1(VALU_DEP_2)
	v_fmac_f32_e32 v92, 0x32a5705f, v91
	v_cvt_i32_f32_e32 v17, v17
	v_add_f32_e32 v12, v12, v92
	s_delay_alu instid0(VALU_DEP_1) | instskip(SKIP_2) | instid1(VALU_DEP_1)
	v_exp_f32_e32 v12, v12
	s_waitcnt_depctr 0xfff
	v_ldexp_f32 v12, v12, v17
	v_cndmask_b32_e32 v12, 0, v12, vcc_lo
	v_cmp_nlt_f32_e32 vcc_lo, 0x42b17218, v91
	s_delay_alu instid0(VALU_DEP_2) | instskip(NEXT) | instid1(VALU_DEP_1)
	v_cndmask_b32_e32 v12, 0x7f800000, v12, vcc_lo
	v_add_f32_e32 v17, 1.0, v12
	s_delay_alu instid0(VALU_DEP_1) | instskip(NEXT) | instid1(VALU_DEP_1)
	v_cvt_f64_f32_e32 v[91:92], v17
	v_frexp_exp_i32_f64_e32 v91, v[91:92]
	v_frexp_mant_f32_e32 v92, v17
	s_delay_alu instid0(VALU_DEP_1) | instskip(SKIP_1) | instid1(VALU_DEP_1)
	v_cmp_gt_f32_e32 vcc_lo, 0x3f2aaaab, v92
	v_add_f32_e32 v92, -1.0, v17
	v_sub_f32_e32 v94, v92, v17
	v_sub_f32_e32 v92, v12, v92
	s_delay_alu instid0(VALU_DEP_2) | instskip(NEXT) | instid1(VALU_DEP_1)
	v_add_f32_e32 v94, 1.0, v94
	v_add_f32_e32 v92, v92, v94
	v_subrev_co_ci_u32_e32 v91, vcc_lo, 0, v91, vcc_lo
	s_delay_alu instid0(VALU_DEP_1) | instskip(SKIP_1) | instid1(VALU_DEP_2)
	v_sub_nc_u32_e32 v93, 0, v91
	v_cvt_f32_i32_e32 v91, v91
	v_ldexp_f32 v17, v17, v93
	v_ldexp_f32 v92, v92, v93
	s_delay_alu instid0(VALU_DEP_2) | instskip(NEXT) | instid1(VALU_DEP_1)
	v_add_f32_e32 v95, 1.0, v17
	v_dual_add_f32 v93, -1.0, v17 :: v_dual_add_f32 v94, -1.0, v95
	s_delay_alu instid0(VALU_DEP_1) | instskip(NEXT) | instid1(VALU_DEP_2)
	v_add_f32_e32 v96, 1.0, v93
	v_sub_f32_e32 v94, v17, v94
	s_delay_alu instid0(VALU_DEP_2) | instskip(NEXT) | instid1(VALU_DEP_1)
	v_sub_f32_e32 v17, v17, v96
	v_add_f32_e32 v17, v92, v17
	s_delay_alu instid0(VALU_DEP_1) | instskip(SKIP_2) | instid1(VALU_DEP_3)
	v_add_f32_e32 v97, v93, v17
	v_cmp_eq_f32_e32 vcc_lo, 0x7f800000, v12
	v_cmp_gt_f32_e64 s29, 0x33800000, v12
	v_dual_sub_f32 v93, v93, v97 :: v_dual_add_f32 v94, v92, v94
	s_delay_alu instid0(VALU_DEP_2) | instskip(NEXT) | instid1(VALU_DEP_1)
	s_or_b32 vcc_lo, s29, vcc_lo
	v_dual_add_f32 v17, v17, v93 :: v_dual_add_f32 v96, v95, v94
	s_delay_alu instid0(VALU_DEP_1) | instskip(SKIP_1) | instid1(VALU_DEP_1)
	v_rcp_f32_e32 v92, v96
	v_sub_f32_e32 v95, v95, v96
	v_add_f32_e32 v94, v94, v95
	s_waitcnt_depctr 0xfff
	v_mul_f32_e32 v98, v97, v92
	s_delay_alu instid0(VALU_DEP_1) | instskip(NEXT) | instid1(VALU_DEP_1)
	v_mul_f32_e32 v99, v96, v98
	v_fma_f32 v95, v98, v96, -v99
	s_delay_alu instid0(VALU_DEP_1) | instskip(NEXT) | instid1(VALU_DEP_1)
	v_fmac_f32_e32 v95, v98, v94
	v_add_f32_e32 v100, v99, v95
	s_delay_alu instid0(VALU_DEP_1) | instskip(SKIP_1) | instid1(VALU_DEP_2)
	v_sub_f32_e32 v101, v97, v100
	v_sub_f32_e32 v93, v100, v99
	;; [unrolled: 1-line block ×3, first 2 shown]
	s_delay_alu instid0(VALU_DEP_2) | instskip(NEXT) | instid1(VALU_DEP_2)
	v_sub_f32_e32 v93, v93, v95
	v_sub_f32_e32 v97, v97, v100
	s_delay_alu instid0(VALU_DEP_1) | instskip(NEXT) | instid1(VALU_DEP_1)
	v_add_f32_e32 v17, v17, v97
	v_add_f32_e32 v17, v93, v17
	s_delay_alu instid0(VALU_DEP_1) | instskip(NEXT) | instid1(VALU_DEP_1)
	v_add_f32_e32 v93, v101, v17
	v_mul_f32_e32 v95, v92, v93
	s_delay_alu instid0(VALU_DEP_1) | instskip(NEXT) | instid1(VALU_DEP_1)
	v_mul_f32_e32 v97, v96, v95
	v_fma_f32 v96, v95, v96, -v97
	s_delay_alu instid0(VALU_DEP_1) | instskip(SKIP_1) | instid1(VALU_DEP_2)
	v_fmac_f32_e32 v96, v95, v94
	v_sub_f32_e32 v100, v101, v93
	v_add_f32_e32 v94, v97, v96
	s_delay_alu instid0(VALU_DEP_2) | instskip(NEXT) | instid1(VALU_DEP_2)
	v_add_f32_e32 v17, v17, v100
	v_sub_f32_e32 v99, v93, v94
	s_delay_alu instid0(VALU_DEP_1) | instskip(NEXT) | instid1(VALU_DEP_1)
	v_sub_f32_e32 v93, v93, v99
	v_sub_f32_e32 v93, v93, v94
	s_delay_alu instid0(VALU_DEP_1) | instskip(SKIP_2) | instid1(VALU_DEP_1)
	v_add_f32_e32 v17, v17, v93
	v_add_f32_e32 v93, v98, v95
	v_sub_f32_e32 v97, v94, v97
	v_sub_f32_e32 v94, v97, v96
	s_delay_alu instid0(VALU_DEP_1) | instskip(NEXT) | instid1(VALU_DEP_1)
	v_dual_add_f32 v17, v94, v17 :: v_dual_sub_f32 v94, v93, v98
	v_add_f32_e32 v17, v99, v17
	s_delay_alu instid0(VALU_DEP_1) | instskip(NEXT) | instid1(VALU_DEP_1)
	v_dual_sub_f32 v94, v95, v94 :: v_dual_mul_f32 v17, v92, v17
	v_add_f32_e32 v17, v94, v17
	s_delay_alu instid0(VALU_DEP_1) | instskip(NEXT) | instid1(VALU_DEP_1)
	v_add_f32_e32 v92, v93, v17
	v_mul_f32_e32 v94, v92, v92
	s_delay_alu instid0(VALU_DEP_1) | instskip(SKIP_1) | instid1(VALU_DEP_2)
	v_fmaak_f32 v95, s84, v94, 0x3ecc95a3
	v_mul_f32_e32 v96, v92, v94
	v_fmaak_f32 v94, v94, v95, 0x3f2aaada
	v_ldexp_f32 v95, v92, 1
	s_delay_alu instid0(VALU_DEP_2) | instskip(SKIP_1) | instid1(VALU_DEP_2)
	v_mul_f32_e32 v94, v96, v94
	v_sub_f32_e32 v92, v92, v93
	v_dual_mul_f32 v96, 0x3f317218, v91 :: v_dual_add_f32 v93, v95, v94
	s_delay_alu instid0(VALU_DEP_2) | instskip(NEXT) | instid1(VALU_DEP_2)
	v_sub_f32_e32 v17, v17, v92
	v_sub_f32_e32 v92, v93, v95
	s_delay_alu instid0(VALU_DEP_3) | instskip(NEXT) | instid1(VALU_DEP_3)
	v_fma_f32 v95, 0x3f317218, v91, -v96
	v_ldexp_f32 v17, v17, 1
	s_delay_alu instid0(VALU_DEP_2) | instskip(NEXT) | instid1(VALU_DEP_1)
	v_dual_sub_f32 v92, v94, v92 :: v_dual_fmac_f32 v95, 0xb102e308, v91
	v_add_f32_e32 v17, v17, v92
	s_delay_alu instid0(VALU_DEP_1) | instskip(NEXT) | instid1(VALU_DEP_1)
	v_dual_add_f32 v91, v96, v95 :: v_dual_add_f32 v92, v93, v17
	v_sub_f32_e32 v96, v91, v96
	s_delay_alu instid0(VALU_DEP_2) | instskip(NEXT) | instid1(VALU_DEP_2)
	v_dual_add_f32 v94, v91, v92 :: v_dual_sub_f32 v93, v92, v93
	v_sub_f32_e32 v95, v95, v96
	s_delay_alu instid0(VALU_DEP_2) | instskip(NEXT) | instid1(VALU_DEP_1)
	v_sub_f32_e32 v97, v94, v91
	v_sub_f32_e32 v98, v94, v97
	;; [unrolled: 1-line block ×4, first 2 shown]
	s_delay_alu instid0(VALU_DEP_1) | instskip(NEXT) | instid1(VALU_DEP_4)
	v_add_f32_e32 v93, v95, v17
	v_sub_f32_e32 v91, v91, v98
	s_delay_alu instid0(VALU_DEP_1) | instskip(NEXT) | instid1(VALU_DEP_3)
	v_add_f32_e32 v91, v92, v91
	v_sub_f32_e32 v92, v93, v95
	s_delay_alu instid0(VALU_DEP_2) | instskip(NEXT) | instid1(VALU_DEP_2)
	v_add_f32_e32 v91, v93, v91
	v_sub_f32_e32 v93, v93, v92
	s_delay_alu instid0(VALU_DEP_2) | instskip(NEXT) | instid1(VALU_DEP_1)
	v_dual_sub_f32 v17, v17, v92 :: v_dual_add_f32 v96, v94, v91
	v_dual_sub_f32 v92, v96, v94 :: v_dual_sub_f32 v93, v95, v93
	s_delay_alu instid0(VALU_DEP_1) | instskip(NEXT) | instid1(VALU_DEP_2)
	v_sub_f32_e32 v91, v91, v92
	v_add_f32_e32 v17, v17, v93
	s_delay_alu instid0(VALU_DEP_1) | instskip(NEXT) | instid1(VALU_DEP_1)
	v_add_f32_e32 v17, v17, v91
	v_add_f32_e32 v17, v96, v17
	s_delay_alu instid0(VALU_DEP_1)
	v_cndmask_b32_e32 v91, v17, v12, vcc_lo
.LBB31_78:                              ;   in Loop: Header=BB31_12 Depth=1
	s_or_b32 exec_lo, exec_lo, s30
	v_lshlrev_b32_e32 v12, 16, v13
	s_delay_alu instid0(VALU_DEP_1) | instskip(NEXT) | instid1(VALU_DEP_1)
	v_add_f32_e32 v92, s69, v12
	v_cmp_ge_f32_e32 vcc_lo, 0x41a00000, v92
	s_and_b32 s29, s80, vcc_lo
	s_delay_alu instid0(SALU_CYCLE_1)
	s_and_saveexec_b32 s30, s29
	s_cbranch_execz .LBB31_80
; %bb.79:                               ;   in Loop: Header=BB31_12 Depth=1
	v_mul_f32_e32 v12, 0x3fb8aa3b, v92
	v_cmp_ngt_f32_e32 vcc_lo, 0xc2ce8ed0, v92
	s_delay_alu instid0(VALU_DEP_2) | instskip(SKIP_1) | instid1(VALU_DEP_1)
	v_rndne_f32_e32 v17, v12
	v_fma_f32 v93, 0x3fb8aa3b, v92, -v12
	v_dual_sub_f32 v12, v12, v17 :: v_dual_fmac_f32 v93, 0x32a5705f, v92
	v_cvt_i32_f32_e32 v17, v17
	s_delay_alu instid0(VALU_DEP_2) | instskip(NEXT) | instid1(VALU_DEP_1)
	v_add_f32_e32 v12, v12, v93
	v_exp_f32_e32 v12, v12
	s_waitcnt_depctr 0xfff
	v_ldexp_f32 v12, v12, v17
	s_delay_alu instid0(VALU_DEP_1) | instskip(SKIP_1) | instid1(VALU_DEP_2)
	v_cndmask_b32_e32 v12, 0, v12, vcc_lo
	v_cmp_nlt_f32_e32 vcc_lo, 0x42b17218, v92
	v_cndmask_b32_e32 v12, 0x7f800000, v12, vcc_lo
	s_delay_alu instid0(VALU_DEP_1) | instskip(NEXT) | instid1(VALU_DEP_1)
	v_add_f32_e32 v17, 1.0, v12
	v_cvt_f64_f32_e32 v[92:93], v17
	s_delay_alu instid0(VALU_DEP_1) | instskip(SKIP_1) | instid1(VALU_DEP_1)
	v_frexp_exp_i32_f64_e32 v92, v[92:93]
	v_frexp_mant_f32_e32 v93, v17
	v_cmp_gt_f32_e32 vcc_lo, 0x3f2aaaab, v93
	v_add_f32_e32 v93, -1.0, v17
	s_delay_alu instid0(VALU_DEP_1) | instskip(SKIP_1) | instid1(VALU_DEP_2)
	v_sub_f32_e32 v95, v93, v17
	v_sub_f32_e32 v93, v12, v93
	v_add_f32_e32 v95, 1.0, v95
	s_delay_alu instid0(VALU_DEP_1) | instskip(SKIP_3) | instid1(VALU_DEP_2)
	v_add_f32_e32 v93, v93, v95
	v_cmp_gt_f32_e64 s29, 0x33800000, v12
	v_subrev_co_ci_u32_e32 v92, vcc_lo, 0, v92, vcc_lo
	v_cmp_eq_f32_e32 vcc_lo, 0x7f800000, v12
	v_sub_nc_u32_e32 v94, 0, v92
	v_cvt_f32_i32_e32 v92, v92
	s_or_b32 vcc_lo, s29, vcc_lo
	s_delay_alu instid0(VALU_DEP_2) | instskip(SKIP_1) | instid1(VALU_DEP_2)
	v_ldexp_f32 v17, v17, v94
	v_ldexp_f32 v93, v93, v94
	v_add_f32_e32 v96, 1.0, v17
	s_delay_alu instid0(VALU_DEP_1) | instskip(NEXT) | instid1(VALU_DEP_1)
	v_dual_add_f32 v94, -1.0, v17 :: v_dual_add_f32 v95, -1.0, v96
	v_add_f32_e32 v97, 1.0, v94
	s_delay_alu instid0(VALU_DEP_2) | instskip(NEXT) | instid1(VALU_DEP_2)
	v_sub_f32_e32 v95, v17, v95
	v_sub_f32_e32 v17, v17, v97
	s_delay_alu instid0(VALU_DEP_1) | instskip(NEXT) | instid1(VALU_DEP_1)
	v_add_f32_e32 v17, v93, v17
	v_dual_add_f32 v98, v94, v17 :: v_dual_add_f32 v95, v93, v95
	s_delay_alu instid0(VALU_DEP_1) | instskip(NEXT) | instid1(VALU_DEP_1)
	v_dual_sub_f32 v94, v94, v98 :: v_dual_add_f32 v97, v96, v95
	v_rcp_f32_e32 v93, v97
	v_sub_f32_e32 v96, v96, v97
	s_delay_alu instid0(VALU_DEP_1) | instskip(SKIP_2) | instid1(VALU_DEP_1)
	v_add_f32_e32 v95, v95, v96
	s_waitcnt_depctr 0xfff
	v_mul_f32_e32 v99, v98, v93
	v_mul_f32_e32 v100, v97, v99
	s_delay_alu instid0(VALU_DEP_1) | instskip(NEXT) | instid1(VALU_DEP_1)
	v_fma_f32 v96, v99, v97, -v100
	v_fmac_f32_e32 v96, v99, v95
	s_delay_alu instid0(VALU_DEP_1) | instskip(NEXT) | instid1(VALU_DEP_1)
	v_add_f32_e32 v101, v100, v96
	v_sub_f32_e32 v102, v98, v101
	s_delay_alu instid0(VALU_DEP_1) | instskip(SKIP_2) | instid1(VALU_DEP_3)
	v_sub_f32_e32 v98, v98, v102
	v_add_f32_e32 v17, v17, v94
	v_sub_f32_e32 v94, v101, v100
	v_sub_f32_e32 v98, v98, v101
	s_delay_alu instid0(VALU_DEP_1) | instskip(NEXT) | instid1(VALU_DEP_1)
	v_dual_sub_f32 v94, v94, v96 :: v_dual_add_f32 v17, v17, v98
	v_add_f32_e32 v17, v94, v17
	s_delay_alu instid0(VALU_DEP_1) | instskip(NEXT) | instid1(VALU_DEP_1)
	v_add_f32_e32 v94, v102, v17
	v_mul_f32_e32 v96, v93, v94
	s_delay_alu instid0(VALU_DEP_1) | instskip(NEXT) | instid1(VALU_DEP_1)
	v_dual_sub_f32 v101, v102, v94 :: v_dual_mul_f32 v98, v97, v96
	v_add_f32_e32 v17, v17, v101
	s_delay_alu instid0(VALU_DEP_2) | instskip(NEXT) | instid1(VALU_DEP_1)
	v_fma_f32 v97, v96, v97, -v98
	v_fmac_f32_e32 v97, v96, v95
	s_delay_alu instid0(VALU_DEP_1) | instskip(NEXT) | instid1(VALU_DEP_1)
	v_add_f32_e32 v95, v98, v97
	v_sub_f32_e32 v100, v94, v95
	s_delay_alu instid0(VALU_DEP_1) | instskip(NEXT) | instid1(VALU_DEP_1)
	v_sub_f32_e32 v94, v94, v100
	v_sub_f32_e32 v94, v94, v95
	s_delay_alu instid0(VALU_DEP_1) | instskip(SKIP_1) | instid1(VALU_DEP_1)
	v_dual_add_f32 v17, v17, v94 :: v_dual_add_f32 v94, v99, v96
	v_sub_f32_e32 v98, v95, v98
	v_sub_f32_e32 v95, v98, v97
	s_delay_alu instid0(VALU_DEP_1) | instskip(NEXT) | instid1(VALU_DEP_4)
	v_add_f32_e32 v17, v95, v17
	v_sub_f32_e32 v95, v94, v99
	s_delay_alu instid0(VALU_DEP_2) | instskip(NEXT) | instid1(VALU_DEP_2)
	v_add_f32_e32 v17, v100, v17
	v_sub_f32_e32 v95, v96, v95
	s_delay_alu instid0(VALU_DEP_2) | instskip(NEXT) | instid1(VALU_DEP_1)
	v_mul_f32_e32 v17, v93, v17
	v_add_f32_e32 v17, v95, v17
	s_delay_alu instid0(VALU_DEP_1) | instskip(NEXT) | instid1(VALU_DEP_1)
	v_add_f32_e32 v93, v94, v17
	v_mul_f32_e32 v95, v93, v93
	s_delay_alu instid0(VALU_DEP_1) | instskip(SKIP_1) | instid1(VALU_DEP_2)
	v_fmaak_f32 v96, s84, v95, 0x3ecc95a3
	v_mul_f32_e32 v97, v93, v95
	v_fmaak_f32 v95, v95, v96, 0x3f2aaada
	v_ldexp_f32 v96, v93, 1
	v_sub_f32_e32 v93, v93, v94
	s_delay_alu instid0(VALU_DEP_3) | instskip(SKIP_1) | instid1(VALU_DEP_2)
	v_mul_f32_e32 v95, v97, v95
	v_mul_f32_e32 v97, 0x3f317218, v92
	v_dual_sub_f32 v17, v17, v93 :: v_dual_add_f32 v94, v96, v95
	s_delay_alu instid0(VALU_DEP_1) | instskip(NEXT) | instid1(VALU_DEP_2)
	v_ldexp_f32 v17, v17, 1
	v_sub_f32_e32 v93, v94, v96
	s_delay_alu instid0(VALU_DEP_4) | instskip(NEXT) | instid1(VALU_DEP_1)
	v_fma_f32 v96, 0x3f317218, v92, -v97
	v_dual_sub_f32 v93, v95, v93 :: v_dual_fmac_f32 v96, 0xb102e308, v92
	s_delay_alu instid0(VALU_DEP_1) | instskip(NEXT) | instid1(VALU_DEP_1)
	v_add_f32_e32 v17, v17, v93
	v_dual_add_f32 v92, v97, v96 :: v_dual_add_f32 v93, v94, v17
	s_delay_alu instid0(VALU_DEP_1) | instskip(NEXT) | instid1(VALU_DEP_2)
	v_sub_f32_e32 v97, v92, v97
	v_dual_add_f32 v95, v92, v93 :: v_dual_sub_f32 v94, v93, v94
	s_delay_alu instid0(VALU_DEP_2) | instskip(NEXT) | instid1(VALU_DEP_2)
	v_sub_f32_e32 v96, v96, v97
	v_dual_sub_f32 v98, v95, v92 :: v_dual_sub_f32 v17, v17, v94
	s_delay_alu instid0(VALU_DEP_1) | instskip(NEXT) | instid1(VALU_DEP_2)
	v_sub_f32_e32 v99, v95, v98
	v_dual_sub_f32 v93, v93, v98 :: v_dual_add_f32 v94, v96, v17
	s_delay_alu instid0(VALU_DEP_2) | instskip(NEXT) | instid1(VALU_DEP_1)
	v_sub_f32_e32 v92, v92, v99
	v_add_f32_e32 v92, v93, v92
	s_delay_alu instid0(VALU_DEP_3) | instskip(NEXT) | instid1(VALU_DEP_2)
	v_sub_f32_e32 v93, v94, v96
	v_add_f32_e32 v92, v94, v92
	s_delay_alu instid0(VALU_DEP_2) | instskip(SKIP_1) | instid1(VALU_DEP_2)
	v_sub_f32_e32 v94, v94, v93
	v_sub_f32_e32 v17, v17, v93
	v_dual_add_f32 v97, v95, v92 :: v_dual_sub_f32 v94, v96, v94
	s_delay_alu instid0(VALU_DEP_1) | instskip(NEXT) | instid1(VALU_DEP_1)
	v_sub_f32_e32 v93, v97, v95
	v_dual_add_f32 v17, v17, v94 :: v_dual_sub_f32 v92, v92, v93
	s_delay_alu instid0(VALU_DEP_1) | instskip(NEXT) | instid1(VALU_DEP_1)
	v_add_f32_e32 v17, v17, v92
	v_add_f32_e32 v17, v97, v17
	s_delay_alu instid0(VALU_DEP_1)
	v_cndmask_b32_e32 v92, v17, v12, vcc_lo
.LBB31_80:                              ;   in Loop: Header=BB31_12 Depth=1
	s_or_b32 exec_lo, exec_lo, s30
	v_and_b32_e32 v12, 0xffff0000, v13
	s_delay_alu instid0(VALU_DEP_1) | instskip(NEXT) | instid1(VALU_DEP_1)
	v_add_f32_e32 v93, s69, v12
	v_cmp_ge_f32_e32 vcc_lo, 0x41a00000, v93
	s_and_b32 s29, s80, vcc_lo
	s_delay_alu instid0(SALU_CYCLE_1)
	s_and_saveexec_b32 s30, s29
	s_cbranch_execz .LBB31_82
; %bb.81:                               ;   in Loop: Header=BB31_12 Depth=1
	v_mul_f32_e32 v12, 0x3fb8aa3b, v93
	v_cmp_ngt_f32_e32 vcc_lo, 0xc2ce8ed0, v93
	s_delay_alu instid0(VALU_DEP_2) | instskip(SKIP_1) | instid1(VALU_DEP_2)
	v_rndne_f32_e32 v13, v12
	v_fma_f32 v17, 0x3fb8aa3b, v93, -v12
	v_sub_f32_e32 v12, v12, v13
	s_delay_alu instid0(VALU_DEP_2) | instskip(SKIP_1) | instid1(VALU_DEP_2)
	v_fmac_f32_e32 v17, 0x32a5705f, v93
	v_cvt_i32_f32_e32 v13, v13
	v_add_f32_e32 v12, v12, v17
	s_delay_alu instid0(VALU_DEP_1) | instskip(SKIP_2) | instid1(VALU_DEP_1)
	v_exp_f32_e32 v12, v12
	s_waitcnt_depctr 0xfff
	v_ldexp_f32 v12, v12, v13
	v_cndmask_b32_e32 v12, 0, v12, vcc_lo
	v_cmp_nlt_f32_e32 vcc_lo, 0x42b17218, v93
	s_delay_alu instid0(VALU_DEP_2) | instskip(NEXT) | instid1(VALU_DEP_1)
	v_cndmask_b32_e32 v17, 0x7f800000, v12, vcc_lo
	v_add_f32_e32 v93, 1.0, v17
	s_delay_alu instid0(VALU_DEP_1) | instskip(NEXT) | instid1(VALU_DEP_1)
	v_cvt_f64_f32_e32 v[12:13], v93
	v_frexp_exp_i32_f64_e32 v12, v[12:13]
	v_frexp_mant_f32_e32 v13, v93
	s_delay_alu instid0(VALU_DEP_1) | instskip(SKIP_1) | instid1(VALU_DEP_1)
	v_cmp_gt_f32_e32 vcc_lo, 0x3f2aaaab, v13
	v_add_f32_e32 v13, -1.0, v93
	v_sub_f32_e32 v95, v13, v93
	s_delay_alu instid0(VALU_DEP_1) | instskip(SKIP_1) | instid1(VALU_DEP_1)
	v_add_f32_e32 v95, 1.0, v95
	v_subrev_co_ci_u32_e32 v12, vcc_lo, 0, v12, vcc_lo
	v_sub_nc_u32_e32 v94, 0, v12
	v_cvt_f32_i32_e32 v12, v12
	s_delay_alu instid0(VALU_DEP_2) | instskip(NEXT) | instid1(VALU_DEP_1)
	v_ldexp_f32 v93, v93, v94
	v_add_f32_e32 v96, 1.0, v93
	v_sub_f32_e32 v13, v17, v13
	v_cmp_eq_f32_e32 vcc_lo, 0x7f800000, v17
	v_cmp_gt_f32_e64 s29, 0x33800000, v17
	s_delay_alu instid0(VALU_DEP_3) | instskip(SKIP_1) | instid1(VALU_DEP_3)
	v_add_f32_e32 v13, v13, v95
	v_add_f32_e32 v95, -1.0, v96
	s_or_b32 vcc_lo, s29, vcc_lo
	s_delay_alu instid0(VALU_DEP_2) | instskip(NEXT) | instid1(VALU_DEP_2)
	v_ldexp_f32 v13, v13, v94
	v_dual_add_f32 v94, -1.0, v93 :: v_dual_sub_f32 v95, v93, v95
	s_delay_alu instid0(VALU_DEP_1) | instskip(NEXT) | instid1(VALU_DEP_2)
	v_add_f32_e32 v97, 1.0, v94
	v_add_f32_e32 v95, v13, v95
	s_delay_alu instid0(VALU_DEP_2) | instskip(NEXT) | instid1(VALU_DEP_1)
	v_sub_f32_e32 v93, v93, v97
	v_add_f32_e32 v13, v13, v93
	s_delay_alu instid0(VALU_DEP_1) | instskip(NEXT) | instid1(VALU_DEP_1)
	v_dual_add_f32 v98, v94, v13 :: v_dual_add_f32 v97, v96, v95
	v_sub_f32_e32 v94, v94, v98
	s_delay_alu instid0(VALU_DEP_2) | instskip(NEXT) | instid1(VALU_DEP_1)
	v_rcp_f32_e32 v93, v97
	v_dual_sub_f32 v96, v96, v97 :: v_dual_add_f32 v13, v13, v94
	s_delay_alu instid0(VALU_DEP_1) | instskip(SKIP_2) | instid1(VALU_DEP_1)
	v_add_f32_e32 v95, v95, v96
	s_waitcnt_depctr 0xfff
	v_mul_f32_e32 v99, v98, v93
	v_mul_f32_e32 v100, v97, v99
	s_delay_alu instid0(VALU_DEP_1) | instskip(NEXT) | instid1(VALU_DEP_1)
	v_fma_f32 v96, v99, v97, -v100
	v_fmac_f32_e32 v96, v99, v95
	s_delay_alu instid0(VALU_DEP_1) | instskip(NEXT) | instid1(VALU_DEP_1)
	v_add_f32_e32 v101, v100, v96
	v_sub_f32_e32 v102, v98, v101
	v_sub_f32_e32 v94, v101, v100
	s_delay_alu instid0(VALU_DEP_2) | instskip(NEXT) | instid1(VALU_DEP_2)
	v_sub_f32_e32 v98, v98, v102
	v_sub_f32_e32 v94, v94, v96
	s_delay_alu instid0(VALU_DEP_2) | instskip(NEXT) | instid1(VALU_DEP_1)
	v_sub_f32_e32 v98, v98, v101
	v_add_f32_e32 v13, v13, v98
	s_delay_alu instid0(VALU_DEP_1) | instskip(NEXT) | instid1(VALU_DEP_1)
	v_add_f32_e32 v13, v94, v13
	v_add_f32_e32 v94, v102, v13
	s_delay_alu instid0(VALU_DEP_1) | instskip(NEXT) | instid1(VALU_DEP_1)
	v_mul_f32_e32 v96, v93, v94
	v_dual_sub_f32 v101, v102, v94 :: v_dual_mul_f32 v98, v97, v96
	s_delay_alu instid0(VALU_DEP_1) | instskip(NEXT) | instid1(VALU_DEP_1)
	v_fma_f32 v97, v96, v97, -v98
	v_fmac_f32_e32 v97, v96, v95
	s_delay_alu instid0(VALU_DEP_1) | instskip(NEXT) | instid1(VALU_DEP_1)
	v_add_f32_e32 v95, v98, v97
	v_dual_add_f32 v13, v13, v101 :: v_dual_sub_f32 v100, v94, v95
	s_delay_alu instid0(VALU_DEP_1) | instskip(NEXT) | instid1(VALU_DEP_1)
	v_sub_f32_e32 v94, v94, v100
	v_sub_f32_e32 v94, v94, v95
	s_delay_alu instid0(VALU_DEP_1) | instskip(SKIP_1) | instid1(VALU_DEP_1)
	v_dual_add_f32 v13, v13, v94 :: v_dual_add_f32 v94, v99, v96
	v_sub_f32_e32 v98, v95, v98
	v_sub_f32_e32 v95, v98, v97
	s_delay_alu instid0(VALU_DEP_1) | instskip(NEXT) | instid1(VALU_DEP_4)
	v_add_f32_e32 v13, v95, v13
	v_sub_f32_e32 v95, v94, v99
	s_delay_alu instid0(VALU_DEP_2) | instskip(NEXT) | instid1(VALU_DEP_2)
	v_add_f32_e32 v13, v100, v13
	v_sub_f32_e32 v95, v96, v95
	s_delay_alu instid0(VALU_DEP_2) | instskip(NEXT) | instid1(VALU_DEP_1)
	v_mul_f32_e32 v13, v93, v13
	v_add_f32_e32 v13, v95, v13
	s_delay_alu instid0(VALU_DEP_1) | instskip(NEXT) | instid1(VALU_DEP_1)
	v_add_f32_e32 v93, v94, v13
	v_mul_f32_e32 v95, v93, v93
	s_delay_alu instid0(VALU_DEP_1) | instskip(SKIP_1) | instid1(VALU_DEP_2)
	v_fmaak_f32 v96, s84, v95, 0x3ecc95a3
	v_mul_f32_e32 v97, v93, v95
	v_fmaak_f32 v95, v95, v96, 0x3f2aaada
	v_ldexp_f32 v96, v93, 1
	v_sub_f32_e32 v93, v93, v94
	s_delay_alu instid0(VALU_DEP_3) | instskip(SKIP_1) | instid1(VALU_DEP_2)
	v_mul_f32_e32 v95, v97, v95
	v_mul_f32_e32 v97, 0x3f317218, v12
	v_dual_sub_f32 v13, v13, v93 :: v_dual_add_f32 v94, v96, v95
	s_delay_alu instid0(VALU_DEP_1) | instskip(NEXT) | instid1(VALU_DEP_2)
	v_ldexp_f32 v13, v13, 1
	v_sub_f32_e32 v93, v94, v96
	s_delay_alu instid0(VALU_DEP_4) | instskip(NEXT) | instid1(VALU_DEP_1)
	v_fma_f32 v96, 0x3f317218, v12, -v97
	v_dual_sub_f32 v93, v95, v93 :: v_dual_fmac_f32 v96, 0xb102e308, v12
	s_delay_alu instid0(VALU_DEP_1) | instskip(NEXT) | instid1(VALU_DEP_2)
	v_add_f32_e32 v12, v13, v93
	v_add_f32_e32 v13, v97, v96
	s_delay_alu instid0(VALU_DEP_2) | instskip(NEXT) | instid1(VALU_DEP_2)
	v_add_f32_e32 v93, v94, v12
	v_sub_f32_e32 v97, v13, v97
	s_delay_alu instid0(VALU_DEP_2) | instskip(SKIP_1) | instid1(VALU_DEP_3)
	v_add_f32_e32 v95, v13, v93
	v_sub_f32_e32 v94, v93, v94
	v_sub_f32_e32 v96, v96, v97
	s_delay_alu instid0(VALU_DEP_3) | instskip(NEXT) | instid1(VALU_DEP_3)
	v_sub_f32_e32 v98, v95, v13
	v_sub_f32_e32 v12, v12, v94
	s_delay_alu instid0(VALU_DEP_2) | instskip(NEXT) | instid1(VALU_DEP_2)
	v_sub_f32_e32 v99, v95, v98
	v_dual_sub_f32 v93, v93, v98 :: v_dual_add_f32 v94, v96, v12
	s_delay_alu instid0(VALU_DEP_2) | instskip(NEXT) | instid1(VALU_DEP_1)
	v_sub_f32_e32 v13, v13, v99
	v_add_f32_e32 v13, v93, v13
	s_delay_alu instid0(VALU_DEP_3) | instskip(NEXT) | instid1(VALU_DEP_2)
	v_sub_f32_e32 v93, v94, v96
	v_add_f32_e32 v13, v94, v13
	s_delay_alu instid0(VALU_DEP_2) | instskip(SKIP_1) | instid1(VALU_DEP_1)
	v_sub_f32_e32 v12, v12, v93
	v_sub_f32_e32 v94, v94, v93
	v_dual_add_f32 v97, v95, v13 :: v_dual_sub_f32 v94, v96, v94
	s_delay_alu instid0(VALU_DEP_1) | instskip(NEXT) | instid1(VALU_DEP_1)
	v_dual_sub_f32 v93, v97, v95 :: v_dual_add_f32 v12, v12, v94
	v_sub_f32_e32 v13, v13, v93
	s_delay_alu instid0(VALU_DEP_1) | instskip(NEXT) | instid1(VALU_DEP_1)
	v_add_f32_e32 v12, v12, v13
	v_add_f32_e32 v12, v97, v12
	s_delay_alu instid0(VALU_DEP_1)
	v_cndmask_b32_e32 v93, v12, v17, vcc_lo
.LBB31_82:                              ;   in Loop: Header=BB31_12 Depth=1
	s_or_b32 exec_lo, exec_lo, s30
	v_lshlrev_b32_e32 v12, 16, v14
	s_delay_alu instid0(VALU_DEP_1) | instskip(NEXT) | instid1(VALU_DEP_1)
	v_add_f32_e32 v94, s69, v12
	v_cmp_ge_f32_e32 vcc_lo, 0x41a00000, v94
	s_and_b32 s29, s80, vcc_lo
	s_delay_alu instid0(SALU_CYCLE_1)
	s_and_saveexec_b32 s30, s29
	s_cbranch_execz .LBB31_84
; %bb.83:                               ;   in Loop: Header=BB31_12 Depth=1
	v_mul_f32_e32 v12, 0x3fb8aa3b, v94
	v_cmp_ngt_f32_e32 vcc_lo, 0xc2ce8ed0, v94
	s_delay_alu instid0(VALU_DEP_2) | instskip(SKIP_1) | instid1(VALU_DEP_1)
	v_rndne_f32_e32 v13, v12
	v_fma_f32 v17, 0x3fb8aa3b, v94, -v12
	v_dual_sub_f32 v12, v12, v13 :: v_dual_fmac_f32 v17, 0x32a5705f, v94
	v_cvt_i32_f32_e32 v13, v13
	s_delay_alu instid0(VALU_DEP_2) | instskip(NEXT) | instid1(VALU_DEP_1)
	v_add_f32_e32 v12, v12, v17
	v_exp_f32_e32 v12, v12
	s_waitcnt_depctr 0xfff
	v_ldexp_f32 v12, v12, v13
	s_delay_alu instid0(VALU_DEP_1) | instskip(SKIP_1) | instid1(VALU_DEP_2)
	v_cndmask_b32_e32 v12, 0, v12, vcc_lo
	v_cmp_nlt_f32_e32 vcc_lo, 0x42b17218, v94
	v_cndmask_b32_e32 v17, 0x7f800000, v12, vcc_lo
	s_delay_alu instid0(VALU_DEP_1) | instskip(NEXT) | instid1(VALU_DEP_1)
	v_add_f32_e32 v94, 1.0, v17
	v_cvt_f64_f32_e32 v[12:13], v94
	s_delay_alu instid0(VALU_DEP_1) | instskip(SKIP_1) | instid1(VALU_DEP_1)
	v_frexp_exp_i32_f64_e32 v12, v[12:13]
	v_frexp_mant_f32_e32 v13, v94
	v_cmp_gt_f32_e32 vcc_lo, 0x3f2aaaab, v13
	v_add_f32_e32 v13, -1.0, v94
	s_delay_alu instid0(VALU_DEP_1) | instskip(SKIP_2) | instid1(VALU_DEP_3)
	v_sub_f32_e32 v96, v13, v94
	v_sub_f32_e32 v13, v17, v13
	v_cmp_gt_f32_e64 s29, 0x33800000, v17
	v_add_f32_e32 v96, 1.0, v96
	s_delay_alu instid0(VALU_DEP_1) | instskip(SKIP_2) | instid1(VALU_DEP_2)
	v_add_f32_e32 v13, v13, v96
	v_subrev_co_ci_u32_e32 v12, vcc_lo, 0, v12, vcc_lo
	v_cmp_eq_f32_e32 vcc_lo, 0x7f800000, v17
	v_sub_nc_u32_e32 v95, 0, v12
	v_cvt_f32_i32_e32 v12, v12
	s_or_b32 vcc_lo, s29, vcc_lo
	s_delay_alu instid0(VALU_DEP_2) | instskip(SKIP_1) | instid1(VALU_DEP_2)
	v_ldexp_f32 v94, v94, v95
	v_ldexp_f32 v13, v13, v95
	v_add_f32_e32 v95, -1.0, v94
	s_delay_alu instid0(VALU_DEP_1) | instskip(NEXT) | instid1(VALU_DEP_1)
	v_dual_add_f32 v97, 1.0, v94 :: v_dual_add_f32 v98, 1.0, v95
	v_add_f32_e32 v96, -1.0, v97
	s_delay_alu instid0(VALU_DEP_1) | instskip(NEXT) | instid1(VALU_DEP_3)
	v_sub_f32_e32 v96, v94, v96
	v_sub_f32_e32 v94, v94, v98
	s_delay_alu instid0(VALU_DEP_2) | instskip(NEXT) | instid1(VALU_DEP_2)
	v_add_f32_e32 v96, v13, v96
	v_add_f32_e32 v13, v13, v94
	s_delay_alu instid0(VALU_DEP_1) | instskip(NEXT) | instid1(VALU_DEP_1)
	v_dual_add_f32 v99, v95, v13 :: v_dual_add_f32 v98, v97, v96
	v_sub_f32_e32 v95, v95, v99
	s_delay_alu instid0(VALU_DEP_2) | instskip(SKIP_1) | instid1(VALU_DEP_1)
	v_rcp_f32_e32 v94, v98
	v_sub_f32_e32 v97, v97, v98
	v_dual_add_f32 v13, v13, v95 :: v_dual_add_f32 v96, v96, v97
	s_waitcnt_depctr 0xfff
	v_mul_f32_e32 v100, v99, v94
	s_delay_alu instid0(VALU_DEP_1) | instskip(NEXT) | instid1(VALU_DEP_1)
	v_mul_f32_e32 v101, v98, v100
	v_fma_f32 v97, v100, v98, -v101
	s_delay_alu instid0(VALU_DEP_1) | instskip(NEXT) | instid1(VALU_DEP_1)
	v_fmac_f32_e32 v97, v100, v96
	v_add_f32_e32 v102, v101, v97
	s_delay_alu instid0(VALU_DEP_1) | instskip(SKIP_1) | instid1(VALU_DEP_2)
	v_sub_f32_e32 v103, v99, v102
	v_sub_f32_e32 v95, v102, v101
	;; [unrolled: 1-line block ×3, first 2 shown]
	s_delay_alu instid0(VALU_DEP_2) | instskip(NEXT) | instid1(VALU_DEP_2)
	v_sub_f32_e32 v95, v95, v97
	v_sub_f32_e32 v99, v99, v102
	s_delay_alu instid0(VALU_DEP_1) | instskip(NEXT) | instid1(VALU_DEP_1)
	v_add_f32_e32 v13, v13, v99
	v_add_f32_e32 v13, v95, v13
	s_delay_alu instid0(VALU_DEP_1) | instskip(NEXT) | instid1(VALU_DEP_1)
	v_add_f32_e32 v95, v103, v13
	v_mul_f32_e32 v97, v94, v95
	s_delay_alu instid0(VALU_DEP_1) | instskip(NEXT) | instid1(VALU_DEP_1)
	v_dual_sub_f32 v102, v103, v95 :: v_dual_mul_f32 v99, v98, v97
	v_add_f32_e32 v13, v13, v102
	s_delay_alu instid0(VALU_DEP_2) | instskip(NEXT) | instid1(VALU_DEP_1)
	v_fma_f32 v98, v97, v98, -v99
	v_fmac_f32_e32 v98, v97, v96
	s_delay_alu instid0(VALU_DEP_1) | instskip(NEXT) | instid1(VALU_DEP_1)
	v_add_f32_e32 v96, v99, v98
	v_sub_f32_e32 v101, v95, v96
	s_delay_alu instid0(VALU_DEP_1) | instskip(NEXT) | instid1(VALU_DEP_1)
	v_sub_f32_e32 v95, v95, v101
	v_sub_f32_e32 v95, v95, v96
	s_delay_alu instid0(VALU_DEP_1) | instskip(SKIP_2) | instid1(VALU_DEP_1)
	v_add_f32_e32 v13, v13, v95
	v_add_f32_e32 v95, v100, v97
	v_sub_f32_e32 v99, v96, v99
	v_sub_f32_e32 v96, v99, v98
	s_delay_alu instid0(VALU_DEP_1) | instskip(NEXT) | instid1(VALU_DEP_1)
	v_dual_add_f32 v13, v96, v13 :: v_dual_sub_f32 v96, v95, v100
	v_add_f32_e32 v13, v101, v13
	s_delay_alu instid0(VALU_DEP_1) | instskip(NEXT) | instid1(VALU_DEP_1)
	v_dual_sub_f32 v96, v97, v96 :: v_dual_mul_f32 v13, v94, v13
	v_add_f32_e32 v13, v96, v13
	s_delay_alu instid0(VALU_DEP_1) | instskip(NEXT) | instid1(VALU_DEP_1)
	v_add_f32_e32 v94, v95, v13
	v_mul_f32_e32 v96, v94, v94
	s_delay_alu instid0(VALU_DEP_1) | instskip(SKIP_1) | instid1(VALU_DEP_2)
	v_fmaak_f32 v97, s84, v96, 0x3ecc95a3
	v_mul_f32_e32 v98, v94, v96
	v_fmaak_f32 v96, v96, v97, 0x3f2aaada
	v_ldexp_f32 v97, v94, 1
	v_sub_f32_e32 v94, v94, v95
	s_delay_alu instid0(VALU_DEP_3) | instskip(NEXT) | instid1(VALU_DEP_2)
	v_mul_f32_e32 v96, v98, v96
	v_dual_mul_f32 v98, 0x3f317218, v12 :: v_dual_sub_f32 v13, v13, v94
	s_delay_alu instid0(VALU_DEP_2) | instskip(NEXT) | instid1(VALU_DEP_2)
	v_add_f32_e32 v95, v97, v96
	v_ldexp_f32 v13, v13, 1
	s_delay_alu instid0(VALU_DEP_2) | instskip(NEXT) | instid1(VALU_DEP_4)
	v_sub_f32_e32 v94, v95, v97
	v_fma_f32 v97, 0x3f317218, v12, -v98
	s_delay_alu instid0(VALU_DEP_1) | instskip(NEXT) | instid1(VALU_DEP_1)
	v_dual_sub_f32 v94, v96, v94 :: v_dual_fmac_f32 v97, 0xb102e308, v12
	v_add_f32_e32 v12, v13, v94
	s_delay_alu instid0(VALU_DEP_1) | instskip(NEXT) | instid1(VALU_DEP_1)
	v_add_f32_e32 v94, v95, v12
	v_sub_f32_e32 v95, v94, v95
	s_delay_alu instid0(VALU_DEP_1) | instskip(NEXT) | instid1(VALU_DEP_1)
	v_dual_sub_f32 v12, v12, v95 :: v_dual_add_f32 v13, v98, v97
	v_add_f32_e32 v96, v13, v94
	s_delay_alu instid0(VALU_DEP_1) | instskip(NEXT) | instid1(VALU_DEP_1)
	v_dual_sub_f32 v98, v13, v98 :: v_dual_sub_f32 v99, v96, v13
	v_dual_sub_f32 v97, v97, v98 :: v_dual_sub_f32 v100, v96, v99
	s_delay_alu instid0(VALU_DEP_1) | instskip(NEXT) | instid1(VALU_DEP_2)
	v_dual_sub_f32 v94, v94, v99 :: v_dual_add_f32 v95, v97, v12
	v_sub_f32_e32 v13, v13, v100
	s_delay_alu instid0(VALU_DEP_1) | instskip(NEXT) | instid1(VALU_DEP_3)
	v_add_f32_e32 v13, v94, v13
	v_sub_f32_e32 v94, v95, v97
	s_delay_alu instid0(VALU_DEP_2) | instskip(NEXT) | instid1(VALU_DEP_2)
	v_add_f32_e32 v13, v95, v13
	v_sub_f32_e32 v95, v95, v94
	v_sub_f32_e32 v12, v12, v94
	s_delay_alu instid0(VALU_DEP_2) | instskip(NEXT) | instid1(VALU_DEP_1)
	v_dual_add_f32 v98, v96, v13 :: v_dual_sub_f32 v95, v97, v95
	v_sub_f32_e32 v94, v98, v96
	s_delay_alu instid0(VALU_DEP_1) | instskip(NEXT) | instid1(VALU_DEP_1)
	v_dual_add_f32 v12, v12, v95 :: v_dual_sub_f32 v13, v13, v94
	v_add_f32_e32 v12, v12, v13
	s_delay_alu instid0(VALU_DEP_1) | instskip(NEXT) | instid1(VALU_DEP_1)
	v_add_f32_e32 v12, v98, v12
	v_cndmask_b32_e32 v94, v12, v17, vcc_lo
.LBB31_84:                              ;   in Loop: Header=BB31_12 Depth=1
	s_or_b32 exec_lo, exec_lo, s30
	v_and_b32_e32 v12, 0xffff0000, v14
	s_delay_alu instid0(VALU_DEP_1) | instskip(NEXT) | instid1(VALU_DEP_1)
	v_add_f32_e32 v95, s69, v12
	v_cmp_ge_f32_e32 vcc_lo, 0x41a00000, v95
	s_and_b32 s29, s80, vcc_lo
	s_delay_alu instid0(SALU_CYCLE_1)
	s_and_saveexec_b32 s30, s29
	s_cbranch_execz .LBB31_86
; %bb.85:                               ;   in Loop: Header=BB31_12 Depth=1
	v_mul_f32_e32 v12, 0x3fb8aa3b, v95
	v_cmp_ngt_f32_e32 vcc_lo, 0xc2ce8ed0, v95
	s_delay_alu instid0(VALU_DEP_2) | instskip(SKIP_1) | instid1(VALU_DEP_2)
	v_rndne_f32_e32 v13, v12
	v_fma_f32 v14, 0x3fb8aa3b, v95, -v12
	v_sub_f32_e32 v12, v12, v13
	s_delay_alu instid0(VALU_DEP_2) | instskip(SKIP_1) | instid1(VALU_DEP_2)
	v_fmac_f32_e32 v14, 0x32a5705f, v95
	v_cvt_i32_f32_e32 v13, v13
	v_add_f32_e32 v12, v12, v14
	s_delay_alu instid0(VALU_DEP_1) | instskip(SKIP_2) | instid1(VALU_DEP_1)
	v_exp_f32_e32 v12, v12
	s_waitcnt_depctr 0xfff
	v_ldexp_f32 v12, v12, v13
	v_cndmask_b32_e32 v12, 0, v12, vcc_lo
	v_cmp_nlt_f32_e32 vcc_lo, 0x42b17218, v95
	s_delay_alu instid0(VALU_DEP_2) | instskip(NEXT) | instid1(VALU_DEP_1)
	v_cndmask_b32_e32 v14, 0x7f800000, v12, vcc_lo
	v_add_f32_e32 v17, 1.0, v14
	s_delay_alu instid0(VALU_DEP_1) | instskip(NEXT) | instid1(VALU_DEP_1)
	v_cvt_f64_f32_e32 v[12:13], v17
	v_frexp_exp_i32_f64_e32 v12, v[12:13]
	v_frexp_mant_f32_e32 v13, v17
	s_delay_alu instid0(VALU_DEP_1) | instskip(SKIP_1) | instid1(VALU_DEP_1)
	v_cmp_gt_f32_e32 vcc_lo, 0x3f2aaaab, v13
	v_add_f32_e32 v13, -1.0, v17
	v_sub_f32_e32 v96, v13, v17
	v_sub_f32_e32 v13, v14, v13
	v_subrev_co_ci_u32_e32 v12, vcc_lo, 0, v12, vcc_lo
	s_delay_alu instid0(VALU_DEP_1) | instskip(SKIP_1) | instid1(VALU_DEP_2)
	v_sub_nc_u32_e32 v95, 0, v12
	v_cvt_f32_i32_e32 v12, v12
	v_ldexp_f32 v17, v17, v95
	s_delay_alu instid0(VALU_DEP_1) | instskip(NEXT) | instid1(VALU_DEP_1)
	v_dual_add_f32 v96, 1.0, v96 :: v_dual_add_f32 v97, 1.0, v17
	v_dual_add_f32 v13, v13, v96 :: v_dual_add_f32 v96, -1.0, v97
	s_delay_alu instid0(VALU_DEP_1) | instskip(SKIP_4) | instid1(VALU_DEP_4)
	v_ldexp_f32 v13, v13, v95
	v_add_f32_e32 v95, -1.0, v17
	v_cmp_eq_f32_e32 vcc_lo, 0x7f800000, v14
	v_cmp_gt_f32_e64 s29, 0x33800000, v14
	v_sub_f32_e32 v96, v17, v96
	v_add_f32_e32 v98, 1.0, v95
	s_delay_alu instid0(VALU_DEP_3) | instskip(NEXT) | instid1(VALU_DEP_2)
	s_or_b32 vcc_lo, s29, vcc_lo
	v_add_f32_e32 v96, v13, v96
	s_delay_alu instid0(VALU_DEP_2) | instskip(NEXT) | instid1(VALU_DEP_1)
	v_sub_f32_e32 v17, v17, v98
	v_add_f32_e32 v13, v13, v17
	s_delay_alu instid0(VALU_DEP_1) | instskip(NEXT) | instid1(VALU_DEP_1)
	v_dual_add_f32 v99, v95, v13 :: v_dual_add_f32 v98, v97, v96
	v_sub_f32_e32 v95, v95, v99
	s_delay_alu instid0(VALU_DEP_2) | instskip(SKIP_1) | instid1(VALU_DEP_1)
	v_rcp_f32_e32 v17, v98
	v_sub_f32_e32 v97, v97, v98
	v_dual_add_f32 v13, v13, v95 :: v_dual_add_f32 v96, v96, v97
	s_waitcnt_depctr 0xfff
	v_mul_f32_e32 v100, v99, v17
	s_delay_alu instid0(VALU_DEP_1) | instskip(NEXT) | instid1(VALU_DEP_1)
	v_mul_f32_e32 v101, v98, v100
	v_fma_f32 v97, v100, v98, -v101
	s_delay_alu instid0(VALU_DEP_1) | instskip(NEXT) | instid1(VALU_DEP_1)
	v_fmac_f32_e32 v97, v100, v96
	v_add_f32_e32 v102, v101, v97
	s_delay_alu instid0(VALU_DEP_1) | instskip(NEXT) | instid1(VALU_DEP_1)
	v_sub_f32_e32 v103, v99, v102
	v_sub_f32_e32 v99, v99, v103
	;; [unrolled: 1-line block ×3, first 2 shown]
	s_delay_alu instid0(VALU_DEP_2) | instskip(NEXT) | instid1(VALU_DEP_2)
	v_sub_f32_e32 v99, v99, v102
	v_sub_f32_e32 v95, v95, v97
	s_delay_alu instid0(VALU_DEP_2) | instskip(NEXT) | instid1(VALU_DEP_1)
	v_add_f32_e32 v13, v13, v99
	v_add_f32_e32 v13, v95, v13
	s_delay_alu instid0(VALU_DEP_1) | instskip(NEXT) | instid1(VALU_DEP_1)
	v_add_f32_e32 v95, v103, v13
	v_mul_f32_e32 v97, v17, v95
	s_delay_alu instid0(VALU_DEP_1) | instskip(NEXT) | instid1(VALU_DEP_1)
	v_dual_sub_f32 v102, v103, v95 :: v_dual_mul_f32 v99, v98, v97
	v_add_f32_e32 v13, v13, v102
	s_delay_alu instid0(VALU_DEP_2) | instskip(NEXT) | instid1(VALU_DEP_1)
	v_fma_f32 v98, v97, v98, -v99
	v_fmac_f32_e32 v98, v97, v96
	s_delay_alu instid0(VALU_DEP_1) | instskip(NEXT) | instid1(VALU_DEP_1)
	v_add_f32_e32 v96, v99, v98
	v_sub_f32_e32 v101, v95, v96
	v_sub_f32_e32 v99, v96, v99
	s_delay_alu instid0(VALU_DEP_2) | instskip(NEXT) | instid1(VALU_DEP_1)
	v_sub_f32_e32 v95, v95, v101
	v_sub_f32_e32 v95, v95, v96
	s_delay_alu instid0(VALU_DEP_1) | instskip(SKIP_1) | instid1(VALU_DEP_1)
	v_dual_sub_f32 v96, v99, v98 :: v_dual_add_f32 v13, v13, v95
	v_add_f32_e32 v95, v100, v97
	v_dual_add_f32 v13, v96, v13 :: v_dual_sub_f32 v96, v95, v100
	s_delay_alu instid0(VALU_DEP_1) | instskip(NEXT) | instid1(VALU_DEP_2)
	v_add_f32_e32 v13, v101, v13
	v_sub_f32_e32 v96, v97, v96
	s_delay_alu instid0(VALU_DEP_2) | instskip(NEXT) | instid1(VALU_DEP_1)
	v_mul_f32_e32 v13, v17, v13
	v_add_f32_e32 v13, v96, v13
	s_delay_alu instid0(VALU_DEP_1) | instskip(NEXT) | instid1(VALU_DEP_1)
	v_add_f32_e32 v17, v95, v13
	v_mul_f32_e32 v96, v17, v17
	s_delay_alu instid0(VALU_DEP_1) | instskip(SKIP_1) | instid1(VALU_DEP_2)
	v_fmaak_f32 v97, s84, v96, 0x3ecc95a3
	v_mul_f32_e32 v98, v17, v96
	v_fmaak_f32 v96, v96, v97, 0x3f2aaada
	v_ldexp_f32 v97, v17, 1
	s_delay_alu instid0(VALU_DEP_2) | instskip(NEXT) | instid1(VALU_DEP_1)
	v_dual_sub_f32 v17, v17, v95 :: v_dual_mul_f32 v96, v98, v96
	v_dual_mul_f32 v98, 0x3f317218, v12 :: v_dual_sub_f32 v13, v13, v17
	s_delay_alu instid0(VALU_DEP_2) | instskip(NEXT) | instid1(VALU_DEP_2)
	v_add_f32_e32 v95, v97, v96
	v_ldexp_f32 v13, v13, 1
	s_delay_alu instid0(VALU_DEP_2) | instskip(NEXT) | instid1(VALU_DEP_4)
	v_sub_f32_e32 v17, v95, v97
	v_fma_f32 v97, 0x3f317218, v12, -v98
	s_delay_alu instid0(VALU_DEP_2) | instskip(NEXT) | instid1(VALU_DEP_1)
	v_sub_f32_e32 v17, v96, v17
	v_dual_fmac_f32 v97, 0xb102e308, v12 :: v_dual_add_f32 v12, v13, v17
	s_delay_alu instid0(VALU_DEP_1) | instskip(NEXT) | instid1(VALU_DEP_1)
	v_add_f32_e32 v13, v98, v97
	v_dual_add_f32 v17, v95, v12 :: v_dual_sub_f32 v98, v13, v98
	s_delay_alu instid0(VALU_DEP_1) | instskip(SKIP_1) | instid1(VALU_DEP_3)
	v_add_f32_e32 v96, v13, v17
	v_sub_f32_e32 v95, v17, v95
	v_sub_f32_e32 v97, v97, v98
	s_delay_alu instid0(VALU_DEP_3) | instskip(NEXT) | instid1(VALU_DEP_3)
	v_sub_f32_e32 v99, v96, v13
	v_sub_f32_e32 v12, v12, v95
	s_delay_alu instid0(VALU_DEP_2) | instskip(SKIP_1) | instid1(VALU_DEP_3)
	v_sub_f32_e32 v100, v96, v99
	v_sub_f32_e32 v17, v17, v99
	v_add_f32_e32 v95, v97, v12
	s_delay_alu instid0(VALU_DEP_3) | instskip(NEXT) | instid1(VALU_DEP_1)
	v_sub_f32_e32 v13, v13, v100
	v_add_f32_e32 v13, v17, v13
	s_delay_alu instid0(VALU_DEP_3) | instskip(NEXT) | instid1(VALU_DEP_2)
	v_sub_f32_e32 v17, v95, v97
	v_add_f32_e32 v13, v95, v13
	s_delay_alu instid0(VALU_DEP_2) | instskip(SKIP_1) | instid1(VALU_DEP_2)
	v_sub_f32_e32 v95, v95, v17
	v_sub_f32_e32 v12, v12, v17
	v_dual_add_f32 v98, v96, v13 :: v_dual_sub_f32 v95, v97, v95
	s_delay_alu instid0(VALU_DEP_1) | instskip(NEXT) | instid1(VALU_DEP_1)
	v_dual_sub_f32 v17, v98, v96 :: v_dual_add_f32 v12, v12, v95
	v_sub_f32_e32 v13, v13, v17
	s_delay_alu instid0(VALU_DEP_1) | instskip(NEXT) | instid1(VALU_DEP_1)
	v_add_f32_e32 v12, v12, v13
	v_add_f32_e32 v12, v98, v12
	s_delay_alu instid0(VALU_DEP_1)
	v_cndmask_b32_e32 v95, v12, v14, vcc_lo
.LBB31_86:                              ;   in Loop: Header=BB31_12 Depth=1
	s_or_b32 exec_lo, exec_lo, s30
	v_lshlrev_b32_e32 v12, 16, v15
	s_delay_alu instid0(VALU_DEP_1) | instskip(NEXT) | instid1(VALU_DEP_1)
	v_add_f32_e32 v96, s69, v12
	v_cmp_ge_f32_e32 vcc_lo, 0x41a00000, v96
	s_and_b32 s29, s80, vcc_lo
	s_delay_alu instid0(SALU_CYCLE_1)
	s_and_saveexec_b32 s30, s29
	s_cbranch_execz .LBB31_88
; %bb.87:                               ;   in Loop: Header=BB31_12 Depth=1
	v_mul_f32_e32 v12, 0x3fb8aa3b, v96
	v_cmp_ngt_f32_e32 vcc_lo, 0xc2ce8ed0, v96
	s_delay_alu instid0(VALU_DEP_2) | instskip(SKIP_1) | instid1(VALU_DEP_2)
	v_rndne_f32_e32 v13, v12
	v_fma_f32 v14, 0x3fb8aa3b, v96, -v12
	v_sub_f32_e32 v12, v12, v13
	s_delay_alu instid0(VALU_DEP_2) | instskip(SKIP_1) | instid1(VALU_DEP_2)
	v_fmac_f32_e32 v14, 0x32a5705f, v96
	v_cvt_i32_f32_e32 v13, v13
	v_add_f32_e32 v12, v12, v14
	s_delay_alu instid0(VALU_DEP_1) | instskip(SKIP_2) | instid1(VALU_DEP_1)
	v_exp_f32_e32 v12, v12
	s_waitcnt_depctr 0xfff
	v_ldexp_f32 v12, v12, v13
	v_cndmask_b32_e32 v12, 0, v12, vcc_lo
	v_cmp_nlt_f32_e32 vcc_lo, 0x42b17218, v96
	s_delay_alu instid0(VALU_DEP_2) | instskip(NEXT) | instid1(VALU_DEP_1)
	v_cndmask_b32_e32 v14, 0x7f800000, v12, vcc_lo
	v_add_f32_e32 v17, 1.0, v14
	s_delay_alu instid0(VALU_DEP_1) | instskip(NEXT) | instid1(VALU_DEP_1)
	v_cvt_f64_f32_e32 v[12:13], v17
	v_frexp_exp_i32_f64_e32 v12, v[12:13]
	v_frexp_mant_f32_e32 v13, v17
	s_delay_alu instid0(VALU_DEP_1) | instskip(SKIP_1) | instid1(VALU_DEP_1)
	v_cmp_gt_f32_e32 vcc_lo, 0x3f2aaaab, v13
	v_add_f32_e32 v13, -1.0, v17
	v_sub_f32_e32 v97, v13, v17
	s_delay_alu instid0(VALU_DEP_1) | instskip(SKIP_2) | instid1(VALU_DEP_2)
	v_add_f32_e32 v97, 1.0, v97
	v_sub_f32_e32 v13, v14, v13
	v_cmp_gt_f32_e64 s29, 0x33800000, v14
	v_add_f32_e32 v13, v13, v97
	v_subrev_co_ci_u32_e32 v12, vcc_lo, 0, v12, vcc_lo
	v_cmp_eq_f32_e32 vcc_lo, 0x7f800000, v14
	s_delay_alu instid0(VALU_DEP_2) | instskip(SKIP_2) | instid1(VALU_DEP_2)
	v_sub_nc_u32_e32 v96, 0, v12
	v_cvt_f32_i32_e32 v12, v12
	s_or_b32 vcc_lo, s29, vcc_lo
	v_ldexp_f32 v17, v17, v96
	v_ldexp_f32 v13, v13, v96
	s_delay_alu instid0(VALU_DEP_2) | instskip(NEXT) | instid1(VALU_DEP_1)
	v_add_f32_e32 v96, -1.0, v17
	v_dual_add_f32 v98, 1.0, v17 :: v_dual_add_f32 v99, 1.0, v96
	s_delay_alu instid0(VALU_DEP_1) | instskip(NEXT) | instid1(VALU_DEP_1)
	v_add_f32_e32 v97, -1.0, v98
	v_sub_f32_e32 v97, v17, v97
	s_delay_alu instid0(VALU_DEP_3) | instskip(NEXT) | instid1(VALU_DEP_2)
	v_sub_f32_e32 v17, v17, v99
	v_add_f32_e32 v97, v13, v97
	s_delay_alu instid0(VALU_DEP_2) | instskip(NEXT) | instid1(VALU_DEP_1)
	v_add_f32_e32 v13, v13, v17
	v_add_f32_e32 v100, v96, v13
	s_delay_alu instid0(VALU_DEP_1) | instskip(NEXT) | instid1(VALU_DEP_1)
	v_dual_sub_f32 v96, v96, v100 :: v_dual_add_f32 v99, v98, v97
	v_add_f32_e32 v13, v13, v96
	s_delay_alu instid0(VALU_DEP_2) | instskip(SKIP_1) | instid1(VALU_DEP_1)
	v_rcp_f32_e32 v17, v99
	v_sub_f32_e32 v98, v98, v99
	v_add_f32_e32 v97, v97, v98
	s_waitcnt_depctr 0xfff
	v_mul_f32_e32 v101, v100, v17
	s_delay_alu instid0(VALU_DEP_1) | instskip(NEXT) | instid1(VALU_DEP_1)
	v_mul_f32_e32 v102, v99, v101
	v_fma_f32 v98, v101, v99, -v102
	s_delay_alu instid0(VALU_DEP_1) | instskip(NEXT) | instid1(VALU_DEP_1)
	v_fmac_f32_e32 v98, v101, v97
	v_add_f32_e32 v103, v102, v98
	s_delay_alu instid0(VALU_DEP_1) | instskip(SKIP_1) | instid1(VALU_DEP_2)
	v_sub_f32_e32 v104, v100, v103
	v_sub_f32_e32 v96, v103, v102
	;; [unrolled: 1-line block ×3, first 2 shown]
	s_delay_alu instid0(VALU_DEP_1) | instskip(NEXT) | instid1(VALU_DEP_1)
	v_sub_f32_e32 v100, v100, v103
	v_dual_sub_f32 v96, v96, v98 :: v_dual_add_f32 v13, v13, v100
	s_delay_alu instid0(VALU_DEP_1) | instskip(NEXT) | instid1(VALU_DEP_1)
	v_add_f32_e32 v13, v96, v13
	v_add_f32_e32 v96, v104, v13
	s_delay_alu instid0(VALU_DEP_1) | instskip(NEXT) | instid1(VALU_DEP_1)
	v_mul_f32_e32 v98, v17, v96
	v_dual_sub_f32 v103, v104, v96 :: v_dual_mul_f32 v100, v99, v98
	s_delay_alu instid0(VALU_DEP_1) | instskip(NEXT) | instid1(VALU_DEP_2)
	v_add_f32_e32 v13, v13, v103
	v_fma_f32 v99, v98, v99, -v100
	s_delay_alu instid0(VALU_DEP_1) | instskip(NEXT) | instid1(VALU_DEP_1)
	v_fmac_f32_e32 v99, v98, v97
	v_add_f32_e32 v97, v100, v99
	s_delay_alu instid0(VALU_DEP_1) | instskip(NEXT) | instid1(VALU_DEP_1)
	v_sub_f32_e32 v102, v96, v97
	v_sub_f32_e32 v96, v96, v102
	s_delay_alu instid0(VALU_DEP_1) | instskip(NEXT) | instid1(VALU_DEP_1)
	v_sub_f32_e32 v96, v96, v97
	v_add_f32_e32 v13, v13, v96
	v_add_f32_e32 v96, v101, v98
	v_sub_f32_e32 v100, v97, v100
	s_delay_alu instid0(VALU_DEP_1) | instskip(NEXT) | instid1(VALU_DEP_1)
	v_sub_f32_e32 v97, v100, v99
	v_add_f32_e32 v13, v97, v13
	s_delay_alu instid0(VALU_DEP_4) | instskip(NEXT) | instid1(VALU_DEP_2)
	v_sub_f32_e32 v97, v96, v101
	v_add_f32_e32 v13, v102, v13
	s_delay_alu instid0(VALU_DEP_2) | instskip(NEXT) | instid1(VALU_DEP_2)
	v_sub_f32_e32 v97, v98, v97
	v_mul_f32_e32 v13, v17, v13
	s_delay_alu instid0(VALU_DEP_1) | instskip(NEXT) | instid1(VALU_DEP_1)
	v_add_f32_e32 v13, v97, v13
	v_add_f32_e32 v17, v96, v13
	s_delay_alu instid0(VALU_DEP_1) | instskip(NEXT) | instid1(VALU_DEP_1)
	v_mul_f32_e32 v97, v17, v17
	v_fmaak_f32 v98, s84, v97, 0x3ecc95a3
	v_mul_f32_e32 v99, v17, v97
	s_delay_alu instid0(VALU_DEP_2) | instskip(SKIP_1) | instid1(VALU_DEP_2)
	v_fmaak_f32 v97, v97, v98, 0x3f2aaada
	v_ldexp_f32 v98, v17, 1
	v_mul_f32_e32 v97, v99, v97
	s_delay_alu instid0(VALU_DEP_1) | instskip(NEXT) | instid1(VALU_DEP_1)
	v_dual_sub_f32 v17, v17, v96 :: v_dual_add_f32 v96, v98, v97
	v_sub_f32_e32 v13, v13, v17
	s_delay_alu instid0(VALU_DEP_2) | instskip(NEXT) | instid1(VALU_DEP_2)
	v_sub_f32_e32 v17, v96, v98
	v_ldexp_f32 v13, v13, 1
	s_delay_alu instid0(VALU_DEP_2) | instskip(SKIP_1) | instid1(VALU_DEP_1)
	v_sub_f32_e32 v17, v97, v17
	v_mul_f32_e32 v99, 0x3f317218, v12
	v_fma_f32 v98, 0x3f317218, v12, -v99
	s_delay_alu instid0(VALU_DEP_1) | instskip(NEXT) | instid1(VALU_DEP_1)
	v_fmac_f32_e32 v98, 0xb102e308, v12
	v_dual_add_f32 v12, v13, v17 :: v_dual_add_f32 v13, v99, v98
	s_delay_alu instid0(VALU_DEP_1) | instskip(NEXT) | instid1(VALU_DEP_1)
	v_add_f32_e32 v17, v96, v12
	v_add_f32_e32 v97, v13, v17
	v_sub_f32_e32 v96, v17, v96
	s_delay_alu instid0(VALU_DEP_2) | instskip(NEXT) | instid1(VALU_DEP_2)
	v_sub_f32_e32 v100, v97, v13
	v_dual_sub_f32 v12, v12, v96 :: v_dual_sub_f32 v99, v13, v99
	s_delay_alu instid0(VALU_DEP_2) | instskip(NEXT) | instid1(VALU_DEP_2)
	v_sub_f32_e32 v101, v97, v100
	v_dual_sub_f32 v17, v17, v100 :: v_dual_sub_f32 v98, v98, v99
	s_delay_alu instid0(VALU_DEP_1) | instskip(NEXT) | instid1(VALU_DEP_1)
	v_dual_sub_f32 v13, v13, v101 :: v_dual_add_f32 v96, v98, v12
	v_add_f32_e32 v13, v17, v13
	s_delay_alu instid0(VALU_DEP_2) | instskip(NEXT) | instid1(VALU_DEP_2)
	v_sub_f32_e32 v17, v96, v98
	v_add_f32_e32 v13, v96, v13
	s_delay_alu instid0(VALU_DEP_2) | instskip(SKIP_1) | instid1(VALU_DEP_2)
	v_sub_f32_e32 v96, v96, v17
	v_sub_f32_e32 v12, v12, v17
	v_dual_add_f32 v99, v97, v13 :: v_dual_sub_f32 v96, v98, v96
	s_delay_alu instid0(VALU_DEP_1) | instskip(NEXT) | instid1(VALU_DEP_1)
	v_dual_sub_f32 v17, v99, v97 :: v_dual_add_f32 v12, v12, v96
	v_sub_f32_e32 v13, v13, v17
	s_delay_alu instid0(VALU_DEP_1) | instskip(NEXT) | instid1(VALU_DEP_1)
	v_add_f32_e32 v12, v12, v13
	v_add_f32_e32 v12, v99, v12
	s_delay_alu instid0(VALU_DEP_1)
	v_cndmask_b32_e32 v96, v12, v14, vcc_lo
.LBB31_88:                              ;   in Loop: Header=BB31_12 Depth=1
	s_or_b32 exec_lo, exec_lo, s30
	v_and_b32_e32 v12, 0xffff0000, v15
	s_delay_alu instid0(VALU_DEP_1) | instskip(NEXT) | instid1(VALU_DEP_1)
	v_add_f32_e32 v97, s69, v12
	v_cmp_ge_f32_e32 vcc_lo, 0x41a00000, v97
	s_and_b32 s29, s80, vcc_lo
	s_delay_alu instid0(SALU_CYCLE_1)
	s_and_saveexec_b32 s30, s29
	s_cbranch_execz .LBB31_90
; %bb.89:                               ;   in Loop: Header=BB31_12 Depth=1
	v_mul_f32_e32 v12, 0x3fb8aa3b, v97
	v_cmp_ngt_f32_e32 vcc_lo, 0xc2ce8ed0, v97
	s_delay_alu instid0(VALU_DEP_2) | instskip(SKIP_1) | instid1(VALU_DEP_2)
	v_rndne_f32_e32 v13, v12
	v_fma_f32 v14, 0x3fb8aa3b, v97, -v12
	v_sub_f32_e32 v12, v12, v13
	s_delay_alu instid0(VALU_DEP_2) | instskip(SKIP_1) | instid1(VALU_DEP_2)
	v_fmac_f32_e32 v14, 0x32a5705f, v97
	v_cvt_i32_f32_e32 v13, v13
	v_add_f32_e32 v12, v12, v14
	s_delay_alu instid0(VALU_DEP_1) | instskip(SKIP_2) | instid1(VALU_DEP_1)
	v_exp_f32_e32 v12, v12
	s_waitcnt_depctr 0xfff
	v_ldexp_f32 v12, v12, v13
	v_cndmask_b32_e32 v12, 0, v12, vcc_lo
	v_cmp_nlt_f32_e32 vcc_lo, 0x42b17218, v97
	s_delay_alu instid0(VALU_DEP_2) | instskip(NEXT) | instid1(VALU_DEP_1)
	v_cndmask_b32_e32 v14, 0x7f800000, v12, vcc_lo
	v_add_f32_e32 v15, 1.0, v14
	s_delay_alu instid0(VALU_DEP_1) | instskip(NEXT) | instid1(VALU_DEP_1)
	v_cvt_f64_f32_e32 v[12:13], v15
	v_frexp_exp_i32_f64_e32 v12, v[12:13]
	v_frexp_mant_f32_e32 v13, v15
	s_delay_alu instid0(VALU_DEP_1) | instskip(SKIP_1) | instid1(VALU_DEP_1)
	v_cmp_gt_f32_e32 vcc_lo, 0x3f2aaaab, v13
	v_add_f32_e32 v13, -1.0, v15
	v_sub_f32_e32 v97, v13, v15
	v_sub_f32_e32 v13, v14, v13
	s_delay_alu instid0(VALU_DEP_2) | instskip(NEXT) | instid1(VALU_DEP_1)
	v_add_f32_e32 v97, 1.0, v97
	v_add_f32_e32 v13, v13, v97
	v_cmp_gt_f32_e64 s29, 0x33800000, v14
	v_subrev_co_ci_u32_e32 v12, vcc_lo, 0, v12, vcc_lo
	v_cmp_eq_f32_e32 vcc_lo, 0x7f800000, v14
	s_delay_alu instid0(VALU_DEP_2) | instskip(SKIP_2) | instid1(VALU_DEP_2)
	v_sub_nc_u32_e32 v17, 0, v12
	v_cvt_f32_i32_e32 v12, v12
	s_or_b32 vcc_lo, s29, vcc_lo
	v_ldexp_f32 v15, v15, v17
	v_ldexp_f32 v13, v13, v17
	s_delay_alu instid0(VALU_DEP_2) | instskip(SKIP_1) | instid1(VALU_DEP_2)
	v_add_f32_e32 v98, 1.0, v15
	v_add_f32_e32 v17, -1.0, v15
	v_add_f32_e32 v97, -1.0, v98
	s_delay_alu instid0(VALU_DEP_2) | instskip(NEXT) | instid1(VALU_DEP_2)
	v_add_f32_e32 v99, 1.0, v17
	v_sub_f32_e32 v97, v15, v97
	s_delay_alu instid0(VALU_DEP_2) | instskip(NEXT) | instid1(VALU_DEP_2)
	v_sub_f32_e32 v15, v15, v99
	v_add_f32_e32 v97, v13, v97
	s_delay_alu instid0(VALU_DEP_2) | instskip(NEXT) | instid1(VALU_DEP_1)
	v_add_f32_e32 v13, v13, v15
	v_add_f32_e32 v100, v17, v13
	s_delay_alu instid0(VALU_DEP_3) | instskip(NEXT) | instid1(VALU_DEP_1)
	v_add_f32_e32 v99, v98, v97
	v_rcp_f32_e32 v15, v99
	v_sub_f32_e32 v98, v98, v99
	s_delay_alu instid0(VALU_DEP_1) | instskip(SKIP_2) | instid1(VALU_DEP_1)
	v_add_f32_e32 v97, v97, v98
	s_waitcnt_depctr 0xfff
	v_mul_f32_e32 v101, v100, v15
	v_dual_mul_f32 v102, v99, v101 :: v_dual_sub_f32 v17, v17, v100
	s_delay_alu instid0(VALU_DEP_1) | instskip(NEXT) | instid1(VALU_DEP_2)
	v_fma_f32 v98, v101, v99, -v102
	v_add_f32_e32 v13, v13, v17
	s_delay_alu instid0(VALU_DEP_2) | instskip(NEXT) | instid1(VALU_DEP_1)
	v_fmac_f32_e32 v98, v101, v97
	v_add_f32_e32 v103, v102, v98
	s_delay_alu instid0(VALU_DEP_1) | instskip(NEXT) | instid1(VALU_DEP_1)
	v_dual_sub_f32 v104, v100, v103 :: v_dual_sub_f32 v17, v103, v102
	v_dual_sub_f32 v100, v100, v104 :: v_dual_sub_f32 v17, v17, v98
	s_delay_alu instid0(VALU_DEP_1) | instskip(NEXT) | instid1(VALU_DEP_1)
	v_sub_f32_e32 v100, v100, v103
	v_add_f32_e32 v13, v13, v100
	s_delay_alu instid0(VALU_DEP_1) | instskip(NEXT) | instid1(VALU_DEP_1)
	v_add_f32_e32 v13, v17, v13
	v_add_f32_e32 v17, v104, v13
	s_delay_alu instid0(VALU_DEP_1) | instskip(NEXT) | instid1(VALU_DEP_1)
	v_mul_f32_e32 v98, v15, v17
	v_dual_sub_f32 v103, v104, v17 :: v_dual_mul_f32 v100, v99, v98
	s_delay_alu instid0(VALU_DEP_1) | instskip(NEXT) | instid1(VALU_DEP_2)
	v_add_f32_e32 v13, v13, v103
	v_fma_f32 v99, v98, v99, -v100
	s_delay_alu instid0(VALU_DEP_1) | instskip(NEXT) | instid1(VALU_DEP_1)
	v_fmac_f32_e32 v99, v98, v97
	v_add_f32_e32 v97, v100, v99
	s_delay_alu instid0(VALU_DEP_1) | instskip(SKIP_1) | instid1(VALU_DEP_2)
	v_sub_f32_e32 v102, v17, v97
	v_sub_f32_e32 v100, v97, v100
	;; [unrolled: 1-line block ×3, first 2 shown]
	s_delay_alu instid0(VALU_DEP_1) | instskip(NEXT) | instid1(VALU_DEP_3)
	v_sub_f32_e32 v17, v17, v97
	v_sub_f32_e32 v97, v100, v99
	s_delay_alu instid0(VALU_DEP_2) | instskip(SKIP_1) | instid1(VALU_DEP_2)
	v_add_f32_e32 v13, v13, v17
	v_add_f32_e32 v17, v101, v98
	;; [unrolled: 1-line block ×3, first 2 shown]
	s_delay_alu instid0(VALU_DEP_2) | instskip(NEXT) | instid1(VALU_DEP_2)
	v_sub_f32_e32 v97, v17, v101
	v_add_f32_e32 v13, v102, v13
	s_delay_alu instid0(VALU_DEP_2) | instskip(NEXT) | instid1(VALU_DEP_2)
	v_sub_f32_e32 v97, v98, v97
	v_mul_f32_e32 v13, v15, v13
	s_delay_alu instid0(VALU_DEP_1) | instskip(NEXT) | instid1(VALU_DEP_1)
	v_add_f32_e32 v13, v97, v13
	v_add_f32_e32 v15, v17, v13
	s_delay_alu instid0(VALU_DEP_1) | instskip(NEXT) | instid1(VALU_DEP_1)
	v_mul_f32_e32 v97, v15, v15
	v_fmaak_f32 v98, s84, v97, 0x3ecc95a3
	v_mul_f32_e32 v99, v15, v97
	s_delay_alu instid0(VALU_DEP_2) | instskip(SKIP_2) | instid1(VALU_DEP_3)
	v_fmaak_f32 v97, v97, v98, 0x3f2aaada
	v_ldexp_f32 v98, v15, 1
	v_sub_f32_e32 v15, v15, v17
	v_mul_f32_e32 v97, v99, v97
	v_mul_f32_e32 v99, 0x3f317218, v12
	s_delay_alu instid0(VALU_DEP_3) | instskip(NEXT) | instid1(VALU_DEP_3)
	v_sub_f32_e32 v13, v13, v15
	v_add_f32_e32 v17, v98, v97
	s_delay_alu instid0(VALU_DEP_2) | instskip(NEXT) | instid1(VALU_DEP_2)
	v_ldexp_f32 v13, v13, 1
	v_sub_f32_e32 v15, v17, v98
	v_fma_f32 v98, 0x3f317218, v12, -v99
	s_delay_alu instid0(VALU_DEP_1) | instskip(NEXT) | instid1(VALU_DEP_1)
	v_dual_sub_f32 v15, v97, v15 :: v_dual_fmac_f32 v98, 0xb102e308, v12
	v_dual_add_f32 v12, v13, v15 :: v_dual_add_f32 v13, v99, v98
	s_delay_alu instid0(VALU_DEP_1) | instskip(NEXT) | instid1(VALU_DEP_1)
	v_add_f32_e32 v15, v17, v12
	v_add_f32_e32 v97, v13, v15
	v_sub_f32_e32 v17, v15, v17
	s_delay_alu instid0(VALU_DEP_2) | instskip(NEXT) | instid1(VALU_DEP_2)
	v_sub_f32_e32 v100, v97, v13
	v_dual_sub_f32 v99, v13, v99 :: v_dual_sub_f32 v12, v12, v17
	s_delay_alu instid0(VALU_DEP_1) | instskip(SKIP_1) | instid1(VALU_DEP_2)
	v_dual_sub_f32 v101, v97, v100 :: v_dual_sub_f32 v98, v98, v99
	v_sub_f32_e32 v15, v15, v100
	v_sub_f32_e32 v13, v13, v101
	s_delay_alu instid0(VALU_DEP_3) | instskip(NEXT) | instid1(VALU_DEP_2)
	v_add_f32_e32 v17, v98, v12
	v_add_f32_e32 v13, v15, v13
	s_delay_alu instid0(VALU_DEP_2) | instskip(NEXT) | instid1(VALU_DEP_2)
	v_sub_f32_e32 v15, v17, v98
	v_add_f32_e32 v13, v17, v13
	s_delay_alu instid0(VALU_DEP_2) | instskip(NEXT) | instid1(VALU_DEP_2)
	v_sub_f32_e32 v17, v17, v15
	v_dual_sub_f32 v12, v12, v15 :: v_dual_add_f32 v99, v97, v13
	s_delay_alu instid0(VALU_DEP_2) | instskip(NEXT) | instid1(VALU_DEP_2)
	v_sub_f32_e32 v17, v98, v17
	v_sub_f32_e32 v15, v99, v97
	s_delay_alu instid0(VALU_DEP_1) | instskip(NEXT) | instid1(VALU_DEP_1)
	v_dual_add_f32 v12, v12, v17 :: v_dual_sub_f32 v13, v13, v15
	v_add_f32_e32 v12, v12, v13
	s_delay_alu instid0(VALU_DEP_1) | instskip(NEXT) | instid1(VALU_DEP_1)
	v_add_f32_e32 v12, v99, v12
	v_cndmask_b32_e32 v97, v12, v14, vcc_lo
.LBB31_90:                              ;   in Loop: Header=BB31_12 Depth=1
	s_or_b32 exec_lo, exec_lo, s30
	s_waitcnt lgkmcnt(0)
	v_lshlrev_b32_e32 v12, 16, v8
	s_delay_alu instid0(VALU_DEP_1) | instskip(NEXT) | instid1(VALU_DEP_1)
	v_add_f32_e32 v98, s69, v12
	v_cmp_ge_f32_e32 vcc_lo, 0x41a00000, v98
	s_and_b32 s29, s80, vcc_lo
	s_delay_alu instid0(SALU_CYCLE_1)
	s_and_saveexec_b32 s30, s29
	s_cbranch_execz .LBB31_92
; %bb.91:                               ;   in Loop: Header=BB31_12 Depth=1
	v_mul_f32_e32 v12, 0x3fb8aa3b, v98
	v_cmp_ngt_f32_e32 vcc_lo, 0xc2ce8ed0, v98
	s_delay_alu instid0(VALU_DEP_2) | instskip(SKIP_1) | instid1(VALU_DEP_2)
	v_rndne_f32_e32 v13, v12
	v_fma_f32 v14, 0x3fb8aa3b, v98, -v12
	v_sub_f32_e32 v12, v12, v13
	s_delay_alu instid0(VALU_DEP_2) | instskip(SKIP_1) | instid1(VALU_DEP_2)
	v_fmac_f32_e32 v14, 0x32a5705f, v98
	v_cvt_i32_f32_e32 v13, v13
	v_add_f32_e32 v12, v12, v14
	s_delay_alu instid0(VALU_DEP_1) | instskip(SKIP_2) | instid1(VALU_DEP_1)
	v_exp_f32_e32 v12, v12
	s_waitcnt_depctr 0xfff
	v_ldexp_f32 v12, v12, v13
	v_cndmask_b32_e32 v12, 0, v12, vcc_lo
	v_cmp_nlt_f32_e32 vcc_lo, 0x42b17218, v98
	s_delay_alu instid0(VALU_DEP_2) | instskip(NEXT) | instid1(VALU_DEP_1)
	v_cndmask_b32_e32 v14, 0x7f800000, v12, vcc_lo
	v_add_f32_e32 v15, 1.0, v14
	s_delay_alu instid0(VALU_DEP_1) | instskip(NEXT) | instid1(VALU_DEP_1)
	v_cvt_f64_f32_e32 v[12:13], v15
	v_frexp_exp_i32_f64_e32 v12, v[12:13]
	v_frexp_mant_f32_e32 v13, v15
	s_delay_alu instid0(VALU_DEP_1) | instskip(SKIP_1) | instid1(VALU_DEP_1)
	v_cmp_gt_f32_e32 vcc_lo, 0x3f2aaaab, v13
	v_add_f32_e32 v13, -1.0, v15
	v_dual_sub_f32 v98, v13, v15 :: v_dual_sub_f32 v13, v14, v13
	s_delay_alu instid0(VALU_DEP_1) | instskip(NEXT) | instid1(VALU_DEP_1)
	v_add_f32_e32 v98, 1.0, v98
	v_add_f32_e32 v13, v13, v98
	v_subrev_co_ci_u32_e32 v12, vcc_lo, 0, v12, vcc_lo
	s_delay_alu instid0(VALU_DEP_1) | instskip(SKIP_1) | instid1(VALU_DEP_2)
	v_sub_nc_u32_e32 v17, 0, v12
	v_cvt_f32_i32_e32 v12, v12
	v_ldexp_f32 v15, v15, v17
	v_ldexp_f32 v13, v13, v17
	s_delay_alu instid0(VALU_DEP_2) | instskip(SKIP_3) | instid1(VALU_DEP_4)
	v_add_f32_e32 v99, 1.0, v15
	v_add_f32_e32 v17, -1.0, v15
	v_cmp_eq_f32_e32 vcc_lo, 0x7f800000, v14
	v_cmp_gt_f32_e64 s29, 0x33800000, v14
	v_add_f32_e32 v98, -1.0, v99
	s_delay_alu instid0(VALU_DEP_4) | instskip(NEXT) | instid1(VALU_DEP_3)
	v_add_f32_e32 v100, 1.0, v17
	s_or_b32 vcc_lo, s29, vcc_lo
	s_delay_alu instid0(VALU_DEP_2) | instskip(NEXT) | instid1(VALU_DEP_1)
	v_sub_f32_e32 v98, v15, v98
	v_dual_sub_f32 v15, v15, v100 :: v_dual_add_f32 v98, v13, v98
	s_delay_alu instid0(VALU_DEP_1) | instskip(NEXT) | instid1(VALU_DEP_1)
	v_add_f32_e32 v13, v13, v15
	v_dual_add_f32 v101, v17, v13 :: v_dual_add_f32 v100, v99, v98
	s_delay_alu instid0(VALU_DEP_1) | instskip(NEXT) | instid1(VALU_DEP_2)
	v_sub_f32_e32 v17, v17, v101
	v_rcp_f32_e32 v15, v100
	v_sub_f32_e32 v99, v99, v100
	s_delay_alu instid0(VALU_DEP_1) | instskip(SKIP_2) | instid1(VALU_DEP_1)
	v_dual_add_f32 v98, v98, v99 :: v_dual_add_f32 v13, v13, v17
	s_waitcnt_depctr 0xfff
	v_mul_f32_e32 v102, v101, v15
	v_mul_f32_e32 v103, v100, v102
	s_delay_alu instid0(VALU_DEP_1) | instskip(NEXT) | instid1(VALU_DEP_1)
	v_fma_f32 v99, v102, v100, -v103
	v_fmac_f32_e32 v99, v102, v98
	s_delay_alu instid0(VALU_DEP_1) | instskip(NEXT) | instid1(VALU_DEP_1)
	v_add_f32_e32 v104, v103, v99
	v_sub_f32_e32 v105, v101, v104
	s_delay_alu instid0(VALU_DEP_1) | instskip(SKIP_1) | instid1(VALU_DEP_2)
	v_sub_f32_e32 v101, v101, v105
	v_sub_f32_e32 v17, v104, v103
	;; [unrolled: 1-line block ×3, first 2 shown]
	s_delay_alu instid0(VALU_DEP_2) | instskip(NEXT) | instid1(VALU_DEP_2)
	v_sub_f32_e32 v17, v17, v99
	v_add_f32_e32 v13, v13, v101
	s_delay_alu instid0(VALU_DEP_1) | instskip(NEXT) | instid1(VALU_DEP_1)
	v_add_f32_e32 v13, v17, v13
	v_add_f32_e32 v17, v105, v13
	s_delay_alu instid0(VALU_DEP_1) | instskip(NEXT) | instid1(VALU_DEP_1)
	v_mul_f32_e32 v99, v15, v17
	v_dual_sub_f32 v104, v105, v17 :: v_dual_mul_f32 v101, v100, v99
	s_delay_alu instid0(VALU_DEP_1) | instskip(NEXT) | instid1(VALU_DEP_2)
	v_add_f32_e32 v13, v13, v104
	v_fma_f32 v100, v99, v100, -v101
	s_delay_alu instid0(VALU_DEP_1) | instskip(NEXT) | instid1(VALU_DEP_1)
	v_fmac_f32_e32 v100, v99, v98
	v_add_f32_e32 v98, v101, v100
	s_delay_alu instid0(VALU_DEP_1) | instskip(NEXT) | instid1(VALU_DEP_1)
	v_sub_f32_e32 v103, v17, v98
	v_sub_f32_e32 v17, v17, v103
	s_delay_alu instid0(VALU_DEP_1) | instskip(NEXT) | instid1(VALU_DEP_1)
	v_sub_f32_e32 v17, v17, v98
	v_add_f32_e32 v13, v13, v17
	v_add_f32_e32 v17, v102, v99
	v_sub_f32_e32 v101, v98, v101
	s_delay_alu instid0(VALU_DEP_1) | instskip(NEXT) | instid1(VALU_DEP_1)
	v_sub_f32_e32 v98, v101, v100
	v_dual_add_f32 v13, v98, v13 :: v_dual_sub_f32 v98, v17, v102
	s_delay_alu instid0(VALU_DEP_1) | instskip(NEXT) | instid1(VALU_DEP_2)
	v_add_f32_e32 v13, v103, v13
	v_sub_f32_e32 v98, v99, v98
	s_delay_alu instid0(VALU_DEP_2) | instskip(NEXT) | instid1(VALU_DEP_1)
	v_mul_f32_e32 v13, v15, v13
	v_add_f32_e32 v13, v98, v13
	s_delay_alu instid0(VALU_DEP_1) | instskip(NEXT) | instid1(VALU_DEP_1)
	v_add_f32_e32 v15, v17, v13
	v_mul_f32_e32 v98, v15, v15
	s_delay_alu instid0(VALU_DEP_1) | instskip(SKIP_1) | instid1(VALU_DEP_2)
	v_fmaak_f32 v99, s84, v98, 0x3ecc95a3
	v_mul_f32_e32 v100, v15, v98
	v_fmaak_f32 v98, v98, v99, 0x3f2aaada
	v_ldexp_f32 v99, v15, 1
	s_delay_alu instid0(VALU_DEP_2) | instskip(NEXT) | instid1(VALU_DEP_1)
	v_dual_sub_f32 v15, v15, v17 :: v_dual_mul_f32 v98, v100, v98
	v_dual_mul_f32 v100, 0x3f317218, v12 :: v_dual_sub_f32 v13, v13, v15
	s_delay_alu instid0(VALU_DEP_2) | instskip(NEXT) | instid1(VALU_DEP_2)
	v_add_f32_e32 v17, v99, v98
	v_ldexp_f32 v13, v13, 1
	s_delay_alu instid0(VALU_DEP_2) | instskip(NEXT) | instid1(VALU_DEP_4)
	v_sub_f32_e32 v15, v17, v99
	v_fma_f32 v99, 0x3f317218, v12, -v100
	s_delay_alu instid0(VALU_DEP_2) | instskip(NEXT) | instid1(VALU_DEP_1)
	v_sub_f32_e32 v15, v98, v15
	v_dual_fmac_f32 v99, 0xb102e308, v12 :: v_dual_add_f32 v12, v13, v15
	s_delay_alu instid0(VALU_DEP_1) | instskip(NEXT) | instid1(VALU_DEP_2)
	v_add_f32_e32 v13, v100, v99
	v_add_f32_e32 v15, v17, v12
	s_delay_alu instid0(VALU_DEP_2) | instskip(NEXT) | instid1(VALU_DEP_2)
	v_sub_f32_e32 v100, v13, v100
	v_dual_add_f32 v98, v13, v15 :: v_dual_sub_f32 v17, v15, v17
	s_delay_alu instid0(VALU_DEP_2) | instskip(NEXT) | instid1(VALU_DEP_2)
	v_sub_f32_e32 v99, v99, v100
	v_sub_f32_e32 v101, v98, v13
	s_delay_alu instid0(VALU_DEP_3) | instskip(NEXT) | instid1(VALU_DEP_2)
	v_sub_f32_e32 v12, v12, v17
	v_sub_f32_e32 v102, v98, v101
	;; [unrolled: 1-line block ×3, first 2 shown]
	s_delay_alu instid0(VALU_DEP_3) | instskip(NEXT) | instid1(VALU_DEP_3)
	v_add_f32_e32 v17, v99, v12
	v_sub_f32_e32 v13, v13, v102
	s_delay_alu instid0(VALU_DEP_1) | instskip(NEXT) | instid1(VALU_DEP_3)
	v_add_f32_e32 v13, v15, v13
	v_sub_f32_e32 v15, v17, v99
	s_delay_alu instid0(VALU_DEP_2) | instskip(NEXT) | instid1(VALU_DEP_2)
	v_add_f32_e32 v13, v17, v13
	v_sub_f32_e32 v17, v17, v15
	v_sub_f32_e32 v12, v12, v15
	s_delay_alu instid0(VALU_DEP_3) | instskip(NEXT) | instid1(VALU_DEP_3)
	v_add_f32_e32 v100, v98, v13
	v_sub_f32_e32 v17, v99, v17
	s_delay_alu instid0(VALU_DEP_2) | instskip(NEXT) | instid1(VALU_DEP_1)
	v_sub_f32_e32 v15, v100, v98
	v_dual_add_f32 v12, v12, v17 :: v_dual_sub_f32 v13, v13, v15
	s_delay_alu instid0(VALU_DEP_1) | instskip(NEXT) | instid1(VALU_DEP_1)
	v_add_f32_e32 v12, v12, v13
	v_add_f32_e32 v12, v100, v12
	s_delay_alu instid0(VALU_DEP_1)
	v_cndmask_b32_e32 v98, v12, v14, vcc_lo
.LBB31_92:                              ;   in Loop: Header=BB31_12 Depth=1
	s_or_b32 exec_lo, exec_lo, s30
	v_and_b32_e32 v8, 0xffff0000, v8
	s_delay_alu instid0(VALU_DEP_1) | instskip(NEXT) | instid1(VALU_DEP_1)
	v_add_f32_e32 v99, s69, v8
	v_cmp_ge_f32_e32 vcc_lo, 0x41a00000, v99
	s_and_b32 s29, s80, vcc_lo
	s_delay_alu instid0(SALU_CYCLE_1)
	s_and_saveexec_b32 s30, s29
	s_cbranch_execz .LBB31_94
; %bb.93:                               ;   in Loop: Header=BB31_12 Depth=1
	v_mul_f32_e32 v8, 0x3fb8aa3b, v99
	v_cmp_ngt_f32_e32 vcc_lo, 0xc2ce8ed0, v99
	s_delay_alu instid0(VALU_DEP_2) | instskip(SKIP_1) | instid1(VALU_DEP_1)
	v_rndne_f32_e32 v12, v8
	v_fma_f32 v13, 0x3fb8aa3b, v99, -v8
	v_dual_sub_f32 v8, v8, v12 :: v_dual_fmac_f32 v13, 0x32a5705f, v99
	v_cvt_i32_f32_e32 v12, v12
	s_delay_alu instid0(VALU_DEP_2) | instskip(NEXT) | instid1(VALU_DEP_1)
	v_add_f32_e32 v8, v8, v13
	v_exp_f32_e32 v8, v8
	s_waitcnt_depctr 0xfff
	v_ldexp_f32 v8, v8, v12
	s_delay_alu instid0(VALU_DEP_1) | instskip(SKIP_1) | instid1(VALU_DEP_2)
	v_cndmask_b32_e32 v8, 0, v8, vcc_lo
	v_cmp_nlt_f32_e32 vcc_lo, 0x42b17218, v99
	v_cndmask_b32_e32 v8, 0x7f800000, v8, vcc_lo
	s_delay_alu instid0(VALU_DEP_1) | instskip(NEXT) | instid1(VALU_DEP_1)
	v_add_f32_e32 v14, 1.0, v8
	v_cvt_f64_f32_e32 v[12:13], v14
	s_delay_alu instid0(VALU_DEP_1) | instskip(SKIP_1) | instid1(VALU_DEP_1)
	v_frexp_exp_i32_f64_e32 v12, v[12:13]
	v_frexp_mant_f32_e32 v13, v14
	v_cmp_gt_f32_e32 vcc_lo, 0x3f2aaaab, v13
	v_add_f32_e32 v13, -1.0, v14
	s_delay_alu instid0(VALU_DEP_1) | instskip(NEXT) | instid1(VALU_DEP_1)
	v_sub_f32_e32 v17, v13, v14
	v_add_f32_e32 v17, 1.0, v17
	v_subrev_co_ci_u32_e32 v12, vcc_lo, 0, v12, vcc_lo
	s_delay_alu instid0(VALU_DEP_1) | instskip(SKIP_1) | instid1(VALU_DEP_2)
	v_sub_nc_u32_e32 v15, 0, v12
	v_cvt_f32_i32_e32 v12, v12
	v_ldexp_f32 v14, v14, v15
	s_delay_alu instid0(VALU_DEP_1) | instskip(SKIP_3) | instid1(VALU_DEP_3)
	v_add_f32_e32 v99, 1.0, v14
	v_sub_f32_e32 v13, v8, v13
	v_cmp_eq_f32_e32 vcc_lo, 0x7f800000, v8
	v_cmp_gt_f32_e64 s29, 0x33800000, v8
	v_add_f32_e32 v13, v13, v17
	s_delay_alu instid0(VALU_DEP_2) | instskip(NEXT) | instid1(VALU_DEP_1)
	s_or_b32 vcc_lo, s29, vcc_lo
	v_ldexp_f32 v13, v13, v15
	v_add_f32_e32 v15, -1.0, v14
	s_delay_alu instid0(VALU_DEP_1) | instskip(SKIP_1) | instid1(VALU_DEP_1)
	v_add_f32_e32 v100, 1.0, v15
	v_add_f32_e32 v17, -1.0, v99
	v_sub_f32_e32 v17, v14, v17
	s_delay_alu instid0(VALU_DEP_1) | instskip(NEXT) | instid1(VALU_DEP_1)
	v_dual_sub_f32 v14, v14, v100 :: v_dual_add_f32 v17, v13, v17
	v_add_f32_e32 v100, v99, v17
	s_delay_alu instid0(VALU_DEP_1) | instskip(NEXT) | instid1(VALU_DEP_1)
	v_sub_f32_e32 v99, v99, v100
	v_add_f32_e32 v17, v17, v99
	s_delay_alu instid0(VALU_DEP_4) | instskip(SKIP_1) | instid1(VALU_DEP_1)
	v_add_f32_e32 v13, v13, v14
	v_rcp_f32_e32 v14, v100
	v_add_f32_e32 v101, v15, v13
	s_waitcnt_depctr 0xfff
	v_dual_sub_f32 v15, v15, v101 :: v_dual_mul_f32 v102, v101, v14
	s_delay_alu instid0(VALU_DEP_1) | instskip(NEXT) | instid1(VALU_DEP_2)
	v_add_f32_e32 v13, v13, v15
	v_mul_f32_e32 v103, v100, v102
	s_delay_alu instid0(VALU_DEP_1) | instskip(NEXT) | instid1(VALU_DEP_1)
	v_fma_f32 v99, v102, v100, -v103
	v_fmac_f32_e32 v99, v102, v17
	s_delay_alu instid0(VALU_DEP_1) | instskip(NEXT) | instid1(VALU_DEP_1)
	v_add_f32_e32 v104, v103, v99
	v_sub_f32_e32 v105, v101, v104
	v_sub_f32_e32 v15, v104, v103
	s_delay_alu instid0(VALU_DEP_2) | instskip(NEXT) | instid1(VALU_DEP_2)
	v_sub_f32_e32 v101, v101, v105
	v_sub_f32_e32 v15, v15, v99
	s_delay_alu instid0(VALU_DEP_2) | instskip(NEXT) | instid1(VALU_DEP_1)
	v_sub_f32_e32 v101, v101, v104
	v_add_f32_e32 v13, v13, v101
	s_delay_alu instid0(VALU_DEP_1) | instskip(NEXT) | instid1(VALU_DEP_1)
	v_add_f32_e32 v13, v15, v13
	v_add_f32_e32 v15, v105, v13
	s_delay_alu instid0(VALU_DEP_1) | instskip(SKIP_1) | instid1(VALU_DEP_2)
	v_mul_f32_e32 v99, v14, v15
	v_sub_f32_e32 v104, v105, v15
	v_mul_f32_e32 v101, v100, v99
	s_delay_alu instid0(VALU_DEP_2) | instskip(NEXT) | instid1(VALU_DEP_2)
	v_add_f32_e32 v13, v13, v104
	v_fma_f32 v100, v99, v100, -v101
	s_delay_alu instid0(VALU_DEP_1) | instskip(NEXT) | instid1(VALU_DEP_1)
	v_fmac_f32_e32 v100, v99, v17
	v_add_f32_e32 v17, v101, v100
	s_delay_alu instid0(VALU_DEP_1) | instskip(SKIP_1) | instid1(VALU_DEP_2)
	v_sub_f32_e32 v103, v15, v17
	v_sub_f32_e32 v101, v17, v101
	;; [unrolled: 1-line block ×3, first 2 shown]
	s_delay_alu instid0(VALU_DEP_1) | instskip(NEXT) | instid1(VALU_DEP_3)
	v_sub_f32_e32 v15, v15, v17
	v_sub_f32_e32 v17, v101, v100
	s_delay_alu instid0(VALU_DEP_2) | instskip(SKIP_1) | instid1(VALU_DEP_2)
	v_add_f32_e32 v13, v13, v15
	v_add_f32_e32 v15, v102, v99
	v_add_f32_e32 v13, v17, v13
	s_delay_alu instid0(VALU_DEP_2) | instskip(NEXT) | instid1(VALU_DEP_2)
	v_sub_f32_e32 v17, v15, v102
	v_add_f32_e32 v13, v103, v13
	s_delay_alu instid0(VALU_DEP_2) | instskip(NEXT) | instid1(VALU_DEP_2)
	v_sub_f32_e32 v17, v99, v17
	v_mul_f32_e32 v13, v14, v13
	s_delay_alu instid0(VALU_DEP_1) | instskip(NEXT) | instid1(VALU_DEP_1)
	v_add_f32_e32 v13, v17, v13
	v_add_f32_e32 v14, v15, v13
	s_delay_alu instid0(VALU_DEP_1) | instskip(NEXT) | instid1(VALU_DEP_1)
	v_mul_f32_e32 v17, v14, v14
	v_fmaak_f32 v99, s84, v17, 0x3ecc95a3
	s_delay_alu instid0(VALU_DEP_1) | instskip(SKIP_1) | instid1(VALU_DEP_2)
	v_dual_mul_f32 v100, v14, v17 :: v_dual_fmaak_f32 v17, v17, v99, 0x3f2aaada
	v_ldexp_f32 v99, v14, 1
	v_dual_sub_f32 v14, v14, v15 :: v_dual_mul_f32 v17, v100, v17
	s_delay_alu instid0(VALU_DEP_1) | instskip(NEXT) | instid1(VALU_DEP_2)
	v_dual_mul_f32 v100, 0x3f317218, v12 :: v_dual_sub_f32 v13, v13, v14
	v_add_f32_e32 v15, v99, v17
	s_delay_alu instid0(VALU_DEP_2) | instskip(NEXT) | instid1(VALU_DEP_2)
	v_ldexp_f32 v13, v13, 1
	v_sub_f32_e32 v14, v15, v99
	s_delay_alu instid0(VALU_DEP_4) | instskip(NEXT) | instid1(VALU_DEP_1)
	v_fma_f32 v99, 0x3f317218, v12, -v100
	v_dual_sub_f32 v14, v17, v14 :: v_dual_fmac_f32 v99, 0xb102e308, v12
	s_delay_alu instid0(VALU_DEP_1) | instskip(NEXT) | instid1(VALU_DEP_1)
	v_dual_add_f32 v12, v13, v14 :: v_dual_add_f32 v13, v100, v99
	v_add_f32_e32 v14, v15, v12
	s_delay_alu instid0(VALU_DEP_2) | instskip(NEXT) | instid1(VALU_DEP_2)
	v_sub_f32_e32 v100, v13, v100
	v_add_f32_e32 v17, v13, v14
	v_sub_f32_e32 v15, v14, v15
	s_delay_alu instid0(VALU_DEP_3) | instskip(NEXT) | instid1(VALU_DEP_2)
	v_sub_f32_e32 v99, v99, v100
	v_dual_sub_f32 v101, v17, v13 :: v_dual_sub_f32 v12, v12, v15
	s_delay_alu instid0(VALU_DEP_1) | instskip(NEXT) | instid1(VALU_DEP_2)
	v_sub_f32_e32 v102, v17, v101
	v_dual_sub_f32 v14, v14, v101 :: v_dual_add_f32 v15, v99, v12
	s_delay_alu instid0(VALU_DEP_2) | instskip(NEXT) | instid1(VALU_DEP_1)
	v_sub_f32_e32 v13, v13, v102
	v_dual_add_f32 v13, v14, v13 :: v_dual_sub_f32 v14, v15, v99
	s_delay_alu instid0(VALU_DEP_1) | instskip(NEXT) | instid1(VALU_DEP_2)
	v_add_f32_e32 v13, v15, v13
	v_sub_f32_e32 v15, v15, v14
	v_sub_f32_e32 v12, v12, v14
	s_delay_alu instid0(VALU_DEP_2) | instskip(NEXT) | instid1(VALU_DEP_1)
	v_dual_add_f32 v100, v17, v13 :: v_dual_sub_f32 v15, v99, v15
	v_sub_f32_e32 v14, v100, v17
	s_delay_alu instid0(VALU_DEP_1) | instskip(NEXT) | instid1(VALU_DEP_1)
	v_dual_add_f32 v12, v12, v15 :: v_dual_sub_f32 v13, v13, v14
	v_add_f32_e32 v12, v12, v13
	s_delay_alu instid0(VALU_DEP_1) | instskip(NEXT) | instid1(VALU_DEP_1)
	v_add_f32_e32 v12, v100, v12
	v_cndmask_b32_e32 v99, v12, v8, vcc_lo
.LBB31_94:                              ;   in Loop: Header=BB31_12 Depth=1
	s_or_b32 exec_lo, exec_lo, s30
	v_lshlrev_b32_e32 v8, 16, v9
	s_delay_alu instid0(VALU_DEP_1) | instskip(NEXT) | instid1(VALU_DEP_1)
	v_add_f32_e32 v100, s69, v8
	v_cmp_ge_f32_e32 vcc_lo, 0x41a00000, v100
	s_and_b32 s29, s80, vcc_lo
	s_delay_alu instid0(SALU_CYCLE_1)
	s_and_saveexec_b32 s30, s29
	s_cbranch_execz .LBB31_96
; %bb.95:                               ;   in Loop: Header=BB31_12 Depth=1
	v_mul_f32_e32 v8, 0x3fb8aa3b, v100
	v_cmp_ngt_f32_e32 vcc_lo, 0xc2ce8ed0, v100
	s_delay_alu instid0(VALU_DEP_2) | instskip(SKIP_1) | instid1(VALU_DEP_2)
	v_rndne_f32_e32 v12, v8
	v_fma_f32 v13, 0x3fb8aa3b, v100, -v8
	v_sub_f32_e32 v8, v8, v12
	s_delay_alu instid0(VALU_DEP_2) | instskip(SKIP_1) | instid1(VALU_DEP_2)
	v_fmac_f32_e32 v13, 0x32a5705f, v100
	v_cvt_i32_f32_e32 v12, v12
	v_add_f32_e32 v8, v8, v13
	s_delay_alu instid0(VALU_DEP_1) | instskip(SKIP_2) | instid1(VALU_DEP_1)
	v_exp_f32_e32 v8, v8
	s_waitcnt_depctr 0xfff
	v_ldexp_f32 v8, v8, v12
	v_cndmask_b32_e32 v8, 0, v8, vcc_lo
	v_cmp_nlt_f32_e32 vcc_lo, 0x42b17218, v100
	s_delay_alu instid0(VALU_DEP_2) | instskip(NEXT) | instid1(VALU_DEP_1)
	v_cndmask_b32_e32 v8, 0x7f800000, v8, vcc_lo
	v_add_f32_e32 v14, 1.0, v8
	s_delay_alu instid0(VALU_DEP_1) | instskip(NEXT) | instid1(VALU_DEP_1)
	v_cvt_f64_f32_e32 v[12:13], v14
	v_frexp_exp_i32_f64_e32 v12, v[12:13]
	v_frexp_mant_f32_e32 v13, v14
	s_delay_alu instid0(VALU_DEP_1) | instskip(SKIP_1) | instid1(VALU_DEP_1)
	v_cmp_gt_f32_e32 vcc_lo, 0x3f2aaaab, v13
	v_add_f32_e32 v13, -1.0, v14
	v_sub_f32_e32 v17, v13, v14
	v_sub_f32_e32 v13, v8, v13
	s_delay_alu instid0(VALU_DEP_2) | instskip(NEXT) | instid1(VALU_DEP_1)
	v_add_f32_e32 v17, 1.0, v17
	v_add_f32_e32 v13, v13, v17
	v_cmp_gt_f32_e64 s29, 0x33800000, v8
	v_subrev_co_ci_u32_e32 v12, vcc_lo, 0, v12, vcc_lo
	v_cmp_eq_f32_e32 vcc_lo, 0x7f800000, v8
	s_delay_alu instid0(VALU_DEP_2) | instskip(SKIP_2) | instid1(VALU_DEP_2)
	v_sub_nc_u32_e32 v15, 0, v12
	v_cvt_f32_i32_e32 v12, v12
	s_or_b32 vcc_lo, s29, vcc_lo
	v_ldexp_f32 v14, v14, v15
	v_ldexp_f32 v13, v13, v15
	s_delay_alu instid0(VALU_DEP_2) | instskip(SKIP_1) | instid1(VALU_DEP_2)
	v_add_f32_e32 v100, 1.0, v14
	v_add_f32_e32 v15, -1.0, v14
	v_add_f32_e32 v17, -1.0, v100
	s_delay_alu instid0(VALU_DEP_2) | instskip(NEXT) | instid1(VALU_DEP_2)
	v_add_f32_e32 v101, 1.0, v15
	v_sub_f32_e32 v17, v14, v17
	s_delay_alu instid0(VALU_DEP_2) | instskip(NEXT) | instid1(VALU_DEP_2)
	v_sub_f32_e32 v14, v14, v101
	v_add_f32_e32 v17, v13, v17
	s_delay_alu instid0(VALU_DEP_1) | instskip(NEXT) | instid1(VALU_DEP_1)
	v_add_f32_e32 v101, v100, v17
	v_dual_add_f32 v13, v13, v14 :: v_dual_sub_f32 v100, v100, v101
	v_rcp_f32_e32 v14, v101
	s_delay_alu instid0(VALU_DEP_1) | instskip(NEXT) | instid1(VALU_DEP_1)
	v_dual_add_f32 v102, v15, v13 :: v_dual_add_f32 v17, v17, v100
	v_sub_f32_e32 v15, v15, v102
	s_waitcnt_depctr 0xfff
	v_mul_f32_e32 v103, v102, v14
	v_add_f32_e32 v13, v13, v15
	s_delay_alu instid0(VALU_DEP_2) | instskip(NEXT) | instid1(VALU_DEP_1)
	v_mul_f32_e32 v104, v101, v103
	v_fma_f32 v100, v103, v101, -v104
	s_delay_alu instid0(VALU_DEP_1) | instskip(NEXT) | instid1(VALU_DEP_1)
	v_fmac_f32_e32 v100, v103, v17
	v_add_f32_e32 v105, v104, v100
	s_delay_alu instid0(VALU_DEP_1) | instskip(NEXT) | instid1(VALU_DEP_1)
	v_dual_sub_f32 v106, v102, v105 :: v_dual_sub_f32 v15, v105, v104
	v_dual_sub_f32 v102, v102, v106 :: v_dual_sub_f32 v15, v15, v100
	s_delay_alu instid0(VALU_DEP_1) | instskip(NEXT) | instid1(VALU_DEP_1)
	v_sub_f32_e32 v102, v102, v105
	v_add_f32_e32 v13, v13, v102
	s_delay_alu instid0(VALU_DEP_1) | instskip(NEXT) | instid1(VALU_DEP_1)
	v_add_f32_e32 v13, v15, v13
	v_add_f32_e32 v15, v106, v13
	s_delay_alu instid0(VALU_DEP_1) | instskip(NEXT) | instid1(VALU_DEP_1)
	v_mul_f32_e32 v100, v14, v15
	v_dual_sub_f32 v105, v106, v15 :: v_dual_mul_f32 v102, v101, v100
	s_delay_alu instid0(VALU_DEP_1) | instskip(NEXT) | instid1(VALU_DEP_2)
	v_add_f32_e32 v13, v13, v105
	v_fma_f32 v101, v100, v101, -v102
	s_delay_alu instid0(VALU_DEP_1) | instskip(NEXT) | instid1(VALU_DEP_1)
	v_fmac_f32_e32 v101, v100, v17
	v_add_f32_e32 v17, v102, v101
	s_delay_alu instid0(VALU_DEP_1) | instskip(NEXT) | instid1(VALU_DEP_1)
	v_sub_f32_e32 v104, v15, v17
	v_dual_sub_f32 v102, v17, v102 :: v_dual_sub_f32 v15, v15, v104
	s_delay_alu instid0(VALU_DEP_1) | instskip(NEXT) | instid1(VALU_DEP_2)
	v_sub_f32_e32 v15, v15, v17
	v_sub_f32_e32 v17, v102, v101
	s_delay_alu instid0(VALU_DEP_2) | instskip(SKIP_1) | instid1(VALU_DEP_2)
	v_add_f32_e32 v13, v13, v15
	v_add_f32_e32 v15, v103, v100
	;; [unrolled: 1-line block ×3, first 2 shown]
	s_delay_alu instid0(VALU_DEP_2) | instskip(NEXT) | instid1(VALU_DEP_2)
	v_sub_f32_e32 v17, v15, v103
	v_add_f32_e32 v13, v104, v13
	s_delay_alu instid0(VALU_DEP_2) | instskip(NEXT) | instid1(VALU_DEP_2)
	v_sub_f32_e32 v17, v100, v17
	v_mul_f32_e32 v13, v14, v13
	s_delay_alu instid0(VALU_DEP_1) | instskip(NEXT) | instid1(VALU_DEP_1)
	v_add_f32_e32 v13, v17, v13
	v_add_f32_e32 v14, v15, v13
	s_delay_alu instid0(VALU_DEP_1) | instskip(NEXT) | instid1(VALU_DEP_1)
	v_mul_f32_e32 v17, v14, v14
	v_fmaak_f32 v100, s84, v17, 0x3ecc95a3
	v_mul_f32_e32 v101, v14, v17
	s_delay_alu instid0(VALU_DEP_2) | instskip(SKIP_1) | instid1(VALU_DEP_2)
	v_fmaak_f32 v17, v17, v100, 0x3f2aaada
	v_ldexp_f32 v100, v14, 1
	v_dual_sub_f32 v14, v14, v15 :: v_dual_mul_f32 v17, v101, v17
	v_mul_f32_e32 v101, 0x3f317218, v12
	s_delay_alu instid0(VALU_DEP_2) | instskip(NEXT) | instid1(VALU_DEP_3)
	v_sub_f32_e32 v13, v13, v14
	v_add_f32_e32 v15, v100, v17
	s_delay_alu instid0(VALU_DEP_2) | instskip(NEXT) | instid1(VALU_DEP_2)
	v_ldexp_f32 v13, v13, 1
	v_sub_f32_e32 v14, v15, v100
	v_fma_f32 v100, 0x3f317218, v12, -v101
	s_delay_alu instid0(VALU_DEP_2) | instskip(NEXT) | instid1(VALU_DEP_2)
	v_sub_f32_e32 v14, v17, v14
	v_fmac_f32_e32 v100, 0xb102e308, v12
	s_delay_alu instid0(VALU_DEP_2) | instskip(NEXT) | instid1(VALU_DEP_2)
	v_add_f32_e32 v12, v13, v14
	v_add_f32_e32 v13, v101, v100
	s_delay_alu instid0(VALU_DEP_1) | instskip(NEXT) | instid1(VALU_DEP_1)
	v_dual_add_f32 v14, v15, v12 :: v_dual_sub_f32 v101, v13, v101
	v_add_f32_e32 v17, v13, v14
	s_delay_alu instid0(VALU_DEP_2) | instskip(NEXT) | instid1(VALU_DEP_2)
	v_dual_sub_f32 v15, v14, v15 :: v_dual_sub_f32 v100, v100, v101
	v_sub_f32_e32 v102, v17, v13
	s_delay_alu instid0(VALU_DEP_1) | instskip(NEXT) | instid1(VALU_DEP_1)
	v_dual_sub_f32 v12, v12, v15 :: v_dual_sub_f32 v103, v17, v102
	v_dual_sub_f32 v14, v14, v102 :: v_dual_add_f32 v15, v100, v12
	s_delay_alu instid0(VALU_DEP_2) | instskip(NEXT) | instid1(VALU_DEP_1)
	v_sub_f32_e32 v13, v13, v103
	v_dual_add_f32 v13, v14, v13 :: v_dual_sub_f32 v14, v15, v100
	s_delay_alu instid0(VALU_DEP_1) | instskip(NEXT) | instid1(VALU_DEP_2)
	v_add_f32_e32 v13, v15, v13
	v_sub_f32_e32 v15, v15, v14
	s_delay_alu instid0(VALU_DEP_2) | instskip(NEXT) | instid1(VALU_DEP_1)
	v_dual_sub_f32 v12, v12, v14 :: v_dual_add_f32 v101, v17, v13
	v_dual_sub_f32 v15, v100, v15 :: v_dual_sub_f32 v14, v101, v17
	s_delay_alu instid0(VALU_DEP_1) | instskip(NEXT) | instid1(VALU_DEP_1)
	v_dual_add_f32 v12, v12, v15 :: v_dual_sub_f32 v13, v13, v14
	v_add_f32_e32 v12, v12, v13
	s_delay_alu instid0(VALU_DEP_1) | instskip(NEXT) | instid1(VALU_DEP_1)
	v_add_f32_e32 v12, v101, v12
	v_cndmask_b32_e32 v100, v12, v8, vcc_lo
.LBB31_96:                              ;   in Loop: Header=BB31_12 Depth=1
	s_or_b32 exec_lo, exec_lo, s30
	v_and_b32_e32 v8, 0xffff0000, v9
	s_delay_alu instid0(VALU_DEP_1) | instskip(NEXT) | instid1(VALU_DEP_1)
	v_add_f32_e32 v101, s69, v8
	v_cmp_ge_f32_e32 vcc_lo, 0x41a00000, v101
	s_and_b32 s29, s80, vcc_lo
	s_delay_alu instid0(SALU_CYCLE_1)
	s_and_saveexec_b32 s30, s29
	s_cbranch_execz .LBB31_98
; %bb.97:                               ;   in Loop: Header=BB31_12 Depth=1
	v_mul_f32_e32 v8, 0x3fb8aa3b, v101
	v_cmp_ngt_f32_e32 vcc_lo, 0xc2ce8ed0, v101
	s_delay_alu instid0(VALU_DEP_2) | instskip(SKIP_1) | instid1(VALU_DEP_2)
	v_rndne_f32_e32 v9, v8
	v_fma_f32 v12, 0x3fb8aa3b, v101, -v8
	v_sub_f32_e32 v8, v8, v9
	s_delay_alu instid0(VALU_DEP_2) | instskip(SKIP_1) | instid1(VALU_DEP_2)
	v_fmac_f32_e32 v12, 0x32a5705f, v101
	v_cvt_i32_f32_e32 v9, v9
	v_add_f32_e32 v8, v8, v12
	s_delay_alu instid0(VALU_DEP_1) | instskip(SKIP_2) | instid1(VALU_DEP_1)
	v_exp_f32_e32 v8, v8
	s_waitcnt_depctr 0xfff
	v_ldexp_f32 v8, v8, v9
	v_cndmask_b32_e32 v8, 0, v8, vcc_lo
	v_cmp_nlt_f32_e32 vcc_lo, 0x42b17218, v101
	s_delay_alu instid0(VALU_DEP_2) | instskip(NEXT) | instid1(VALU_DEP_1)
	v_cndmask_b32_e32 v12, 0x7f800000, v8, vcc_lo
	v_add_f32_e32 v13, 1.0, v12
	s_delay_alu instid0(VALU_DEP_1) | instskip(NEXT) | instid1(VALU_DEP_1)
	v_cvt_f64_f32_e32 v[8:9], v13
	v_frexp_exp_i32_f64_e32 v8, v[8:9]
	v_frexp_mant_f32_e32 v9, v13
	s_delay_alu instid0(VALU_DEP_1) | instskip(SKIP_1) | instid1(VALU_DEP_1)
	v_cmp_gt_f32_e32 vcc_lo, 0x3f2aaaab, v9
	v_add_f32_e32 v9, -1.0, v13
	v_sub_f32_e32 v15, v9, v13
	s_delay_alu instid0(VALU_DEP_1) | instskip(SKIP_1) | instid1(VALU_DEP_1)
	v_add_f32_e32 v15, 1.0, v15
	v_subrev_co_ci_u32_e32 v8, vcc_lo, 0, v8, vcc_lo
	v_sub_nc_u32_e32 v14, 0, v8
	v_cvt_f32_i32_e32 v8, v8
	s_delay_alu instid0(VALU_DEP_2) | instskip(NEXT) | instid1(VALU_DEP_1)
	v_ldexp_f32 v13, v13, v14
	v_add_f32_e32 v17, 1.0, v13
	v_sub_f32_e32 v9, v12, v9
	v_cmp_eq_f32_e32 vcc_lo, 0x7f800000, v12
	v_cmp_gt_f32_e64 s29, 0x33800000, v12
	s_delay_alu instid0(VALU_DEP_3) | instskip(NEXT) | instid1(VALU_DEP_2)
	v_add_f32_e32 v9, v9, v15
	s_or_b32 vcc_lo, s29, vcc_lo
	s_delay_alu instid0(VALU_DEP_1) | instskip(SKIP_2) | instid1(VALU_DEP_1)
	v_ldexp_f32 v9, v9, v14
	v_add_f32_e32 v14, -1.0, v13
	v_add_f32_e32 v15, -1.0, v17
	v_sub_f32_e32 v15, v13, v15
	s_delay_alu instid0(VALU_DEP_3) | instskip(NEXT) | instid1(VALU_DEP_2)
	v_add_f32_e32 v101, 1.0, v14
	v_add_f32_e32 v15, v9, v15
	s_delay_alu instid0(VALU_DEP_2) | instskip(NEXT) | instid1(VALU_DEP_2)
	v_sub_f32_e32 v13, v13, v101
	v_add_f32_e32 v101, v17, v15
	s_delay_alu instid0(VALU_DEP_2) | instskip(NEXT) | instid1(VALU_DEP_2)
	v_add_f32_e32 v9, v9, v13
	v_rcp_f32_e32 v13, v101
	s_delay_alu instid0(VALU_DEP_1) | instskip(NEXT) | instid1(VALU_DEP_1)
	v_add_f32_e32 v102, v14, v9
	v_dual_sub_f32 v17, v17, v101 :: v_dual_sub_f32 v14, v14, v102
	s_delay_alu instid0(VALU_DEP_1) | instskip(SKIP_2) | instid1(VALU_DEP_1)
	v_add_f32_e32 v15, v15, v17
	s_waitcnt_depctr 0xfff
	v_mul_f32_e32 v103, v102, v13
	v_mul_f32_e32 v104, v101, v103
	s_delay_alu instid0(VALU_DEP_1) | instskip(NEXT) | instid1(VALU_DEP_1)
	v_fma_f32 v17, v103, v101, -v104
	v_fmac_f32_e32 v17, v103, v15
	v_add_f32_e32 v9, v9, v14
	s_delay_alu instid0(VALU_DEP_2) | instskip(NEXT) | instid1(VALU_DEP_1)
	v_add_f32_e32 v105, v104, v17
	v_sub_f32_e32 v106, v102, v105
	v_sub_f32_e32 v14, v105, v104
	s_delay_alu instid0(VALU_DEP_2) | instskip(NEXT) | instid1(VALU_DEP_2)
	v_sub_f32_e32 v102, v102, v106
	v_sub_f32_e32 v14, v14, v17
	s_delay_alu instid0(VALU_DEP_2) | instskip(NEXT) | instid1(VALU_DEP_1)
	v_sub_f32_e32 v102, v102, v105
	v_add_f32_e32 v9, v9, v102
	s_delay_alu instid0(VALU_DEP_1) | instskip(NEXT) | instid1(VALU_DEP_1)
	v_add_f32_e32 v9, v14, v9
	v_add_f32_e32 v14, v106, v9
	s_delay_alu instid0(VALU_DEP_1) | instskip(NEXT) | instid1(VALU_DEP_1)
	v_mul_f32_e32 v17, v13, v14
	v_dual_sub_f32 v105, v106, v14 :: v_dual_mul_f32 v102, v101, v17
	s_delay_alu instid0(VALU_DEP_1) | instskip(NEXT) | instid1(VALU_DEP_2)
	v_add_f32_e32 v9, v9, v105
	v_fma_f32 v101, v17, v101, -v102
	s_delay_alu instid0(VALU_DEP_1) | instskip(NEXT) | instid1(VALU_DEP_1)
	v_fmac_f32_e32 v101, v17, v15
	v_add_f32_e32 v15, v102, v101
	s_delay_alu instid0(VALU_DEP_1) | instskip(SKIP_1) | instid1(VALU_DEP_2)
	v_sub_f32_e32 v104, v14, v15
	v_sub_f32_e32 v102, v15, v102
	;; [unrolled: 1-line block ×3, first 2 shown]
	s_delay_alu instid0(VALU_DEP_1) | instskip(NEXT) | instid1(VALU_DEP_1)
	v_sub_f32_e32 v14, v14, v15
	v_dual_add_f32 v9, v9, v14 :: v_dual_add_f32 v14, v103, v17
	s_delay_alu instid0(VALU_DEP_4) | instskip(NEXT) | instid1(VALU_DEP_1)
	v_sub_f32_e32 v15, v102, v101
	v_add_f32_e32 v9, v15, v9
	s_delay_alu instid0(VALU_DEP_3) | instskip(NEXT) | instid1(VALU_DEP_2)
	v_sub_f32_e32 v15, v14, v103
	v_add_f32_e32 v9, v104, v9
	s_delay_alu instid0(VALU_DEP_2) | instskip(NEXT) | instid1(VALU_DEP_2)
	v_sub_f32_e32 v15, v17, v15
	v_mul_f32_e32 v9, v13, v9
	s_delay_alu instid0(VALU_DEP_1) | instskip(NEXT) | instid1(VALU_DEP_1)
	v_add_f32_e32 v9, v15, v9
	v_add_f32_e32 v13, v14, v9
	s_delay_alu instid0(VALU_DEP_1) | instskip(NEXT) | instid1(VALU_DEP_1)
	v_mul_f32_e32 v15, v13, v13
	v_fmaak_f32 v17, s84, v15, 0x3ecc95a3
	v_mul_f32_e32 v101, v13, v15
	s_delay_alu instid0(VALU_DEP_2) | instskip(SKIP_2) | instid1(VALU_DEP_3)
	v_fmaak_f32 v15, v15, v17, 0x3f2aaada
	v_ldexp_f32 v17, v13, 1
	v_sub_f32_e32 v13, v13, v14
	v_mul_f32_e32 v15, v101, v15
	v_mul_f32_e32 v101, 0x3f317218, v8
	s_delay_alu instid0(VALU_DEP_3) | instskip(NEXT) | instid1(VALU_DEP_3)
	v_sub_f32_e32 v9, v9, v13
	v_add_f32_e32 v14, v17, v15
	s_delay_alu instid0(VALU_DEP_2) | instskip(NEXT) | instid1(VALU_DEP_2)
	v_ldexp_f32 v9, v9, 1
	v_sub_f32_e32 v13, v14, v17
	v_fma_f32 v17, 0x3f317218, v8, -v101
	s_delay_alu instid0(VALU_DEP_2) | instskip(NEXT) | instid1(VALU_DEP_1)
	v_sub_f32_e32 v13, v15, v13
	v_dual_fmac_f32 v17, 0xb102e308, v8 :: v_dual_add_f32 v8, v9, v13
	s_delay_alu instid0(VALU_DEP_1) | instskip(NEXT) | instid1(VALU_DEP_2)
	v_add_f32_e32 v9, v101, v17
	v_add_f32_e32 v13, v14, v8
	s_delay_alu instid0(VALU_DEP_2) | instskip(NEXT) | instid1(VALU_DEP_2)
	v_sub_f32_e32 v101, v9, v101
	v_add_f32_e32 v15, v9, v13
	v_sub_f32_e32 v14, v13, v14
	s_delay_alu instid0(VALU_DEP_3) | instskip(NEXT) | instid1(VALU_DEP_3)
	v_sub_f32_e32 v17, v17, v101
	v_sub_f32_e32 v102, v15, v9
	s_delay_alu instid0(VALU_DEP_3) | instskip(NEXT) | instid1(VALU_DEP_2)
	v_sub_f32_e32 v8, v8, v14
	v_sub_f32_e32 v103, v15, v102
	;; [unrolled: 1-line block ×3, first 2 shown]
	s_delay_alu instid0(VALU_DEP_3) | instskip(NEXT) | instid1(VALU_DEP_3)
	v_add_f32_e32 v14, v17, v8
	v_sub_f32_e32 v9, v9, v103
	s_delay_alu instid0(VALU_DEP_1) | instskip(NEXT) | instid1(VALU_DEP_3)
	v_add_f32_e32 v9, v13, v9
	v_sub_f32_e32 v13, v14, v17
	s_delay_alu instid0(VALU_DEP_2) | instskip(NEXT) | instid1(VALU_DEP_2)
	v_add_f32_e32 v9, v14, v9
	v_sub_f32_e32 v14, v14, v13
	v_sub_f32_e32 v8, v8, v13
	s_delay_alu instid0(VALU_DEP_2) | instskip(NEXT) | instid1(VALU_DEP_1)
	v_dual_add_f32 v101, v15, v9 :: v_dual_sub_f32 v14, v17, v14
	v_dual_sub_f32 v13, v101, v15 :: v_dual_add_f32 v8, v8, v14
	s_delay_alu instid0(VALU_DEP_1) | instskip(NEXT) | instid1(VALU_DEP_1)
	v_sub_f32_e32 v9, v9, v13
	v_add_f32_e32 v8, v8, v9
	s_delay_alu instid0(VALU_DEP_1) | instskip(NEXT) | instid1(VALU_DEP_1)
	v_add_f32_e32 v8, v101, v8
	v_cndmask_b32_e32 v101, v8, v12, vcc_lo
.LBB31_98:                              ;   in Loop: Header=BB31_12 Depth=1
	s_or_b32 exec_lo, exec_lo, s30
	v_lshlrev_b32_e32 v8, 16, v10
	s_delay_alu instid0(VALU_DEP_1) | instskip(NEXT) | instid1(VALU_DEP_1)
	v_add_f32_e32 v102, s69, v8
	v_cmp_ge_f32_e32 vcc_lo, 0x41a00000, v102
	s_and_b32 s29, s80, vcc_lo
	s_delay_alu instid0(SALU_CYCLE_1)
	s_and_saveexec_b32 s30, s29
	s_cbranch_execz .LBB31_100
; %bb.99:                               ;   in Loop: Header=BB31_12 Depth=1
	v_mul_f32_e32 v8, 0x3fb8aa3b, v102
	v_cmp_ngt_f32_e32 vcc_lo, 0xc2ce8ed0, v102
	s_delay_alu instid0(VALU_DEP_2) | instskip(SKIP_1) | instid1(VALU_DEP_2)
	v_rndne_f32_e32 v9, v8
	v_fma_f32 v12, 0x3fb8aa3b, v102, -v8
	v_sub_f32_e32 v8, v8, v9
	s_delay_alu instid0(VALU_DEP_2) | instskip(SKIP_1) | instid1(VALU_DEP_2)
	v_fmac_f32_e32 v12, 0x32a5705f, v102
	v_cvt_i32_f32_e32 v9, v9
	v_add_f32_e32 v8, v8, v12
	s_delay_alu instid0(VALU_DEP_1) | instskip(SKIP_2) | instid1(VALU_DEP_1)
	v_exp_f32_e32 v8, v8
	s_waitcnt_depctr 0xfff
	v_ldexp_f32 v8, v8, v9
	v_cndmask_b32_e32 v8, 0, v8, vcc_lo
	v_cmp_nlt_f32_e32 vcc_lo, 0x42b17218, v102
	s_delay_alu instid0(VALU_DEP_2) | instskip(NEXT) | instid1(VALU_DEP_1)
	v_cndmask_b32_e32 v12, 0x7f800000, v8, vcc_lo
	v_add_f32_e32 v13, 1.0, v12
	s_delay_alu instid0(VALU_DEP_1) | instskip(NEXT) | instid1(VALU_DEP_1)
	v_cvt_f64_f32_e32 v[8:9], v13
	v_frexp_exp_i32_f64_e32 v8, v[8:9]
	v_frexp_mant_f32_e32 v9, v13
	s_delay_alu instid0(VALU_DEP_1) | instskip(SKIP_1) | instid1(VALU_DEP_1)
	v_cmp_gt_f32_e32 vcc_lo, 0x3f2aaaab, v9
	v_add_f32_e32 v9, -1.0, v13
	v_sub_f32_e32 v15, v9, v13
	s_delay_alu instid0(VALU_DEP_1) | instskip(SKIP_1) | instid1(VALU_DEP_1)
	v_add_f32_e32 v15, 1.0, v15
	v_subrev_co_ci_u32_e32 v8, vcc_lo, 0, v8, vcc_lo
	v_sub_nc_u32_e32 v14, 0, v8
	v_cvt_f32_i32_e32 v8, v8
	s_delay_alu instid0(VALU_DEP_2) | instskip(NEXT) | instid1(VALU_DEP_1)
	v_ldexp_f32 v13, v13, v14
	v_add_f32_e32 v17, 1.0, v13
	v_sub_f32_e32 v9, v12, v9
	v_cmp_eq_f32_e32 vcc_lo, 0x7f800000, v12
	v_cmp_gt_f32_e64 s29, 0x33800000, v12
	s_delay_alu instid0(VALU_DEP_3) | instskip(NEXT) | instid1(VALU_DEP_2)
	v_add_f32_e32 v9, v9, v15
	s_or_b32 vcc_lo, s29, vcc_lo
	s_delay_alu instid0(VALU_DEP_1) | instskip(SKIP_1) | instid1(VALU_DEP_1)
	v_ldexp_f32 v9, v9, v14
	v_add_f32_e32 v14, -1.0, v13
	v_dual_add_f32 v15, -1.0, v17 :: v_dual_add_f32 v102, 1.0, v14
	s_delay_alu instid0(VALU_DEP_1) | instskip(NEXT) | instid1(VALU_DEP_2)
	v_sub_f32_e32 v15, v13, v15
	v_sub_f32_e32 v13, v13, v102
	s_delay_alu instid0(VALU_DEP_2) | instskip(NEXT) | instid1(VALU_DEP_2)
	v_add_f32_e32 v15, v9, v15
	v_add_f32_e32 v9, v9, v13
	s_delay_alu instid0(VALU_DEP_1) | instskip(NEXT) | instid1(VALU_DEP_1)
	v_dual_add_f32 v102, v17, v15 :: v_dual_add_f32 v103, v14, v9
	v_rcp_f32_e32 v13, v102
	s_delay_alu instid0(VALU_DEP_1) | instskip(NEXT) | instid1(VALU_DEP_1)
	v_dual_sub_f32 v17, v17, v102 :: v_dual_sub_f32 v14, v14, v103
	v_add_f32_e32 v15, v15, v17
	s_waitcnt_depctr 0xfff
	v_dual_add_f32 v9, v9, v14 :: v_dual_mul_f32 v104, v103, v13
	s_delay_alu instid0(VALU_DEP_1) | instskip(NEXT) | instid1(VALU_DEP_1)
	v_mul_f32_e32 v105, v102, v104
	v_fma_f32 v17, v104, v102, -v105
	s_delay_alu instid0(VALU_DEP_1) | instskip(NEXT) | instid1(VALU_DEP_1)
	v_fmac_f32_e32 v17, v104, v15
	v_add_f32_e32 v106, v105, v17
	s_delay_alu instid0(VALU_DEP_1) | instskip(NEXT) | instid1(VALU_DEP_1)
	v_sub_f32_e32 v107, v103, v106
	v_dual_sub_f32 v103, v103, v107 :: v_dual_sub_f32 v14, v106, v105
	s_delay_alu instid0(VALU_DEP_1) | instskip(NEXT) | instid1(VALU_DEP_1)
	v_dual_sub_f32 v103, v103, v106 :: v_dual_sub_f32 v14, v14, v17
	v_add_f32_e32 v9, v9, v103
	s_delay_alu instid0(VALU_DEP_1) | instskip(NEXT) | instid1(VALU_DEP_1)
	v_add_f32_e32 v9, v14, v9
	v_add_f32_e32 v14, v107, v9
	s_delay_alu instid0(VALU_DEP_1) | instskip(NEXT) | instid1(VALU_DEP_1)
	v_mul_f32_e32 v17, v13, v14
	v_dual_sub_f32 v106, v107, v14 :: v_dual_mul_f32 v103, v102, v17
	s_delay_alu instid0(VALU_DEP_1) | instskip(NEXT) | instid1(VALU_DEP_2)
	v_add_f32_e32 v9, v9, v106
	v_fma_f32 v102, v17, v102, -v103
	s_delay_alu instid0(VALU_DEP_1) | instskip(NEXT) | instid1(VALU_DEP_1)
	v_fmac_f32_e32 v102, v17, v15
	v_add_f32_e32 v15, v103, v102
	s_delay_alu instid0(VALU_DEP_1) | instskip(NEXT) | instid1(VALU_DEP_1)
	v_sub_f32_e32 v105, v14, v15
	v_dual_sub_f32 v103, v15, v103 :: v_dual_sub_f32 v14, v14, v105
	s_delay_alu instid0(VALU_DEP_1) | instskip(NEXT) | instid1(VALU_DEP_1)
	v_dual_sub_f32 v14, v14, v15 :: v_dual_sub_f32 v15, v103, v102
	v_dual_add_f32 v9, v9, v14 :: v_dual_add_f32 v14, v104, v17
	s_delay_alu instid0(VALU_DEP_1) | instskip(NEXT) | instid1(VALU_DEP_2)
	v_add_f32_e32 v9, v15, v9
	v_sub_f32_e32 v15, v14, v104
	s_delay_alu instid0(VALU_DEP_2) | instskip(NEXT) | instid1(VALU_DEP_2)
	v_add_f32_e32 v9, v105, v9
	v_sub_f32_e32 v15, v17, v15
	s_delay_alu instid0(VALU_DEP_2) | instskip(NEXT) | instid1(VALU_DEP_1)
	v_mul_f32_e32 v9, v13, v9
	v_add_f32_e32 v9, v15, v9
	s_delay_alu instid0(VALU_DEP_1) | instskip(NEXT) | instid1(VALU_DEP_1)
	v_add_f32_e32 v13, v14, v9
	v_mul_f32_e32 v15, v13, v13
	s_delay_alu instid0(VALU_DEP_1) | instskip(NEXT) | instid1(VALU_DEP_1)
	v_fmaak_f32 v17, s84, v15, 0x3ecc95a3
	v_dual_mul_f32 v102, v13, v15 :: v_dual_fmaak_f32 v15, v15, v17, 0x3f2aaada
	v_ldexp_f32 v17, v13, 1
	v_sub_f32_e32 v13, v13, v14
	s_delay_alu instid0(VALU_DEP_3) | instskip(NEXT) | instid1(VALU_DEP_2)
	v_dual_mul_f32 v15, v102, v15 :: v_dual_mul_f32 v102, 0x3f317218, v8
	v_sub_f32_e32 v9, v9, v13
	s_delay_alu instid0(VALU_DEP_2) | instskip(NEXT) | instid1(VALU_DEP_2)
	v_add_f32_e32 v14, v17, v15
	v_ldexp_f32 v9, v9, 1
	s_delay_alu instid0(VALU_DEP_2) | instskip(SKIP_1) | instid1(VALU_DEP_2)
	v_sub_f32_e32 v13, v14, v17
	v_fma_f32 v17, 0x3f317218, v8, -v102
	v_sub_f32_e32 v13, v15, v13
	s_delay_alu instid0(VALU_DEP_1) | instskip(NEXT) | instid1(VALU_DEP_1)
	v_dual_fmac_f32 v17, 0xb102e308, v8 :: v_dual_add_f32 v8, v9, v13
	v_add_f32_e32 v9, v102, v17
	s_delay_alu instid0(VALU_DEP_1) | instskip(NEXT) | instid1(VALU_DEP_1)
	v_dual_add_f32 v13, v14, v8 :: v_dual_sub_f32 v102, v9, v102
	v_add_f32_e32 v15, v9, v13
	v_sub_f32_e32 v14, v13, v14
	s_delay_alu instid0(VALU_DEP_3) | instskip(NEXT) | instid1(VALU_DEP_2)
	v_sub_f32_e32 v17, v17, v102
	v_dual_sub_f32 v103, v15, v9 :: v_dual_sub_f32 v8, v8, v14
	s_delay_alu instid0(VALU_DEP_1) | instskip(SKIP_1) | instid1(VALU_DEP_3)
	v_sub_f32_e32 v104, v15, v103
	v_sub_f32_e32 v13, v13, v103
	v_add_f32_e32 v14, v17, v8
	s_delay_alu instid0(VALU_DEP_3) | instskip(NEXT) | instid1(VALU_DEP_1)
	v_sub_f32_e32 v9, v9, v104
	v_add_f32_e32 v9, v13, v9
	s_delay_alu instid0(VALU_DEP_3) | instskip(NEXT) | instid1(VALU_DEP_2)
	v_sub_f32_e32 v13, v14, v17
	v_add_f32_e32 v9, v14, v9
	s_delay_alu instid0(VALU_DEP_2) | instskip(SKIP_1) | instid1(VALU_DEP_3)
	v_sub_f32_e32 v14, v14, v13
	v_sub_f32_e32 v8, v8, v13
	v_add_f32_e32 v102, v15, v9
	s_delay_alu instid0(VALU_DEP_1) | instskip(NEXT) | instid1(VALU_DEP_1)
	v_dual_sub_f32 v14, v17, v14 :: v_dual_sub_f32 v13, v102, v15
	v_dual_add_f32 v8, v8, v14 :: v_dual_sub_f32 v9, v9, v13
	s_delay_alu instid0(VALU_DEP_1) | instskip(NEXT) | instid1(VALU_DEP_1)
	v_add_f32_e32 v8, v8, v9
	v_add_f32_e32 v8, v102, v8
	s_delay_alu instid0(VALU_DEP_1)
	v_cndmask_b32_e32 v102, v8, v12, vcc_lo
.LBB31_100:                             ;   in Loop: Header=BB31_12 Depth=1
	s_or_b32 exec_lo, exec_lo, s30
	v_and_b32_e32 v8, 0xffff0000, v10
	s_delay_alu instid0(VALU_DEP_1) | instskip(NEXT) | instid1(VALU_DEP_1)
	v_add_f32_e32 v103, s69, v8
	v_cmp_ge_f32_e32 vcc_lo, 0x41a00000, v103
	s_and_b32 s29, s80, vcc_lo
	s_delay_alu instid0(SALU_CYCLE_1)
	s_and_saveexec_b32 s30, s29
	s_cbranch_execz .LBB31_102
; %bb.101:                              ;   in Loop: Header=BB31_12 Depth=1
	v_mul_f32_e32 v8, 0x3fb8aa3b, v103
	v_cmp_ngt_f32_e32 vcc_lo, 0xc2ce8ed0, v103
	s_delay_alu instid0(VALU_DEP_2) | instskip(SKIP_1) | instid1(VALU_DEP_2)
	v_rndne_f32_e32 v9, v8
	v_fma_f32 v10, 0x3fb8aa3b, v103, -v8
	v_sub_f32_e32 v8, v8, v9
	s_delay_alu instid0(VALU_DEP_2) | instskip(SKIP_1) | instid1(VALU_DEP_2)
	v_fmac_f32_e32 v10, 0x32a5705f, v103
	v_cvt_i32_f32_e32 v9, v9
	v_add_f32_e32 v8, v8, v10
	s_delay_alu instid0(VALU_DEP_1) | instskip(SKIP_2) | instid1(VALU_DEP_1)
	v_exp_f32_e32 v8, v8
	s_waitcnt_depctr 0xfff
	v_ldexp_f32 v8, v8, v9
	v_cndmask_b32_e32 v8, 0, v8, vcc_lo
	v_cmp_nlt_f32_e32 vcc_lo, 0x42b17218, v103
	s_delay_alu instid0(VALU_DEP_2) | instskip(NEXT) | instid1(VALU_DEP_1)
	v_cndmask_b32_e32 v10, 0x7f800000, v8, vcc_lo
	v_add_f32_e32 v12, 1.0, v10
	s_delay_alu instid0(VALU_DEP_1) | instskip(NEXT) | instid1(VALU_DEP_1)
	v_cvt_f64_f32_e32 v[8:9], v12
	v_frexp_exp_i32_f64_e32 v8, v[8:9]
	v_frexp_mant_f32_e32 v9, v12
	s_delay_alu instid0(VALU_DEP_1) | instskip(SKIP_1) | instid1(VALU_DEP_1)
	v_cmp_gt_f32_e32 vcc_lo, 0x3f2aaaab, v9
	v_add_f32_e32 v9, -1.0, v12
	v_dual_sub_f32 v14, v9, v12 :: v_dual_sub_f32 v9, v10, v9
	v_subrev_co_ci_u32_e32 v8, vcc_lo, 0, v8, vcc_lo
	s_delay_alu instid0(VALU_DEP_1) | instskip(SKIP_1) | instid1(VALU_DEP_2)
	v_sub_nc_u32_e32 v13, 0, v8
	v_cvt_f32_i32_e32 v8, v8
	v_ldexp_f32 v12, v12, v13
	s_delay_alu instid0(VALU_DEP_1) | instskip(NEXT) | instid1(VALU_DEP_1)
	v_dual_add_f32 v14, 1.0, v14 :: v_dual_add_f32 v15, 1.0, v12
	v_add_f32_e32 v9, v9, v14
	s_delay_alu instid0(VALU_DEP_1) | instskip(NEXT) | instid1(VALU_DEP_3)
	v_ldexp_f32 v9, v9, v13
	v_dual_add_f32 v13, -1.0, v12 :: v_dual_add_f32 v14, -1.0, v15
	s_delay_alu instid0(VALU_DEP_1) | instskip(NEXT) | instid1(VALU_DEP_1)
	v_dual_add_f32 v17, 1.0, v13 :: v_dual_sub_f32 v14, v12, v14
	v_sub_f32_e32 v12, v12, v17
	s_delay_alu instid0(VALU_DEP_2) | instskip(NEXT) | instid1(VALU_DEP_2)
	v_add_f32_e32 v14, v9, v14
	v_add_f32_e32 v9, v9, v12
	s_delay_alu instid0(VALU_DEP_2) | instskip(SKIP_2) | instid1(VALU_DEP_4)
	v_add_f32_e32 v17, v15, v14
	v_cmp_eq_f32_e32 vcc_lo, 0x7f800000, v10
	v_cmp_gt_f32_e64 s29, 0x33800000, v10
	v_add_f32_e32 v103, v13, v9
	s_delay_alu instid0(VALU_DEP_4) | instskip(SKIP_1) | instid1(VALU_DEP_3)
	v_rcp_f32_e32 v12, v17
	v_sub_f32_e32 v15, v15, v17
	s_or_b32 vcc_lo, s29, vcc_lo
	s_delay_alu instid0(VALU_DEP_2) | instskip(NEXT) | instid1(VALU_DEP_1)
	v_sub_f32_e32 v13, v13, v103
	v_dual_add_f32 v14, v14, v15 :: v_dual_add_f32 v9, v9, v13
	s_waitcnt_depctr 0xfff
	v_mul_f32_e32 v104, v103, v12
	s_delay_alu instid0(VALU_DEP_1) | instskip(NEXT) | instid1(VALU_DEP_1)
	v_mul_f32_e32 v105, v17, v104
	v_fma_f32 v15, v104, v17, -v105
	s_delay_alu instid0(VALU_DEP_1) | instskip(NEXT) | instid1(VALU_DEP_1)
	v_fmac_f32_e32 v15, v104, v14
	v_add_f32_e32 v106, v105, v15
	s_delay_alu instid0(VALU_DEP_1) | instskip(SKIP_1) | instid1(VALU_DEP_2)
	v_sub_f32_e32 v107, v103, v106
	v_sub_f32_e32 v13, v106, v105
	;; [unrolled: 1-line block ×3, first 2 shown]
	s_delay_alu instid0(VALU_DEP_2) | instskip(NEXT) | instid1(VALU_DEP_2)
	v_sub_f32_e32 v13, v13, v15
	v_sub_f32_e32 v103, v103, v106
	s_delay_alu instid0(VALU_DEP_1) | instskip(NEXT) | instid1(VALU_DEP_1)
	v_add_f32_e32 v9, v9, v103
	v_add_f32_e32 v9, v13, v9
	s_delay_alu instid0(VALU_DEP_1) | instskip(NEXT) | instid1(VALU_DEP_1)
	v_add_f32_e32 v13, v107, v9
	v_mul_f32_e32 v15, v12, v13
	s_delay_alu instid0(VALU_DEP_1) | instskip(NEXT) | instid1(VALU_DEP_1)
	v_dual_sub_f32 v106, v107, v13 :: v_dual_mul_f32 v103, v17, v15
	v_add_f32_e32 v9, v9, v106
	s_delay_alu instid0(VALU_DEP_2) | instskip(NEXT) | instid1(VALU_DEP_1)
	v_fma_f32 v17, v15, v17, -v103
	v_fmac_f32_e32 v17, v15, v14
	s_delay_alu instid0(VALU_DEP_1) | instskip(NEXT) | instid1(VALU_DEP_1)
	v_add_f32_e32 v14, v103, v17
	v_sub_f32_e32 v105, v13, v14
	v_sub_f32_e32 v103, v14, v103
	s_delay_alu instid0(VALU_DEP_2) | instskip(NEXT) | instid1(VALU_DEP_1)
	v_sub_f32_e32 v13, v13, v105
	v_dual_sub_f32 v13, v13, v14 :: v_dual_sub_f32 v14, v103, v17
	s_delay_alu instid0(VALU_DEP_1) | instskip(SKIP_1) | instid1(VALU_DEP_1)
	v_add_f32_e32 v9, v9, v13
	v_add_f32_e32 v13, v104, v15
	v_dual_add_f32 v9, v14, v9 :: v_dual_sub_f32 v14, v13, v104
	s_delay_alu instid0(VALU_DEP_1) | instskip(NEXT) | instid1(VALU_DEP_1)
	v_dual_add_f32 v9, v105, v9 :: v_dual_sub_f32 v14, v15, v14
	v_mul_f32_e32 v9, v12, v9
	s_delay_alu instid0(VALU_DEP_1) | instskip(NEXT) | instid1(VALU_DEP_1)
	v_add_f32_e32 v9, v14, v9
	v_add_f32_e32 v12, v13, v9
	s_delay_alu instid0(VALU_DEP_1) | instskip(NEXT) | instid1(VALU_DEP_1)
	v_mul_f32_e32 v14, v12, v12
	v_fmaak_f32 v15, s84, v14, 0x3ecc95a3
	s_delay_alu instid0(VALU_DEP_1) | instskip(SKIP_2) | instid1(VALU_DEP_3)
	v_dual_mul_f32 v17, v12, v14 :: v_dual_fmaak_f32 v14, v14, v15, 0x3f2aaada
	v_ldexp_f32 v15, v12, 1
	v_sub_f32_e32 v12, v12, v13
	v_dual_mul_f32 v14, v17, v14 :: v_dual_mul_f32 v17, 0x3f317218, v8
	s_delay_alu instid0(VALU_DEP_2) | instskip(NEXT) | instid1(VALU_DEP_2)
	v_sub_f32_e32 v9, v9, v12
	v_add_f32_e32 v13, v15, v14
	s_delay_alu instid0(VALU_DEP_2) | instskip(NEXT) | instid1(VALU_DEP_2)
	v_ldexp_f32 v9, v9, 1
	v_sub_f32_e32 v12, v13, v15
	v_fma_f32 v15, 0x3f317218, v8, -v17
	s_delay_alu instid0(VALU_DEP_2) | instskip(NEXT) | instid1(VALU_DEP_2)
	v_sub_f32_e32 v12, v14, v12
	v_fmac_f32_e32 v15, 0xb102e308, v8
	s_delay_alu instid0(VALU_DEP_2) | instskip(NEXT) | instid1(VALU_DEP_2)
	v_add_f32_e32 v8, v9, v12
	v_add_f32_e32 v9, v17, v15
	s_delay_alu instid0(VALU_DEP_2) | instskip(NEXT) | instid1(VALU_DEP_2)
	v_add_f32_e32 v12, v13, v8
	v_sub_f32_e32 v17, v9, v17
	s_delay_alu instid0(VALU_DEP_2) | instskip(NEXT) | instid1(VALU_DEP_2)
	v_dual_add_f32 v14, v9, v12 :: v_dual_sub_f32 v13, v12, v13
	v_sub_f32_e32 v15, v15, v17
	s_delay_alu instid0(VALU_DEP_2) | instskip(NEXT) | instid1(VALU_DEP_3)
	v_sub_f32_e32 v103, v14, v9
	v_sub_f32_e32 v8, v8, v13
	s_delay_alu instid0(VALU_DEP_2) | instskip(NEXT) | instid1(VALU_DEP_2)
	v_sub_f32_e32 v104, v14, v103
	v_dual_sub_f32 v12, v12, v103 :: v_dual_add_f32 v13, v15, v8
	s_delay_alu instid0(VALU_DEP_2) | instskip(NEXT) | instid1(VALU_DEP_1)
	v_sub_f32_e32 v9, v9, v104
	v_dual_add_f32 v9, v12, v9 :: v_dual_sub_f32 v12, v13, v15
	s_delay_alu instid0(VALU_DEP_1) | instskip(NEXT) | instid1(VALU_DEP_2)
	v_add_f32_e32 v9, v13, v9
	v_sub_f32_e32 v13, v13, v12
	s_delay_alu instid0(VALU_DEP_2) | instskip(NEXT) | instid1(VALU_DEP_1)
	v_dual_sub_f32 v8, v8, v12 :: v_dual_add_f32 v17, v14, v9
	v_dual_sub_f32 v13, v15, v13 :: v_dual_sub_f32 v12, v17, v14
	s_delay_alu instid0(VALU_DEP_1) | instskip(NEXT) | instid1(VALU_DEP_1)
	v_dual_add_f32 v8, v8, v13 :: v_dual_sub_f32 v9, v9, v12
	v_add_f32_e32 v8, v8, v9
	s_delay_alu instid0(VALU_DEP_1) | instskip(NEXT) | instid1(VALU_DEP_1)
	v_add_f32_e32 v8, v17, v8
	v_cndmask_b32_e32 v103, v8, v10, vcc_lo
.LBB31_102:                             ;   in Loop: Header=BB31_12 Depth=1
	s_or_b32 exec_lo, exec_lo, s30
	v_lshlrev_b32_e32 v8, 16, v11
	s_delay_alu instid0(VALU_DEP_1) | instskip(NEXT) | instid1(VALU_DEP_1)
	v_add_f32_e32 v104, s69, v8
	v_cmp_ge_f32_e32 vcc_lo, 0x41a00000, v104
	s_and_b32 s29, s80, vcc_lo
	s_delay_alu instid0(SALU_CYCLE_1)
	s_and_saveexec_b32 s30, s29
	s_cbranch_execz .LBB31_104
; %bb.103:                              ;   in Loop: Header=BB31_12 Depth=1
	v_mul_f32_e32 v8, 0x3fb8aa3b, v104
	v_cmp_ngt_f32_e32 vcc_lo, 0xc2ce8ed0, v104
	s_delay_alu instid0(VALU_DEP_2) | instskip(SKIP_1) | instid1(VALU_DEP_2)
	v_rndne_f32_e32 v9, v8
	v_fma_f32 v10, 0x3fb8aa3b, v104, -v8
	v_sub_f32_e32 v8, v8, v9
	s_delay_alu instid0(VALU_DEP_2) | instskip(SKIP_1) | instid1(VALU_DEP_2)
	v_fmac_f32_e32 v10, 0x32a5705f, v104
	v_cvt_i32_f32_e32 v9, v9
	v_add_f32_e32 v8, v8, v10
	s_delay_alu instid0(VALU_DEP_1) | instskip(SKIP_2) | instid1(VALU_DEP_1)
	v_exp_f32_e32 v8, v8
	s_waitcnt_depctr 0xfff
	v_ldexp_f32 v8, v8, v9
	v_cndmask_b32_e32 v8, 0, v8, vcc_lo
	v_cmp_nlt_f32_e32 vcc_lo, 0x42b17218, v104
	s_delay_alu instid0(VALU_DEP_2) | instskip(NEXT) | instid1(VALU_DEP_1)
	v_cndmask_b32_e32 v10, 0x7f800000, v8, vcc_lo
	v_add_f32_e32 v12, 1.0, v10
	s_delay_alu instid0(VALU_DEP_1) | instskip(NEXT) | instid1(VALU_DEP_1)
	v_cvt_f64_f32_e32 v[8:9], v12
	v_frexp_exp_i32_f64_e32 v8, v[8:9]
	v_frexp_mant_f32_e32 v9, v12
	s_delay_alu instid0(VALU_DEP_1) | instskip(SKIP_1) | instid1(VALU_DEP_1)
	v_cmp_gt_f32_e32 vcc_lo, 0x3f2aaaab, v9
	v_add_f32_e32 v9, -1.0, v12
	v_dual_sub_f32 v14, v9, v12 :: v_dual_sub_f32 v9, v10, v9
	v_subrev_co_ci_u32_e32 v8, vcc_lo, 0, v8, vcc_lo
	s_delay_alu instid0(VALU_DEP_1) | instskip(SKIP_1) | instid1(VALU_DEP_2)
	v_sub_nc_u32_e32 v13, 0, v8
	v_cvt_f32_i32_e32 v8, v8
	v_ldexp_f32 v12, v12, v13
	s_delay_alu instid0(VALU_DEP_1) | instskip(NEXT) | instid1(VALU_DEP_1)
	v_dual_add_f32 v14, 1.0, v14 :: v_dual_add_f32 v15, 1.0, v12
	v_add_f32_e32 v9, v9, v14
	s_delay_alu instid0(VALU_DEP_1) | instskip(NEXT) | instid1(VALU_DEP_3)
	v_ldexp_f32 v9, v9, v13
	v_dual_add_f32 v13, -1.0, v12 :: v_dual_add_f32 v14, -1.0, v15
	s_delay_alu instid0(VALU_DEP_1) | instskip(NEXT) | instid1(VALU_DEP_1)
	v_dual_add_f32 v17, 1.0, v13 :: v_dual_sub_f32 v14, v12, v14
	v_sub_f32_e32 v12, v12, v17
	s_delay_alu instid0(VALU_DEP_2) | instskip(NEXT) | instid1(VALU_DEP_2)
	v_add_f32_e32 v14, v9, v14
	v_add_f32_e32 v9, v9, v12
	s_delay_alu instid0(VALU_DEP_2) | instskip(SKIP_2) | instid1(VALU_DEP_4)
	v_add_f32_e32 v17, v15, v14
	v_cmp_eq_f32_e32 vcc_lo, 0x7f800000, v10
	v_cmp_gt_f32_e64 s29, 0x33800000, v10
	v_add_f32_e32 v104, v13, v9
	s_delay_alu instid0(VALU_DEP_4) | instskip(SKIP_1) | instid1(VALU_DEP_3)
	v_rcp_f32_e32 v12, v17
	v_sub_f32_e32 v15, v15, v17
	s_or_b32 vcc_lo, s29, vcc_lo
	s_delay_alu instid0(VALU_DEP_2) | instskip(NEXT) | instid1(VALU_DEP_1)
	v_sub_f32_e32 v13, v13, v104
	v_add_f32_e32 v9, v9, v13
	s_waitcnt_depctr 0xfff
	v_dual_mul_f32 v105, v104, v12 :: v_dual_add_f32 v14, v14, v15
	s_delay_alu instid0(VALU_DEP_1) | instskip(NEXT) | instid1(VALU_DEP_1)
	v_mul_f32_e32 v106, v17, v105
	v_fma_f32 v15, v105, v17, -v106
	s_delay_alu instid0(VALU_DEP_1) | instskip(NEXT) | instid1(VALU_DEP_1)
	v_fmac_f32_e32 v15, v105, v14
	v_add_f32_e32 v107, v106, v15
	s_delay_alu instid0(VALU_DEP_1) | instskip(NEXT) | instid1(VALU_DEP_1)
	v_dual_sub_f32 v13, v107, v106 :: v_dual_sub_f32 v108, v104, v107
	v_dual_sub_f32 v13, v13, v15 :: v_dual_sub_f32 v104, v104, v108
	s_delay_alu instid0(VALU_DEP_1) | instskip(NEXT) | instid1(VALU_DEP_1)
	v_sub_f32_e32 v104, v104, v107
	v_add_f32_e32 v9, v9, v104
	s_delay_alu instid0(VALU_DEP_1) | instskip(NEXT) | instid1(VALU_DEP_1)
	v_add_f32_e32 v9, v13, v9
	v_add_f32_e32 v13, v108, v9
	s_delay_alu instid0(VALU_DEP_1) | instskip(NEXT) | instid1(VALU_DEP_1)
	v_mul_f32_e32 v15, v12, v13
	v_mul_f32_e32 v104, v17, v15
	s_delay_alu instid0(VALU_DEP_1) | instskip(NEXT) | instid1(VALU_DEP_1)
	v_fma_f32 v17, v15, v17, -v104
	v_fmac_f32_e32 v17, v15, v14
	s_delay_alu instid0(VALU_DEP_1) | instskip(NEXT) | instid1(VALU_DEP_1)
	v_add_f32_e32 v14, v104, v17
	v_dual_sub_f32 v107, v108, v13 :: v_dual_sub_f32 v106, v13, v14
	s_delay_alu instid0(VALU_DEP_1) | instskip(NEXT) | instid1(VALU_DEP_2)
	v_dual_sub_f32 v13, v13, v106 :: v_dual_sub_f32 v104, v14, v104
	v_add_f32_e32 v9, v9, v107
	s_delay_alu instid0(VALU_DEP_2) | instskip(NEXT) | instid1(VALU_DEP_1)
	v_dual_sub_f32 v13, v13, v14 :: v_dual_sub_f32 v14, v104, v17
	v_add_f32_e32 v9, v9, v13
	v_add_f32_e32 v13, v105, v15
	s_delay_alu instid0(VALU_DEP_2) | instskip(NEXT) | instid1(VALU_DEP_2)
	v_add_f32_e32 v9, v14, v9
	v_sub_f32_e32 v14, v13, v105
	s_delay_alu instid0(VALU_DEP_1) | instskip(NEXT) | instid1(VALU_DEP_1)
	v_dual_add_f32 v9, v106, v9 :: v_dual_sub_f32 v14, v15, v14
	v_mul_f32_e32 v9, v12, v9
	s_delay_alu instid0(VALU_DEP_1) | instskip(NEXT) | instid1(VALU_DEP_1)
	v_add_f32_e32 v9, v14, v9
	v_add_f32_e32 v12, v13, v9
	s_delay_alu instid0(VALU_DEP_1) | instskip(NEXT) | instid1(VALU_DEP_1)
	v_mul_f32_e32 v14, v12, v12
	v_fmaak_f32 v15, s84, v14, 0x3ecc95a3
	s_delay_alu instid0(VALU_DEP_1) | instskip(SKIP_1) | instid1(VALU_DEP_2)
	v_dual_mul_f32 v17, v12, v14 :: v_dual_fmaak_f32 v14, v14, v15, 0x3f2aaada
	v_ldexp_f32 v15, v12, 1
	v_mul_f32_e32 v14, v17, v14
	v_dual_sub_f32 v12, v12, v13 :: v_dual_mul_f32 v17, 0x3f317218, v8
	s_delay_alu instid0(VALU_DEP_2) | instskip(NEXT) | instid1(VALU_DEP_2)
	v_add_f32_e32 v13, v15, v14
	v_sub_f32_e32 v9, v9, v12
	s_delay_alu instid0(VALU_DEP_2) | instskip(NEXT) | instid1(VALU_DEP_4)
	v_sub_f32_e32 v12, v13, v15
	v_fma_f32 v15, 0x3f317218, v8, -v17
	s_delay_alu instid0(VALU_DEP_3) | instskip(NEXT) | instid1(VALU_DEP_3)
	v_ldexp_f32 v9, v9, 1
	v_sub_f32_e32 v12, v14, v12
	s_delay_alu instid0(VALU_DEP_3) | instskip(NEXT) | instid1(VALU_DEP_2)
	v_fmac_f32_e32 v15, 0xb102e308, v8
	v_add_f32_e32 v8, v9, v12
	s_delay_alu instid0(VALU_DEP_1) | instskip(NEXT) | instid1(VALU_DEP_3)
	v_add_f32_e32 v12, v13, v8
	v_add_f32_e32 v9, v17, v15
	s_delay_alu instid0(VALU_DEP_1) | instskip(NEXT) | instid1(VALU_DEP_1)
	v_dual_sub_f32 v13, v12, v13 :: v_dual_add_f32 v14, v9, v12
	v_sub_f32_e32 v8, v8, v13
	s_delay_alu instid0(VALU_DEP_2) | instskip(NEXT) | instid1(VALU_DEP_1)
	v_sub_f32_e32 v104, v14, v9
	v_dual_sub_f32 v12, v12, v104 :: v_dual_sub_f32 v17, v9, v17
	s_delay_alu instid0(VALU_DEP_1) | instskip(NEXT) | instid1(VALU_DEP_1)
	v_sub_f32_e32 v15, v15, v17
	v_add_f32_e32 v13, v15, v8
	v_sub_f32_e32 v105, v14, v104
	s_delay_alu instid0(VALU_DEP_1) | instskip(NEXT) | instid1(VALU_DEP_1)
	v_sub_f32_e32 v9, v9, v105
	v_dual_add_f32 v9, v12, v9 :: v_dual_sub_f32 v12, v13, v15
	s_delay_alu instid0(VALU_DEP_1) | instskip(NEXT) | instid1(VALU_DEP_2)
	v_add_f32_e32 v9, v13, v9
	v_sub_f32_e32 v13, v13, v12
	s_delay_alu instid0(VALU_DEP_2) | instskip(NEXT) | instid1(VALU_DEP_1)
	v_dual_sub_f32 v8, v8, v12 :: v_dual_add_f32 v17, v14, v9
	v_dual_sub_f32 v12, v17, v14 :: v_dual_sub_f32 v13, v15, v13
	s_delay_alu instid0(VALU_DEP_1) | instskip(NEXT) | instid1(VALU_DEP_1)
	v_dual_sub_f32 v9, v9, v12 :: v_dual_add_f32 v8, v8, v13
	v_add_f32_e32 v8, v8, v9
	s_delay_alu instid0(VALU_DEP_1) | instskip(NEXT) | instid1(VALU_DEP_1)
	v_add_f32_e32 v8, v17, v8
	v_cndmask_b32_e32 v104, v8, v10, vcc_lo
.LBB31_104:                             ;   in Loop: Header=BB31_12 Depth=1
	s_or_b32 exec_lo, exec_lo, s30
	v_and_b32_e32 v8, 0xffff0000, v11
	s_delay_alu instid0(VALU_DEP_1) | instskip(NEXT) | instid1(VALU_DEP_1)
	v_add_f32_e32 v121, s69, v8
	v_cmp_ge_f32_e32 vcc_lo, 0x41a00000, v121
	s_and_b32 s29, s80, vcc_lo
	s_delay_alu instid0(SALU_CYCLE_1)
	s_and_saveexec_b32 s30, s29
	s_cbranch_execz .LBB31_106
; %bb.105:                              ;   in Loop: Header=BB31_12 Depth=1
	v_mul_f32_e32 v8, 0x3fb8aa3b, v121
	v_cmp_ngt_f32_e32 vcc_lo, 0xc2ce8ed0, v121
	s_delay_alu instid0(VALU_DEP_2) | instskip(SKIP_1) | instid1(VALU_DEP_2)
	v_rndne_f32_e32 v9, v8
	v_fma_f32 v10, 0x3fb8aa3b, v121, -v8
	v_sub_f32_e32 v8, v8, v9
	s_delay_alu instid0(VALU_DEP_2) | instskip(SKIP_1) | instid1(VALU_DEP_2)
	v_fmac_f32_e32 v10, 0x32a5705f, v121
	v_cvt_i32_f32_e32 v9, v9
	v_add_f32_e32 v8, v8, v10
	s_delay_alu instid0(VALU_DEP_1) | instskip(SKIP_2) | instid1(VALU_DEP_1)
	v_exp_f32_e32 v8, v8
	s_waitcnt_depctr 0xfff
	v_ldexp_f32 v8, v8, v9
	v_cndmask_b32_e32 v8, 0, v8, vcc_lo
	v_cmp_nlt_f32_e32 vcc_lo, 0x42b17218, v121
	s_delay_alu instid0(VALU_DEP_2) | instskip(NEXT) | instid1(VALU_DEP_1)
	v_cndmask_b32_e32 v10, 0x7f800000, v8, vcc_lo
	v_add_f32_e32 v11, 1.0, v10
	s_delay_alu instid0(VALU_DEP_1) | instskip(NEXT) | instid1(VALU_DEP_1)
	v_cvt_f64_f32_e32 v[8:9], v11
	v_frexp_exp_i32_f64_e32 v8, v[8:9]
	v_frexp_mant_f32_e32 v9, v11
	s_delay_alu instid0(VALU_DEP_1) | instskip(SKIP_1) | instid1(VALU_DEP_1)
	v_cmp_gt_f32_e32 vcc_lo, 0x3f2aaaab, v9
	v_add_f32_e32 v9, -1.0, v11
	v_sub_f32_e32 v13, v9, v11
	v_sub_f32_e32 v9, v10, v9
	s_delay_alu instid0(VALU_DEP_2) | instskip(NEXT) | instid1(VALU_DEP_1)
	v_add_f32_e32 v13, 1.0, v13
	v_add_f32_e32 v9, v9, v13
	v_cmp_gt_f32_e64 s29, 0x33800000, v10
	v_subrev_co_ci_u32_e32 v8, vcc_lo, 0, v8, vcc_lo
	v_cmp_eq_f32_e32 vcc_lo, 0x7f800000, v10
	s_delay_alu instid0(VALU_DEP_2) | instskip(SKIP_2) | instid1(VALU_DEP_2)
	v_sub_nc_u32_e32 v12, 0, v8
	v_cvt_f32_i32_e32 v8, v8
	s_or_b32 vcc_lo, s29, vcc_lo
	v_ldexp_f32 v11, v11, v12
	v_ldexp_f32 v9, v9, v12
	s_delay_alu instid0(VALU_DEP_2) | instskip(NEXT) | instid1(VALU_DEP_1)
	v_add_f32_e32 v14, 1.0, v11
	v_dual_add_f32 v12, -1.0, v11 :: v_dual_add_f32 v13, -1.0, v14
	s_delay_alu instid0(VALU_DEP_1) | instskip(NEXT) | instid1(VALU_DEP_2)
	v_add_f32_e32 v15, 1.0, v12
	v_sub_f32_e32 v13, v11, v13
	s_delay_alu instid0(VALU_DEP_2) | instskip(NEXT) | instid1(VALU_DEP_2)
	v_sub_f32_e32 v11, v11, v15
	v_add_f32_e32 v13, v9, v13
	s_delay_alu instid0(VALU_DEP_2) | instskip(NEXT) | instid1(VALU_DEP_1)
	v_add_f32_e32 v9, v9, v11
	v_add_f32_e32 v17, v12, v9
	s_delay_alu instid0(VALU_DEP_3) | instskip(NEXT) | instid1(VALU_DEP_2)
	v_add_f32_e32 v15, v14, v13
	v_sub_f32_e32 v12, v12, v17
	s_delay_alu instid0(VALU_DEP_2) | instskip(SKIP_1) | instid1(VALU_DEP_1)
	v_rcp_f32_e32 v11, v15
	v_sub_f32_e32 v14, v14, v15
	v_add_f32_e32 v13, v13, v14
	s_waitcnt_depctr 0xfff
	v_mul_f32_e32 v105, v17, v11
	s_delay_alu instid0(VALU_DEP_1) | instskip(NEXT) | instid1(VALU_DEP_1)
	v_dual_mul_f32 v106, v15, v105 :: v_dual_add_f32 v9, v9, v12
	v_fma_f32 v14, v105, v15, -v106
	s_delay_alu instid0(VALU_DEP_1) | instskip(NEXT) | instid1(VALU_DEP_1)
	v_fmac_f32_e32 v14, v105, v13
	v_add_f32_e32 v107, v106, v14
	s_delay_alu instid0(VALU_DEP_1) | instskip(SKIP_1) | instid1(VALU_DEP_1)
	v_sub_f32_e32 v12, v107, v106
	v_sub_f32_e32 v108, v17, v107
	v_dual_sub_f32 v12, v12, v14 :: v_dual_sub_f32 v17, v17, v108
	s_delay_alu instid0(VALU_DEP_1) | instskip(NEXT) | instid1(VALU_DEP_1)
	v_sub_f32_e32 v17, v17, v107
	v_add_f32_e32 v9, v9, v17
	s_delay_alu instid0(VALU_DEP_1) | instskip(NEXT) | instid1(VALU_DEP_1)
	v_add_f32_e32 v9, v12, v9
	v_add_f32_e32 v12, v108, v9
	s_delay_alu instid0(VALU_DEP_1) | instskip(SKIP_1) | instid1(VALU_DEP_2)
	v_mul_f32_e32 v14, v11, v12
	v_sub_f32_e32 v107, v108, v12
	v_mul_f32_e32 v17, v15, v14
	s_delay_alu instid0(VALU_DEP_2) | instskip(NEXT) | instid1(VALU_DEP_2)
	v_add_f32_e32 v9, v9, v107
	v_fma_f32 v15, v14, v15, -v17
	s_delay_alu instid0(VALU_DEP_1) | instskip(NEXT) | instid1(VALU_DEP_1)
	v_fmac_f32_e32 v15, v14, v13
	v_add_f32_e32 v13, v17, v15
	s_delay_alu instid0(VALU_DEP_1) | instskip(NEXT) | instid1(VALU_DEP_1)
	v_sub_f32_e32 v106, v12, v13
	v_dual_sub_f32 v17, v13, v17 :: v_dual_sub_f32 v12, v12, v106
	s_delay_alu instid0(VALU_DEP_1) | instskip(NEXT) | instid1(VALU_DEP_1)
	v_dual_sub_f32 v12, v12, v13 :: v_dual_sub_f32 v13, v17, v15
	v_add_f32_e32 v9, v9, v12
	v_add_f32_e32 v12, v105, v14
	s_delay_alu instid0(VALU_DEP_2) | instskip(NEXT) | instid1(VALU_DEP_2)
	v_add_f32_e32 v9, v13, v9
	v_sub_f32_e32 v13, v12, v105
	s_delay_alu instid0(VALU_DEP_2) | instskip(NEXT) | instid1(VALU_DEP_2)
	v_add_f32_e32 v9, v106, v9
	v_sub_f32_e32 v13, v14, v13
	s_delay_alu instid0(VALU_DEP_2) | instskip(NEXT) | instid1(VALU_DEP_1)
	v_mul_f32_e32 v9, v11, v9
	v_add_f32_e32 v9, v13, v9
	s_delay_alu instid0(VALU_DEP_1) | instskip(NEXT) | instid1(VALU_DEP_1)
	v_add_f32_e32 v11, v12, v9
	v_mul_f32_e32 v13, v11, v11
	s_delay_alu instid0(VALU_DEP_1) | instskip(SKIP_1) | instid1(VALU_DEP_2)
	v_fmaak_f32 v14, s84, v13, 0x3ecc95a3
	v_mul_f32_e32 v15, v11, v13
	v_fmaak_f32 v13, v13, v14, 0x3f2aaada
	v_ldexp_f32 v14, v11, 1
	v_sub_f32_e32 v11, v11, v12
	s_delay_alu instid0(VALU_DEP_3) | instskip(SKIP_1) | instid1(VALU_DEP_2)
	v_mul_f32_e32 v13, v15, v13
	v_mul_f32_e32 v15, 0x3f317218, v8
	v_dual_sub_f32 v9, v9, v11 :: v_dual_add_f32 v12, v14, v13
	s_delay_alu instid0(VALU_DEP_1) | instskip(NEXT) | instid1(VALU_DEP_2)
	v_ldexp_f32 v9, v9, 1
	v_sub_f32_e32 v11, v12, v14
	s_delay_alu instid0(VALU_DEP_4) | instskip(NEXT) | instid1(VALU_DEP_1)
	v_fma_f32 v14, 0x3f317218, v8, -v15
	v_dual_sub_f32 v11, v13, v11 :: v_dual_fmac_f32 v14, 0xb102e308, v8
	s_delay_alu instid0(VALU_DEP_1) | instskip(NEXT) | instid1(VALU_DEP_1)
	v_dual_add_f32 v8, v9, v11 :: v_dual_add_f32 v9, v15, v14
	v_add_f32_e32 v11, v12, v8
	s_delay_alu instid0(VALU_DEP_2) | instskip(NEXT) | instid1(VALU_DEP_2)
	v_sub_f32_e32 v15, v9, v15
	v_dual_add_f32 v13, v9, v11 :: v_dual_sub_f32 v12, v11, v12
	s_delay_alu instid0(VALU_DEP_1) | instskip(NEXT) | instid1(VALU_DEP_1)
	v_dual_sub_f32 v14, v14, v15 :: v_dual_sub_f32 v17, v13, v9
	v_dual_sub_f32 v8, v8, v12 :: v_dual_sub_f32 v105, v13, v17
	s_delay_alu instid0(VALU_DEP_1) | instskip(NEXT) | instid1(VALU_DEP_2)
	v_dual_sub_f32 v11, v11, v17 :: v_dual_add_f32 v12, v14, v8
	v_sub_f32_e32 v9, v9, v105
	s_delay_alu instid0(VALU_DEP_1) | instskip(NEXT) | instid1(VALU_DEP_3)
	v_add_f32_e32 v9, v11, v9
	v_sub_f32_e32 v11, v12, v14
	s_delay_alu instid0(VALU_DEP_2) | instskip(NEXT) | instid1(VALU_DEP_2)
	v_add_f32_e32 v9, v12, v9
	v_sub_f32_e32 v12, v12, v11
	s_delay_alu instid0(VALU_DEP_2) | instskip(NEXT) | instid1(VALU_DEP_1)
	v_dual_sub_f32 v8, v8, v11 :: v_dual_add_f32 v15, v13, v9
	v_dual_sub_f32 v12, v14, v12 :: v_dual_sub_f32 v11, v15, v13
	s_delay_alu instid0(VALU_DEP_1) | instskip(NEXT) | instid1(VALU_DEP_1)
	v_dual_add_f32 v8, v8, v12 :: v_dual_sub_f32 v9, v9, v11
	v_add_f32_e32 v8, v8, v9
	s_delay_alu instid0(VALU_DEP_1) | instskip(NEXT) | instid1(VALU_DEP_1)
	v_add_f32_e32 v8, v15, v8
	v_cndmask_b32_e32 v121, v8, v10, vcc_lo
.LBB31_106:                             ;   in Loop: Header=BB31_12 Depth=1
	s_or_b32 exec_lo, exec_lo, s30
	v_and_b32_e32 v11, 0xffff0000, v3
	v_and_b32_e32 v9, 0xffff0000, v6
	v_lshlrev_b32_e32 v6, 16, v6
	v_and_b32_e32 v15, 0xffff0000, v0
	v_lshlrev_b32_e32 v8, 16, v7
	v_mul_f32_e32 v115, s70, v11
	v_mul_f32_e32 v105, s70, v9
	v_dual_mul_f32 v107, s70, v6 :: v_dual_and_b32 v10, 0xffff0000, v5
	v_and_b32_e32 v14, 0xffff0000, v7
	v_and_b32_e32 v7, 0xffff0000, v4
	v_lshlrev_b32_e32 v5, 16, v5
	s_delay_alu instid0(VALU_DEP_4) | instskip(NEXT) | instid1(VALU_DEP_4)
	v_dual_mul_f32 v109, s70, v10 :: v_dual_lshlrev_b32 v0, 16, v0
	v_mul_f32_e32 v111, s70, v14
	v_and_b32_e32 v13, 0xffff0000, v1
	v_lshlrev_b32_e32 v3, 16, v3
	v_mul_f32_e32 v108, s70, v7
	v_mul_f32_e32 v120, s70, v0
	s_delay_alu instid0(VALU_DEP_4) | instskip(SKIP_3) | instid1(VALU_DEP_4)
	v_dual_mul_f32 v113, s70, v13 :: v_dual_and_b32 v12, 0xffff0000, v2
	v_lshlrev_b32_e32 v1, 16, v1
	v_mul_f32_e32 v110, s70, v5
	v_mul_f32_e32 v106, s70, v8
	;; [unrolled: 1-line block ×5, first 2 shown]
	v_dual_mul_f32 v119, s70, v15 :: v_dual_lshlrev_b32 v2, 16, v2
	v_lshlrev_b32_e32 v4, 16, v4
	s_and_b32 vcc_lo, exec_lo, s81
	s_delay_alu instid0(VALU_DEP_2) | instskip(SKIP_1) | instid1(VALU_DEP_2)
	v_mul_f32_e32 v117, s70, v2
	s_barrier
	v_mul_f32_e32 v112, s70, v4
	buffer_gl0_inv
	s_cbranch_vccz .LBB31_204
; %bb.107:                              ;   in Loop: Header=BB31_12 Depth=1
	v_dual_mul_f32 v122, v121, v14 :: v_dual_mul_f32 v127, v104, v8
	v_add_co_u32 v14, s29, s53, v16
	s_delay_alu instid0(VALU_DEP_1) | instskip(SKIP_1) | instid1(VALU_DEP_1)
	v_add_co_ci_u32_e64 v17, null, s75, 0, s29
	v_add_co_u32 v16, s29, s57, v16
	v_add_co_ci_u32_e64 v126, null, s76, 0, s29
	s_delay_alu instid0(VALU_DEP_4) | instskip(NEXT) | instid1(VALU_DEP_4)
	v_add_co_u32 v123, vcc_lo, v14, v89
	v_add_co_ci_u32_e32 v124, vcc_lo, 0, v17, vcc_lo
	s_delay_alu instid0(VALU_DEP_4) | instskip(NEXT) | instid1(VALU_DEP_4)
	v_add_co_u32 v125, vcc_lo, v16, v89
	v_add_co_ci_u32_e32 v126, vcc_lo, 0, v126, vcc_lo
	v_cmp_gt_u32_e32 vcc_lo, s41, v18
	s_cmp_lg_u32 s86, 0
	v_cmp_gt_u32_e64 s31, s41, v75
	s_cselect_b32 s51, -1, 0
	s_cmp_eq_u32 s86, s83
	v_cmp_gt_u32_e64 s33, s41, v76
	s_cselect_b32 s87, -1, 0
	s_or_b32 s29, s82, vcc_lo
	v_cmp_gt_u32_e32 vcc_lo, s41, v74
	v_cmp_gt_u32_e64 s34, s41, v77
	v_cmp_gt_u32_e64 s35, s41, v78
	;; [unrolled: 1-line block ×4, first 2 shown]
	s_or_b32 s30, s82, vcc_lo
	v_cmp_gt_u32_e32 vcc_lo, s41, v79
	v_cmp_gt_u32_e64 s39, s41, v82
	v_cmp_gt_u32_e64 s40, s41, v83
	;; [unrolled: 1-line block ×4, first 2 shown]
	s_or_b32 s36, s82, vcc_lo
	v_cmp_gt_u32_e32 vcc_lo, s41, v84
	v_cmp_gt_u32_e64 s44, s41, v87
	v_cmp_gt_u32_e64 s45, s41, v88
	v_dual_mul_f32 v128, v103, v9 :: v_dual_mul_f32 v129, v102, v6
	v_dual_mul_f32 v130, v101, v10 :: v_dual_mul_f32 v131, v100, v5
	;; [unrolled: 1-line block ×7, first 2 shown]
	s_mov_b32 s66, 0
	s_or_b32 s31, s82, s31
	s_or_b32 s33, s82, s33
	;; [unrolled: 1-line block ×8, first 2 shown]
	s_or_b32 s41, s82, vcc_lo
	s_or_b32 s42, s82, s42
	s_or_b32 s43, s82, s43
	;; [unrolled: 1-line block ×4, first 2 shown]
	s_mov_b32 s54, s66
	s_mov_b32 s58, s66
	;; [unrolled: 1-line block ×5, first 2 shown]
	s_branch .LBB31_109
.LBB31_108:                             ;   in Loop: Header=BB31_109 Depth=2
	s_or_b32 exec_lo, exec_lo, s46
	v_cndmask_b32_e64 v9, v171, v11, s12
	v_cndmask_b32_e64 v10, v170, v10, s12
	s_add_i32 s88, s88, -1
	s_add_i32 s89, s89, 8
	s_add_i32 s60, s60, s62
	v_fma_f32 v9, v9, v145, v144
	v_mul_f32_e32 v10, v10, v145
	s_add_i32 s58, s58, s56
	s_add_i32 s54, s54, s52
	;; [unrolled: 1-line block ×3, first 2 shown]
	v_cndmask_b32_e64 v9, v9, v144, s11
	v_cndmask_b32_e64 v10, v10, v145, s11
	s_cmp_eq_u32 s88, 0
	s_waitcnt lgkmcnt(0)
	s_delay_alu instid0(VALU_DEP_1) | instskip(NEXT) | instid1(VALU_DEP_1)
	v_dual_fmac_f32 v9, v8, v10 :: v_dual_and_b32 v10, 0xffff0000, v5
	v_dual_fmac_f32 v12, v9, v147 :: v_dual_lshlrev_b32 v5, 16, v5
	s_delay_alu instid0(VALU_DEP_1) | instskip(NEXT) | instid1(VALU_DEP_1)
	v_fmac_f32_e32 v13, v12, v148
	v_dual_fmac_f32 v118, v13, v5 :: v_dual_and_b32 v17, 0xffff0000, v0
	v_fmac_f32_e32 v14, v13, v150
	s_delay_alu instid0(VALU_DEP_1) | instskip(NEXT) | instid1(VALU_DEP_1)
	v_fmac_f32_e32 v15, v14, v153
	v_fmac_f32_e32 v142, v15, v154
	s_delay_alu instid0(VALU_DEP_1) | instskip(NEXT) | instid1(VALU_DEP_1)
	v_fmac_f32_e32 v143, v142, v155
	v_fmac_f32_e32 v146, v143, v156
	s_delay_alu instid0(VALU_DEP_1) | instskip(SKIP_1) | instid1(VALU_DEP_2)
	v_dual_fmac_f32 v149, v146, v158 :: v_dual_and_b32 v8, 0xffff0000, v4
	v_lshlrev_b32_e32 v4, 16, v4
	v_dual_fmac_f32 v119, v12, v8 :: v_dual_and_b32 v16, 0xffff0000, v7
	s_delay_alu instid0(VALU_DEP_3) | instskip(SKIP_1) | instid1(VALU_DEP_4)
	v_fmac_f32_e32 v151, v149, v159
	v_and_b32_e32 v11, 0xffff0000, v6
	v_dual_fmac_f32 v120, v9, v4 :: v_dual_lshlrev_b32 v7, 16, v7
	s_delay_alu instid0(VALU_DEP_4) | instskip(NEXT) | instid1(VALU_DEP_4)
	v_fmac_f32_e32 v115, v146, v16
	v_fmac_f32_e32 v152, v151, v160
	s_delay_alu instid0(VALU_DEP_4) | instskip(NEXT) | instid1(VALU_DEP_2)
	v_fmac_f32_e32 v114, v142, v11
	v_dual_fmac_f32 v108, v151, v17 :: v_dual_fmac_f32 v157, v152, v168
	v_lshlrev_b32_e32 v6, 16, v6
	v_dual_fmac_f32 v113, v14, v10 :: v_dual_lshlrev_b32 v0, 16, v0
	v_and_b32_e32 v147, 0xffff0000, v3
	s_delay_alu instid0(VALU_DEP_4) | instskip(SKIP_3) | instid1(VALU_DEP_4)
	v_fmac_f32_e32 v161, v157, v163
	v_and_b32_e32 v145, 0xffff0000, v2
	v_lshlrev_b32_e32 v2, 16, v2
	v_dual_fmac_f32 v117, v15, v6 :: v_dual_and_b32 v144, 0xffff0000, v1
	v_fmac_f32_e32 v162, v161, v165
	v_lshlrev_b32_e32 v1, 16, v1
	v_lshlrev_b32_e32 v3, 16, v3
	v_dual_fmac_f32 v107, v161, v2 :: v_dual_fmac_f32 v116, v143, v7
	s_delay_alu instid0(VALU_DEP_4) | instskip(SKIP_1) | instid1(VALU_DEP_2)
	v_dual_fmac_f32 v109, v157, v144 :: v_dual_fmac_f32 v164, v162, v167
	v_dual_fmac_f32 v112, v149, v0 :: v_dual_fmac_f32 v105, v162, v145
	v_fmac_f32_e32 v106, v164, v3
	v_fmac_f32_e32 v166, v164, v169
	s_delay_alu instid0(VALU_DEP_1)
	v_dual_fmac_f32 v110, v152, v1 :: v_dual_fmac_f32 v111, v166, v147
	s_cbranch_scc1 .LBB31_204
.LBB31_109:                             ;   Parent Loop BB31_12 Depth=1
                                        ; =>  This Inner Loop Header: Depth=2
	s_lshl_b64 s[46:47], s[66:67], 2
	s_mov_b32 s55, s67
	s_add_u32 s46, s74, s46
	s_addc_u32 s47, s63, s47
	v_dual_mov_b32 v2, 0 :: v_dual_mov_b32 v3, 0
	global_load_b32 v142, v21, s[46:47]
	s_lshl_b64 s[46:47], s[54:55], 1
	s_delay_alu instid0(SALU_CYCLE_1)
	v_add_co_u32 v0, vcc_lo, v123, s46
	v_add_co_ci_u32_e32 v1, vcc_lo, s47, v124, vcc_lo
	s_and_saveexec_b32 s46, s13
	s_cbranch_execz .LBB31_111
; %bb.110:                              ;   in Loop: Header=BB31_109 Depth=2
	global_load_u16 v3, v[0:1], off
.LBB31_111:                             ;   in Loop: Header=BB31_109 Depth=2
	s_or_b32 exec_lo, exec_lo, s46
	s_and_saveexec_b32 s46, s14
	s_cbranch_execz .LBB31_113
; %bb.112:                              ;   in Loop: Header=BB31_109 Depth=2
	global_load_u16 v2, v[0:1], off offset:64
.LBB31_113:                             ;   in Loop: Header=BB31_109 Depth=2
	s_or_b32 exec_lo, exec_lo, s46
	v_dual_mov_b32 v4, 0 :: v_dual_mov_b32 v5, 0
	s_and_saveexec_b32 s46, s15
	s_cbranch_execz .LBB31_115
; %bb.114:                              ;   in Loop: Header=BB31_109 Depth=2
	global_load_u16 v5, v[0:1], off offset:128
.LBB31_115:                             ;   in Loop: Header=BB31_109 Depth=2
	s_or_b32 exec_lo, exec_lo, s46
	s_and_saveexec_b32 s46, s16
	s_cbranch_execz .LBB31_117
; %bb.116:                              ;   in Loop: Header=BB31_109 Depth=2
	global_load_u16 v4, v[0:1], off offset:192
.LBB31_117:                             ;   in Loop: Header=BB31_109 Depth=2
	s_or_b32 exec_lo, exec_lo, s46
	v_dual_mov_b32 v6, 0 :: v_dual_mov_b32 v7, 0
	s_and_saveexec_b32 s46, s17
	s_cbranch_execz .LBB31_119
; %bb.118:                              ;   in Loop: Header=BB31_109 Depth=2
	global_load_u16 v7, v[0:1], off offset:256
.LBB31_119:                             ;   in Loop: Header=BB31_109 Depth=2
	;; [unrolled: 13-line block ×7, first 2 shown]
	s_or_b32 exec_lo, exec_lo, s46
	s_and_saveexec_b32 s46, s28
	s_cbranch_execz .LBB31_141
; %bb.140:                              ;   in Loop: Header=BB31_109 Depth=2
	global_load_u16 v16, v[0:1], off offset:960
.LBB31_141:                             ;   in Loop: Header=BB31_109 Depth=2
	s_or_b32 exec_lo, exec_lo, s46
	s_waitcnt vmcnt(0)
	ds_store_b16 v37, v3
	ds_store_b16 v37, v2 offset:64
	ds_store_b16 v38, v5 offset:128
	;; [unrolled: 1-line block ×15, first 2 shown]
	; wave barrier
	ds_load_b128 v[12:15], v52
	ds_load_b128 v[8:11], v52 offset:16
	s_mov_b32 s59, s67
	v_dual_mov_b32 v2, 0 :: v_dual_mov_b32 v3, 0
	s_lshl_b64 s[46:47], s[58:59], 1
	s_delay_alu instid0(SALU_CYCLE_1)
	v_add_co_u32 v0, vcc_lo, v125, s46
	v_add_co_ci_u32_e32 v1, vcc_lo, s47, v126, vcc_lo
	s_and_saveexec_b32 s46, s13
	s_cbranch_execz .LBB31_143
; %bb.142:                              ;   in Loop: Header=BB31_109 Depth=2
	global_load_u16 v3, v[0:1], off
.LBB31_143:                             ;   in Loop: Header=BB31_109 Depth=2
	s_or_b32 exec_lo, exec_lo, s46
	s_and_saveexec_b32 s46, s14
	s_cbranch_execz .LBB31_145
; %bb.144:                              ;   in Loop: Header=BB31_109 Depth=2
	global_load_u16 v2, v[0:1], off offset:64
.LBB31_145:                             ;   in Loop: Header=BB31_109 Depth=2
	s_or_b32 exec_lo, exec_lo, s46
	v_dual_mov_b32 v4, 0 :: v_dual_mov_b32 v5, 0
	s_and_saveexec_b32 s46, s15
	s_cbranch_execz .LBB31_147
; %bb.146:                              ;   in Loop: Header=BB31_109 Depth=2
	global_load_u16 v5, v[0:1], off offset:128
.LBB31_147:                             ;   in Loop: Header=BB31_109 Depth=2
	s_or_b32 exec_lo, exec_lo, s46
	s_and_saveexec_b32 s46, s16
	s_cbranch_execz .LBB31_149
; %bb.148:                              ;   in Loop: Header=BB31_109 Depth=2
	global_load_u16 v4, v[0:1], off offset:192
.LBB31_149:                             ;   in Loop: Header=BB31_109 Depth=2
	s_or_b32 exec_lo, exec_lo, s46
	v_dual_mov_b32 v6, 0 :: v_dual_mov_b32 v7, 0
	s_and_saveexec_b32 s46, s17
	s_cbranch_execz .LBB31_151
; %bb.150:                              ;   in Loop: Header=BB31_109 Depth=2
	global_load_u16 v7, v[0:1], off offset:256
.LBB31_151:                             ;   in Loop: Header=BB31_109 Depth=2
	;; [unrolled: 13-line block ×7, first 2 shown]
	s_or_b32 exec_lo, exec_lo, s46
	s_and_saveexec_b32 s46, s28
	s_cbranch_execz .LBB31_173
; %bb.172:                              ;   in Loop: Header=BB31_109 Depth=2
	global_load_u16 v149, v[0:1], off offset:960
.LBB31_173:                             ;   in Loop: Header=BB31_109 Depth=2
	s_or_b32 exec_lo, exec_lo, s46
	s_waitcnt vmcnt(0)
	ds_store_b16 v37, v3 offset:4224
	ds_store_b16 v53, v2 offset:64
	;; [unrolled: 1-line block ×16, first 2 shown]
	; wave barrier
	ds_load_b128 v[4:7], v52 offset:4224
	ds_load_b128 v[0:3], v68 offset:16
	s_and_not1_b32 vcc_lo, exec_lo, s51
	s_cbranch_vccnz .LBB31_175
; %bb.174:                              ;   in Loop: Header=BB31_109 Depth=2
	v_mov_b32_e32 v16, s89
	ds_load_b64 v[16:17], v16
	s_cbranch_execz .LBB31_176
	s_branch .LBB31_179
.LBB31_175:                             ;   in Loop: Header=BB31_109 Depth=2
                                        ; implicit-def: $vgpr16
.LBB31_176:                             ;   in Loop: Header=BB31_109 Depth=2
	s_waitcnt lgkmcnt(0)
	v_mov_b32_e32 v17, 0
	s_and_not1_b32 vcc_lo, exec_lo, s68
	s_cbranch_vccnz .LBB31_178
; %bb.177:                              ;   in Loop: Header=BB31_109 Depth=2
	s_mov_b32 s61, s67
	s_delay_alu instid0(SALU_CYCLE_1) | instskip(NEXT) | instid1(SALU_CYCLE_1)
	s_lshl_b64 s[46:47], s[60:61], 1
	s_add_u32 s46, s77, s46
	s_addc_u32 s47, s78, s47
	global_load_u16 v16, v21, s[46:47]
	s_waitcnt vmcnt(0)
	v_lshlrev_b32_e32 v17, 16, v16
.LBB31_178:                             ;   in Loop: Header=BB31_109 Depth=2
	v_mov_b32_e32 v16, 1.0
.LBB31_179:                             ;   in Loop: Header=BB31_109 Depth=2
	s_waitcnt lgkmcnt(19)
	v_dual_mul_f32 v164, 0x3fb8aa3b, v142 :: v_dual_lshlrev_b32 v143, 16, v12
	v_and_b32_e32 v12, 0xffff0000, v12
	v_lshlrev_b32_e32 v142, 16, v13
	v_and_b32_e32 v146, 0xffff0000, v13
	v_lshlrev_b32_e32 v149, 16, v14
	v_mul_f32_e32 v13, v164, v90
	v_dual_mul_f32 v14, v164, v91 :: v_dual_and_b32 v151, 0xffff0000, v14
	v_dual_mul_f32 v145, v164, v93 :: v_dual_lshlrev_b32 v152, 16, v15
	s_delay_alu instid0(VALU_DEP_3) | instskip(SKIP_1) | instid1(VALU_DEP_4)
	v_cmp_gt_f32_e32 vcc_lo, 0xc2fc0000, v13
	v_dual_mul_f32 v12, v140, v12 :: v_dual_and_b32 v155, 0xffff0000, v15
	v_cmp_gt_f32_e64 s46, 0xc2fc0000, v14
	v_mul_f32_e32 v15, v164, v92
	v_cndmask_b32_e64 v13, 0, 0x42800000, vcc_lo
	v_cndmask_b32_e64 v144, 1.0, 0x1f800000, vcc_lo
	s_waitcnt lgkmcnt(18)
	v_lshlrev_b32_e32 v161, 16, v10
	v_cndmask_b32_e64 v14, 0, 0x42800000, s46
	v_mul_f32_e32 v143, v141, v143
	v_fmac_f32_e32 v13, v164, v90
	v_dual_mul_f32 v142, v139, v142 :: v_dual_lshlrev_b32 v157, 16, v8
	v_and_b32_e32 v8, 0xffff0000, v8
	v_fmac_f32_e32 v14, v164, v91
	s_delay_alu instid0(VALU_DEP_4) | instskip(SKIP_2) | instid1(VALU_DEP_3)
	v_exp_f32_e32 v13, v13
	v_cmp_gt_f32_e32 vcc_lo, 0xc2fc0000, v15
	v_dual_mul_f32 v151, v136, v151 :: v_dual_and_b32 v10, 0xffff0000, v10
	v_exp_f32_e32 v14, v14
	v_dual_mul_f32 v157, v133, v157 :: v_dual_mul_f32 v8, v132, v8
	v_cndmask_b32_e64 v15, 0, 0x42800000, vcc_lo
	v_lshlrev_b32_e32 v166, 16, v11
	v_and_b32_e32 v11, 0xffff0000, v11
	s_delay_alu instid0(TRANS32_DEP_2)
	v_mul_f32_e32 v13, v13, v144
	v_cndmask_b32_e64 v144, 0, v143, s29
	v_cndmask_b32_e64 v143, 1.0, 0x1f800000, s46
	v_cmp_gt_f32_e64 s46, 0xc2fc0000, v145
	v_fmac_f32_e32 v15, v164, v92
	v_cndmask_b32_e64 v145, 1.0, v13, s29
	v_cndmask_b32_e64 v12, 0, v12, s30
	v_mul_f32_e32 v13, v14, v143
	v_cndmask_b32_e64 v147, 0, 0x42800000, s46
	v_exp_f32_e32 v14, v15
	v_cndmask_b32_e64 v143, 1.0, 0x1f800000, vcc_lo
	v_lshlrev_b32_e32 v159, 16, v9
	v_mul_f32_e32 v15, v164, v94
	v_fmac_f32_e32 v147, v164, v93
	v_and_b32_e32 v9, 0xffff0000, v9
	v_mul_f32_e32 v167, v164, v103
	v_mul_f32_e32 v169, v164, v121
	v_cmp_gt_f32_e32 vcc_lo, 0xc2fc0000, v15
	v_exp_f32_e32 v150, v147
	v_mul_f32_e32 v14, v14, v143
	v_cndmask_b32_e64 v143, 1.0, 0x1f800000, s46
	v_mul_f32_e32 v153, v164, v97
	v_cndmask_b32_e64 v15, 0, 0x42800000, vcc_lo
	v_mul_f32_e32 v156, v164, v98
	v_cndmask_b32_e64 v148, 1.0, v14, s31
	v_mul_f32_e32 v14, v138, v146
	v_mul_f32_e32 v146, v164, v96
	v_fmac_f32_e32 v15, v164, v94
	v_mul_f32_e32 v143, v150, v143
	v_cmp_gt_f32_e64 s47, 0xc2fc0000, v153
	v_cndmask_b32_e64 v14, 0, v14, s33
	v_mul_f32_e32 v158, v164, v100
	v_exp_f32_e32 v15, v15
	v_cndmask_b32_e64 v150, 1.0, v143, s33
	v_cndmask_b32_e64 v143, 1.0, 0x1f800000, vcc_lo
	v_cmp_gt_f32_e32 vcc_lo, 0xc2fc0000, v146
	v_mul_f32_e32 v166, v127, v166
	v_dual_mul_f32 v10, v128, v10 :: v_dual_mul_f32 v11, v122, v11
	v_cndmask_b32_e64 v146, 0, 0x42800000, vcc_lo
	s_delay_alu instid0(TRANS32_DEP_1) | instskip(SKIP_2) | instid1(VALU_DEP_4)
	v_mul_f32_e32 v143, v15, v143
	v_mul_f32_e32 v15, v137, v149
	v_cndmask_b32_e64 v149, 0, 0x42800000, s47
	v_fmac_f32_e32 v146, v164, v96
	v_cndmask_b32_e64 v147, 1.0, v13, s30
	v_cndmask_b32_e64 v13, 0, v142, s31
	v_mul_f32_e32 v142, v164, v95
	v_cndmask_b32_e64 v153, 1.0, v143, s34
	v_exp_f32_e32 v146, v146
	v_fma_f32 v165, v147, v144, v12
	v_cndmask_b32_e64 v15, 0, v15, s34
	v_cmp_gt_f32_e64 s46, 0xc2fc0000, v142
	s_delay_alu instid0(VALU_DEP_1) | instskip(SKIP_1) | instid1(VALU_DEP_2)
	v_cndmask_b32_e64 v142, 0, 0x42800000, s46
	v_cndmask_b32_e64 v154, 1.0, 0x1f800000, s46
	v_fmac_f32_e32 v142, v164, v95
	s_delay_alu instid0(VALU_DEP_1)
	v_exp_f32_e32 v142, v142
	s_waitcnt_depctr 0xfff
	v_mul_f32_e32 v143, v142, v154
	v_cndmask_b32_e64 v142, 0, v151, s35
	v_cndmask_b32_e64 v151, 1.0, 0x1f800000, vcc_lo
	v_cmp_gt_f32_e32 vcc_lo, 0xc2fc0000, v156
	v_mul_f32_e32 v156, v134, v155
	v_cndmask_b32_e64 v154, 1.0, v143, s35
	s_delay_alu instid0(VALU_DEP_4)
	v_dual_mul_f32 v143, v135, v152 :: v_dual_mul_f32 v146, v146, v151
	v_cndmask_b32_e64 v151, 1.0, 0x1f800000, s47
	v_cmp_gt_f32_e64 s47, 0xc2fc0000, v158
	v_mul_f32_e32 v158, v164, v101
	v_cndmask_b32_e64 v152, 0, 0x42800000, vcc_lo
	v_cndmask_b32_e64 v160, 1.0, 0x1f800000, vcc_lo
	v_cndmask_b32_e64 v155, 1.0, v146, s36
	v_cndmask_b32_e64 v146, 0, v156, s37
	v_cmp_gt_f32_e32 vcc_lo, 0xc2fc0000, v158
	v_fmac_f32_e32 v152, v164, v98
	v_cndmask_b32_e64 v143, 0, v143, s36
	v_cndmask_b32_e64 v162, 0, 0x42800000, vcc_lo
	v_cndmask_b32_e64 v163, 1.0, 0x1f800000, vcc_lo
	s_delay_alu instid0(VALU_DEP_2) | instskip(NEXT) | instid1(VALU_DEP_1)
	v_fmac_f32_e32 v162, v164, v101
	v_exp_f32_e32 v162, v162
	v_fmac_f32_e32 v149, v164, v97
	s_delay_alu instid0(VALU_DEP_1) | instskip(SKIP_3) | instid1(VALU_DEP_2)
	v_exp_f32_e32 v149, v149
	s_waitcnt_depctr 0xfff
	v_mul_f32_e32 v149, v149, v151
	v_mul_f32_e32 v151, v164, v99
	v_cndmask_b32_e64 v156, 1.0, v149, s37
	s_delay_alu instid0(VALU_DEP_2) | instskip(SKIP_2) | instid1(VALU_DEP_2)
	v_cmp_gt_f32_e64 s46, 0xc2fc0000, v151
	v_exp_f32_e32 v149, v152
	v_cndmask_b32_e64 v152, 0, 0x42800000, s47
	v_cndmask_b32_e64 v151, 0, 0x42800000, s46
	s_delay_alu instid0(VALU_DEP_2)
	v_fmac_f32_e32 v152, v164, v100
	s_waitcnt_depctr 0xfff
	v_dual_fmac_f32 v151, v164, v99 :: v_dual_mul_f32 v158, v149, v160
	v_cndmask_b32_e64 v149, 0, v157, s38
	v_exp_f32_e32 v152, v152
	v_cndmask_b32_e64 v157, 1.0, 0x1f800000, s46
	s_delay_alu instid0(VALU_DEP_3) | instskip(SKIP_3) | instid1(VALU_DEP_2)
	v_exp_f32_e32 v151, v151
	v_cndmask_b32_e64 v160, 1.0, 0x1f800000, s47
	v_cmp_gt_f32_e64 s46, 0xc2fc0000, v167
	v_cndmask_b32_e64 v158, 1.0, v158, s38
	v_cndmask_b32_e64 v167, 1.0, 0x1f800000, s46
	s_waitcnt_depctr 0xfff
	v_dual_mul_f32 v160, v152, v160 :: v_dual_mul_f32 v157, v151, v157
	v_cndmask_b32_e64 v151, 0, v8, s39
	v_mul_f32_e32 v8, v131, v159
	s_delay_alu instid0(VALU_DEP_3) | instskip(NEXT) | instid1(VALU_DEP_4)
	v_cndmask_b32_e64 v160, 1.0, v160, s40
	v_cndmask_b32_e64 v159, 1.0, v157, s39
	v_mul_f32_e32 v157, v164, v102
	s_delay_alu instid0(VALU_DEP_4) | instskip(SKIP_1) | instid1(VALU_DEP_3)
	v_cndmask_b32_e64 v152, 0, v8, s40
	v_dual_mul_f32 v8, v162, v163 :: v_dual_mul_f32 v163, v147, v145
	v_cmp_gt_f32_e32 vcc_lo, 0xc2fc0000, v157
	s_delay_alu instid0(VALU_DEP_2) | instskip(SKIP_3) | instid1(VALU_DEP_3)
	v_cndmask_b32_e64 v168, 1.0, v8, s41
	v_cndmask_b32_e64 v162, 0, 0x42800000, vcc_lo
	v_mul_f32_e32 v9, v130, v9
	v_cndmask_b32_e64 v8, 1.0, 0x1f800000, vcc_lo
	v_fmac_f32_e32 v162, v164, v102
	s_delay_alu instid0(VALU_DEP_3)
	v_cndmask_b32_e64 v157, 0, v9, s41
	v_mul_f32_e32 v9, v163, v148
	v_fma_f32 v163, v165, v148, v13
	v_cndmask_b32_e64 v165, 0, 0x42800000, s46
	v_exp_f32_e32 v162, v162
	v_cmp_gt_f32_e64 s46, 0xc2fc0000, v169
	v_mul_f32_e32 v9, v9, v150
	v_fma_f32 v163, v163, v150, v14
	v_fmac_f32_e32 v165, v164, v103
	s_delay_alu instid0(VALU_DEP_3) | instskip(NEXT) | instid1(VALU_DEP_3)
	v_mul_f32_e32 v9, v9, v153
	v_fma_f32 v163, v163, v153, v15
	s_delay_alu instid0(VALU_DEP_3)
	v_exp_f32_e32 v165, v165
	s_delay_alu instid0(TRANS32_DEP_2) | instid1(VALU_DEP_2)
	v_dual_mul_f32 v8, v162, v8 :: v_dual_mul_f32 v9, v9, v154
	s_delay_alu instid0(VALU_DEP_2) | instskip(NEXT) | instid1(VALU_DEP_2)
	v_fma_f32 v162, v163, v154, v142
	v_cndmask_b32_e64 v163, 1.0, v8, s42
	s_delay_alu instid0(VALU_DEP_3) | instskip(NEXT) | instid1(VALU_DEP_3)
	v_mul_f32_e32 v8, v9, v155
	v_fma_f32 v9, v162, v155, v143
	v_mul_f32_e32 v162, v164, v104
	s_delay_alu instid0(VALU_DEP_3) | instskip(NEXT) | instid1(VALU_DEP_3)
	v_mul_f32_e32 v8, v8, v156
	v_fma_f32 v9, v9, v156, v146
	s_delay_alu instid0(VALU_DEP_3)
	v_cmp_gt_f32_e32 vcc_lo, 0xc2fc0000, v162
	v_mul_f32_e32 v161, v129, v161
	v_cndmask_b32_e64 v162, 0, v10, s43
	v_mul_f32_e32 v8, v8, v158
	v_fma_f32 v9, v9, v158, v149
	v_cndmask_b32_e64 v10, 0, 0x42800000, s46
	v_mul_f32_e32 v165, v165, v167
	v_cndmask_b32_e64 v167, 0, 0x42800000, vcc_lo
	v_mul_f32_e32 v8, v8, v159
	v_fma_f32 v9, v9, v159, v151
	v_fmac_f32_e32 v10, v164, v121
	v_cndmask_b32_e64 v161, 0, v161, s42
	v_fmac_f32_e32 v167, v164, v104
	v_mul_f32_e32 v8, v8, v160
	v_fma_f32 v9, v9, v160, v152
	v_cndmask_b32_e64 v164, 1.0, 0x1f800000, vcc_lo
	v_exp_f32_e32 v10, v10
	v_exp_f32_e32 v167, v167
	v_mul_f32_e32 v8, v8, v168
	v_fma_f32 v9, v9, v168, v157
	v_cndmask_b32_e64 v165, 1.0, v165, s43
	s_delay_alu instid0(VALU_DEP_3) | instskip(NEXT) | instid1(VALU_DEP_3)
	v_mul_f32_e32 v8, v8, v163
	v_fma_f32 v9, v9, v163, v161
	s_waitcnt_depctr 0xfff
	v_mul_f32_e32 v167, v167, v164
	v_cndmask_b32_e64 v164, 0, v166, s44
	v_cndmask_b32_e64 v166, 1.0, 0x1f800000, s46
	v_mul_f32_e32 v8, v8, v165
	v_fma_f32 v9, v9, v165, v162
	v_cndmask_b32_e64 v167, 1.0, v167, s44
	s_delay_alu instid0(VALU_DEP_4) | instskip(SKIP_1) | instid1(VALU_DEP_3)
	v_mul_f32_e32 v10, v10, v166
	v_cndmask_b32_e64 v166, 0, v11, s45
	v_mul_f32_e32 v8, v8, v167
	v_fma_f32 v9, v9, v167, v164
	s_delay_alu instid0(VALU_DEP_4) | instskip(NEXT) | instid1(VALU_DEP_1)
	v_cndmask_b32_e64 v169, 1.0, v10, s45
	v_mul_f32_e32 v8, v8, v169
	s_delay_alu instid0(VALU_DEP_3) | instskip(NEXT) | instid1(VALU_DEP_2)
	v_fma_f32 v9, v9, v169, v166
	v_mov_b32_dpp v11, v8 row_shr:1 row_mask:0xf bank_mask:0xf
	s_delay_alu instid0(VALU_DEP_2)
	v_mov_b32_dpp v10, v9 row_shr:1 row_mask:0xf bank_mask:0xf
	s_and_saveexec_b32 s46, s0
; %bb.180:                              ;   in Loop: Header=BB31_109 Depth=2
	s_delay_alu instid0(VALU_DEP_2) | instskip(NEXT) | instid1(VALU_DEP_1)
	v_mul_f32_e32 v11, v8, v11
	v_dual_fmac_f32 v9, v8, v10 :: v_dual_mov_b32 v8, v11
; %bb.181:                              ;   in Loop: Header=BB31_109 Depth=2
	s_or_b32 exec_lo, exec_lo, s46
	s_delay_alu instid0(VALU_DEP_1) | instskip(NEXT) | instid1(VALU_DEP_2)
	v_mov_b32_dpp v10, v8 row_shr:2 row_mask:0xf bank_mask:0xf
	v_mov_b32_dpp v11, v9 row_shr:2 row_mask:0xf bank_mask:0xf
	s_and_saveexec_b32 s46, s1
; %bb.182:                              ;   in Loop: Header=BB31_109 Depth=2
	s_delay_alu instid0(VALU_DEP_1) | instskip(NEXT) | instid1(VALU_DEP_3)
	v_fmac_f32_e32 v9, v8, v11
	v_mul_f32_e32 v8, v8, v10
; %bb.183:                              ;   in Loop: Header=BB31_109 Depth=2
	s_or_b32 exec_lo, exec_lo, s46
	s_delay_alu instid0(VALU_DEP_1) | instskip(NEXT) | instid1(VALU_DEP_3)
	v_mov_b32_dpp v10, v8 row_shr:4 row_mask:0xf bank_mask:0xf
	v_mov_b32_dpp v11, v9 row_shr:4 row_mask:0xf bank_mask:0xf
	s_and_saveexec_b32 s46, s2
; %bb.184:                              ;   in Loop: Header=BB31_109 Depth=2
	s_delay_alu instid0(VALU_DEP_1) | instskip(NEXT) | instid1(VALU_DEP_3)
	v_fmac_f32_e32 v9, v8, v11
	v_mul_f32_e32 v8, v8, v10
; %bb.185:                              ;   in Loop: Header=BB31_109 Depth=2
	s_or_b32 exec_lo, exec_lo, s46
	s_delay_alu instid0(VALU_DEP_1) | instskip(NEXT) | instid1(VALU_DEP_3)
	v_mov_b32_dpp v10, v8 row_shr:8 row_mask:0xf bank_mask:0xf
	v_mov_b32_dpp v11, v9 row_shr:8 row_mask:0xf bank_mask:0xf
	s_and_saveexec_b32 s46, s3
; %bb.186:                              ;   in Loop: Header=BB31_109 Depth=2
	s_delay_alu instid0(VALU_DEP_1) | instskip(NEXT) | instid1(VALU_DEP_3)
	v_fmac_f32_e32 v9, v8, v11
	v_mul_f32_e32 v8, v8, v10
; %bb.187:                              ;   in Loop: Header=BB31_109 Depth=2
	s_or_b32 exec_lo, exec_lo, s46
	ds_swizzle_b32 v11, v8 offset:swizzle(BROADCAST,32,15)
	ds_swizzle_b32 v10, v9 offset:swizzle(BROADCAST,32,15)
	s_and_saveexec_b32 s46, s4
	s_cbranch_execz .LBB31_189
; %bb.188:                              ;   in Loop: Header=BB31_109 Depth=2
	s_waitcnt lgkmcnt(1)
	v_mul_f32_e32 v11, v8, v11
	s_waitcnt lgkmcnt(0)
	s_delay_alu instid0(VALU_DEP_1)
	v_dual_fmac_f32 v9, v8, v10 :: v_dual_mov_b32 v8, v11
.LBB31_189:                             ;   in Loop: Header=BB31_109 Depth=2
	s_or_b32 exec_lo, exec_lo, s46
	s_and_saveexec_b32 s46, s5
	s_cbranch_execz .LBB31_191
; %bb.190:                              ;   in Loop: Header=BB31_109 Depth=2
	ds_store_b64 v69, v[8:9] offset:8448
.LBB31_191:                             ;   in Loop: Header=BB31_109 Depth=2
	s_or_b32 exec_lo, exec_lo, s46
	s_waitcnt lgkmcnt(0)
	s_waitcnt_vscnt null, 0x0
	s_barrier
	buffer_gl0_inv
	s_and_saveexec_b32 s46, s6
	s_cbranch_execz .LBB31_195
; %bb.192:                              ;   in Loop: Header=BB31_109 Depth=2
	ds_load_b64 v[10:11], v70 offset:8448
	s_waitcnt lgkmcnt(0)
	v_mov_b32_dpp v172, v10 row_shr:1 row_mask:0xf bank_mask:0xf
	v_mov_b32_dpp v171, v11 row_shr:1 row_mask:0xf bank_mask:0xf
	v_mov_b32_e32 v170, v10
	s_and_saveexec_b32 s47, s7
; %bb.193:                              ;   in Loop: Header=BB31_109 Depth=2
	s_delay_alu instid0(VALU_DEP_3) | instskip(NEXT) | instid1(VALU_DEP_3)
	v_mul_f32_e32 v170, v10, v172
	v_fmac_f32_e32 v11, v10, v171
	s_delay_alu instid0(VALU_DEP_2)
	v_mov_b32_e32 v10, v170
; %bb.194:                              ;   in Loop: Header=BB31_109 Depth=2
	s_or_b32 exec_lo, exec_lo, s47
	v_mov_b32_dpp v170, v170 row_shr:2 row_mask:0xf bank_mask:0xf
	s_delay_alu instid0(VALU_DEP_3) | instskip(NEXT) | instid1(VALU_DEP_2)
	v_mov_b32_dpp v171, v11 row_shr:2 row_mask:0xf bank_mask:0xf
	v_mul_f32_e32 v170, v10, v170
	s_delay_alu instid0(VALU_DEP_2) | instskip(NEXT) | instid1(VALU_DEP_2)
	v_fma_f32 v171, v10, v171, v11
	v_cndmask_b32_e64 v10, v10, v170, s8
	s_delay_alu instid0(VALU_DEP_2)
	v_cndmask_b32_e64 v11, v11, v171, s8
	ds_store_b64 v70, v[10:11] offset:8448
.LBB31_195:                             ;   in Loop: Header=BB31_109 Depth=2
	s_or_b32 exec_lo, exec_lo, s46
	s_waitcnt lgkmcnt(0)
	s_barrier
	buffer_gl0_inv
                                        ; implicit-def: $vgpr11
	s_and_saveexec_b32 s46, s10
	s_cbranch_execz .LBB31_197
; %bb.196:                              ;   in Loop: Header=BB31_109 Depth=2
	ds_load_b64 v[10:11], v69 offset:8440
	s_waitcnt lgkmcnt(0)
	v_mul_f32_e32 v170, v8, v10
	s_delay_alu instid0(VALU_DEP_1)
	v_dual_fmac_f32 v9, v8, v11 :: v_dual_mov_b32 v8, v170
.LBB31_197:                             ;   in Loop: Header=BB31_109 Depth=2
	s_or_b32 exec_lo, exec_lo, s46
	ds_bpermute_b32 v170, v71, v8
	ds_bpermute_b32 v171, v71, v9
	s_and_saveexec_b32 s46, s9
	s_cbranch_execz .LBB31_201
; %bb.198:                              ;   in Loop: Header=BB31_109 Depth=2
	ds_load_b64 v[8:9], v21 offset:8472
	s_and_saveexec_b32 s47, s11
	s_cbranch_execz .LBB31_200
; %bb.199:                              ;   in Loop: Header=BB31_109 Depth=2
	ds_store_b64 v21, v[16:17] offset:8472
.LBB31_200:                             ;   in Loop: Header=BB31_109 Depth=2
	s_or_b32 exec_lo, exec_lo, s47
	s_waitcnt lgkmcnt(0)
	v_fmac_f32_e32 v9, v8, v17
	s_delay_alu instid0(VALU_DEP_1)
	v_dual_mul_f32 v16, v16, v8 :: v_dual_mov_b32 v17, v9
.LBB31_201:                             ;   in Loop: Header=BB31_109 Depth=2
	s_or_b32 exec_lo, exec_lo, s46
	s_waitcnt lgkmcnt(0)
	s_barrier
	buffer_gl0_inv
	ds_load_b32 v8, v21 offset:8476
	s_and_saveexec_b32 s46, s11
	s_cbranch_execz .LBB31_108
; %bb.202:                              ;   in Loop: Header=BB31_109 Depth=2
	v_mov_b32_e32 v9, s89
	s_and_not1_b32 vcc_lo, exec_lo, s87
	ds_store_b64 v9, v[16:17]
	s_cbranch_vccnz .LBB31_108
; %bb.203:                              ;   in Loop: Header=BB31_109 Depth=2
	v_bfe_u32 v9, v17, 16, 1
	v_cmp_o_f32_e32 vcc_lo, v17, v17
	s_mov_b32 s61, s67
	s_delay_alu instid0(SALU_CYCLE_1) | instskip(NEXT) | instid1(VALU_DEP_2)
	s_lshl_b64 s[90:91], s[60:61], 1
	v_add3_u32 v9, v17, v9, 0x7fff
	s_add_u32 s90, s77, s90
	s_addc_u32 s91, s78, s91
	s_delay_alu instid0(VALU_DEP_1) | instskip(NEXT) | instid1(VALU_DEP_1)
	v_lshrrev_b32_e32 v9, 16, v9
	v_cndmask_b32_e32 v9, 0x7fc0, v9, vcc_lo
	global_store_b16 v21, v9, s[90:91]
	s_branch .LBB31_108
.LBB31_204:                             ;   in Loop: Header=BB31_12 Depth=1
	v_bfe_u32 v0, v120, 16, 1
	v_bfe_u32 v1, v119, 16, 1
	v_cmp_o_f32_e32 vcc_lo, v120, v120
	v_bfe_u32 v2, v118, 16, 1
	v_bfe_u32 v4, v114, 16, 1
	v_add3_u32 v0, v120, v0, 0x7fff
	v_add3_u32 v1, v119, v1, 0x7fff
	v_bfe_u32 v7, v116, 16, 1
	v_add3_u32 v2, v118, v2, 0x7fff
	v_bfe_u32 v6, v115, 16, 1
	v_lshrrev_b32_e32 v0, 16, v0
	v_lshrrev_b32_e32 v1, 16, v1
	v_add3_u32 v4, v114, v4, 0x7fff
	v_lshrrev_b32_e32 v2, 16, v2
	v_add3_u32 v7, v116, v7, 0x7fff
	v_cndmask_b32_e32 v0, 0x7fc0, v0, vcc_lo
	v_cmp_o_f32_e32 vcc_lo, v119, v119
	v_add3_u32 v6, v115, v6, 0x7fff
	v_bfe_u32 v3, v113, 16, 1
	v_bfe_u32 v10, v109, 16, 1
	;; [unrolled: 1-line block ×3, first 2 shown]
	v_cndmask_b32_e32 v5, 0x7fc0, v1, vcc_lo
	v_bfe_u32 v1, v117, 16, 1
	v_cmp_o_f32_e32 vcc_lo, v118, v118
	v_lshrrev_b32_e32 v6, 16, v6
	v_add3_u32 v3, v113, v3, 0x7fff
	v_bfe_u32 v12, v111, 16, 1
	v_add3_u32 v1, v117, v1, 0x7fff
	v_cndmask_b32_e32 v8, 0x7fc0, v2, vcc_lo
	v_cmp_o_f32_e32 vcc_lo, v117, v117
	v_lshrrev_b32_e32 v2, 16, v4
	v_lshrrev_b32_e32 v4, 16, v7
	;; [unrolled: 1-line block ×4, first 2 shown]
	v_bfe_u32 v7, v112, 16, 1
	v_add3_u32 v11, v106, v11, 0x7fff
	v_perm_b32 v0, v5, v0, 0x5040100
	v_cndmask_b32_e32 v1, 0x7fc0, v1, vcc_lo
	v_cmp_o_f32_e32 vcc_lo, v116, v116
	s_waitcnt_vscnt null, 0x0
	s_barrier
	buffer_gl0_inv
	s_mov_b32 s51, s67
	v_cndmask_b32_e32 v4, 0x7fc0, v4, vcc_lo
	v_cmp_o_f32_e32 vcc_lo, v115, v115
	s_lshl_b64 s[30:31], s[50:51], 1
	v_cndmask_b32_e32 v6, 0x7fc0, v6, vcc_lo
	v_cmp_o_f32_e32 vcc_lo, v114, v114
	v_cndmask_b32_e32 v2, 0x7fc0, v2, vcc_lo
	v_cmp_o_f32_e32 vcc_lo, v113, v113
	s_delay_alu instid0(VALU_DEP_2)
	v_perm_b32 v2, v2, v1, 0x5040100
	v_cndmask_b32_e32 v9, 0x7fc0, v3, vcc_lo
	v_perm_b32 v3, v6, v4, 0x5040100
	v_add3_u32 v6, v112, v7, 0x7fff
	v_bfe_u32 v7, v110, 16, 1
	v_cmp_o_f32_e32 vcc_lo, v112, v112
	v_perm_b32 v1, v9, v8, 0x5040100
	v_add3_u32 v8, v109, v10, 0x7fff
	v_lshrrev_b32_e32 v6, 16, v6
	v_add3_u32 v7, v110, v7, 0x7fff
	v_bfe_u32 v10, v105, 16, 1
	v_bfe_u32 v4, v108, 16, 1
	s_delay_alu instid0(VALU_DEP_4) | instskip(NEXT) | instid1(VALU_DEP_4)
	v_cndmask_b32_e32 v9, 0x7fc0, v6, vcc_lo
	v_lshrrev_b32_e32 v6, 16, v7
	v_lshrrev_b32_e32 v7, 16, v8
	v_bfe_u32 v8, v107, 16, 1
	v_cmp_o_f32_e32 vcc_lo, v110, v110
	v_add3_u32 v4, v108, v4, 0x7fff
	s_delay_alu instid0(VALU_DEP_3)
	v_add3_u32 v8, v107, v8, 0x7fff
	v_cndmask_b32_e32 v13, 0x7fc0, v6, vcc_lo
	v_cmp_o_f32_e32 vcc_lo, v109, v109
	v_add3_u32 v6, v105, v10, 0x7fff
	v_add3_u32 v10, v111, v12, 0x7fff
	v_lshrrev_b32_e32 v4, 16, v4
	v_cndmask_b32_e32 v12, 0x7fc0, v7, vcc_lo
	v_lshrrev_b32_e32 v7, 16, v8
	v_cmp_o_f32_e32 vcc_lo, v107, v107
	v_lshrrev_b32_e32 v8, 16, v11
	v_lshrrev_b32_e32 v10, 16, v10
	;; [unrolled: 1-line block ×3, first 2 shown]
	v_perm_b32 v5, v12, v13, 0x5040100
	v_cndmask_b32_e32 v11, 0x7fc0, v7, vcc_lo
	v_cmp_o_f32_e32 vcc_lo, v106, v106
	v_cndmask_b32_e32 v7, 0x7fc0, v8, vcc_lo
	v_cmp_o_f32_e32 vcc_lo, v111, v111
	;; [unrolled: 2-line block ×3, first 2 shown]
	s_delay_alu instid0(VALU_DEP_2) | instskip(SKIP_2) | instid1(VALU_DEP_2)
	v_perm_b32 v7, v8, v7, 0x5040100
	v_cndmask_b32_e32 v6, 0x7fc0, v6, vcc_lo
	v_cmp_o_f32_e32 vcc_lo, v108, v108
	v_perm_b32 v6, v6, v11, 0x5040100
	v_cndmask_b32_e32 v4, 0x7fc0, v4, vcc_lo
	s_delay_alu instid0(VALU_DEP_1)
	v_perm_b32 v4, v4, v9, 0x5040100
	ds_store_b128 v52, v[0:3]
	ds_store_b128 v52, v[4:7] offset:16
	; wave barrier
	ds_load_u16 v16, v37 offset:64
	ds_load_u16 v15, v38 offset:128
	;; [unrolled: 1-line block ×15, first 2 shown]
	v_add_co_u32 v0, vcc_lo, v72, s30
	v_add_co_ci_u32_e32 v1, vcc_lo, s31, v73, vcc_lo
	s_and_saveexec_b32 s29, s13
	s_cbranch_execnz .LBB31_222
; %bb.205:                              ;   in Loop: Header=BB31_12 Depth=1
	s_or_b32 exec_lo, exec_lo, s29
	s_and_saveexec_b32 s13, s14
	s_cbranch_execnz .LBB31_223
.LBB31_206:                             ;   in Loop: Header=BB31_12 Depth=1
	s_or_b32 exec_lo, exec_lo, s13
	s_and_saveexec_b32 s13, s15
	s_cbranch_execnz .LBB31_224
.LBB31_207:                             ;   in Loop: Header=BB31_12 Depth=1
	s_or_b32 exec_lo, exec_lo, s13
	s_and_saveexec_b32 s13, s16
	s_cbranch_execnz .LBB31_225
.LBB31_208:                             ;   in Loop: Header=BB31_12 Depth=1
	s_or_b32 exec_lo, exec_lo, s13
	s_and_saveexec_b32 s13, s17
	s_cbranch_execnz .LBB31_226
.LBB31_209:                             ;   in Loop: Header=BB31_12 Depth=1
	s_or_b32 exec_lo, exec_lo, s13
	s_and_saveexec_b32 s13, s18
	s_cbranch_execnz .LBB31_227
.LBB31_210:                             ;   in Loop: Header=BB31_12 Depth=1
	s_or_b32 exec_lo, exec_lo, s13
	s_and_saveexec_b32 s13, s19
	s_cbranch_execnz .LBB31_228
.LBB31_211:                             ;   in Loop: Header=BB31_12 Depth=1
	s_or_b32 exec_lo, exec_lo, s13
	s_and_saveexec_b32 s13, s20
	s_cbranch_execnz .LBB31_229
.LBB31_212:                             ;   in Loop: Header=BB31_12 Depth=1
	s_or_b32 exec_lo, exec_lo, s13
	s_and_saveexec_b32 s13, s21
	s_cbranch_execnz .LBB31_230
.LBB31_213:                             ;   in Loop: Header=BB31_12 Depth=1
	s_or_b32 exec_lo, exec_lo, s13
	s_and_saveexec_b32 s13, s22
	s_cbranch_execnz .LBB31_231
.LBB31_214:                             ;   in Loop: Header=BB31_12 Depth=1
	s_or_b32 exec_lo, exec_lo, s13
	s_and_saveexec_b32 s13, s23
	s_cbranch_execnz .LBB31_232
.LBB31_215:                             ;   in Loop: Header=BB31_12 Depth=1
	s_or_b32 exec_lo, exec_lo, s13
	s_and_saveexec_b32 s13, s24
	s_cbranch_execnz .LBB31_233
.LBB31_216:                             ;   in Loop: Header=BB31_12 Depth=1
	s_or_b32 exec_lo, exec_lo, s13
	s_and_saveexec_b32 s13, s25
	s_cbranch_execnz .LBB31_234
.LBB31_217:                             ;   in Loop: Header=BB31_12 Depth=1
	s_or_b32 exec_lo, exec_lo, s13
	s_and_saveexec_b32 s13, s26
	s_cbranch_execnz .LBB31_235
.LBB31_218:                             ;   in Loop: Header=BB31_12 Depth=1
	s_or_b32 exec_lo, exec_lo, s13
	s_and_saveexec_b32 s13, s27
	s_cbranch_execnz .LBB31_236
.LBB31_219:                             ;   in Loop: Header=BB31_12 Depth=1
	s_or_b32 exec_lo, exec_lo, s13
	s_and_saveexec_b32 s13, s28
	s_cbranch_execz .LBB31_11
	s_branch .LBB31_237
.LBB31_220:                             ;   in Loop: Header=BB31_12 Depth=1
	global_load_u16 v97, v[8:9], off offset:832
	s_or_b32 exec_lo, exec_lo, s29
	s_and_saveexec_b32 s29, s27
	s_cbranch_execz .LBB31_72
.LBB31_221:                             ;   in Loop: Header=BB31_12 Depth=1
	global_load_u16 v96, v[8:9], off offset:896
	s_or_b32 exec_lo, exec_lo, s29
	v_mov_b32_e32 v98, 0
	s_and_saveexec_b32 s29, s28
	s_cbranch_execnz .LBB31_73
	s_branch .LBB31_74
.LBB31_222:                             ;   in Loop: Header=BB31_12 Depth=1
	ds_load_u16 v17, v37
	s_waitcnt lgkmcnt(0)
	global_store_b16 v[0:1], v17, off
	s_or_b32 exec_lo, exec_lo, s29
	s_and_saveexec_b32 s13, s14
	s_cbranch_execz .LBB31_206
.LBB31_223:                             ;   in Loop: Header=BB31_12 Depth=1
	s_waitcnt lgkmcnt(14)
	global_store_b16 v[0:1], v16, off offset:64
	s_or_b32 exec_lo, exec_lo, s13
	s_and_saveexec_b32 s13, s15
	s_cbranch_execz .LBB31_207
.LBB31_224:                             ;   in Loop: Header=BB31_12 Depth=1
	s_waitcnt lgkmcnt(13)
	global_store_b16 v[0:1], v15, off offset:128
	s_or_b32 exec_lo, exec_lo, s13
	s_and_saveexec_b32 s13, s16
	s_cbranch_execz .LBB31_208
.LBB31_225:                             ;   in Loop: Header=BB31_12 Depth=1
	s_waitcnt lgkmcnt(12)
	global_store_b16 v[0:1], v14, off offset:192
	s_or_b32 exec_lo, exec_lo, s13
	s_and_saveexec_b32 s13, s17
	s_cbranch_execz .LBB31_209
.LBB31_226:                             ;   in Loop: Header=BB31_12 Depth=1
	s_waitcnt lgkmcnt(11)
	global_store_b16 v[0:1], v13, off offset:256
	s_or_b32 exec_lo, exec_lo, s13
	s_and_saveexec_b32 s13, s18
	s_cbranch_execz .LBB31_210
.LBB31_227:                             ;   in Loop: Header=BB31_12 Depth=1
	s_waitcnt lgkmcnt(10)
	global_store_b16 v[0:1], v12, off offset:320
	s_or_b32 exec_lo, exec_lo, s13
	s_and_saveexec_b32 s13, s19
	s_cbranch_execz .LBB31_211
.LBB31_228:                             ;   in Loop: Header=BB31_12 Depth=1
	s_waitcnt lgkmcnt(9)
	global_store_b16 v[0:1], v11, off offset:384
	s_or_b32 exec_lo, exec_lo, s13
	s_and_saveexec_b32 s13, s20
	s_cbranch_execz .LBB31_212
.LBB31_229:                             ;   in Loop: Header=BB31_12 Depth=1
	s_waitcnt lgkmcnt(8)
	global_store_b16 v[0:1], v10, off offset:448
	s_or_b32 exec_lo, exec_lo, s13
	s_and_saveexec_b32 s13, s21
	s_cbranch_execz .LBB31_213
.LBB31_230:                             ;   in Loop: Header=BB31_12 Depth=1
	s_waitcnt lgkmcnt(7)
	global_store_b16 v[0:1], v9, off offset:512
	s_or_b32 exec_lo, exec_lo, s13
	s_and_saveexec_b32 s13, s22
	s_cbranch_execz .LBB31_214
.LBB31_231:                             ;   in Loop: Header=BB31_12 Depth=1
	s_waitcnt lgkmcnt(6)
	global_store_b16 v[0:1], v8, off offset:576
	s_or_b32 exec_lo, exec_lo, s13
	s_and_saveexec_b32 s13, s23
	s_cbranch_execz .LBB31_215
.LBB31_232:                             ;   in Loop: Header=BB31_12 Depth=1
	s_waitcnt lgkmcnt(5)
	global_store_b16 v[0:1], v7, off offset:640
	s_or_b32 exec_lo, exec_lo, s13
	s_and_saveexec_b32 s13, s24
	s_cbranch_execz .LBB31_216
.LBB31_233:                             ;   in Loop: Header=BB31_12 Depth=1
	s_waitcnt lgkmcnt(4)
	global_store_b16 v[0:1], v6, off offset:704
	s_or_b32 exec_lo, exec_lo, s13
	s_and_saveexec_b32 s13, s25
	s_cbranch_execz .LBB31_217
.LBB31_234:                             ;   in Loop: Header=BB31_12 Depth=1
	s_waitcnt lgkmcnt(3)
	global_store_b16 v[0:1], v5, off offset:768
	s_or_b32 exec_lo, exec_lo, s13
	s_and_saveexec_b32 s13, s26
	s_cbranch_execz .LBB31_218
.LBB31_235:                             ;   in Loop: Header=BB31_12 Depth=1
	s_waitcnt lgkmcnt(2)
	global_store_b16 v[0:1], v4, off offset:832
	s_or_b32 exec_lo, exec_lo, s13
	s_and_saveexec_b32 s13, s27
	s_cbranch_execz .LBB31_219
.LBB31_236:                             ;   in Loop: Header=BB31_12 Depth=1
	s_waitcnt lgkmcnt(1)
	global_store_b16 v[0:1], v3, off offset:896
	s_or_b32 exec_lo, exec_lo, s13
	s_and_saveexec_b32 s13, s28
	s_cbranch_execz .LBB31_11
.LBB31_237:                             ;   in Loop: Header=BB31_12 Depth=1
	s_waitcnt lgkmcnt(0)
	global_store_b16 v[0:1], v2, off offset:960
	s_branch .LBB31_11
.LBB31_238:
	s_nop 0
	s_sendmsg sendmsg(MSG_DEALLOC_VGPRS)
	s_endpgm
	.section	.rodata,"a",@progbits
	.p2align	6, 0x0
	.amdhsa_kernel _Z25selective_scan_fwd_kernelI32Selective_Scan_fwd_kernel_traitsILi128ELi16ELi1ELb0ELb1ELb1ELb0ELb0EN3c108BFloat16EfS2_EEv13SSMParamsBase
		.amdhsa_group_segment_fixed_size 0
		.amdhsa_private_segment_fixed_size 0
		.amdhsa_kernarg_size 248
		.amdhsa_user_sgpr_count 14
		.amdhsa_user_sgpr_dispatch_ptr 0
		.amdhsa_user_sgpr_queue_ptr 0
		.amdhsa_user_sgpr_kernarg_segment_ptr 1
		.amdhsa_user_sgpr_dispatch_id 0
		.amdhsa_user_sgpr_private_segment_size 0
		.amdhsa_wavefront_size32 1
		.amdhsa_uses_dynamic_stack 0
		.amdhsa_enable_private_segment 0
		.amdhsa_system_sgpr_workgroup_id_x 1
		.amdhsa_system_sgpr_workgroup_id_y 1
		.amdhsa_system_sgpr_workgroup_id_z 0
		.amdhsa_system_sgpr_workgroup_info 0
		.amdhsa_system_vgpr_workitem_id 0
		.amdhsa_next_free_vgpr 173
		.amdhsa_next_free_sgpr 92
		.amdhsa_reserve_vcc 1
		.amdhsa_float_round_mode_32 0
		.amdhsa_float_round_mode_16_64 0
		.amdhsa_float_denorm_mode_32 3
		.amdhsa_float_denorm_mode_16_64 3
		.amdhsa_dx10_clamp 1
		.amdhsa_ieee_mode 1
		.amdhsa_fp16_overflow 0
		.amdhsa_workgroup_processor_mode 1
		.amdhsa_memory_ordered 1
		.amdhsa_forward_progress 0
		.amdhsa_shared_vgpr_count 0
		.amdhsa_exception_fp_ieee_invalid_op 0
		.amdhsa_exception_fp_denorm_src 0
		.amdhsa_exception_fp_ieee_div_zero 0
		.amdhsa_exception_fp_ieee_overflow 0
		.amdhsa_exception_fp_ieee_underflow 0
		.amdhsa_exception_fp_ieee_inexact 0
		.amdhsa_exception_int_div_zero 0
	.end_amdhsa_kernel
	.section	.text._Z25selective_scan_fwd_kernelI32Selective_Scan_fwd_kernel_traitsILi128ELi16ELi1ELb0ELb1ELb1ELb0ELb0EN3c108BFloat16EfS2_EEv13SSMParamsBase,"axG",@progbits,_Z25selective_scan_fwd_kernelI32Selective_Scan_fwd_kernel_traitsILi128ELi16ELi1ELb0ELb1ELb1ELb0ELb0EN3c108BFloat16EfS2_EEv13SSMParamsBase,comdat
.Lfunc_end31:
	.size	_Z25selective_scan_fwd_kernelI32Selective_Scan_fwd_kernel_traitsILi128ELi16ELi1ELb0ELb1ELb1ELb0ELb0EN3c108BFloat16EfS2_EEv13SSMParamsBase, .Lfunc_end31-_Z25selective_scan_fwd_kernelI32Selective_Scan_fwd_kernel_traitsILi128ELi16ELi1ELb0ELb1ELb1ELb0ELb0EN3c108BFloat16EfS2_EEv13SSMParamsBase
                                        ; -- End function
	.section	.AMDGPU.csdata,"",@progbits
; Kernel info:
; codeLenInByte = 21568
; NumSgprs: 94
; NumVgprs: 173
; ScratchSize: 0
; MemoryBound: 0
; FloatMode: 240
; IeeeMode: 1
; LDSByteSize: 0 bytes/workgroup (compile time only)
; SGPRBlocks: 11
; VGPRBlocks: 21
; NumSGPRsForWavesPerEU: 94
; NumVGPRsForWavesPerEU: 173
; Occupancy: 8
; WaveLimiterHint : 0
; COMPUTE_PGM_RSRC2:SCRATCH_EN: 0
; COMPUTE_PGM_RSRC2:USER_SGPR: 14
; COMPUTE_PGM_RSRC2:TRAP_HANDLER: 0
; COMPUTE_PGM_RSRC2:TGID_X_EN: 1
; COMPUTE_PGM_RSRC2:TGID_Y_EN: 1
; COMPUTE_PGM_RSRC2:TGID_Z_EN: 0
; COMPUTE_PGM_RSRC2:TIDIG_COMP_CNT: 0
	.section	.text._Z25selective_scan_fwd_kernelI32Selective_Scan_fwd_kernel_traitsILi64ELi4ELi1ELb1ELb1ELb1ELb1ELb1EN3c108BFloat16EffEEv13SSMParamsBase,"axG",@progbits,_Z25selective_scan_fwd_kernelI32Selective_Scan_fwd_kernel_traitsILi64ELi4ELi1ELb1ELb1ELb1ELb1ELb1EN3c108BFloat16EffEEv13SSMParamsBase,comdat
	.protected	_Z25selective_scan_fwd_kernelI32Selective_Scan_fwd_kernel_traitsILi64ELi4ELi1ELb1ELb1ELb1ELb1ELb1EN3c108BFloat16EffEEv13SSMParamsBase ; -- Begin function _Z25selective_scan_fwd_kernelI32Selective_Scan_fwd_kernel_traitsILi64ELi4ELi1ELb1ELb1ELb1ELb1ELb1EN3c108BFloat16EffEEv13SSMParamsBase
	.globl	_Z25selective_scan_fwd_kernelI32Selective_Scan_fwd_kernel_traitsILi64ELi4ELi1ELb1ELb1ELb1ELb1ELb1EN3c108BFloat16EffEEv13SSMParamsBase
	.p2align	8
	.type	_Z25selective_scan_fwd_kernelI32Selective_Scan_fwd_kernel_traitsILi64ELi4ELi1ELb1ELb1ELb1ELb1ELb1EN3c108BFloat16EffEEv13SSMParamsBase,@function
_Z25selective_scan_fwd_kernelI32Selective_Scan_fwd_kernel_traitsILi64ELi4ELi1ELb1ELb1ELb1ELb1ELb1EN3c108BFloat16EffEEv13SSMParamsBase: ; @_Z25selective_scan_fwd_kernelI32Selective_Scan_fwd_kernel_traitsILi64ELi4ELi1ELb1ELb1ELb1ELb1ELb1EN3c108BFloat16EffEEv13SSMParamsBase
; %bb.0:
	s_clause 0x2
	s_load_b32 s11, s[0:1], 0x18
	s_load_b256 s[52:59], s[0:1], 0xc8
	s_load_b128 s[4:7], s[0:1], 0xe8
	s_mov_b32 s12, s15
	s_ashr_i32 s15, s14, 31
	s_mov_b32 s33, 0
	s_lshl_b64 s[8:9], s[14:15], 2
	s_waitcnt lgkmcnt(0)
	s_abs_i32 s10, s11
	s_add_u32 s2, s58, s8
	v_cvt_f32_u32_e32 v1, s10
	s_addc_u32 s3, s59, s9
	s_cmp_eq_u64 s[6:7], 0
	s_delay_alu instid0(VALU_DEP_1) | instskip(SKIP_2) | instid1(VALU_DEP_1)
	v_rcp_iflag_f32_e32 v1, v1
	s_waitcnt_depctr 0xfff
	v_mul_f32_e32 v1, 0x4f7ffffe, v1
	v_cvt_u32_f32_e32 v1, v1
	s_delay_alu instid0(VALU_DEP_1)
	v_readfirstlane_b32 s60, v1
	s_cbranch_scc1 .LBB32_2
; %bb.1:
	v_mov_b32_e32 v1, 0
	s_add_u32 s6, s6, s14
	s_addc_u32 s7, s7, s15
	global_load_u8 v1, v1, s[6:7]
	s_waitcnt vmcnt(0)
	v_and_b32_e32 v1, 1, v1
	s_delay_alu instid0(VALU_DEP_1)
	v_cmp_eq_u32_e64 s33, 1, v1
.LBB32_2:
	s_load_b64 s[6:7], s[0:1], 0x20
	s_cmp_eq_u64 s[4:5], 0
	s_cbranch_scc1 .LBB32_4
; %bb.3:
	s_add_u32 s4, s4, s8
	s_addc_u32 s5, s5, s9
	s_load_b32 s14, s[4:5], 0x0
	s_waitcnt lgkmcnt(0)
	s_ashr_i32 s15, s14, 31
.LBB32_4:
	s_waitcnt lgkmcnt(0)
	s_cmp_eq_u64 s[6:7], s[14:15]
	s_cbranch_scc1 .LBB32_108
; %bb.5:
	s_load_b512 s[16:31], s[0:1], 0x88
	s_load_b64 s[34:35], s[2:3], 0x0
	s_mov_b32 s58, 0
	s_mov_b32 s59, 0
	s_waitcnt lgkmcnt(0)
	s_cmp_eq_u64 s[22:23], 0
	s_cbranch_scc1 .LBB32_7
; %bb.6:
	s_ashr_i32 s13, s12, 31
	s_delay_alu instid0(SALU_CYCLE_1) | instskip(NEXT) | instid1(SALU_CYCLE_1)
	s_lshl_b64 s[2:3], s[12:13], 2
	s_add_u32 s2, s22, s2
	s_addc_u32 s3, s23, s3
	s_load_b32 s59, s[2:3], 0x0
.LBB32_7:
	s_cmp_eq_u64 s[28:29], 0
	s_cbranch_scc1 .LBB32_9
; %bb.8:
	s_ashr_i32 s13, s12, 31
	s_delay_alu instid0(SALU_CYCLE_1) | instskip(NEXT) | instid1(SALU_CYCLE_1)
	s_lshl_b64 s[2:3], s[12:13], 2
	s_add_u32 s2, s28, s2
	s_addc_u32 s3, s29, s3
	s_load_b32 s58, s[2:3], 0x0
.LBB32_9:
	s_sub_i32 s23, s35, s34
	s_delay_alu instid0(SALU_CYCLE_1)
	s_cmp_lt_i32 s23, 1
	s_cbranch_scc1 .LBB32_108
; %bb.10:
	s_sub_i32 s2, 0, s10
	s_load_b256 s[36:43], s[0:1], 0x4c
	s_mul_i32 s2, s2, s60
	s_abs_i32 s3, s12
	s_mul_hi_u32 s2, s60, s2
	s_ashr_i32 s5, s11, 31
	s_add_i32 s60, s60, s2
	s_ashr_i32 s2, s12, 31
	s_mul_hi_u32 s4, s3, s60
	s_xor_b32 s5, s2, s5
	s_mul_i32 s6, s4, s10
	s_load_b256 s[44:51], s[0:1], 0x2c
	s_sub_i32 s2, s3, s6
	s_add_i32 s3, s4, 1
	s_sub_i32 s6, s2, s10
	s_cmp_ge_u32 s2, s10
	s_mov_b32 s29, 0
	s_cselect_b32 s3, s3, s4
	s_cselect_b32 s2, s6, s2
	s_add_i32 s4, s3, 1
	s_cmp_ge_u32 s2, s10
	s_waitcnt lgkmcnt(0)
	s_mul_i32 s28, s34, s38
	s_cselect_b32 s4, s4, s3
	s_lshl_b64 s[2:3], s[28:29], 1
	s_xor_b32 s4, s4, s5
	s_mul_i32 s28, s39, s12
	s_sub_i32 s6, s4, s5
	s_add_u32 s4, s24, s2
	s_addc_u32 s5, s25, s3
	s_lshl_b64 s[2:3], s[28:29], 1
	s_mul_i32 s28, s34, s40
	s_add_u32 s38, s4, s2
	s_addc_u32 s39, s5, s3
	s_lshl_b64 s[2:3], s[28:29], 1
	s_mul_i32 s28, s41, s12
	;; [unrolled: 4-line block ×3, first 2 shown]
	s_add_u32 s40, s4, s2
	s_addc_u32 s41, s5, s3
	s_load_b64 s[4:5], s[0:1], 0x7c
	s_lshl_b64 s[2:3], s[28:29], 2
	v_lshlrev_b32_e32 v8, 2, v0
	s_mul_i32 s28, s34, s46
	s_add_u32 s44, s16, s2
	s_addc_u32 s46, s17, s3
	s_lshl_b64 s[2:3], s[28:29], 1
	s_mul_i32 s28, s6, s49
	s_add_u32 s7, s18, s2
	v_mbcnt_lo_u32_b32 v1, -1, 0
	v_and_b32_e32 v2, 0x80, v8
	v_dual_mov_b32 v12, 0 :: v_dual_and_b32 v3, 32, v0
	s_addc_u32 s8, s19, s3
	s_lshl_b64 s[2:3], s[28:29], 1
	s_mul_i32 s28, s34, s50
	s_add_u32 s47, s7, s2
	s_addc_u32 s49, s8, s3
	s_lshl_b64 s[2:3], s[28:29], 1
	s_mul_i32 s28, s6, s37
	s_clause 0x1
	s_load_b32 s37, s[0:1], 0xc
	s_load_b32 s8, s[0:1], 0x28
	v_or_b32_e32 v9, v1, v2
	v_or_b32_e32 v4, v1, v3
	s_add_u32 s7, s20, s2
	s_load_b128 s[16:19], s[0:1], 0x6c
	s_addc_u32 s6, s21, s3
	v_or_b32_e32 v11, 0x60, v9
	v_lshrrev_b32_e32 v14, 3, v4
	s_lshl_b64 s[2:3], s[28:29], 1
	s_waitcnt lgkmcnt(0)
	s_mul_i32 s28, s14, s4
	s_add_u32 s51, s7, s2
	s_load_b32 s50, s[0:1], 0x84
	s_addc_u32 s60, s6, s3
	s_lshl_b64 s[0:1], s[28:29], 2
	v_or_b32_e32 v10, 64, v9
	v_lshrrev_b32_e32 v7, 5, v11
	v_and_b32_e32 v16, 6, v14
	s_mul_i32 s28, s5, s12
	s_add_u32 s2, s52, s0
	s_addc_u32 s3, s53, s1
	s_lshl_b64 s[0:1], s[28:29], 2
	v_lshrrev_b32_e32 v5, 5, v2
	s_add_u32 s52, s2, s0
	v_lshrrev_b32_e32 v6, 5, v10
	v_and_b32_e32 v7, 6, v7
	v_lshl_add_u32 v4, v4, 2, v16
	s_addc_u32 s53, s3, s1
	s_add_i32 s0, s23, 0x7ff
	v_add_lshl_u32 v5, v5, v9, 1
	s_lshr_b32 s61, s0, 11
	s_bitcmp1_b32 s8, 0
	v_add_lshl_u32 v6, v6, v9, 1
	v_add_lshl_u32 v7, v7, v9, 1
	v_lshl_add_u32 v17, v4, 1, 0
	v_and_b32_e32 v4, 15, v1
	s_cselect_b32 s62, -1, 0
	s_cmp_gt_i32 s37, 0
	s_mul_i32 s28, s34, s16
	s_cselect_b32 s63, -1, 0
	s_add_i32 s0, 0, 0x210
	s_and_b32 s1, s23, 0xff
	v_add_nc_u32_e32 v18, s0, v5
	v_add_nc_u32_e32 v19, s0, v6
	s_cmp_eq_u32 s1, 0
	v_add_nc_u32_e32 v20, s0, v7
	v_cmp_ne_u32_e64 s0, 0, v4
	v_cmp_lt_u32_e64 s1, 1, v4
	v_cmp_lt_u32_e64 s2, 3, v4
	;; [unrolled: 1-line block ×3, first 2 shown]
	v_add_nc_u32_e32 v4, -1, v1
	v_or_b32_e32 v3, 31, v3
	s_cselect_b32 s64, -1, 0
	s_lshl_b64 s[14:15], s[28:29], 1
	s_add_i32 s65, s61, -1
	v_cmp_gt_i32_e32 vcc_lo, 0, v4
	s_mul_i32 s28, s17, s12
	v_add_nc_u32_e32 v14, 0, v5
	v_lshrrev_b32_e32 v5, 2, v0
	s_add_u32 s13, s30, s14
	v_cndmask_b32_e32 v4, v4, v1, vcc_lo
	s_addc_u32 s16, s31, s15
	s_lshl_b64 s[14:15], s[28:29], 1
	v_cmp_eq_u32_e64 s5, v3, v0
	v_and_b32_e32 v3, 1, v1
	v_cmp_gt_u32_e64 s6, 2, v0
	v_lshl_add_u32 v22, v0, 3, 0
	v_cmp_gt_u32_e64 s8, 32, v0
	v_cmp_lt_u32_e64 s9, 31, v0
	v_cmp_eq_u32_e64 s10, 0, v0
	s_mul_i32 s28, s34, s42
	v_lshlrev_b32_e32 v0, 1, v1
	s_add_u32 s13, s13, s14
	s_addc_u32 s16, s16, s15
	s_lshl_b64 s[14:15], s[28:29], 1
	v_and_b32_e32 v5, 8, v5
	s_mul_i32 s28, s43, s12
	s_add_u32 s17, s54, s14
	v_cmp_eq_u32_e64 s7, 0, v3
	s_addc_u32 s20, s55, s15
	s_lshl_b64 s[14:15], s[28:29], 1
	v_add_co_u32 v3, s13, s13, v0
	s_mul_i32 s28, s34, s18
	v_lshlrev_b32_e32 v23, 2, v4
	v_add_co_ci_u32_e64 v4, null, s16, 0, s13
	s_add_u32 s16, s17, s14
	v_add_nc_u32_e32 v21, 0, v5
	s_addc_u32 s17, s20, s15
	s_lshl_b64 s[14:15], s[28:29], 1
	v_lshlrev_b32_e32 v5, 1, v2
	s_mul_i32 s28, s19, s12
	s_add_u32 s14, s56, s14
	s_addc_u32 s15, s57, s15
	s_lshl_b64 s[12:13], s[28:29], 1
	v_add_nc_u32_e32 v15, 0, v6
	v_and_b32_e32 v6, 16, v1
	v_add_co_u32 v24, vcc_lo, v3, v5
	s_add_u32 s12, s14, s12
	v_add_co_u32 v3, s14, s16, v0
	v_add_co_ci_u32_e32 v25, vcc_lo, 0, v4, vcc_lo
	v_add_co_ci_u32_e64 v4, null, s17, 0, s14
	s_addc_u32 s13, s15, s13
	v_add_co_u32 v0, s12, s12, v0
	v_cmp_ne_u32_e64 s4, 0, v6
	v_add_co_ci_u32_e64 v6, null, s13, 0, s12
	v_add_co_u32 v26, vcc_lo, v3, v5
	v_add_co_ci_u32_e32 v27, vcc_lo, 0, v4, vcc_lo
	v_add_co_u32 v28, vcc_lo, v0, v5
	v_or_b32_e32 v13, 32, v9
	v_add_nc_u32_e32 v16, 0, v7
	v_cmp_eq_u32_e64 s11, 0, v1
	v_add_co_ci_u32_e32 v29, vcc_lo, 0, v6, vcc_lo
	v_or_b32_e32 v30, 1, v8
	v_or_b32_e32 v31, 2, v8
	;; [unrolled: 1-line block ×3, first 2 shown]
	v_lshlrev_b32_e32 v33, 1, v1
	v_lshlrev_b32_e32 v34, 1, v2
	s_mov_b32 s42, 0x3e9b6dac
	s_add_i32 s43, 0, 0x430
	s_mov_b32 s54, 0
	s_branch .LBB32_12
.LBB32_11:                              ;   in Loop: Header=BB32_12 Depth=1
	s_or_b32 exec_lo, exec_lo, s12
	s_add_u32 s40, s40, 0x200
	s_addc_u32 s41, s41, 0
	s_add_u32 s38, s38, 0x200
	s_addc_u32 s39, s39, 0
	;; [unrolled: 2-line block ×4, first 2 shown]
	s_add_i32 s54, s54, 1
	s_delay_alu instid0(SALU_CYCLE_1)
	s_cmp_lg_u32 s54, s61
	s_cbranch_scc0 .LBB32_108
.LBB32_12:                              ; =>This Loop Header: Depth=1
                                        ;     Child Loop BB32_37 Depth 2
	v_add_co_u32 v0, s12, s38, v33
	s_delay_alu instid0(VALU_DEP_1) | instskip(SKIP_1) | instid1(VALU_DEP_2)
	v_add_co_ci_u32_e64 v1, null, s39, 0, s12
	s_lshl_b32 s24, s54, 8
	v_add_co_u32 v0, vcc_lo, v0, v34
	s_sub_i32 s19, s23, s24
	s_delay_alu instid0(VALU_DEP_2)
	v_add_co_ci_u32_e32 v1, vcc_lo, 0, v1, vcc_lo
	v_cmp_gt_u32_e64 s12, s19, v9
	s_waitcnt lgkmcnt(0)
	v_mov_b32_e32 v2, 0
	s_waitcnt lgkmcnt(0)
	s_waitcnt_vscnt null, 0x0
	s_barrier
	buffer_gl0_inv
	s_and_saveexec_b32 s13, s12
	s_cbranch_execz .LBB32_14
; %bb.13:                               ;   in Loop: Header=BB32_12 Depth=1
	global_load_u16 v2, v[0:1], off
.LBB32_14:                              ;   in Loop: Header=BB32_12 Depth=1
	s_or_b32 exec_lo, exec_lo, s13
	v_cmp_gt_u32_e64 s13, s19, v13
	v_mov_b32_e32 v3, 0
	v_mov_b32_e32 v5, 0
	s_delay_alu instid0(VALU_DEP_3)
	s_and_saveexec_b32 s14, s13
	s_cbranch_execz .LBB32_16
; %bb.15:                               ;   in Loop: Header=BB32_12 Depth=1
	global_load_u16 v5, v[0:1], off offset:64
.LBB32_16:                              ;   in Loop: Header=BB32_12 Depth=1
	s_or_b32 exec_lo, exec_lo, s14
	v_cmp_gt_u32_e64 s14, s19, v10
	s_delay_alu instid0(VALU_DEP_1)
	s_and_saveexec_b32 s15, s14
	s_cbranch_execz .LBB32_18
; %bb.17:                               ;   in Loop: Header=BB32_12 Depth=1
	global_load_u16 v3, v[0:1], off offset:128
.LBB32_18:                              ;   in Loop: Header=BB32_12 Depth=1
	s_or_b32 exec_lo, exec_lo, s15
	v_cmp_gt_u32_e64 s15, s19, v11
	v_mov_b32_e32 v4, 0
	v_mov_b32_e32 v6, 0
	s_delay_alu instid0(VALU_DEP_3)
	s_and_saveexec_b32 s16, s15
	s_cbranch_execz .LBB32_20
; %bb.19:                               ;   in Loop: Header=BB32_12 Depth=1
	global_load_u16 v6, v[0:1], off offset:192
.LBB32_20:                              ;   in Loop: Header=BB32_12 Depth=1
	s_or_b32 exec_lo, exec_lo, s16
	s_waitcnt vmcnt(0)
	ds_store_b16 v14, v2
	ds_store_b16 v14, v5 offset:64
	ds_store_b16 v15, v3 offset:128
	;; [unrolled: 1-line block ×3, first 2 shown]
	; wave barrier
	ds_load_b64 v[0:1], v17
	v_add_co_u32 v2, s16, s40, v33
	s_delay_alu instid0(VALU_DEP_1) | instskip(SKIP_1) | instid1(VALU_DEP_2)
	v_add_co_ci_u32_e64 v3, null, s41, 0, s16
	s_waitcnt lgkmcnt(0)
	v_add_co_u32 v2, vcc_lo, v2, v34
	s_delay_alu instid0(VALU_DEP_2)
	v_add_co_ci_u32_e32 v3, vcc_lo, 0, v3, vcc_lo
	s_barrier
	buffer_gl0_inv
	s_and_saveexec_b32 s16, s12
	s_cbranch_execz .LBB32_22
; %bb.21:                               ;   in Loop: Header=BB32_12 Depth=1
	global_load_u16 v4, v[2:3], off
.LBB32_22:                              ;   in Loop: Header=BB32_12 Depth=1
	s_or_b32 exec_lo, exec_lo, s16
	v_dual_mov_b32 v5, 0 :: v_dual_mov_b32 v6, 0
	s_and_saveexec_b32 s16, s13
	s_cbranch_execnz .LBB32_99
; %bb.23:                               ;   in Loop: Header=BB32_12 Depth=1
	s_or_b32 exec_lo, exec_lo, s16
	s_and_saveexec_b32 s16, s14
	s_cbranch_execnz .LBB32_100
.LBB32_24:                              ;   in Loop: Header=BB32_12 Depth=1
	s_or_b32 exec_lo, exec_lo, s16
	v_mov_b32_e32 v7, 0
	s_and_saveexec_b32 s16, s15
	s_cbranch_execz .LBB32_26
.LBB32_25:                              ;   in Loop: Header=BB32_12 Depth=1
	global_load_u16 v7, v[2:3], off offset:192
.LBB32_26:                              ;   in Loop: Header=BB32_12 Depth=1
	s_or_b32 exec_lo, exec_lo, s16
	s_waitcnt vmcnt(0)
	ds_store_b16 v14, v4
	ds_store_b16 v14, v6 offset:64
	ds_store_b16 v15, v5 offset:128
	;; [unrolled: 1-line block ×3, first 2 shown]
	; wave barrier
	ds_load_b64 v[2:3], v17
	s_waitcnt lgkmcnt(0)
	v_lshlrev_b32_e32 v4, 16, v2
	s_delay_alu instid0(VALU_DEP_1) | instskip(NEXT) | instid1(VALU_DEP_1)
	v_add_f32_e32 v35, s58, v4
	v_cmp_ge_f32_e32 vcc_lo, 0x41a00000, v35
	s_and_b32 s16, s62, vcc_lo
	s_delay_alu instid0(SALU_CYCLE_1)
	s_and_saveexec_b32 s17, s16
	s_cbranch_execz .LBB32_28
; %bb.27:                               ;   in Loop: Header=BB32_12 Depth=1
	v_mul_f32_e32 v4, 0x3fb8aa3b, v35
	v_cmp_ngt_f32_e32 vcc_lo, 0xc2ce8ed0, v35
	s_delay_alu instid0(VALU_DEP_2) | instskip(SKIP_1) | instid1(VALU_DEP_2)
	v_rndne_f32_e32 v5, v4
	v_fma_f32 v6, 0x3fb8aa3b, v35, -v4
	v_sub_f32_e32 v4, v4, v5
	s_delay_alu instid0(VALU_DEP_2) | instskip(SKIP_1) | instid1(VALU_DEP_2)
	v_fmac_f32_e32 v6, 0x32a5705f, v35
	v_cvt_i32_f32_e32 v5, v5
	v_add_f32_e32 v4, v4, v6
	s_delay_alu instid0(VALU_DEP_1) | instskip(SKIP_2) | instid1(VALU_DEP_1)
	v_exp_f32_e32 v4, v4
	s_waitcnt_depctr 0xfff
	v_ldexp_f32 v4, v4, v5
	v_cndmask_b32_e32 v4, 0, v4, vcc_lo
	v_cmp_nlt_f32_e32 vcc_lo, 0x42b17218, v35
	s_delay_alu instid0(VALU_DEP_2) | instskip(NEXT) | instid1(VALU_DEP_1)
	v_cndmask_b32_e32 v6, 0x7f800000, v4, vcc_lo
	v_add_f32_e32 v7, 1.0, v6
	s_delay_alu instid0(VALU_DEP_1) | instskip(NEXT) | instid1(VALU_DEP_1)
	v_cvt_f64_f32_e32 v[4:5], v7
	v_frexp_exp_i32_f64_e32 v4, v[4:5]
	v_frexp_mant_f32_e32 v5, v7
	s_delay_alu instid0(VALU_DEP_1) | instskip(SKIP_1) | instid1(VALU_DEP_1)
	v_cmp_gt_f32_e32 vcc_lo, 0x3f2aaaab, v5
	v_add_f32_e32 v5, -1.0, v7
	v_dual_sub_f32 v36, v5, v7 :: v_dual_sub_f32 v5, v6, v5
	s_delay_alu instid0(VALU_DEP_1) | instskip(NEXT) | instid1(VALU_DEP_1)
	v_add_f32_e32 v36, 1.0, v36
	v_add_f32_e32 v5, v5, v36
	v_subrev_co_ci_u32_e32 v4, vcc_lo, 0, v4, vcc_lo
	s_delay_alu instid0(VALU_DEP_1) | instskip(SKIP_1) | instid1(VALU_DEP_2)
	v_sub_nc_u32_e32 v35, 0, v4
	v_cvt_f32_i32_e32 v4, v4
	v_ldexp_f32 v7, v7, v35
	v_ldexp_f32 v5, v5, v35
	s_delay_alu instid0(VALU_DEP_2) | instskip(SKIP_3) | instid1(VALU_DEP_4)
	v_add_f32_e32 v37, 1.0, v7
	v_add_f32_e32 v35, -1.0, v7
	v_cmp_eq_f32_e32 vcc_lo, 0x7f800000, v6
	v_cmp_gt_f32_e64 s16, 0x33800000, v6
	v_add_f32_e32 v36, -1.0, v37
	s_delay_alu instid0(VALU_DEP_4) | instskip(NEXT) | instid1(VALU_DEP_3)
	v_add_f32_e32 v38, 1.0, v35
	s_or_b32 vcc_lo, s16, vcc_lo
	s_delay_alu instid0(VALU_DEP_2) | instskip(NEXT) | instid1(VALU_DEP_1)
	v_sub_f32_e32 v36, v7, v36
	v_dual_sub_f32 v7, v7, v38 :: v_dual_add_f32 v36, v5, v36
	s_delay_alu instid0(VALU_DEP_1) | instskip(NEXT) | instid1(VALU_DEP_1)
	v_add_f32_e32 v5, v5, v7
	v_dual_add_f32 v39, v35, v5 :: v_dual_add_f32 v38, v37, v36
	s_delay_alu instid0(VALU_DEP_1) | instskip(NEXT) | instid1(VALU_DEP_2)
	v_sub_f32_e32 v35, v35, v39
	v_rcp_f32_e32 v7, v38
	v_sub_f32_e32 v37, v37, v38
	s_delay_alu instid0(VALU_DEP_1) | instskip(SKIP_2) | instid1(VALU_DEP_1)
	v_dual_add_f32 v5, v5, v35 :: v_dual_add_f32 v36, v36, v37
	s_waitcnt_depctr 0xfff
	v_mul_f32_e32 v40, v39, v7
	v_mul_f32_e32 v41, v38, v40
	s_delay_alu instid0(VALU_DEP_1) | instskip(NEXT) | instid1(VALU_DEP_1)
	v_fma_f32 v37, v40, v38, -v41
	v_fmac_f32_e32 v37, v40, v36
	s_delay_alu instid0(VALU_DEP_1) | instskip(NEXT) | instid1(VALU_DEP_1)
	v_add_f32_e32 v42, v41, v37
	v_sub_f32_e32 v43, v39, v42
	s_delay_alu instid0(VALU_DEP_1) | instskip(SKIP_1) | instid1(VALU_DEP_2)
	v_sub_f32_e32 v39, v39, v43
	v_sub_f32_e32 v35, v42, v41
	;; [unrolled: 1-line block ×3, first 2 shown]
	s_delay_alu instid0(VALU_DEP_2) | instskip(NEXT) | instid1(VALU_DEP_2)
	v_sub_f32_e32 v35, v35, v37
	v_add_f32_e32 v5, v5, v39
	s_delay_alu instid0(VALU_DEP_1) | instskip(NEXT) | instid1(VALU_DEP_1)
	v_add_f32_e32 v5, v35, v5
	v_add_f32_e32 v35, v43, v5
	s_delay_alu instid0(VALU_DEP_1) | instskip(NEXT) | instid1(VALU_DEP_1)
	v_mul_f32_e32 v37, v7, v35
	v_dual_sub_f32 v42, v43, v35 :: v_dual_mul_f32 v39, v38, v37
	s_delay_alu instid0(VALU_DEP_1) | instskip(NEXT) | instid1(VALU_DEP_2)
	v_add_f32_e32 v5, v5, v42
	v_fma_f32 v38, v37, v38, -v39
	s_delay_alu instid0(VALU_DEP_1) | instskip(NEXT) | instid1(VALU_DEP_1)
	v_fmac_f32_e32 v38, v37, v36
	v_add_f32_e32 v36, v39, v38
	s_delay_alu instid0(VALU_DEP_1) | instskip(SKIP_1) | instid1(VALU_DEP_2)
	v_sub_f32_e32 v41, v35, v36
	v_sub_f32_e32 v39, v36, v39
	;; [unrolled: 1-line block ×3, first 2 shown]
	s_delay_alu instid0(VALU_DEP_1) | instskip(NEXT) | instid1(VALU_DEP_1)
	v_sub_f32_e32 v35, v35, v36
	v_dual_sub_f32 v36, v39, v38 :: v_dual_add_f32 v5, v5, v35
	v_add_f32_e32 v35, v40, v37
	s_delay_alu instid0(VALU_DEP_1) | instskip(NEXT) | instid1(VALU_DEP_1)
	v_dual_add_f32 v5, v36, v5 :: v_dual_sub_f32 v36, v35, v40
	v_add_f32_e32 v5, v41, v5
	s_delay_alu instid0(VALU_DEP_1) | instskip(NEXT) | instid1(VALU_DEP_1)
	v_dual_sub_f32 v36, v37, v36 :: v_dual_mul_f32 v5, v7, v5
	v_add_f32_e32 v5, v36, v5
	s_delay_alu instid0(VALU_DEP_1) | instskip(NEXT) | instid1(VALU_DEP_1)
	v_add_f32_e32 v7, v35, v5
	v_mul_f32_e32 v36, v7, v7
	s_delay_alu instid0(VALU_DEP_1) | instskip(SKIP_1) | instid1(VALU_DEP_2)
	v_fmaak_f32 v37, s42, v36, 0x3ecc95a3
	v_mul_f32_e32 v38, v7, v36
	v_fmaak_f32 v36, v36, v37, 0x3f2aaada
	v_ldexp_f32 v37, v7, 1
	s_delay_alu instid0(VALU_DEP_2) | instskip(NEXT) | instid1(VALU_DEP_1)
	v_dual_sub_f32 v7, v7, v35 :: v_dual_mul_f32 v36, v38, v36
	v_dual_mul_f32 v38, 0x3f317218, v4 :: v_dual_sub_f32 v5, v5, v7
	s_delay_alu instid0(VALU_DEP_2) | instskip(NEXT) | instid1(VALU_DEP_2)
	v_add_f32_e32 v35, v37, v36
	v_ldexp_f32 v5, v5, 1
	s_delay_alu instid0(VALU_DEP_2) | instskip(NEXT) | instid1(VALU_DEP_4)
	v_sub_f32_e32 v7, v35, v37
	v_fma_f32 v37, 0x3f317218, v4, -v38
	s_delay_alu instid0(VALU_DEP_2) | instskip(NEXT) | instid1(VALU_DEP_1)
	v_sub_f32_e32 v7, v36, v7
	v_dual_fmac_f32 v37, 0xb102e308, v4 :: v_dual_add_f32 v4, v5, v7
	s_delay_alu instid0(VALU_DEP_1) | instskip(NEXT) | instid1(VALU_DEP_1)
	v_add_f32_e32 v5, v38, v37
	v_dual_add_f32 v7, v35, v4 :: v_dual_sub_f32 v38, v5, v38
	s_delay_alu instid0(VALU_DEP_1) | instskip(SKIP_1) | instid1(VALU_DEP_3)
	v_add_f32_e32 v36, v5, v7
	v_sub_f32_e32 v35, v7, v35
	v_sub_f32_e32 v37, v37, v38
	s_delay_alu instid0(VALU_DEP_3) | instskip(NEXT) | instid1(VALU_DEP_3)
	v_sub_f32_e32 v39, v36, v5
	v_sub_f32_e32 v4, v4, v35
	s_delay_alu instid0(VALU_DEP_2) | instskip(SKIP_1) | instid1(VALU_DEP_3)
	v_sub_f32_e32 v40, v36, v39
	v_sub_f32_e32 v7, v7, v39
	v_add_f32_e32 v35, v37, v4
	s_delay_alu instid0(VALU_DEP_3) | instskip(NEXT) | instid1(VALU_DEP_1)
	v_sub_f32_e32 v5, v5, v40
	v_add_f32_e32 v5, v7, v5
	s_delay_alu instid0(VALU_DEP_3) | instskip(NEXT) | instid1(VALU_DEP_1)
	v_sub_f32_e32 v7, v35, v37
	v_dual_add_f32 v5, v35, v5 :: v_dual_sub_f32 v4, v4, v7
	s_delay_alu instid0(VALU_DEP_1) | instskip(NEXT) | instid1(VALU_DEP_1)
	v_dual_sub_f32 v35, v35, v7 :: v_dual_add_f32 v38, v36, v5
	v_sub_f32_e32 v35, v37, v35
	s_delay_alu instid0(VALU_DEP_1) | instskip(NEXT) | instid1(VALU_DEP_1)
	v_dual_sub_f32 v7, v38, v36 :: v_dual_add_f32 v4, v4, v35
	v_sub_f32_e32 v5, v5, v7
	s_delay_alu instid0(VALU_DEP_1) | instskip(NEXT) | instid1(VALU_DEP_1)
	v_add_f32_e32 v4, v4, v5
	v_add_f32_e32 v4, v38, v4
	s_delay_alu instid0(VALU_DEP_1)
	v_cndmask_b32_e32 v35, v4, v6, vcc_lo
.LBB32_28:                              ;   in Loop: Header=BB32_12 Depth=1
	s_or_b32 exec_lo, exec_lo, s17
	v_and_b32_e32 v2, 0xffff0000, v2
	s_delay_alu instid0(VALU_DEP_1) | instskip(NEXT) | instid1(VALU_DEP_1)
	v_add_f32_e32 v36, s58, v2
	v_cmp_ge_f32_e32 vcc_lo, 0x41a00000, v36
	s_and_b32 s16, s62, vcc_lo
	s_delay_alu instid0(SALU_CYCLE_1)
	s_and_saveexec_b32 s17, s16
	s_cbranch_execz .LBB32_30
; %bb.29:                               ;   in Loop: Header=BB32_12 Depth=1
	v_mul_f32_e32 v2, 0x3fb8aa3b, v36
	v_cmp_ngt_f32_e32 vcc_lo, 0xc2ce8ed0, v36
	s_delay_alu instid0(VALU_DEP_2) | instskip(SKIP_1) | instid1(VALU_DEP_2)
	v_rndne_f32_e32 v4, v2
	v_fma_f32 v5, 0x3fb8aa3b, v36, -v2
	v_sub_f32_e32 v2, v2, v4
	s_delay_alu instid0(VALU_DEP_2) | instskip(SKIP_1) | instid1(VALU_DEP_2)
	v_fmac_f32_e32 v5, 0x32a5705f, v36
	v_cvt_i32_f32_e32 v4, v4
	v_add_f32_e32 v2, v2, v5
	s_delay_alu instid0(VALU_DEP_1) | instskip(SKIP_2) | instid1(VALU_DEP_1)
	v_exp_f32_e32 v2, v2
	s_waitcnt_depctr 0xfff
	v_ldexp_f32 v2, v2, v4
	v_cndmask_b32_e32 v2, 0, v2, vcc_lo
	v_cmp_nlt_f32_e32 vcc_lo, 0x42b17218, v36
	s_delay_alu instid0(VALU_DEP_2) | instskip(NEXT) | instid1(VALU_DEP_1)
	v_cndmask_b32_e32 v2, 0x7f800000, v2, vcc_lo
	v_add_f32_e32 v6, 1.0, v2
	s_delay_alu instid0(VALU_DEP_1) | instskip(NEXT) | instid1(VALU_DEP_1)
	v_cvt_f64_f32_e32 v[4:5], v6
	v_frexp_exp_i32_f64_e32 v4, v[4:5]
	v_frexp_mant_f32_e32 v5, v6
	s_delay_alu instid0(VALU_DEP_1) | instskip(SKIP_1) | instid1(VALU_DEP_1)
	v_cmp_gt_f32_e32 vcc_lo, 0x3f2aaaab, v5
	v_add_f32_e32 v5, -1.0, v6
	v_dual_sub_f32 v36, v5, v6 :: v_dual_sub_f32 v5, v2, v5
	v_subrev_co_ci_u32_e32 v4, vcc_lo, 0, v4, vcc_lo
	s_delay_alu instid0(VALU_DEP_1) | instskip(SKIP_1) | instid1(VALU_DEP_2)
	v_sub_nc_u32_e32 v7, 0, v4
	v_cvt_f32_i32_e32 v4, v4
	v_ldexp_f32 v6, v6, v7
	s_delay_alu instid0(VALU_DEP_1) | instskip(NEXT) | instid1(VALU_DEP_1)
	v_dual_add_f32 v36, 1.0, v36 :: v_dual_add_f32 v37, 1.0, v6
	v_add_f32_e32 v5, v5, v36
	s_delay_alu instid0(VALU_DEP_1) | instskip(NEXT) | instid1(VALU_DEP_3)
	v_ldexp_f32 v5, v5, v7
	v_dual_add_f32 v7, -1.0, v6 :: v_dual_add_f32 v36, -1.0, v37
	s_delay_alu instid0(VALU_DEP_1) | instskip(NEXT) | instid1(VALU_DEP_2)
	v_add_f32_e32 v38, 1.0, v7
	v_sub_f32_e32 v36, v6, v36
	s_delay_alu instid0(VALU_DEP_2) | instskip(NEXT) | instid1(VALU_DEP_2)
	v_sub_f32_e32 v6, v6, v38
	v_add_f32_e32 v36, v5, v36
	s_delay_alu instid0(VALU_DEP_2) | instskip(NEXT) | instid1(VALU_DEP_1)
	v_add_f32_e32 v5, v5, v6
	v_dual_add_f32 v39, v7, v5 :: v_dual_add_f32 v38, v37, v36
	v_cmp_eq_f32_e32 vcc_lo, 0x7f800000, v2
	v_cmp_gt_f32_e64 s16, 0x33800000, v2
	s_delay_alu instid0(VALU_DEP_3) | instskip(NEXT) | instid1(VALU_DEP_4)
	v_sub_f32_e32 v7, v7, v39
	v_rcp_f32_e32 v6, v38
	v_sub_f32_e32 v37, v37, v38
	s_delay_alu instid0(VALU_DEP_3) | instskip(NEXT) | instid1(VALU_DEP_1)
	s_or_b32 vcc_lo, s16, vcc_lo
	v_dual_add_f32 v5, v5, v7 :: v_dual_add_f32 v36, v36, v37
	s_waitcnt_depctr 0xfff
	v_mul_f32_e32 v40, v39, v6
	s_delay_alu instid0(VALU_DEP_1) | instskip(NEXT) | instid1(VALU_DEP_1)
	v_mul_f32_e32 v41, v38, v40
	v_fma_f32 v37, v40, v38, -v41
	s_delay_alu instid0(VALU_DEP_1) | instskip(NEXT) | instid1(VALU_DEP_1)
	v_fmac_f32_e32 v37, v40, v36
	v_add_f32_e32 v42, v41, v37
	s_delay_alu instid0(VALU_DEP_1) | instskip(NEXT) | instid1(VALU_DEP_1)
	v_sub_f32_e32 v43, v39, v42
	v_sub_f32_e32 v39, v39, v43
	s_delay_alu instid0(VALU_DEP_1) | instskip(SKIP_1) | instid1(VALU_DEP_2)
	v_sub_f32_e32 v39, v39, v42
	v_sub_f32_e32 v7, v42, v41
	v_add_f32_e32 v5, v5, v39
	s_delay_alu instid0(VALU_DEP_2) | instskip(NEXT) | instid1(VALU_DEP_1)
	v_sub_f32_e32 v7, v7, v37
	v_add_f32_e32 v5, v7, v5
	s_delay_alu instid0(VALU_DEP_1) | instskip(NEXT) | instid1(VALU_DEP_1)
	v_add_f32_e32 v7, v43, v5
	v_mul_f32_e32 v37, v6, v7
	s_delay_alu instid0(VALU_DEP_1) | instskip(NEXT) | instid1(VALU_DEP_1)
	v_dual_sub_f32 v42, v43, v7 :: v_dual_mul_f32 v39, v38, v37
	v_add_f32_e32 v5, v5, v42
	s_delay_alu instid0(VALU_DEP_2) | instskip(NEXT) | instid1(VALU_DEP_1)
	v_fma_f32 v38, v37, v38, -v39
	v_fmac_f32_e32 v38, v37, v36
	s_delay_alu instid0(VALU_DEP_1) | instskip(NEXT) | instid1(VALU_DEP_1)
	v_add_f32_e32 v36, v39, v38
	v_sub_f32_e32 v41, v7, v36
	s_delay_alu instid0(VALU_DEP_1) | instskip(NEXT) | instid1(VALU_DEP_1)
	v_sub_f32_e32 v7, v7, v41
	v_sub_f32_e32 v7, v7, v36
	s_delay_alu instid0(VALU_DEP_1) | instskip(SKIP_2) | instid1(VALU_DEP_1)
	v_add_f32_e32 v5, v5, v7
	v_add_f32_e32 v7, v40, v37
	v_sub_f32_e32 v39, v36, v39
	v_sub_f32_e32 v36, v39, v38
	s_delay_alu instid0(VALU_DEP_1) | instskip(NEXT) | instid1(VALU_DEP_1)
	v_dual_add_f32 v5, v36, v5 :: v_dual_sub_f32 v36, v7, v40
	v_add_f32_e32 v5, v41, v5
	s_delay_alu instid0(VALU_DEP_1) | instskip(NEXT) | instid1(VALU_DEP_1)
	v_dual_sub_f32 v36, v37, v36 :: v_dual_mul_f32 v5, v6, v5
	v_add_f32_e32 v5, v36, v5
	s_delay_alu instid0(VALU_DEP_1) | instskip(NEXT) | instid1(VALU_DEP_1)
	v_add_f32_e32 v6, v7, v5
	v_mul_f32_e32 v36, v6, v6
	s_delay_alu instid0(VALU_DEP_1) | instskip(SKIP_1) | instid1(VALU_DEP_2)
	v_fmaak_f32 v37, s42, v36, 0x3ecc95a3
	v_mul_f32_e32 v38, v6, v36
	v_fmaak_f32 v36, v36, v37, 0x3f2aaada
	v_ldexp_f32 v37, v6, 1
	v_sub_f32_e32 v6, v6, v7
	s_delay_alu instid0(VALU_DEP_3) | instskip(SKIP_1) | instid1(VALU_DEP_2)
	v_mul_f32_e32 v36, v38, v36
	v_mul_f32_e32 v38, 0x3f317218, v4
	v_add_f32_e32 v7, v37, v36
	s_delay_alu instid0(VALU_DEP_1) | instskip(NEXT) | instid1(VALU_DEP_3)
	v_dual_sub_f32 v5, v5, v6 :: v_dual_sub_f32 v6, v7, v37
	v_fma_f32 v37, 0x3f317218, v4, -v38
	s_delay_alu instid0(VALU_DEP_2) | instskip(NEXT) | instid1(VALU_DEP_2)
	v_ldexp_f32 v5, v5, 1
	v_dual_sub_f32 v6, v36, v6 :: v_dual_fmac_f32 v37, 0xb102e308, v4
	s_delay_alu instid0(VALU_DEP_1) | instskip(NEXT) | instid1(VALU_DEP_1)
	v_dual_add_f32 v4, v5, v6 :: v_dual_add_f32 v5, v38, v37
	v_add_f32_e32 v6, v7, v4
	s_delay_alu instid0(VALU_DEP_1) | instskip(NEXT) | instid1(VALU_DEP_1)
	v_add_f32_e32 v36, v5, v6
	v_sub_f32_e32 v39, v36, v5
	s_delay_alu instid0(VALU_DEP_1) | instskip(SKIP_2) | instid1(VALU_DEP_2)
	v_sub_f32_e32 v40, v36, v39
	v_sub_f32_e32 v7, v6, v7
	v_sub_f32_e32 v6, v6, v39
	v_sub_f32_e32 v4, v4, v7
	v_sub_f32_e32 v38, v5, v38
	s_delay_alu instid0(VALU_DEP_1) | instskip(NEXT) | instid1(VALU_DEP_1)
	v_sub_f32_e32 v37, v37, v38
	v_add_f32_e32 v7, v37, v4
	v_sub_f32_e32 v5, v5, v40
	s_delay_alu instid0(VALU_DEP_1) | instskip(NEXT) | instid1(VALU_DEP_3)
	v_add_f32_e32 v5, v6, v5
	v_sub_f32_e32 v6, v7, v37
	s_delay_alu instid0(VALU_DEP_1) | instskip(NEXT) | instid1(VALU_DEP_1)
	v_dual_sub_f32 v4, v4, v6 :: v_dual_add_f32 v5, v7, v5
	v_dual_sub_f32 v7, v7, v6 :: v_dual_add_f32 v38, v36, v5
	s_delay_alu instid0(VALU_DEP_1) | instskip(NEXT) | instid1(VALU_DEP_1)
	v_dual_sub_f32 v7, v37, v7 :: v_dual_sub_f32 v6, v38, v36
	v_dual_add_f32 v4, v4, v7 :: v_dual_sub_f32 v5, v5, v6
	s_delay_alu instid0(VALU_DEP_1) | instskip(NEXT) | instid1(VALU_DEP_1)
	v_add_f32_e32 v4, v4, v5
	v_add_f32_e32 v4, v38, v4
	s_delay_alu instid0(VALU_DEP_1)
	v_cndmask_b32_e32 v36, v4, v2, vcc_lo
.LBB32_30:                              ;   in Loop: Header=BB32_12 Depth=1
	s_or_b32 exec_lo, exec_lo, s17
	v_lshlrev_b32_e32 v2, 16, v3
	s_delay_alu instid0(VALU_DEP_1) | instskip(NEXT) | instid1(VALU_DEP_1)
	v_add_f32_e32 v41, s58, v2
	v_cmp_ge_f32_e32 vcc_lo, 0x41a00000, v41
	s_and_b32 s16, s62, vcc_lo
	s_delay_alu instid0(SALU_CYCLE_1)
	s_and_saveexec_b32 s17, s16
	s_cbranch_execz .LBB32_32
; %bb.31:                               ;   in Loop: Header=BB32_12 Depth=1
	v_mul_f32_e32 v2, 0x3fb8aa3b, v41
	v_cmp_ngt_f32_e32 vcc_lo, 0xc2ce8ed0, v41
	s_delay_alu instid0(VALU_DEP_2) | instskip(SKIP_1) | instid1(VALU_DEP_1)
	v_rndne_f32_e32 v4, v2
	v_fma_f32 v5, 0x3fb8aa3b, v41, -v2
	v_dual_sub_f32 v2, v2, v4 :: v_dual_fmac_f32 v5, 0x32a5705f, v41
	v_cvt_i32_f32_e32 v4, v4
	s_delay_alu instid0(VALU_DEP_2) | instskip(NEXT) | instid1(VALU_DEP_1)
	v_add_f32_e32 v2, v2, v5
	v_exp_f32_e32 v2, v2
	s_waitcnt_depctr 0xfff
	v_ldexp_f32 v2, v2, v4
	s_delay_alu instid0(VALU_DEP_1) | instskip(SKIP_1) | instid1(VALU_DEP_2)
	v_cndmask_b32_e32 v2, 0, v2, vcc_lo
	v_cmp_nlt_f32_e32 vcc_lo, 0x42b17218, v41
	v_cndmask_b32_e32 v2, 0x7f800000, v2, vcc_lo
	s_delay_alu instid0(VALU_DEP_1) | instskip(NEXT) | instid1(VALU_DEP_1)
	v_add_f32_e32 v6, 1.0, v2
	v_cvt_f64_f32_e32 v[4:5], v6
	s_delay_alu instid0(VALU_DEP_1) | instskip(SKIP_1) | instid1(VALU_DEP_1)
	v_frexp_exp_i32_f64_e32 v4, v[4:5]
	v_frexp_mant_f32_e32 v5, v6
	v_cmp_gt_f32_e32 vcc_lo, 0x3f2aaaab, v5
	v_add_f32_e32 v5, -1.0, v6
	s_delay_alu instid0(VALU_DEP_1) | instskip(SKIP_1) | instid1(VALU_DEP_2)
	v_sub_f32_e32 v37, v5, v6
	v_sub_f32_e32 v5, v2, v5
	v_add_f32_e32 v37, 1.0, v37
	s_delay_alu instid0(VALU_DEP_1) | instskip(SKIP_3) | instid1(VALU_DEP_2)
	v_add_f32_e32 v5, v5, v37
	v_cmp_gt_f32_e64 s16, 0x33800000, v2
	v_subrev_co_ci_u32_e32 v4, vcc_lo, 0, v4, vcc_lo
	v_cmp_eq_f32_e32 vcc_lo, 0x7f800000, v2
	v_sub_nc_u32_e32 v7, 0, v4
	v_cvt_f32_i32_e32 v4, v4
	s_or_b32 vcc_lo, s16, vcc_lo
	s_delay_alu instid0(VALU_DEP_2) | instskip(SKIP_1) | instid1(VALU_DEP_2)
	v_ldexp_f32 v6, v6, v7
	v_ldexp_f32 v5, v5, v7
	v_add_f32_e32 v38, 1.0, v6
	v_add_f32_e32 v7, -1.0, v6
	s_delay_alu instid0(VALU_DEP_1) | instskip(NEXT) | instid1(VALU_DEP_3)
	v_add_f32_e32 v39, 1.0, v7
	v_add_f32_e32 v37, -1.0, v38
	s_delay_alu instid0(VALU_DEP_1) | instskip(NEXT) | instid1(VALU_DEP_1)
	v_sub_f32_e32 v37, v6, v37
	v_dual_sub_f32 v6, v6, v39 :: v_dual_add_f32 v37, v5, v37
	s_delay_alu instid0(VALU_DEP_1) | instskip(NEXT) | instid1(VALU_DEP_2)
	v_add_f32_e32 v39, v38, v37
	v_add_f32_e32 v5, v5, v6
	s_delay_alu instid0(VALU_DEP_2) | instskip(SKIP_1) | instid1(VALU_DEP_1)
	v_rcp_f32_e32 v6, v39
	v_sub_f32_e32 v38, v38, v39
	v_dual_add_f32 v40, v7, v5 :: v_dual_add_f32 v37, v37, v38
	s_delay_alu instid0(VALU_DEP_1) | instskip(SKIP_2) | instid1(VALU_DEP_1)
	v_sub_f32_e32 v7, v7, v40
	s_waitcnt_depctr 0xfff
	v_mul_f32_e32 v41, v40, v6
	v_mul_f32_e32 v42, v39, v41
	s_delay_alu instid0(VALU_DEP_1) | instskip(NEXT) | instid1(VALU_DEP_1)
	v_fma_f32 v38, v41, v39, -v42
	v_fmac_f32_e32 v38, v41, v37
	s_delay_alu instid0(VALU_DEP_1) | instskip(NEXT) | instid1(VALU_DEP_1)
	v_add_f32_e32 v43, v42, v38
	v_sub_f32_e32 v44, v40, v43
	s_delay_alu instid0(VALU_DEP_1) | instskip(NEXT) | instid1(VALU_DEP_1)
	v_dual_sub_f32 v40, v40, v44 :: v_dual_add_f32 v5, v5, v7
	v_dual_sub_f32 v7, v43, v42 :: v_dual_sub_f32 v40, v40, v43
	s_delay_alu instid0(VALU_DEP_1) | instskip(NEXT) | instid1(VALU_DEP_2)
	v_sub_f32_e32 v7, v7, v38
	v_add_f32_e32 v5, v5, v40
	s_delay_alu instid0(VALU_DEP_1) | instskip(NEXT) | instid1(VALU_DEP_1)
	v_add_f32_e32 v5, v7, v5
	v_add_f32_e32 v7, v44, v5
	s_delay_alu instid0(VALU_DEP_1) | instskip(NEXT) | instid1(VALU_DEP_1)
	v_mul_f32_e32 v38, v6, v7
	v_dual_sub_f32 v43, v44, v7 :: v_dual_mul_f32 v40, v39, v38
	s_delay_alu instid0(VALU_DEP_1) | instskip(NEXT) | instid1(VALU_DEP_2)
	v_add_f32_e32 v5, v5, v43
	v_fma_f32 v39, v38, v39, -v40
	s_delay_alu instid0(VALU_DEP_1) | instskip(NEXT) | instid1(VALU_DEP_1)
	v_fmac_f32_e32 v39, v38, v37
	v_add_f32_e32 v37, v40, v39
	s_delay_alu instid0(VALU_DEP_1) | instskip(NEXT) | instid1(VALU_DEP_1)
	v_sub_f32_e32 v42, v7, v37
	v_dual_sub_f32 v40, v37, v40 :: v_dual_sub_f32 v7, v7, v42
	s_delay_alu instid0(VALU_DEP_1) | instskip(NEXT) | instid1(VALU_DEP_2)
	v_sub_f32_e32 v7, v7, v37
	v_sub_f32_e32 v37, v40, v39
	s_delay_alu instid0(VALU_DEP_2) | instskip(SKIP_1) | instid1(VALU_DEP_2)
	v_add_f32_e32 v5, v5, v7
	v_add_f32_e32 v7, v41, v38
	;; [unrolled: 1-line block ×3, first 2 shown]
	s_delay_alu instid0(VALU_DEP_2) | instskip(NEXT) | instid1(VALU_DEP_2)
	v_sub_f32_e32 v37, v7, v41
	v_add_f32_e32 v5, v42, v5
	s_delay_alu instid0(VALU_DEP_2) | instskip(NEXT) | instid1(VALU_DEP_2)
	v_sub_f32_e32 v37, v38, v37
	v_mul_f32_e32 v5, v6, v5
	s_delay_alu instid0(VALU_DEP_1) | instskip(NEXT) | instid1(VALU_DEP_1)
	v_add_f32_e32 v5, v37, v5
	v_add_f32_e32 v6, v7, v5
	s_delay_alu instid0(VALU_DEP_1) | instskip(NEXT) | instid1(VALU_DEP_1)
	v_mul_f32_e32 v37, v6, v6
	v_fmaak_f32 v38, s42, v37, 0x3ecc95a3
	v_mul_f32_e32 v39, v6, v37
	s_delay_alu instid0(VALU_DEP_2) | instskip(SKIP_1) | instid1(VALU_DEP_2)
	v_fmaak_f32 v37, v37, v38, 0x3f2aaada
	v_ldexp_f32 v38, v6, 1
	v_dual_sub_f32 v6, v6, v7 :: v_dual_mul_f32 v37, v39, v37
	v_mul_f32_e32 v39, 0x3f317218, v4
	s_delay_alu instid0(VALU_DEP_2) | instskip(NEXT) | instid1(VALU_DEP_3)
	v_sub_f32_e32 v5, v5, v6
	v_add_f32_e32 v7, v38, v37
	s_delay_alu instid0(VALU_DEP_2) | instskip(NEXT) | instid1(VALU_DEP_2)
	v_ldexp_f32 v5, v5, 1
	v_sub_f32_e32 v6, v7, v38
	v_fma_f32 v38, 0x3f317218, v4, -v39
	s_delay_alu instid0(VALU_DEP_2) | instskip(NEXT) | instid1(VALU_DEP_2)
	v_sub_f32_e32 v6, v37, v6
	v_fmac_f32_e32 v38, 0xb102e308, v4
	s_delay_alu instid0(VALU_DEP_2) | instskip(NEXT) | instid1(VALU_DEP_2)
	v_add_f32_e32 v4, v5, v6
	v_add_f32_e32 v5, v39, v38
	s_delay_alu instid0(VALU_DEP_1) | instskip(NEXT) | instid1(VALU_DEP_1)
	v_dual_add_f32 v6, v7, v4 :: v_dual_sub_f32 v39, v5, v39
	v_add_f32_e32 v37, v5, v6
	v_sub_f32_e32 v7, v6, v7
	s_delay_alu instid0(VALU_DEP_3) | instskip(NEXT) | instid1(VALU_DEP_3)
	v_sub_f32_e32 v38, v38, v39
	v_sub_f32_e32 v40, v37, v5
	s_delay_alu instid0(VALU_DEP_1) | instskip(SKIP_1) | instid1(VALU_DEP_2)
	v_dual_sub_f32 v4, v4, v7 :: v_dual_sub_f32 v41, v37, v40
	v_sub_f32_e32 v6, v6, v40
	v_add_f32_e32 v7, v38, v4
	s_delay_alu instid0(VALU_DEP_3) | instskip(NEXT) | instid1(VALU_DEP_1)
	v_sub_f32_e32 v5, v5, v41
	v_dual_add_f32 v5, v6, v5 :: v_dual_sub_f32 v6, v7, v38
	s_delay_alu instid0(VALU_DEP_1) | instskip(NEXT) | instid1(VALU_DEP_2)
	v_add_f32_e32 v5, v7, v5
	v_sub_f32_e32 v7, v7, v6
	s_delay_alu instid0(VALU_DEP_2) | instskip(NEXT) | instid1(VALU_DEP_1)
	v_dual_sub_f32 v4, v4, v6 :: v_dual_add_f32 v39, v37, v5
	v_dual_sub_f32 v7, v38, v7 :: v_dual_sub_f32 v6, v39, v37
	s_delay_alu instid0(VALU_DEP_1) | instskip(NEXT) | instid1(VALU_DEP_1)
	v_dual_add_f32 v4, v4, v7 :: v_dual_sub_f32 v5, v5, v6
	v_add_f32_e32 v4, v4, v5
	s_delay_alu instid0(VALU_DEP_1) | instskip(NEXT) | instid1(VALU_DEP_1)
	v_add_f32_e32 v4, v39, v4
	v_cndmask_b32_e32 v41, v4, v2, vcc_lo
.LBB32_32:                              ;   in Loop: Header=BB32_12 Depth=1
	s_or_b32 exec_lo, exec_lo, s17
	v_and_b32_e32 v2, 0xffff0000, v3
	s_delay_alu instid0(VALU_DEP_1) | instskip(NEXT) | instid1(VALU_DEP_1)
	v_add_f32_e32 v42, s58, v2
	v_cmp_ge_f32_e32 vcc_lo, 0x41a00000, v42
	s_and_b32 s16, s62, vcc_lo
	s_delay_alu instid0(SALU_CYCLE_1)
	s_and_saveexec_b32 s17, s16
	s_cbranch_execz .LBB32_34
; %bb.33:                               ;   in Loop: Header=BB32_12 Depth=1
	v_mul_f32_e32 v2, 0x3fb8aa3b, v42
	v_cmp_ngt_f32_e32 vcc_lo, 0xc2ce8ed0, v42
	s_delay_alu instid0(VALU_DEP_2) | instskip(SKIP_1) | instid1(VALU_DEP_2)
	v_rndne_f32_e32 v3, v2
	v_fma_f32 v4, 0x3fb8aa3b, v42, -v2
	v_sub_f32_e32 v2, v2, v3
	s_delay_alu instid0(VALU_DEP_2) | instskip(SKIP_1) | instid1(VALU_DEP_2)
	v_fmac_f32_e32 v4, 0x32a5705f, v42
	v_cvt_i32_f32_e32 v3, v3
	v_add_f32_e32 v2, v2, v4
	s_delay_alu instid0(VALU_DEP_1) | instskip(SKIP_2) | instid1(VALU_DEP_1)
	v_exp_f32_e32 v2, v2
	s_waitcnt_depctr 0xfff
	v_ldexp_f32 v2, v2, v3
	v_cndmask_b32_e32 v2, 0, v2, vcc_lo
	v_cmp_nlt_f32_e32 vcc_lo, 0x42b17218, v42
	s_delay_alu instid0(VALU_DEP_2) | instskip(NEXT) | instid1(VALU_DEP_1)
	v_cndmask_b32_e32 v4, 0x7f800000, v2, vcc_lo
	v_add_f32_e32 v5, 1.0, v4
	s_delay_alu instid0(VALU_DEP_1) | instskip(NEXT) | instid1(VALU_DEP_1)
	v_cvt_f64_f32_e32 v[2:3], v5
	v_frexp_exp_i32_f64_e32 v2, v[2:3]
	v_frexp_mant_f32_e32 v3, v5
	s_delay_alu instid0(VALU_DEP_1) | instskip(SKIP_1) | instid1(VALU_DEP_1)
	v_cmp_gt_f32_e32 vcc_lo, 0x3f2aaaab, v3
	v_add_f32_e32 v3, -1.0, v5
	v_sub_f32_e32 v7, v3, v5
	s_delay_alu instid0(VALU_DEP_1) | instskip(SKIP_1) | instid1(VALU_DEP_1)
	v_add_f32_e32 v7, 1.0, v7
	v_subrev_co_ci_u32_e32 v2, vcc_lo, 0, v2, vcc_lo
	v_sub_nc_u32_e32 v6, 0, v2
	v_cvt_f32_i32_e32 v2, v2
	s_delay_alu instid0(VALU_DEP_2) | instskip(NEXT) | instid1(VALU_DEP_1)
	v_ldexp_f32 v5, v5, v6
	v_add_f32_e32 v37, 1.0, v5
	v_sub_f32_e32 v3, v4, v3
	v_cmp_eq_f32_e32 vcc_lo, 0x7f800000, v4
	v_cmp_gt_f32_e64 s16, 0x33800000, v4
	s_delay_alu instid0(VALU_DEP_3) | instskip(NEXT) | instid1(VALU_DEP_2)
	v_add_f32_e32 v3, v3, v7
	s_or_b32 vcc_lo, s16, vcc_lo
	s_delay_alu instid0(VALU_DEP_1) | instskip(SKIP_1) | instid1(VALU_DEP_1)
	v_ldexp_f32 v3, v3, v6
	v_add_f32_e32 v6, -1.0, v5
	v_dual_add_f32 v7, -1.0, v37 :: v_dual_add_f32 v38, 1.0, v6
	s_delay_alu instid0(VALU_DEP_1) | instskip(NEXT) | instid1(VALU_DEP_2)
	v_sub_f32_e32 v7, v5, v7
	v_sub_f32_e32 v5, v5, v38
	s_delay_alu instid0(VALU_DEP_2) | instskip(NEXT) | instid1(VALU_DEP_1)
	v_add_f32_e32 v7, v3, v7
	v_dual_add_f32 v3, v3, v5 :: v_dual_add_f32 v38, v37, v7
	s_delay_alu instid0(VALU_DEP_1) | instskip(NEXT) | instid1(VALU_DEP_2)
	v_add_f32_e32 v39, v6, v3
	v_rcp_f32_e32 v5, v38
	s_delay_alu instid0(VALU_DEP_1) | instskip(NEXT) | instid1(VALU_DEP_1)
	v_dual_sub_f32 v37, v37, v38 :: v_dual_sub_f32 v6, v6, v39
	v_add_f32_e32 v3, v3, v6
	s_waitcnt_depctr 0xfff
	v_mul_f32_e32 v40, v39, v5
	s_delay_alu instid0(VALU_DEP_1) | instskip(NEXT) | instid1(VALU_DEP_1)
	v_dual_mul_f32 v42, v38, v40 :: v_dual_add_f32 v7, v7, v37
	v_fma_f32 v37, v40, v38, -v42
	s_delay_alu instid0(VALU_DEP_1) | instskip(NEXT) | instid1(VALU_DEP_1)
	v_fmac_f32_e32 v37, v40, v7
	v_add_f32_e32 v43, v42, v37
	s_delay_alu instid0(VALU_DEP_1) | instskip(SKIP_1) | instid1(VALU_DEP_1)
	v_sub_f32_e32 v6, v43, v42
	v_sub_f32_e32 v44, v39, v43
	v_dual_sub_f32 v6, v6, v37 :: v_dual_sub_f32 v39, v39, v44
	s_delay_alu instid0(VALU_DEP_1) | instskip(NEXT) | instid1(VALU_DEP_1)
	v_sub_f32_e32 v39, v39, v43
	v_add_f32_e32 v3, v3, v39
	s_delay_alu instid0(VALU_DEP_1) | instskip(NEXT) | instid1(VALU_DEP_1)
	v_add_f32_e32 v3, v6, v3
	v_add_f32_e32 v6, v44, v3
	s_delay_alu instid0(VALU_DEP_1) | instskip(SKIP_1) | instid1(VALU_DEP_2)
	v_mul_f32_e32 v37, v5, v6
	v_sub_f32_e32 v43, v44, v6
	v_mul_f32_e32 v39, v38, v37
	s_delay_alu instid0(VALU_DEP_2) | instskip(NEXT) | instid1(VALU_DEP_2)
	v_add_f32_e32 v3, v3, v43
	v_fma_f32 v38, v37, v38, -v39
	s_delay_alu instid0(VALU_DEP_1) | instskip(NEXT) | instid1(VALU_DEP_1)
	v_fmac_f32_e32 v38, v37, v7
	v_add_f32_e32 v7, v39, v38
	s_delay_alu instid0(VALU_DEP_1) | instskip(NEXT) | instid1(VALU_DEP_1)
	v_sub_f32_e32 v42, v6, v7
	v_dual_sub_f32 v39, v7, v39 :: v_dual_sub_f32 v6, v6, v42
	s_delay_alu instid0(VALU_DEP_1) | instskip(NEXT) | instid1(VALU_DEP_1)
	v_dual_sub_f32 v6, v6, v7 :: v_dual_sub_f32 v7, v39, v38
	v_dual_add_f32 v3, v3, v6 :: v_dual_add_f32 v6, v40, v37
	s_delay_alu instid0(VALU_DEP_1) | instskip(NEXT) | instid1(VALU_DEP_2)
	v_add_f32_e32 v3, v7, v3
	v_sub_f32_e32 v7, v6, v40
	s_delay_alu instid0(VALU_DEP_2) | instskip(NEXT) | instid1(VALU_DEP_2)
	v_add_f32_e32 v3, v42, v3
	v_sub_f32_e32 v7, v37, v7
	s_delay_alu instid0(VALU_DEP_2) | instskip(NEXT) | instid1(VALU_DEP_1)
	v_mul_f32_e32 v3, v5, v3
	v_add_f32_e32 v3, v7, v3
	s_delay_alu instid0(VALU_DEP_1) | instskip(NEXT) | instid1(VALU_DEP_1)
	v_add_f32_e32 v5, v6, v3
	v_mul_f32_e32 v7, v5, v5
	s_delay_alu instid0(VALU_DEP_1) | instskip(NEXT) | instid1(VALU_DEP_1)
	v_fmaak_f32 v37, s42, v7, 0x3ecc95a3
	v_dual_mul_f32 v38, v5, v7 :: v_dual_fmaak_f32 v7, v7, v37, 0x3f2aaada
	v_ldexp_f32 v37, v5, 1
	v_sub_f32_e32 v5, v5, v6
	s_delay_alu instid0(VALU_DEP_3) | instskip(NEXT) | instid1(VALU_DEP_1)
	v_dual_mul_f32 v7, v38, v7 :: v_dual_mul_f32 v38, 0x3f317218, v2
	v_dual_sub_f32 v3, v3, v5 :: v_dual_add_f32 v6, v37, v7
	s_delay_alu instid0(VALU_DEP_1) | instskip(NEXT) | instid1(VALU_DEP_2)
	v_ldexp_f32 v3, v3, 1
	v_sub_f32_e32 v5, v6, v37
	s_delay_alu instid0(VALU_DEP_4) | instskip(NEXT) | instid1(VALU_DEP_2)
	v_fma_f32 v37, 0x3f317218, v2, -v38
	v_sub_f32_e32 v5, v7, v5
	s_delay_alu instid0(VALU_DEP_1) | instskip(NEXT) | instid1(VALU_DEP_1)
	v_dual_fmac_f32 v37, 0xb102e308, v2 :: v_dual_add_f32 v2, v3, v5
	v_add_f32_e32 v3, v38, v37
	s_delay_alu instid0(VALU_DEP_2) | instskip(NEXT) | instid1(VALU_DEP_2)
	v_add_f32_e32 v5, v6, v2
	v_sub_f32_e32 v38, v3, v38
	s_delay_alu instid0(VALU_DEP_2) | instskip(NEXT) | instid1(VALU_DEP_2)
	v_dual_add_f32 v7, v3, v5 :: v_dual_sub_f32 v6, v5, v6
	v_sub_f32_e32 v37, v37, v38
	s_delay_alu instid0(VALU_DEP_2) | instskip(NEXT) | instid1(VALU_DEP_1)
	v_dual_sub_f32 v39, v7, v3 :: v_dual_sub_f32 v2, v2, v6
	v_sub_f32_e32 v40, v7, v39
	v_sub_f32_e32 v5, v5, v39
	s_delay_alu instid0(VALU_DEP_2) | instskip(NEXT) | instid1(VALU_DEP_1)
	v_dual_add_f32 v6, v37, v2 :: v_dual_sub_f32 v3, v3, v40
	v_add_f32_e32 v3, v5, v3
	s_delay_alu instid0(VALU_DEP_2) | instskip(NEXT) | instid1(VALU_DEP_2)
	v_sub_f32_e32 v5, v6, v37
	v_add_f32_e32 v3, v6, v3
	s_delay_alu instid0(VALU_DEP_2) | instskip(SKIP_1) | instid1(VALU_DEP_3)
	v_sub_f32_e32 v6, v6, v5
	v_sub_f32_e32 v2, v2, v5
	v_add_f32_e32 v38, v7, v3
	s_delay_alu instid0(VALU_DEP_1) | instskip(NEXT) | instid1(VALU_DEP_1)
	v_dual_sub_f32 v6, v37, v6 :: v_dual_sub_f32 v5, v38, v7
	v_dual_add_f32 v2, v2, v6 :: v_dual_sub_f32 v3, v3, v5
	s_delay_alu instid0(VALU_DEP_1) | instskip(NEXT) | instid1(VALU_DEP_1)
	v_add_f32_e32 v2, v2, v3
	v_add_f32_e32 v2, v38, v2
	s_delay_alu instid0(VALU_DEP_1)
	v_cndmask_b32_e32 v42, v2, v4, vcc_lo
.LBB32_34:                              ;   in Loop: Header=BB32_12 Depth=1
	s_or_b32 exec_lo, exec_lo, s17
	v_lshlrev_b32_e32 v2, 16, v1
	v_and_b32_e32 v3, 0xffff0000, v0
	v_lshlrev_b32_e32 v0, 16, v0
	v_and_b32_e32 v1, 0xffff0000, v1
	s_and_b32 vcc_lo, exec_lo, s63
	s_delay_alu instid0(VALU_DEP_3) | instskip(NEXT) | instid1(VALU_DEP_2)
	v_dual_mul_f32 v37, s59, v2 :: v_dual_mul_f32 v40, s59, v3
	v_dual_mul_f32 v38, s59, v0 :: v_dual_mul_f32 v39, s59, v1
	s_barrier
	buffer_gl0_inv
	s_cbranch_vccz .LBB32_82
; %bb.35:                               ;   in Loop: Header=BB32_12 Depth=1
	v_dual_mul_f32 v43, v42, v1 :: v_dual_mul_f32 v48, v41, v2
	v_add_co_u32 v1, s16, s47, v33
	s_delay_alu instid0(VALU_DEP_1) | instskip(SKIP_1) | instid1(VALU_DEP_1)
	v_add_co_ci_u32_e64 v4, null, s49, 0, s16
	v_add_co_u32 v5, s16, s51, v33
	v_add_co_ci_u32_e64 v6, null, s60, 0, s16
	s_delay_alu instid0(VALU_DEP_4) | instskip(NEXT) | instid1(VALU_DEP_4)
	v_add_co_u32 v44, vcc_lo, v1, v34
	v_add_co_ci_u32_e32 v45, vcc_lo, 0, v4, vcc_lo
	s_delay_alu instid0(VALU_DEP_4) | instskip(NEXT) | instid1(VALU_DEP_4)
	v_add_co_u32 v46, vcc_lo, v5, v34
	v_add_co_ci_u32_e32 v47, vcc_lo, 0, v6, vcc_lo
	v_cmp_gt_u32_e32 vcc_lo, s19, v8
	v_cmp_gt_u32_e64 s17, s19, v30
	v_cmp_gt_u32_e64 s18, s19, v31
	;; [unrolled: 1-line block ×3, first 2 shown]
	s_cmp_lg_u32 s54, 0
	v_dual_mul_f32 v49, v36, v3 :: v_dual_mul_f32 v50, v35, v0
	s_mov_b32 s28, 0
	s_cselect_b32 s25, -1, 0
	s_cmp_eq_u32 s54, s65
	s_mov_b32 s26, s28
	s_cselect_b32 s55, -1, 0
	s_or_b32 s16, s64, vcc_lo
	s_or_b32 s17, s64, s17
	s_or_b32 s18, s64, s18
	;; [unrolled: 1-line block ×3, first 2 shown]
	s_mov_b32 s30, s28
	s_mov_b32 s34, s28
	;; [unrolled: 1-line block ×4, first 2 shown]
	s_branch .LBB32_37
.LBB32_36:                              ;   in Loop: Header=BB32_37 Depth=2
	s_or_b32 exec_lo, exec_lo, s20
	v_cndmask_b32_e64 v2, v60, v7, s11
	v_cndmask_b32_e64 v3, v59, v6, s11
	s_add_i32 s56, s56, -1
	s_add_i32 s57, s57, 8
	s_add_i32 s34, s34, s50
	v_fma_f32 v2, v2, v58, v56
	v_mul_f32_e32 v3, v3, v58
	s_add_i32 s30, s30, s36
	s_add_i32 s26, s26, s48
	;; [unrolled: 1-line block ×3, first 2 shown]
	v_cndmask_b32_e64 v2, v2, v56, s10
	v_cndmask_b32_e64 v3, v3, v58, s10
	s_cmp_eq_u32 s56, 0
	s_waitcnt lgkmcnt(0)
	s_delay_alu instid0(VALU_DEP_1) | instskip(NEXT) | instid1(VALU_DEP_1)
	v_dual_fmac_f32 v2, v4, v3 :: v_dual_and_b32 v3, 0xffff0000, v0
	v_dual_fmac_f32 v51, v2, v57 :: v_dual_lshlrev_b32 v0, 16, v0
	s_delay_alu instid0(VALU_DEP_1) | instskip(SKIP_1) | instid1(VALU_DEP_3)
	v_fmac_f32_e32 v52, v51, v55
	v_and_b32_e32 v4, 0xffff0000, v1
	v_dual_fmac_f32 v38, v2, v0 :: v_dual_lshlrev_b32 v1, 16, v1
	s_delay_alu instid0(VALU_DEP_3) | instskip(NEXT) | instid1(VALU_DEP_2)
	v_dual_fmac_f32 v53, v52, v54 :: v_dual_fmac_f32 v40, v51, v3
	v_fmac_f32_e32 v37, v52, v1
	s_delay_alu instid0(VALU_DEP_2)
	v_fmac_f32_e32 v39, v53, v4
	s_cbranch_scc1 .LBB32_82
.LBB32_37:                              ;   Parent Loop BB32_12 Depth=1
                                        ; =>  This Inner Loop Header: Depth=2
	s_lshl_b64 s[20:21], s[28:29], 2
	s_mov_b32 s27, s29
	s_add_u32 s20, s44, s20
	s_addc_u32 s21, s46, s21
	v_dual_mov_b32 v2, 0 :: v_dual_mov_b32 v3, 0
	global_load_b32 v6, v12, s[20:21]
	s_lshl_b64 s[20:21], s[26:27], 1
	s_delay_alu instid0(SALU_CYCLE_1)
	v_add_co_u32 v0, vcc_lo, v44, s20
	v_add_co_ci_u32_e32 v1, vcc_lo, s21, v45, vcc_lo
	s_and_saveexec_b32 s20, s12
	s_cbranch_execz .LBB32_39
; %bb.38:                               ;   in Loop: Header=BB32_37 Depth=2
	global_load_u16 v3, v[0:1], off
.LBB32_39:                              ;   in Loop: Header=BB32_37 Depth=2
	s_or_b32 exec_lo, exec_lo, s20
	s_and_saveexec_b32 s20, s13
	s_cbranch_execz .LBB32_41
; %bb.40:                               ;   in Loop: Header=BB32_37 Depth=2
	global_load_u16 v2, v[0:1], off offset:64
.LBB32_41:                              ;   in Loop: Header=BB32_37 Depth=2
	s_or_b32 exec_lo, exec_lo, s20
	v_dual_mov_b32 v4, 0 :: v_dual_mov_b32 v5, 0
	s_and_saveexec_b32 s20, s14
	s_cbranch_execz .LBB32_43
; %bb.42:                               ;   in Loop: Header=BB32_37 Depth=2
	global_load_u16 v5, v[0:1], off offset:128
.LBB32_43:                              ;   in Loop: Header=BB32_37 Depth=2
	s_or_b32 exec_lo, exec_lo, s20
	s_and_saveexec_b32 s20, s15
	s_cbranch_execz .LBB32_45
; %bb.44:                               ;   in Loop: Header=BB32_37 Depth=2
	global_load_u16 v4, v[0:1], off offset:192
.LBB32_45:                              ;   in Loop: Header=BB32_37 Depth=2
	s_or_b32 exec_lo, exec_lo, s20
	s_waitcnt vmcnt(0)
	ds_store_b16 v14, v3
	ds_store_b16 v14, v2 offset:64
	ds_store_b16 v15, v5 offset:128
	;; [unrolled: 1-line block ×3, first 2 shown]
	; wave barrier
	ds_load_b64 v[4:5], v17
	s_mov_b32 s31, s29
	v_dual_mov_b32 v2, 0 :: v_dual_mov_b32 v3, 0
	s_lshl_b64 s[20:21], s[30:31], 1
	s_delay_alu instid0(SALU_CYCLE_1)
	v_add_co_u32 v0, vcc_lo, v46, s20
	v_add_co_ci_u32_e32 v1, vcc_lo, s21, v47, vcc_lo
	s_and_saveexec_b32 s20, s12
	s_cbranch_execz .LBB32_47
; %bb.46:                               ;   in Loop: Header=BB32_37 Depth=2
	global_load_u16 v3, v[0:1], off
.LBB32_47:                              ;   in Loop: Header=BB32_37 Depth=2
	s_or_b32 exec_lo, exec_lo, s20
	s_and_saveexec_b32 s20, s13
	s_cbranch_execz .LBB32_49
; %bb.48:                               ;   in Loop: Header=BB32_37 Depth=2
	global_load_u16 v2, v[0:1], off offset:64
.LBB32_49:                              ;   in Loop: Header=BB32_37 Depth=2
	s_or_b32 exec_lo, exec_lo, s20
	v_mov_b32_e32 v7, 0
	v_mov_b32_e32 v51, 0
	s_and_saveexec_b32 s20, s14
	s_cbranch_execz .LBB32_51
; %bb.50:                               ;   in Loop: Header=BB32_37 Depth=2
	global_load_u16 v51, v[0:1], off offset:128
.LBB32_51:                              ;   in Loop: Header=BB32_37 Depth=2
	s_or_b32 exec_lo, exec_lo, s20
	s_and_saveexec_b32 s20, s15
	s_cbranch_execz .LBB32_53
; %bb.52:                               ;   in Loop: Header=BB32_37 Depth=2
	global_load_u16 v7, v[0:1], off offset:192
.LBB32_53:                              ;   in Loop: Header=BB32_37 Depth=2
	s_or_b32 exec_lo, exec_lo, s20
	s_waitcnt vmcnt(0)
	ds_store_b16 v14, v3 offset:528
	ds_store_b16 v18, v2 offset:64
	;; [unrolled: 1-line block ×4, first 2 shown]
	; wave barrier
	ds_load_b64 v[0:1], v17 offset:528
	s_and_not1_b32 vcc_lo, exec_lo, s25
	s_cbranch_vccnz .LBB32_55
; %bb.54:                               ;   in Loop: Header=BB32_37 Depth=2
	v_mov_b32_e32 v2, s57
	ds_load_b64 v[2:3], v2
	s_cbranch_execz .LBB32_56
	s_branch .LBB32_59
.LBB32_55:                              ;   in Loop: Header=BB32_37 Depth=2
                                        ; implicit-def: $vgpr2
.LBB32_56:                              ;   in Loop: Header=BB32_37 Depth=2
	s_waitcnt lgkmcnt(0)
	v_mov_b32_e32 v3, 0
	s_and_not1_b32 vcc_lo, exec_lo, s33
	s_cbranch_vccnz .LBB32_58
; %bb.57:                               ;   in Loop: Header=BB32_37 Depth=2
	s_mov_b32 s35, s29
	s_delay_alu instid0(SALU_CYCLE_1) | instskip(NEXT) | instid1(SALU_CYCLE_1)
	s_lshl_b64 s[20:21], s[34:35], 2
	s_add_u32 s20, s52, s20
	s_addc_u32 s21, s53, s21
	global_load_b32 v3, v12, s[20:21]
.LBB32_58:                              ;   in Loop: Header=BB32_37 Depth=2
	v_mov_b32_e32 v2, 1.0
.LBB32_59:                              ;   in Loop: Header=BB32_37 Depth=2
	s_waitcnt lgkmcnt(5)
	v_dual_mul_f32 v6, 0x3fb8aa3b, v6 :: v_dual_lshlrev_b32 v7, 16, v4
	v_lshlrev_b32_e32 v51, 16, v5
	v_and_b32_e32 v4, 0xffff0000, v4
	s_delay_alu instid0(VALU_DEP_3) | instskip(NEXT) | instid1(VALU_DEP_4)
	v_mul_f32_e32 v52, v6, v35
	v_mul_f32_e32 v7, v50, v7
	s_delay_alu instid0(VALU_DEP_3) | instskip(SKIP_1) | instid1(VALU_DEP_4)
	v_dual_mul_f32 v55, v6, v42 :: v_dual_mul_f32 v4, v49, v4
	v_dual_mul_f32 v54, v6, v41 :: v_dual_mul_f32 v59, v48, v51
	v_cmp_gt_f32_e32 vcc_lo, 0xc2fc0000, v52
	s_delay_alu instid0(VALU_DEP_3) | instskip(NEXT) | instid1(VALU_DEP_3)
	v_cmp_gt_f32_e64 s22, 0xc2fc0000, v55
	v_cmp_gt_f32_e64 s21, 0xc2fc0000, v54
	v_cndmask_b32_e64 v52, 0, 0x42800000, vcc_lo
	v_and_b32_e32 v5, 0xffff0000, v5
	s_delay_alu instid0(VALU_DEP_4) | instskip(SKIP_4) | instid1(VALU_DEP_3)
	v_cndmask_b32_e64 v55, 0, 0x42800000, s22
	v_cndmask_b32_e64 v56, 1.0, 0x1f800000, vcc_lo
	v_cndmask_b32_e64 v54, 0, 0x42800000, s21
	v_fmac_f32_e32 v52, v6, v35
	v_cndmask_b32_e64 v51, 1.0, 0x1f800000, s21
	v_fmac_f32_e32 v54, v6, v41
	s_delay_alu instid0(VALU_DEP_3) | instskip(SKIP_1) | instid1(VALU_DEP_2)
	v_exp_f32_e32 v52, v52
	v_fmac_f32_e32 v55, v6, v42
	v_exp_f32_e32 v54, v54
	s_waitcnt_depctr 0xfff
	v_mul_f32_e32 v52, v52, v56
	v_cndmask_b32_e64 v56, 0, v7, s16
	v_exp_f32_e32 v7, v55
	s_delay_alu instid0(VALU_DEP_2) | instskip(SKIP_2) | instid1(VALU_DEP_2)
	v_cndmask_b32_e64 v58, 1.0, v52, s16
	v_mul_f32_e32 v53, v6, v36
	v_cndmask_b32_e64 v52, 0, v59, s18
	v_cmp_gt_f32_e64 s20, 0xc2fc0000, v53
	s_delay_alu instid0(VALU_DEP_1) | instskip(NEXT) | instid1(VALU_DEP_1)
	v_cndmask_b32_e64 v53, 0, 0x42800000, s20
	v_fmac_f32_e32 v53, v6, v36
	v_cndmask_b32_e64 v6, 1.0, 0x1f800000, s20
	s_delay_alu instid0(VALU_DEP_2) | instskip(SKIP_4) | instid1(VALU_DEP_3)
	v_exp_f32_e32 v53, v53
	s_waitcnt_depctr 0xfff
	v_dual_mul_f32 v6, v53, v6 :: v_dual_mul_f32 v53, v54, v51
	v_cndmask_b32_e64 v51, 0, v4, s17
	v_cndmask_b32_e64 v4, 1.0, 0x1f800000, s22
	v_cndmask_b32_e64 v57, 1.0, v6, s17
	s_delay_alu instid0(VALU_DEP_4) | instskip(NEXT) | instid1(VALU_DEP_3)
	v_cndmask_b32_e64 v55, 1.0, v53, s18
	v_mul_f32_e32 v4, v7, v4
	s_delay_alu instid0(VALU_DEP_3) | instskip(SKIP_1) | instid1(VALU_DEP_3)
	v_dual_mul_f32 v6, v57, v58 :: v_dual_mul_f32 v5, v43, v5
	v_fma_f32 v7, v57, v56, v51
	v_cndmask_b32_e64 v54, 1.0, v4, s19
	s_delay_alu instid0(VALU_DEP_3) | instskip(NEXT) | instid1(VALU_DEP_4)
	v_mul_f32_e32 v4, v6, v55
	v_cndmask_b32_e64 v53, 0, v5, s19
	s_delay_alu instid0(VALU_DEP_4) | instskip(NEXT) | instid1(VALU_DEP_3)
	v_fma_f32 v5, v7, v55, v52
	v_mul_f32_e32 v4, v4, v54
	s_delay_alu instid0(VALU_DEP_2) | instskip(NEXT) | instid1(VALU_DEP_2)
	v_fma_f32 v5, v5, v54, v53
	v_mov_b32_dpp v7, v4 row_shr:1 row_mask:0xf bank_mask:0xf
	s_delay_alu instid0(VALU_DEP_2)
	v_mov_b32_dpp v6, v5 row_shr:1 row_mask:0xf bank_mask:0xf
	s_and_saveexec_b32 s20, s0
; %bb.60:                               ;   in Loop: Header=BB32_37 Depth=2
	s_delay_alu instid0(VALU_DEP_2) | instskip(NEXT) | instid1(VALU_DEP_1)
	v_mul_f32_e32 v7, v4, v7
	v_dual_fmac_f32 v5, v4, v6 :: v_dual_mov_b32 v4, v7
; %bb.61:                               ;   in Loop: Header=BB32_37 Depth=2
	s_or_b32 exec_lo, exec_lo, s20
	s_delay_alu instid0(VALU_DEP_1) | instskip(NEXT) | instid1(VALU_DEP_2)
	v_mov_b32_dpp v6, v4 row_shr:2 row_mask:0xf bank_mask:0xf
	v_mov_b32_dpp v7, v5 row_shr:2 row_mask:0xf bank_mask:0xf
	s_and_saveexec_b32 s20, s1
; %bb.62:                               ;   in Loop: Header=BB32_37 Depth=2
	s_delay_alu instid0(VALU_DEP_1) | instskip(NEXT) | instid1(VALU_DEP_3)
	v_fmac_f32_e32 v5, v4, v7
	v_mul_f32_e32 v4, v4, v6
; %bb.63:                               ;   in Loop: Header=BB32_37 Depth=2
	s_or_b32 exec_lo, exec_lo, s20
	s_delay_alu instid0(VALU_DEP_1) | instskip(NEXT) | instid1(VALU_DEP_3)
	v_mov_b32_dpp v6, v4 row_shr:4 row_mask:0xf bank_mask:0xf
	v_mov_b32_dpp v7, v5 row_shr:4 row_mask:0xf bank_mask:0xf
	s_and_saveexec_b32 s20, s2
; %bb.64:                               ;   in Loop: Header=BB32_37 Depth=2
	s_delay_alu instid0(VALU_DEP_1) | instskip(NEXT) | instid1(VALU_DEP_3)
	v_fmac_f32_e32 v5, v4, v7
	v_mul_f32_e32 v4, v4, v6
; %bb.65:                               ;   in Loop: Header=BB32_37 Depth=2
	s_or_b32 exec_lo, exec_lo, s20
	s_delay_alu instid0(VALU_DEP_1) | instskip(NEXT) | instid1(VALU_DEP_3)
	v_mov_b32_dpp v6, v4 row_shr:8 row_mask:0xf bank_mask:0xf
	v_mov_b32_dpp v7, v5 row_shr:8 row_mask:0xf bank_mask:0xf
	s_and_saveexec_b32 s20, s3
; %bb.66:                               ;   in Loop: Header=BB32_37 Depth=2
	s_delay_alu instid0(VALU_DEP_1) | instskip(NEXT) | instid1(VALU_DEP_3)
	v_fmac_f32_e32 v5, v4, v7
	v_mul_f32_e32 v4, v4, v6
; %bb.67:                               ;   in Loop: Header=BB32_37 Depth=2
	s_or_b32 exec_lo, exec_lo, s20
	ds_swizzle_b32 v7, v4 offset:swizzle(BROADCAST,32,15)
	ds_swizzle_b32 v6, v5 offset:swizzle(BROADCAST,32,15)
	s_and_saveexec_b32 s20, s4
	s_cbranch_execz .LBB32_69
; %bb.68:                               ;   in Loop: Header=BB32_37 Depth=2
	s_waitcnt lgkmcnt(1)
	v_mul_f32_e32 v7, v4, v7
	s_waitcnt lgkmcnt(0)
	s_delay_alu instid0(VALU_DEP_1)
	v_dual_fmac_f32 v5, v4, v6 :: v_dual_mov_b32 v4, v7
.LBB32_69:                              ;   in Loop: Header=BB32_37 Depth=2
	s_or_b32 exec_lo, exec_lo, s20
	s_and_saveexec_b32 s20, s5
	s_cbranch_execz .LBB32_71
; %bb.70:                               ;   in Loop: Header=BB32_37 Depth=2
	ds_store_b64 v21, v[4:5] offset:1056
.LBB32_71:                              ;   in Loop: Header=BB32_37 Depth=2
	s_or_b32 exec_lo, exec_lo, s20
	s_waitcnt vmcnt(0) lgkmcnt(0)
	s_waitcnt_vscnt null, 0x0
	s_barrier
	buffer_gl0_inv
	s_and_saveexec_b32 s20, s6
	s_cbranch_execz .LBB32_73
; %bb.72:                               ;   in Loop: Header=BB32_37 Depth=2
	ds_load_b64 v[6:7], v22 offset:1056
	s_waitcnt lgkmcnt(0)
	v_mov_b32_dpp v59, v6 row_shr:1 row_mask:0xf bank_mask:0xf
	v_mov_b32_dpp v60, v7 row_shr:1 row_mask:0xf bank_mask:0xf
	s_delay_alu instid0(VALU_DEP_2) | instskip(NEXT) | instid1(VALU_DEP_2)
	v_mul_f32_e32 v59, v6, v59
	v_fma_f32 v60, v6, v60, v7
	s_delay_alu instid0(VALU_DEP_2) | instskip(NEXT) | instid1(VALU_DEP_2)
	v_cndmask_b32_e64 v6, v59, v6, s7
	v_cndmask_b32_e64 v7, v60, v7, s7
	ds_store_b64 v22, v[6:7] offset:1056
.LBB32_73:                              ;   in Loop: Header=BB32_37 Depth=2
	s_or_b32 exec_lo, exec_lo, s20
	s_waitcnt lgkmcnt(0)
	s_barrier
	buffer_gl0_inv
                                        ; implicit-def: $vgpr7
	s_and_saveexec_b32 s20, s9
	s_cbranch_execz .LBB32_75
; %bb.74:                               ;   in Loop: Header=BB32_37 Depth=2
	ds_load_b64 v[6:7], v21 offset:1048
	s_waitcnt lgkmcnt(0)
	v_mul_f32_e32 v59, v4, v6
	s_delay_alu instid0(VALU_DEP_1)
	v_dual_fmac_f32 v5, v4, v7 :: v_dual_mov_b32 v4, v59
.LBB32_75:                              ;   in Loop: Header=BB32_37 Depth=2
	s_or_b32 exec_lo, exec_lo, s20
	ds_bpermute_b32 v59, v23, v4
	ds_bpermute_b32 v60, v23, v5
	s_and_saveexec_b32 s20, s8
	s_cbranch_execz .LBB32_79
; %bb.76:                               ;   in Loop: Header=BB32_37 Depth=2
	ds_load_b64 v[4:5], v12 offset:1064
	s_and_saveexec_b32 s21, s10
	s_cbranch_execz .LBB32_78
; %bb.77:                               ;   in Loop: Header=BB32_37 Depth=2
	ds_store_b64 v12, v[2:3] offset:1064
.LBB32_78:                              ;   in Loop: Header=BB32_37 Depth=2
	s_or_b32 exec_lo, exec_lo, s21
	s_waitcnt lgkmcnt(0)
	v_fmac_f32_e32 v5, v3, v4
	s_delay_alu instid0(VALU_DEP_1)
	v_dual_mul_f32 v2, v2, v4 :: v_dual_mov_b32 v3, v5
.LBB32_79:                              ;   in Loop: Header=BB32_37 Depth=2
	s_or_b32 exec_lo, exec_lo, s20
	s_waitcnt lgkmcnt(0)
	s_barrier
	buffer_gl0_inv
	ds_load_b32 v4, v12 offset:1068
	s_and_saveexec_b32 s20, s10
	s_cbranch_execz .LBB32_36
; %bb.80:                               ;   in Loop: Header=BB32_37 Depth=2
	v_mov_b32_e32 v5, s57
	s_and_not1_b32 vcc_lo, exec_lo, s55
	ds_store_b64 v5, v[2:3]
	s_cbranch_vccnz .LBB32_36
; %bb.81:                               ;   in Loop: Header=BB32_37 Depth=2
	s_mov_b32 s35, s29
	s_delay_alu instid0(SALU_CYCLE_1) | instskip(NEXT) | instid1(SALU_CYCLE_1)
	s_lshl_b64 s[66:67], s[34:35], 2
	s_add_u32 s66, s52, s66
	s_addc_u32 s67, s53, s67
	global_store_b32 v12, v3, s[66:67]
	s_branch .LBB32_36
.LBB32_82:                              ;   in Loop: Header=BB32_12 Depth=1
	v_bfe_u32 v0, v38, 16, 1
	s_delay_alu instid0(VALU_DEP_3) | instskip(NEXT) | instid1(VALU_DEP_3)
	v_bfe_u32 v2, v37, 16, 1
	v_bfe_u32 v3, v39, 16, 1
	v_cmp_o_f32_e32 vcc_lo, v38, v38
	v_bfe_u32 v1, v40, 16, 1
	v_add3_u32 v0, v38, v0, 0x7fff
	v_add3_u32 v2, v37, v2, 0x7fff
	;; [unrolled: 1-line block ×3, first 2 shown]
	s_waitcnt_vscnt null, 0x0
	v_add3_u32 v1, v40, v1, 0x7fff
	v_lshrrev_b32_e32 v0, 16, v0
	v_lshrrev_b32_e32 v2, 16, v2
	;; [unrolled: 1-line block ×3, first 2 shown]
	s_barrier
	v_lshrrev_b32_e32 v1, 16, v1
	v_cndmask_b32_e32 v0, 0x7fc0, v0, vcc_lo
	v_cmp_o_f32_e32 vcc_lo, v37, v37
	buffer_gl0_inv
	s_mov_b32 s25, s29
	s_delay_alu instid0(SALU_CYCLE_1)
	s_lshl_b64 s[20:21], s[24:25], 1
	v_cndmask_b32_e32 v2, 0x7fc0, v2, vcc_lo
	v_cmp_o_f32_e32 vcc_lo, v39, v39
	v_cndmask_b32_e32 v3, 0x7fc0, v3, vcc_lo
	v_cmp_o_f32_e32 vcc_lo, v40, v40
	v_cndmask_b32_e32 v4, 0x7fc0, v1, vcc_lo
	s_delay_alu instid0(VALU_DEP_3) | instskip(NEXT) | instid1(VALU_DEP_2)
	v_perm_b32 v1, v3, v2, 0x5040100
	v_perm_b32 v0, v4, v0, 0x5040100
	ds_store_b64 v17, v[0:1]
	; wave barrier
	ds_load_u16 v4, v14 offset:64
	ds_load_u16 v3, v15 offset:128
	;; [unrolled: 1-line block ×3, first 2 shown]
	v_add_co_u32 v0, vcc_lo, v24, s20
	v_add_co_ci_u32_e32 v1, vcc_lo, s21, v25, vcc_lo
	s_and_saveexec_b32 s16, s12
	s_cbranch_execnz .LBB32_101
; %bb.83:                               ;   in Loop: Header=BB32_12 Depth=1
	s_or_b32 exec_lo, exec_lo, s16
	s_and_saveexec_b32 s16, s13
	s_cbranch_execnz .LBB32_102
.LBB32_84:                              ;   in Loop: Header=BB32_12 Depth=1
	s_or_b32 exec_lo, exec_lo, s16
	s_and_saveexec_b32 s16, s14
	s_cbranch_execnz .LBB32_103
.LBB32_85:                              ;   in Loop: Header=BB32_12 Depth=1
	s_or_b32 exec_lo, exec_lo, s16
	s_and_saveexec_b32 s16, s15
	s_cbranch_execz .LBB32_87
.LBB32_86:                              ;   in Loop: Header=BB32_12 Depth=1
	s_waitcnt lgkmcnt(0)
	global_store_b16 v[0:1], v2, off offset:192
.LBB32_87:                              ;   in Loop: Header=BB32_12 Depth=1
	s_or_b32 exec_lo, exec_lo, s16
	v_add_co_u32 v0, vcc_lo, v26, s20
	v_add_co_ci_u32_e32 v1, vcc_lo, s21, v27, vcc_lo
	s_waitcnt lgkmcnt(0)
	v_dual_mov_b32 v2, 0 :: v_dual_mov_b32 v3, 0
	s_waitcnt_vscnt null, 0x0
	s_barrier
	buffer_gl0_inv
	s_and_saveexec_b32 s16, s12
	s_cbranch_execz .LBB32_89
; %bb.88:                               ;   in Loop: Header=BB32_12 Depth=1
	global_load_u16 v3, v[0:1], off
.LBB32_89:                              ;   in Loop: Header=BB32_12 Depth=1
	s_or_b32 exec_lo, exec_lo, s16
	s_and_saveexec_b32 s16, s13
	s_cbranch_execz .LBB32_91
; %bb.90:                               ;   in Loop: Header=BB32_12 Depth=1
	global_load_u16 v2, v[0:1], off offset:64
.LBB32_91:                              ;   in Loop: Header=BB32_12 Depth=1
	s_or_b32 exec_lo, exec_lo, s16
	v_dual_mov_b32 v4, 0 :: v_dual_mov_b32 v5, 0
	s_and_saveexec_b32 s16, s14
	s_cbranch_execz .LBB32_93
; %bb.92:                               ;   in Loop: Header=BB32_12 Depth=1
	global_load_u16 v5, v[0:1], off offset:128
.LBB32_93:                              ;   in Loop: Header=BB32_12 Depth=1
	s_or_b32 exec_lo, exec_lo, s16
	s_and_saveexec_b32 s16, s15
	s_cbranch_execz .LBB32_95
; %bb.94:                               ;   in Loop: Header=BB32_12 Depth=1
	global_load_u16 v4, v[0:1], off offset:192
.LBB32_95:                              ;   in Loop: Header=BB32_12 Depth=1
	s_or_b32 exec_lo, exec_lo, s16
	s_waitcnt vmcnt(0)
	ds_store_b16 v14, v3
	ds_store_b16 v14, v2 offset:64
	ds_store_b16 v15, v5 offset:128
	;; [unrolled: 1-line block ×3, first 2 shown]
	; wave barrier
	ds_load_b64 v[0:1], v17
	s_waitcnt lgkmcnt(0)
	s_barrier
	buffer_gl0_inv
	v_and_b32_e32 v2, 0xffff0000, v0
	v_and_b32_e32 v3, 0xffff0000, v1
	v_lshlrev_b32_e32 v1, 16, v1
	s_delay_alu instid0(VALU_DEP_1) | instskip(NEXT) | instid1(VALU_DEP_1)
	v_dual_mul_f32 v7, 0xbfb8aa3b, v1 :: v_dual_lshlrev_b32 v0, 16, v0
	v_mul_f32_e32 v5, 0xbfb8aa3b, v0
	s_delay_alu instid0(VALU_DEP_2) | instskip(NEXT) | instid1(VALU_DEP_2)
	v_rndne_f32_e32 v45, v7
	v_rndne_f32_e32 v41, v5
	v_fma_f32 v42, 0xbfb8aa3b, v0, -v5
	s_delay_alu instid0(VALU_DEP_2) | instskip(SKIP_2) | instid1(VALU_DEP_4)
	v_dual_sub_f32 v5, v5, v41 :: v_dual_mul_f32 v4, 0xbfb8aa3b, v2
	v_fma_f32 v46, 0xbfb8aa3b, v1, -v7
	v_cmp_nlt_f32_e32 vcc_lo, 0x42ce8ed0, v2
	v_fmac_f32_e32 v42, 0xb2a5705f, v0
	s_delay_alu instid0(VALU_DEP_4) | instskip(SKIP_1) | instid1(VALU_DEP_3)
	v_fma_f32 v35, 0xbfb8aa3b, v2, -v4
	v_rndne_f32_e32 v36, v4
	v_dual_fmac_f32 v46, 0xb2a5705f, v1 :: v_dual_add_f32 v5, v5, v42
	v_cvt_i32_f32_e32 v42, v45
	s_delay_alu instid0(VALU_DEP_3) | instskip(SKIP_1) | instid1(VALU_DEP_4)
	v_dual_fmac_f32 v35, 0xb2a5705f, v2 :: v_dual_sub_f32 v4, v4, v36
	v_dual_mul_f32 v6, 0xbfb8aa3b, v3 :: v_dual_sub_f32 v7, v7, v45
	v_exp_f32_e32 v5, v5
	s_delay_alu instid0(VALU_DEP_2) | instskip(NEXT) | instid1(VALU_DEP_2)
	v_add_f32_e32 v4, v4, v35
	v_fma_f32 v43, 0xbfb8aa3b, v3, -v6
	v_rndne_f32_e32 v44, v6
	v_cvt_i32_f32_e32 v35, v36
	v_add_f32_e32 v7, v7, v46
	v_exp_f32_e32 v4, v4
	s_delay_alu instid0(VALU_DEP_3) | instskip(SKIP_1) | instid1(VALU_DEP_3)
	v_dual_fmac_f32 v43, 0xb2a5705f, v3 :: v_dual_sub_f32 v6, v6, v44
	v_cvt_i32_f32_e32 v36, v41
	v_exp_f32_e32 v7, v7
	v_cvt_i32_f32_e32 v41, v44
	s_delay_alu instid0(VALU_DEP_3) | instskip(NEXT) | instid1(VALU_DEP_3)
	v_add_f32_e32 v6, v6, v43
	v_ldexp_f32 v5, v5, v36
	s_delay_alu instid0(TRANS32_DEP_2) | instskip(NEXT) | instid1(VALU_DEP_3)
	v_ldexp_f32 v4, v4, v35
	v_exp_f32_e32 v6, v6
	s_waitcnt_depctr 0xfff
	v_ldexp_f32 v7, v7, v42
	v_cndmask_b32_e32 v4, 0, v4, vcc_lo
	v_cmp_nlt_f32_e32 vcc_lo, 0x42ce8ed0, v0
	v_cndmask_b32_e32 v5, 0, v5, vcc_lo
	v_ldexp_f32 v6, v6, v41
	v_cmp_nlt_f32_e32 vcc_lo, 0x42ce8ed0, v3
	s_delay_alu instid0(VALU_DEP_2)
	v_cndmask_b32_e32 v6, 0, v6, vcc_lo
	v_cmp_nlt_f32_e32 vcc_lo, 0x42ce8ed0, v1
	v_cndmask_b32_e32 v7, 0, v7, vcc_lo
	v_cmp_ngt_f32_e32 vcc_lo, 0xc2b17218, v2
	v_cndmask_b32_e32 v4, 0x7f800000, v4, vcc_lo
	v_cmp_ngt_f32_e32 vcc_lo, 0xc2b17218, v0
	;; [unrolled: 2-line block ×3, first 2 shown]
	s_delay_alu instid0(VALU_DEP_2) | instskip(SKIP_2) | instid1(VALU_DEP_3)
	v_dual_add_f32 v5, 1.0, v5 :: v_dual_add_f32 v4, 1.0, v4
	v_cndmask_b32_e32 v6, 0x7f800000, v6, vcc_lo
	v_cmp_ngt_f32_e32 vcc_lo, 0xc2b17218, v1
	v_div_scale_f32 v36, null, v5, v5, v0
	s_delay_alu instid0(VALU_DEP_4) | instskip(SKIP_1) | instid1(VALU_DEP_3)
	v_div_scale_f32 v35, null, v4, v4, v2
	v_cndmask_b32_e32 v7, 0x7f800000, v7, vcc_lo
	v_rcp_f32_e32 v44, v36
	v_div_scale_f32 v47, vcc_lo, v2, v4, v2
	s_delay_alu instid0(VALU_DEP_3) | instskip(NEXT) | instid1(VALU_DEP_2)
	v_rcp_f32_e32 v43, v35
	v_dual_add_f32 v7, 1.0, v7 :: v_dual_add_f32 v6, 1.0, v6
	v_div_scale_f32 v48, s16, v0, v5, v0
	s_delay_alu instid0(VALU_DEP_2) | instskip(NEXT) | instid1(VALU_DEP_3)
	v_div_scale_f32 v42, null, v7, v7, v1
	v_div_scale_f32 v41, null, v6, v6, v3
	s_waitcnt_depctr 0xfff
	v_fma_f32 v50, -v35, v43, 1.0
	v_rcp_f32_e32 v46, v42
	v_fma_f32 v51, -v36, v44, 1.0
	v_rcp_f32_e32 v45, v41
	v_div_scale_f32 v49, s17, v3, v6, v3
	s_delay_alu instid0(VALU_DEP_2)
	v_dual_fmac_f32 v43, v50, v43 :: v_dual_fmac_f32 v44, v51, v44
	v_div_scale_f32 v54, s18, v1, v7, v1
	s_waitcnt_depctr 0xfff
	v_fma_f32 v53, -v42, v46, 1.0
	v_dual_mul_f32 v50, v47, v43 :: v_dual_mul_f32 v51, v48, v44
	v_fma_f32 v52, -v41, v45, 1.0
	s_delay_alu instid0(VALU_DEP_3) | instskip(NEXT) | instid1(VALU_DEP_3)
	v_fmac_f32_e32 v46, v53, v46
	v_fma_f32 v55, -v35, v50, v47
	s_delay_alu instid0(VALU_DEP_4) | instskip(NEXT) | instid1(VALU_DEP_4)
	v_fma_f32 v56, -v36, v51, v48
	v_fmac_f32_e32 v45, v52, v45
	s_delay_alu instid0(VALU_DEP_3) | instskip(NEXT) | instid1(VALU_DEP_2)
	v_dual_mul_f32 v53, v54, v46 :: v_dual_fmac_f32 v50, v55, v43
	v_dual_fmac_f32 v51, v56, v44 :: v_dual_mul_f32 v52, v49, v45
	s_delay_alu instid0(VALU_DEP_2) | instskip(NEXT) | instid1(VALU_DEP_3)
	v_fma_f32 v58, -v42, v53, v54
	v_fma_f32 v35, -v35, v50, v47
	s_delay_alu instid0(VALU_DEP_3) | instskip(NEXT) | instid1(VALU_DEP_4)
	v_fma_f32 v36, -v36, v51, v48
	v_fma_f32 v57, -v41, v52, v49
	s_delay_alu instid0(VALU_DEP_4) | instskip(NEXT) | instid1(VALU_DEP_4)
	v_fmac_f32_e32 v53, v58, v46
	v_div_fmas_f32 v35, v35, v43, v50
	s_mov_b32 vcc_lo, s16
	s_delay_alu instid0(VALU_DEP_3)
	v_fmac_f32_e32 v52, v57, v45
	v_div_fmas_f32 v36, v36, v44, v51
	s_mov_b32 vcc_lo, s17
	v_fma_f32 v42, -v42, v53, v54
	v_div_fixup_f32 v2, v35, v4, v2
	v_fma_f32 v41, -v41, v52, v49
	v_div_fixup_f32 v0, v36, v5, v0
	s_delay_alu instid0(VALU_DEP_2) | instskip(SKIP_2) | instid1(VALU_DEP_2)
	v_div_fmas_f32 v41, v41, v45, v52
	s_mov_b32 vcc_lo, s18
	v_div_fmas_f32 v4, v42, v46, v53
	v_div_fixup_f32 v3, v41, v6, v3
	v_mul_f32_e32 v2, v40, v2
	s_delay_alu instid0(VALU_DEP_3) | instskip(NEXT) | instid1(VALU_DEP_3)
	v_div_fixup_f32 v1, v4, v7, v1
	v_dual_mul_f32 v0, v38, v0 :: v_dual_mul_f32 v3, v39, v3
	s_delay_alu instid0(VALU_DEP_3) | instskip(SKIP_1) | instid1(VALU_DEP_4)
	v_bfe_u32 v4, v2, 16, 1
	v_cmp_o_f32_e32 vcc_lo, v2, v2
	v_mul_f32_e32 v1, v37, v1
	s_delay_alu instid0(VALU_DEP_4) | instskip(SKIP_2) | instid1(VALU_DEP_4)
	v_bfe_u32 v5, v0, 16, 1
	v_bfe_u32 v6, v3, 16, 1
	v_add3_u32 v4, v2, v4, 0x7fff
	v_bfe_u32 v7, v1, 16, 1
	s_delay_alu instid0(VALU_DEP_4) | instskip(NEXT) | instid1(VALU_DEP_4)
	v_add3_u32 v5, v0, v5, 0x7fff
	v_add3_u32 v6, v3, v6, 0x7fff
	s_delay_alu instid0(VALU_DEP_4) | instskip(NEXT) | instid1(VALU_DEP_4)
	v_lshrrev_b32_e32 v4, 16, v4
	v_add3_u32 v7, v1, v7, 0x7fff
	s_delay_alu instid0(VALU_DEP_4) | instskip(NEXT) | instid1(VALU_DEP_4)
	v_lshrrev_b32_e32 v5, 16, v5
	v_lshrrev_b32_e32 v6, 16, v6
	s_delay_alu instid0(VALU_DEP_4) | instskip(SKIP_4) | instid1(VALU_DEP_2)
	v_cndmask_b32_e32 v2, 0x7fc0, v4, vcc_lo
	v_cmp_o_f32_e32 vcc_lo, v0, v0
	v_lshrrev_b32_e32 v4, 16, v7
	v_cndmask_b32_e32 v0, 0x7fc0, v5, vcc_lo
	v_cmp_o_f32_e32 vcc_lo, v3, v3
	v_perm_b32 v0, v2, v0, 0x5040100
	v_cndmask_b32_e32 v3, 0x7fc0, v6, vcc_lo
	v_cmp_o_f32_e32 vcc_lo, v1, v1
	v_cndmask_b32_e32 v1, 0x7fc0, v4, vcc_lo
	s_delay_alu instid0(VALU_DEP_1)
	v_perm_b32 v1, v3, v1, 0x5040100
	ds_store_b64 v17, v[0:1]
	; wave barrier
	ds_load_u16 v4, v14 offset:64
	ds_load_u16 v3, v15 offset:128
	;; [unrolled: 1-line block ×3, first 2 shown]
	v_add_co_u32 v0, vcc_lo, v28, s20
	v_add_co_ci_u32_e32 v1, vcc_lo, s21, v29, vcc_lo
	s_and_saveexec_b32 s16, s12
	s_cbranch_execnz .LBB32_104
; %bb.96:                               ;   in Loop: Header=BB32_12 Depth=1
	s_or_b32 exec_lo, exec_lo, s16
	s_and_saveexec_b32 s12, s13
	s_cbranch_execnz .LBB32_105
.LBB32_97:                              ;   in Loop: Header=BB32_12 Depth=1
	s_or_b32 exec_lo, exec_lo, s12
	s_and_saveexec_b32 s12, s14
	s_cbranch_execnz .LBB32_106
.LBB32_98:                              ;   in Loop: Header=BB32_12 Depth=1
	s_or_b32 exec_lo, exec_lo, s12
	s_and_saveexec_b32 s12, s15
	s_cbranch_execz .LBB32_11
	s_branch .LBB32_107
.LBB32_99:                              ;   in Loop: Header=BB32_12 Depth=1
	global_load_u16 v6, v[2:3], off offset:64
	s_or_b32 exec_lo, exec_lo, s16
	s_and_saveexec_b32 s16, s14
	s_cbranch_execz .LBB32_24
.LBB32_100:                             ;   in Loop: Header=BB32_12 Depth=1
	global_load_u16 v5, v[2:3], off offset:128
	s_or_b32 exec_lo, exec_lo, s16
	v_mov_b32_e32 v7, 0
	s_and_saveexec_b32 s16, s15
	s_cbranch_execnz .LBB32_25
	s_branch .LBB32_26
.LBB32_101:                             ;   in Loop: Header=BB32_12 Depth=1
	ds_load_u16 v5, v14
	s_waitcnt lgkmcnt(0)
	global_store_b16 v[0:1], v5, off
	s_or_b32 exec_lo, exec_lo, s16
	s_and_saveexec_b32 s16, s13
	s_cbranch_execz .LBB32_84
.LBB32_102:                             ;   in Loop: Header=BB32_12 Depth=1
	s_waitcnt lgkmcnt(2)
	global_store_b16 v[0:1], v4, off offset:64
	s_or_b32 exec_lo, exec_lo, s16
	s_and_saveexec_b32 s16, s14
	s_cbranch_execz .LBB32_85
.LBB32_103:                             ;   in Loop: Header=BB32_12 Depth=1
	s_waitcnt lgkmcnt(1)
	global_store_b16 v[0:1], v3, off offset:128
	s_or_b32 exec_lo, exec_lo, s16
	s_and_saveexec_b32 s16, s15
	s_cbranch_execnz .LBB32_86
	s_branch .LBB32_87
.LBB32_104:                             ;   in Loop: Header=BB32_12 Depth=1
	ds_load_u16 v5, v14
	s_waitcnt lgkmcnt(0)
	global_store_b16 v[0:1], v5, off
	s_or_b32 exec_lo, exec_lo, s16
	s_and_saveexec_b32 s12, s13
	s_cbranch_execz .LBB32_97
.LBB32_105:                             ;   in Loop: Header=BB32_12 Depth=1
	s_waitcnt lgkmcnt(2)
	global_store_b16 v[0:1], v4, off offset:64
	s_or_b32 exec_lo, exec_lo, s12
	s_and_saveexec_b32 s12, s14
	s_cbranch_execz .LBB32_98
.LBB32_106:                             ;   in Loop: Header=BB32_12 Depth=1
	s_waitcnt lgkmcnt(1)
	global_store_b16 v[0:1], v3, off offset:128
	s_or_b32 exec_lo, exec_lo, s12
	s_and_saveexec_b32 s12, s15
	s_cbranch_execz .LBB32_11
.LBB32_107:                             ;   in Loop: Header=BB32_12 Depth=1
	s_waitcnt lgkmcnt(0)
	global_store_b16 v[0:1], v2, off offset:192
	s_branch .LBB32_11
.LBB32_108:
	s_nop 0
	s_sendmsg sendmsg(MSG_DEALLOC_VGPRS)
	s_endpgm
	.section	.rodata,"a",@progbits
	.p2align	6, 0x0
	.amdhsa_kernel _Z25selective_scan_fwd_kernelI32Selective_Scan_fwd_kernel_traitsILi64ELi4ELi1ELb1ELb1ELb1ELb1ELb1EN3c108BFloat16EffEEv13SSMParamsBase
		.amdhsa_group_segment_fixed_size 0
		.amdhsa_private_segment_fixed_size 0
		.amdhsa_kernarg_size 248
		.amdhsa_user_sgpr_count 14
		.amdhsa_user_sgpr_dispatch_ptr 0
		.amdhsa_user_sgpr_queue_ptr 0
		.amdhsa_user_sgpr_kernarg_segment_ptr 1
		.amdhsa_user_sgpr_dispatch_id 0
		.amdhsa_user_sgpr_private_segment_size 0
		.amdhsa_wavefront_size32 1
		.amdhsa_uses_dynamic_stack 0
		.amdhsa_enable_private_segment 0
		.amdhsa_system_sgpr_workgroup_id_x 1
		.amdhsa_system_sgpr_workgroup_id_y 1
		.amdhsa_system_sgpr_workgroup_id_z 0
		.amdhsa_system_sgpr_workgroup_info 0
		.amdhsa_system_vgpr_workitem_id 0
		.amdhsa_next_free_vgpr 61
		.amdhsa_next_free_sgpr 68
		.amdhsa_reserve_vcc 1
		.amdhsa_float_round_mode_32 0
		.amdhsa_float_round_mode_16_64 0
		.amdhsa_float_denorm_mode_32 3
		.amdhsa_float_denorm_mode_16_64 3
		.amdhsa_dx10_clamp 1
		.amdhsa_ieee_mode 1
		.amdhsa_fp16_overflow 0
		.amdhsa_workgroup_processor_mode 1
		.amdhsa_memory_ordered 1
		.amdhsa_forward_progress 0
		.amdhsa_shared_vgpr_count 0
		.amdhsa_exception_fp_ieee_invalid_op 0
		.amdhsa_exception_fp_denorm_src 0
		.amdhsa_exception_fp_ieee_div_zero 0
		.amdhsa_exception_fp_ieee_overflow 0
		.amdhsa_exception_fp_ieee_underflow 0
		.amdhsa_exception_fp_ieee_inexact 0
		.amdhsa_exception_int_div_zero 0
	.end_amdhsa_kernel
	.section	.text._Z25selective_scan_fwd_kernelI32Selective_Scan_fwd_kernel_traitsILi64ELi4ELi1ELb1ELb1ELb1ELb1ELb1EN3c108BFloat16EffEEv13SSMParamsBase,"axG",@progbits,_Z25selective_scan_fwd_kernelI32Selective_Scan_fwd_kernel_traitsILi64ELi4ELi1ELb1ELb1ELb1ELb1ELb1EN3c108BFloat16EffEEv13SSMParamsBase,comdat
.Lfunc_end32:
	.size	_Z25selective_scan_fwd_kernelI32Selective_Scan_fwd_kernel_traitsILi64ELi4ELi1ELb1ELb1ELb1ELb1ELb1EN3c108BFloat16EffEEv13SSMParamsBase, .Lfunc_end32-_Z25selective_scan_fwd_kernelI32Selective_Scan_fwd_kernel_traitsILi64ELi4ELi1ELb1ELb1ELb1ELb1ELb1EN3c108BFloat16EffEEv13SSMParamsBase
                                        ; -- End function
	.section	.AMDGPU.csdata,"",@progbits
; Kernel info:
; codeLenInByte = 8516
; NumSgprs: 70
; NumVgprs: 61
; ScratchSize: 0
; MemoryBound: 0
; FloatMode: 240
; IeeeMode: 1
; LDSByteSize: 0 bytes/workgroup (compile time only)
; SGPRBlocks: 8
; VGPRBlocks: 7
; NumSGPRsForWavesPerEU: 70
; NumVGPRsForWavesPerEU: 61
; Occupancy: 16
; WaveLimiterHint : 1
; COMPUTE_PGM_RSRC2:SCRATCH_EN: 0
; COMPUTE_PGM_RSRC2:USER_SGPR: 14
; COMPUTE_PGM_RSRC2:TRAP_HANDLER: 0
; COMPUTE_PGM_RSRC2:TGID_X_EN: 1
; COMPUTE_PGM_RSRC2:TGID_Y_EN: 1
; COMPUTE_PGM_RSRC2:TGID_Z_EN: 0
; COMPUTE_PGM_RSRC2:TIDIG_COMP_CNT: 0
	.section	.text._Z25selective_scan_fwd_kernelI32Selective_Scan_fwd_kernel_traitsILi64ELi4ELi1ELb1ELb1ELb1ELb1ELb0EN3c108BFloat16EffEEv13SSMParamsBase,"axG",@progbits,_Z25selective_scan_fwd_kernelI32Selective_Scan_fwd_kernel_traitsILi64ELi4ELi1ELb1ELb1ELb1ELb1ELb0EN3c108BFloat16EffEEv13SSMParamsBase,comdat
	.protected	_Z25selective_scan_fwd_kernelI32Selective_Scan_fwd_kernel_traitsILi64ELi4ELi1ELb1ELb1ELb1ELb1ELb0EN3c108BFloat16EffEEv13SSMParamsBase ; -- Begin function _Z25selective_scan_fwd_kernelI32Selective_Scan_fwd_kernel_traitsILi64ELi4ELi1ELb1ELb1ELb1ELb1ELb0EN3c108BFloat16EffEEv13SSMParamsBase
	.globl	_Z25selective_scan_fwd_kernelI32Selective_Scan_fwd_kernel_traitsILi64ELi4ELi1ELb1ELb1ELb1ELb1ELb0EN3c108BFloat16EffEEv13SSMParamsBase
	.p2align	8
	.type	_Z25selective_scan_fwd_kernelI32Selective_Scan_fwd_kernel_traitsILi64ELi4ELi1ELb1ELb1ELb1ELb1ELb0EN3c108BFloat16EffEEv13SSMParamsBase,@function
_Z25selective_scan_fwd_kernelI32Selective_Scan_fwd_kernel_traitsILi64ELi4ELi1ELb1ELb1ELb1ELb1ELb0EN3c108BFloat16EffEEv13SSMParamsBase: ; @_Z25selective_scan_fwd_kernelI32Selective_Scan_fwd_kernel_traitsILi64ELi4ELi1ELb1ELb1ELb1ELb1ELb0EN3c108BFloat16EffEEv13SSMParamsBase
; %bb.0:
	s_clause 0x1
	s_load_b32 s9, s[0:1], 0x18
	s_load_b128 s[4:7], s[0:1], 0xe8
	s_mov_b32 s12, s15
	s_mov_b32 s33, 0
	s_waitcnt lgkmcnt(0)
	s_abs_i32 s8, s9
	s_cmp_eq_u64 s[6:7], 0
	v_cvt_f32_u32_e32 v1, s8
	s_delay_alu instid0(VALU_DEP_1) | instskip(SKIP_2) | instid1(VALU_DEP_1)
	v_rcp_iflag_f32_e32 v1, v1
	s_waitcnt_depctr 0xfff
	v_mul_f32_e32 v1, 0x4f7ffffe, v1
	v_cvt_u32_f32_e32 v1, v1
	s_delay_alu instid0(VALU_DEP_1)
	v_readfirstlane_b32 s10, v1
	s_cbranch_scc1 .LBB33_2
; %bb.1:
	v_mov_b32_e32 v1, 0
	s_ashr_i32 s3, s14, 31
	s_add_u32 s2, s6, s14
	s_addc_u32 s3, s7, s3
	global_load_u8 v1, v1, s[2:3]
	s_waitcnt vmcnt(0)
	v_and_b32_e32 v1, 1, v1
	s_delay_alu instid0(VALU_DEP_1)
	v_cmp_eq_u32_e64 s33, 1, v1
.LBB33_2:
	s_load_b64 s[6:7], s[0:1], 0x20
	s_cmp_eq_u64 s[4:5], 0
	s_cbranch_scc1 .LBB33_4
; %bb.3:
	s_ashr_i32 s15, s14, 31
	s_delay_alu instid0(SALU_CYCLE_1) | instskip(NEXT) | instid1(SALU_CYCLE_1)
	s_lshl_b64 s[2:3], s[14:15], 2
	s_add_u32 s2, s4, s2
	s_addc_u32 s3, s5, s3
	s_load_b32 s2, s[2:3], 0x0
	s_waitcnt lgkmcnt(0)
	s_ashr_i32 s3, s2, 31
	s_delay_alu instid0(SALU_CYCLE_1)
	s_cmp_eq_u64 s[6:7], s[2:3]
	s_cbranch_scc0 .LBB33_5
	s_branch .LBB33_56
.LBB33_4:
	s_mov_b32 s2, s14
	s_delay_alu instid0(SALU_CYCLE_1)
	s_ashr_i32 s3, s2, 31
	s_waitcnt lgkmcnt(0)
	s_cmp_eq_u64 s[6:7], s[2:3]
	s_cbranch_scc1 .LBB33_56
.LBB33_5:
	s_clause 0x1
	s_load_b512 s[16:31], s[0:1], 0x88
	s_load_b64 s[34:35], s[0:1], 0x8
	s_mov_b32 s52, 0
	s_mov_b32 s53, 0
	s_waitcnt lgkmcnt(0)
	s_cmp_eq_u64 s[22:23], 0
	s_cbranch_scc1 .LBB33_7
; %bb.6:
	s_ashr_i32 s13, s12, 31
	s_delay_alu instid0(SALU_CYCLE_1) | instskip(NEXT) | instid1(SALU_CYCLE_1)
	s_lshl_b64 s[4:5], s[12:13], 2
	s_add_u32 s4, s22, s4
	s_addc_u32 s5, s23, s5
	s_load_b32 s53, s[4:5], 0x0
.LBB33_7:
	s_cmp_eq_u64 s[28:29], 0
	s_cbranch_scc1 .LBB33_9
; %bb.8:
	s_ashr_i32 s13, s12, 31
	s_delay_alu instid0(SALU_CYCLE_1) | instskip(NEXT) | instid1(SALU_CYCLE_1)
	s_lshl_b64 s[4:5], s[12:13], 2
	s_add_u32 s4, s28, s4
	s_addc_u32 s5, s29, s5
	s_load_b32 s52, s[4:5], 0x0
.LBB33_9:
	s_cmp_lt_i32 s34, 1
	s_cbranch_scc1 .LBB33_56
; %bb.10:
	s_sub_i32 s3, 0, s8
	s_load_b256 s[36:43], s[0:1], 0x4c
	s_mul_i32 s3, s3, s10
	s_abs_i32 s4, s12
	s_mul_hi_u32 s3, s10, s3
	s_ashr_i32 s6, s9, 31
	s_add_i32 s10, s10, s3
	s_ashr_i32 s3, s12, 31
	s_mul_hi_u32 s5, s4, s10
	s_xor_b32 s3, s3, s6
	s_mul_i32 s7, s5, s8
	s_add_i32 s6, s5, 1
	s_sub_i32 s4, s4, s7
	s_load_b256 s[44:51], s[0:1], 0x2c
	s_sub_i32 s7, s4, s8
	s_cmp_ge_u32 s4, s8
	s_mov_b32 s23, 0
	s_cselect_b32 s5, s6, s5
	s_cselect_b32 s4, s7, s4
	s_add_i32 s6, s5, 1
	s_cmp_ge_u32 s4, s8
	s_waitcnt lgkmcnt(0)
	s_mul_i32 s22, s38, s14
	s_cselect_b32 s6, s6, s5
	s_lshl_b64 s[4:5], s[22:23], 1
	s_xor_b32 s6, s6, s3
	s_mul_i32 s22, s39, s12
	s_sub_i32 s3, s6, s3
	s_add_u32 s6, s24, s4
	s_addc_u32 s7, s25, s5
	s_lshl_b64 s[4:5], s[22:23], 1
	s_mul_i32 s22, s40, s14
	s_add_u32 s24, s6, s4
	s_addc_u32 s25, s7, s5
	s_lshl_b64 s[4:5], s[22:23], 1
	s_mul_i32 s22, s41, s12
	;; [unrolled: 4-line block ×3, first 2 shown]
	s_add_u32 s26, s6, s4
	s_load_b64 s[28:29], s[0:1], 0x7c
	s_addc_u32 s27, s7, s5
	s_lshl_b64 s[4:5], s[22:23], 2
	s_mul_i32 s22, s46, s14
	s_add_u32 s40, s16, s4
	s_addc_u32 s41, s17, s5
	s_load_b128 s[4:7], s[0:1], 0xc8
	s_lshl_b64 s[8:9], s[22:23], 1
	s_mul_i32 s22, s3, s49
	s_load_b32 s49, s[0:1], 0x84
	s_add_u32 s10, s18, s8
	s_addc_u32 s11, s19, s9
	s_lshl_b64 s[8:9], s[22:23], 1
	s_load_b32 s13, s[0:1], 0x28
	s_mul_i32 s22, s50, s14
	s_add_u32 s44, s10, s8
	s_addc_u32 s46, s11, s9
	s_lshl_b64 s[8:9], s[22:23], 1
	s_mul_i32 s22, s3, s37
	s_add_u32 s15, s20, s8
	s_addc_u32 s3, s21, s9
	s_load_b128 s[8:11], s[0:1], 0x6c
	s_lshl_b64 s[16:17], s[22:23], 1
	s_waitcnt lgkmcnt(0)
	s_mul_i32 s22, s2, s28
	s_add_u32 s37, s15, s16
	s_addc_u32 s47, s3, s17
	s_lshl_b64 s[2:3], s[22:23], 2
	s_mul_i32 s22, s29, s12
	s_add_u32 s4, s4, s2
	s_addc_u32 s5, s5, s3
	s_lshl_b64 s[2:3], s[22:23], 2
	v_lshrrev_b32_e32 v1, 2, v0
	s_add_u32 s50, s4, s2
	s_addc_u32 s51, s5, s3
	s_load_b64 s[4:5], s[0:1], 0xd8
	s_add_i32 s2, s34, 0x7ff
	v_dual_mov_b32 v14, 0 :: v_dual_and_b32 v1, 8, v1
	s_lshr_b32 s54, s2, 11
	s_bitcmp1_b32 s13, 0
	v_or_b32_e32 v2, 31, v0
	s_cselect_b32 s55, -1, 0
	s_cmp_gt_i32 s35, 0
	s_mul_i32 s22, s8, s14
	s_cselect_b32 s56, -1, 0
	s_and_b32 s1, s34, 0xff
	v_add_nc_u32_e32 v16, 0, v1
	s_cmp_eq_u32 s1, 0
	v_lshlrev_b32_e32 v1, 3, v0
	s_cselect_b32 s57, -1, 0
	s_lshl_b64 s[16:17], s[22:23], 1
	s_add_i32 s58, s54, -1
	s_mul_i32 s22, s9, s12
	s_add_u32 s3, s30, s16
	s_addc_u32 s13, s31, s17
	s_lshl_b64 s[8:9], s[22:23], 1
	s_mul_i32 s22, s10, s14
	s_add_u32 s15, s3, s8
	s_addc_u32 s10, s13, s9
	s_lshl_b64 s[8:9], s[22:23], 1
	s_mul_i32 s22, s11, s12
	s_waitcnt lgkmcnt(0)
	s_add_u32 s13, s4, s8
	s_addc_u32 s5, s5, s9
	s_lshl_b64 s[8:9], s[22:23], 1
	s_mul_i32 s22, s42, s14
	s_add_u32 s11, s13, s8
	s_addc_u32 s13, s5, s9
	s_lshl_b64 s[8:9], s[22:23], 1
	s_mul_i32 s22, s43, s12
	s_add_u32 s8, s6, s8
	s_addc_u32 s9, s7, s9
	s_lshl_b64 s[6:7], s[22:23], 1
	v_lshlrev_b32_e32 v15, 2, v0
	s_add_u32 s6, s8, s6
	s_addc_u32 s7, s9, s7
	v_add_co_u32 v20, s6, s6, v1
	v_add_co_u32 v18, s12, s15, v1
	v_add_co_ci_u32_e64 v21, null, s7, 0, s6
	v_add_co_u32 v22, s6, s11, v1
	v_cmp_gt_u32_e64 s0, 64, v0
	v_cmp_eq_u32_e64 s1, v2, v0
	v_cmp_gt_u32_e64 s2, 2, v0
	v_add_nc_u32_e32 v17, 0, v1
	v_cmp_gt_u32_e64 s3, 32, v0
	v_cmp_lt_u32_e64 s4, 31, v0
	v_cmp_eq_u32_e64 s5, 0, v0
	v_add_co_ci_u32_e64 v19, null, s10, 0, s12
	v_add_co_ci_u32_e64 v23, null, s13, 0, s6
	v_or_b32_e32 v24, 1, v15
	v_or_b32_e32 v25, 2, v15
	;; [unrolled: 1-line block ×3, first 2 shown]
	v_lshlrev_b32_e32 v27, 3, v0
	v_mbcnt_lo_u32_b32 v28, -1, 0
	s_mov_b32 s42, 0x3e9b6dac
	s_add_i32 s43, 0, 0x430
	s_mov_b32 s59, 0
                                        ; implicit-def: $vgpr32
                                        ; implicit-def: $vgpr3
                                        ; implicit-def: $vgpr30
                                        ; implicit-def: $vgpr0
                                        ; implicit-def: $vgpr29
                                        ; implicit-def: $vgpr33
                                        ; implicit-def: $vgpr34
                                        ; implicit-def: $vgpr5
                                        ; implicit-def: $vgpr31
	s_branch .LBB33_12
.LBB33_11:                              ;   in Loop: Header=BB33_12 Depth=1
	s_or_b32 exec_lo, exec_lo, s6
	s_delay_alu instid0(VALU_DEP_2) | instskip(SKIP_4) | instid1(VALU_DEP_1)
	v_lshlrev_b32_e32 v7, 16, v31
	v_lshlrev_b32_e32 v6, 16, v4
	s_add_u32 s26, s26, 0x200
	s_addc_u32 s27, s27, 0
	s_add_u32 s24, s24, 0x200
	v_dual_mul_f32 v11, 0xbfb8aa3b, v7 :: v_dual_mul_f32 v10, 0xbfb8aa3b, v6
	v_cmp_nlt_f32_e32 vcc_lo, 0x42ce8ed0, v6
	s_addc_u32 s25, s25, 0
	s_add_u32 s44, s44, 0x200
	s_delay_alu instid0(VALU_DEP_2) | instskip(SKIP_4) | instid1(VALU_DEP_3)
	v_rndne_f32_e32 v41, v11
	v_fma_f32 v36, 0xbfb8aa3b, v6, -v10
	v_fma_f32 v42, 0xbfb8aa3b, v7, -v11
	v_rndne_f32_e32 v35, v10
	s_addc_u32 s46, s46, 0
	v_dual_sub_f32 v11, v11, v41 :: v_dual_fmac_f32 v36, 0xb2a5705f, v6
	s_delay_alu instid0(VALU_DEP_3)
	v_fmac_f32_e32 v42, 0xb2a5705f, v7
	v_lshlrev_b32_e32 v8, 16, v5
	s_add_u32 s37, s37, 0x200
	s_addc_u32 s47, s47, 0
	s_add_i32 s59, s59, 1
	v_add_f32_e32 v11, v11, v42
	v_dual_mul_f32 v12, 0xbfb8aa3b, v8 :: v_dual_lshlrev_b32 v9, 16, v34
	v_sub_f32_e32 v10, v10, v35
	v_cvt_i32_f32_e32 v35, v35
	s_delay_alu instid0(VALU_DEP_4) | instskip(NEXT) | instid1(VALU_DEP_3)
	v_exp_f32_e32 v11, v11
	v_mul_f32_e32 v13, 0xbfb8aa3b, v9
	v_rndne_f32_e32 v43, v12
	v_fma_f32 v44, 0xbfb8aa3b, v8, -v12
	s_cmp_eq_u32 s59, s54
	s_delay_alu instid0(VALU_DEP_3)
	v_rndne_f32_e32 v45, v13
	v_fma_f32 v46, 0xbfb8aa3b, v9, -v13
	s_barrier
	buffer_gl0_inv
	v_sub_f32_e32 v13, v13, v45
	v_fmac_f32_e32 v46, 0xb2a5705f, v9
	v_add_f32_e32 v10, v10, v36
	v_cvt_i32_f32_e32 v36, v43
	s_delay_alu instid0(VALU_DEP_3) | instskip(NEXT) | instid1(VALU_DEP_3)
	v_add_f32_e32 v13, v13, v46
	v_exp_f32_e32 v10, v10
	s_delay_alu instid0(VALU_DEP_1) | instskip(SKIP_4) | instid1(VALU_DEP_3)
	v_exp_f32_e32 v13, v13
	s_waitcnt_depctr 0xfff
	v_ldexp_f32 v10, v10, v35
	v_cvt_i32_f32_e32 v35, v41
	v_cvt_i32_f32_e32 v41, v45
	v_cndmask_b32_e32 v10, 0, v10, vcc_lo
	v_cmp_ngt_f32_e32 vcc_lo, 0xc2b17218, v6
	s_delay_alu instid0(VALU_DEP_4) | instskip(NEXT) | instid1(VALU_DEP_4)
	v_ldexp_f32 v11, v11, v35
	v_ldexp_f32 v13, v13, v41
	v_sub_f32_e32 v12, v12, v43
	v_cndmask_b32_e32 v10, 0x7f800000, v10, vcc_lo
	v_cmp_nlt_f32_e32 vcc_lo, 0x42ce8ed0, v7
	v_dual_fmac_f32 v44, 0xb2a5705f, v8 :: v_dual_cndmask_b32 v11, 0, v11
	s_delay_alu instid0(VALU_DEP_1) | instskip(SKIP_1) | instid1(VALU_DEP_2)
	v_add_f32_e32 v12, v12, v44
	v_cmp_nlt_f32_e32 vcc_lo, 0x42ce8ed0, v8
	v_exp_f32_e32 v12, v12
	s_waitcnt_depctr 0xfff
	v_ldexp_f32 v12, v12, v36
	s_delay_alu instid0(VALU_DEP_1) | instskip(SKIP_3) | instid1(VALU_DEP_2)
	v_cndmask_b32_e32 v12, 0, v12, vcc_lo
	v_cmp_ngt_f32_e32 vcc_lo, 0xc2b17218, v7
	v_cndmask_b32_e32 v11, 0x7f800000, v11, vcc_lo
	v_cmp_ngt_f32_e32 vcc_lo, 0xc2b17218, v8
	v_add_f32_e32 v11, 1.0, v11
	s_delay_alu instid0(VALU_DEP_1) | instskip(SKIP_1) | instid1(VALU_DEP_2)
	v_div_scale_f32 v41, null, v11, v11, v7
	v_div_scale_f32 v50, s6, v7, v11, v7
	v_rcp_f32_e32 v43, v41
	s_waitcnt_depctr 0xfff
	v_fma_f32 v48, -v41, v43, 1.0
	s_delay_alu instid0(VALU_DEP_1) | instskip(NEXT) | instid1(VALU_DEP_1)
	v_fmac_f32_e32 v43, v48, v43
	v_dual_mul_f32 v53, v50, v43 :: v_dual_cndmask_b32 v12, 0x7f800000, v12
	v_cmp_nlt_f32_e32 vcc_lo, 0x42ce8ed0, v9
	v_cndmask_b32_e32 v13, 0, v13, vcc_lo
	v_cmp_ngt_f32_e32 vcc_lo, 0xc2b17218, v9
	s_delay_alu instid0(VALU_DEP_2) | instskip(NEXT) | instid1(VALU_DEP_1)
	v_dual_add_f32 v10, 1.0, v10 :: v_dual_cndmask_b32 v13, 0x7f800000, v13
	v_div_scale_f32 v35, null, v10, v10, v6
	v_div_scale_f32 v47, vcc_lo, v6, v10, v6
	s_delay_alu instid0(VALU_DEP_3) | instskip(NEXT) | instid1(VALU_DEP_3)
	v_add_f32_e32 v13, 1.0, v13
	v_rcp_f32_e32 v36, v35
	s_delay_alu instid0(VALU_DEP_1) | instskip(SKIP_2) | instid1(VALU_DEP_1)
	v_div_scale_f32 v46, null, v13, v13, v9
	s_waitcnt_depctr 0xfff
	v_fma_f32 v45, -v35, v36, 1.0
	v_fmac_f32_e32 v36, v45, v36
	v_rcp_f32_e32 v45, v46
	s_delay_alu instid0(VALU_DEP_1) | instskip(NEXT) | instid1(VALU_DEP_1)
	v_mul_f32_e32 v48, v47, v36
	v_fma_f32 v52, -v35, v48, v47
	s_waitcnt_depctr 0xfff
	v_fma_f32 v51, -v46, v45, 1.0
	v_fmac_f32_e32 v48, v52, v36
	v_fma_f32 v52, -v41, v53, v50
	s_delay_alu instid0(VALU_DEP_3) | instskip(SKIP_1) | instid1(VALU_DEP_3)
	v_dual_fmac_f32 v45, v51, v45 :: v_dual_add_f32 v12, 1.0, v12
	v_div_scale_f32 v51, s8, v9, v13, v9
	v_fmac_f32_e32 v53, v52, v43
	v_fma_f32 v35, -v35, v48, v47
	s_delay_alu instid0(VALU_DEP_4) | instskip(NEXT) | instid1(VALU_DEP_4)
	v_div_scale_f32 v42, null, v12, v12, v8
	v_mul_f32_e32 v56, v51, v45
	s_delay_alu instid0(VALU_DEP_3)
	v_div_fmas_f32 v35, v35, v36, v48
	v_fma_f32 v36, -v41, v53, v50
	s_mov_b32 vcc_lo, s6
	v_rcp_f32_e32 v44, v42
	v_fma_f32 v47, -v46, v56, v51
	v_div_fixup_f32 v6, v35, v10, v6
	v_div_fmas_f32 v36, v36, v43, v53
	s_delay_alu instid0(VALU_DEP_3) | instskip(NEXT) | instid1(VALU_DEP_3)
	v_fmac_f32_e32 v56, v47, v45
	v_mul_f32_e32 v6, v38, v6
	s_delay_alu instid0(VALU_DEP_3) | instskip(NEXT) | instid1(TRANS32_DEP_1)
	v_div_fixup_f32 v7, v36, v11, v7
	v_fma_f32 v49, -v42, v44, 1.0
	s_delay_alu instid0(VALU_DEP_3) | instskip(NEXT) | instid1(VALU_DEP_2)
	v_bfe_u32 v11, v6, 16, 1
	v_dual_mul_f32 v7, v39, v7 :: v_dual_fmac_f32 v44, v49, v44
	v_div_scale_f32 v49, s7, v8, v12, v8
	s_delay_alu instid0(VALU_DEP_2) | instskip(SKIP_2) | instid1(VALU_DEP_2)
	v_bfe_u32 v10, v7, 16, 1
	s_mov_b32 vcc_lo, s7
	v_add3_u32 v11, v6, v11, 0x7fff
	v_add3_u32 v10, v7, v10, 0x7fff
	s_delay_alu instid0(VALU_DEP_2) | instskip(NEXT) | instid1(VALU_DEP_2)
	v_lshrrev_b32_e32 v11, 16, v11
	v_and_b32_e32 v10, 0xffff0000, v10
	v_mul_f32_e32 v54, v49, v44
	s_delay_alu instid0(VALU_DEP_1) | instskip(NEXT) | instid1(VALU_DEP_1)
	v_fma_f32 v55, -v42, v54, v49
	v_fmac_f32_e32 v54, v55, v44
	s_delay_alu instid0(VALU_DEP_1) | instskip(SKIP_1) | instid1(VALU_DEP_2)
	v_fma_f32 v41, -v42, v54, v49
	v_fma_f32 v42, -v46, v56, v51
	v_div_fmas_f32 v41, v41, v44, v54
	s_mov_b32 vcc_lo, s8
	s_delay_alu instid0(VALU_DEP_2) | instskip(SKIP_1) | instid1(VALU_DEP_3)
	v_div_fmas_f32 v42, v42, v45, v56
	v_cmp_o_f32_e32 vcc_lo, v7, v7
	v_div_fixup_f32 v8, v41, v12, v8
	s_delay_alu instid0(VALU_DEP_3) | instskip(NEXT) | instid1(VALU_DEP_2)
	v_div_fixup_f32 v9, v42, v13, v9
	v_dual_cndmask_b32 v7, 0x7fc00000, v10 :: v_dual_mul_f32 v8, v37, v8
	v_cmp_o_f32_e32 vcc_lo, v6, v6
	s_delay_alu instid0(VALU_DEP_3) | instskip(NEXT) | instid1(VALU_DEP_3)
	v_mul_f32_e32 v9, v40, v9
	v_bfe_u32 v12, v8, 16, 1
	v_cndmask_b32_e32 v6, 0x7fc0, v11, vcc_lo
	s_delay_alu instid0(VALU_DEP_3) | instskip(SKIP_1) | instid1(VALU_DEP_4)
	v_bfe_u32 v13, v9, 16, 1
	v_cmp_o_f32_e32 vcc_lo, v9, v9
	v_add3_u32 v12, v8, v12, 0x7fff
	s_delay_alu instid0(VALU_DEP_4) | instskip(NEXT) | instid1(VALU_DEP_4)
	v_or_b32_e32 v6, v7, v6
	v_add3_u32 v13, v9, v13, 0x7fff
	s_delay_alu instid0(VALU_DEP_3) | instskip(NEXT) | instid1(VALU_DEP_3)
	v_lshrrev_b32_e32 v12, 16, v12
	v_or3_b32 v6, v6, 0, 0
	s_delay_alu instid0(VALU_DEP_3) | instskip(NEXT) | instid1(VALU_DEP_1)
	v_and_b32_e32 v13, 0xffff0000, v13
	v_cndmask_b32_e32 v9, 0x7fc00000, v13, vcc_lo
	v_cmp_o_f32_e32 vcc_lo, v8, v8
	v_cndmask_b32_e32 v8, 0x7fc0, v12, vcc_lo
	s_delay_alu instid0(VALU_DEP_1)
	v_or3_b32 v7, 0, v8, v9
	v_add_co_u32 v8, vcc_lo, v22, s10
	v_add_co_ci_u32_e32 v9, vcc_lo, s11, v23, vcc_lo
	global_store_b64 v[8:9], v[6:7], off
	s_cbranch_scc1 .LBB33_56
.LBB33_12:                              ; =>This Loop Header: Depth=1
                                        ;     Child Loop BB33_25 Depth 2
	s_waitcnt_vscnt null, 0x0
	s_barrier
	buffer_gl0_inv
	s_and_saveexec_b32 s6, s0
	s_cbranch_execz .LBB33_14
; %bb.13:                               ;   in Loop: Header=BB33_12 Depth=1
	s_clause 0x1
	global_load_b64 v[0:1], v27, s[24:25]
	global_load_b64 v[2:3], v27, s[26:27]
	s_waitcnt vmcnt(1)
	v_lshrrev_b32_e32 v29, 16, v0
	v_lshrrev_b32_e32 v33, 16, v1
	s_waitcnt vmcnt(0)
	v_lshrrev_b32_e32 v30, 16, v2
	v_lshrrev_b32_e32 v32, 16, v3
.LBB33_14:                              ;   in Loop: Header=BB33_12 Depth=1
	s_or_b32 exec_lo, exec_lo, s6
	v_lshlrev_b32_e32 v6, 16, v2
	s_delay_alu instid0(VALU_DEP_1) | instskip(NEXT) | instid1(VALU_DEP_1)
	v_add_f32_e32 v35, s52, v6
	v_cmp_ge_f32_e32 vcc_lo, 0x41a00000, v35
	s_and_b32 s6, s55, vcc_lo
	s_delay_alu instid0(SALU_CYCLE_1)
	s_and_saveexec_b32 s7, s6
	s_cbranch_execz .LBB33_16
; %bb.15:                               ;   in Loop: Header=BB33_12 Depth=1
	v_mul_f32_e32 v6, 0x3fb8aa3b, v35
	v_cmp_ngt_f32_e32 vcc_lo, 0xc2ce8ed0, v35
	s_delay_alu instid0(VALU_DEP_2) | instskip(SKIP_1) | instid1(VALU_DEP_2)
	v_rndne_f32_e32 v7, v6
	v_fma_f32 v8, 0x3fb8aa3b, v35, -v6
	v_sub_f32_e32 v6, v6, v7
	s_delay_alu instid0(VALU_DEP_2) | instskip(SKIP_1) | instid1(VALU_DEP_2)
	v_fmac_f32_e32 v8, 0x32a5705f, v35
	v_cvt_i32_f32_e32 v7, v7
	v_add_f32_e32 v6, v6, v8
	s_delay_alu instid0(VALU_DEP_1) | instskip(SKIP_2) | instid1(VALU_DEP_1)
	v_exp_f32_e32 v6, v6
	s_waitcnt_depctr 0xfff
	v_ldexp_f32 v6, v6, v7
	v_cndmask_b32_e32 v6, 0, v6, vcc_lo
	v_cmp_nlt_f32_e32 vcc_lo, 0x42b17218, v35
	s_delay_alu instid0(VALU_DEP_2) | instskip(NEXT) | instid1(VALU_DEP_1)
	v_cndmask_b32_e32 v8, 0x7f800000, v6, vcc_lo
	v_add_f32_e32 v9, 1.0, v8
	s_delay_alu instid0(VALU_DEP_1) | instskip(NEXT) | instid1(VALU_DEP_1)
	v_cvt_f64_f32_e32 v[6:7], v9
	v_frexp_exp_i32_f64_e32 v6, v[6:7]
	v_frexp_mant_f32_e32 v7, v9
	s_delay_alu instid0(VALU_DEP_1) | instskip(SKIP_1) | instid1(VALU_DEP_1)
	v_cmp_gt_f32_e32 vcc_lo, 0x3f2aaaab, v7
	v_add_f32_e32 v7, -1.0, v9
	v_sub_f32_e32 v11, v7, v9
	v_sub_f32_e32 v7, v8, v7
	s_delay_alu instid0(VALU_DEP_2) | instskip(NEXT) | instid1(VALU_DEP_1)
	v_add_f32_e32 v11, 1.0, v11
	v_add_f32_e32 v7, v7, v11
	v_cmp_gt_f32_e64 s6, 0x33800000, v8
	v_subrev_co_ci_u32_e32 v6, vcc_lo, 0, v6, vcc_lo
	v_cmp_eq_f32_e32 vcc_lo, 0x7f800000, v8
	s_delay_alu instid0(VALU_DEP_2) | instskip(SKIP_2) | instid1(VALU_DEP_2)
	v_sub_nc_u32_e32 v10, 0, v6
	v_cvt_f32_i32_e32 v6, v6
	s_or_b32 vcc_lo, s6, vcc_lo
	v_ldexp_f32 v9, v9, v10
	v_ldexp_f32 v7, v7, v10
	s_delay_alu instid0(VALU_DEP_2) | instskip(NEXT) | instid1(VALU_DEP_1)
	v_add_f32_e32 v12, 1.0, v9
	v_dual_add_f32 v10, -1.0, v9 :: v_dual_add_f32 v11, -1.0, v12
	s_delay_alu instid0(VALU_DEP_1) | instskip(NEXT) | instid1(VALU_DEP_2)
	v_add_f32_e32 v13, 1.0, v10
	v_sub_f32_e32 v11, v9, v11
	s_delay_alu instid0(VALU_DEP_2) | instskip(NEXT) | instid1(VALU_DEP_2)
	v_sub_f32_e32 v9, v9, v13
	v_add_f32_e32 v11, v7, v11
	s_delay_alu instid0(VALU_DEP_2) | instskip(NEXT) | instid1(VALU_DEP_2)
	v_add_f32_e32 v7, v7, v9
	v_add_f32_e32 v13, v12, v11
	s_delay_alu instid0(VALU_DEP_1) | instskip(NEXT) | instid1(VALU_DEP_2)
	v_rcp_f32_e32 v9, v13
	v_dual_add_f32 v35, v10, v7 :: v_dual_sub_f32 v12, v12, v13
	s_delay_alu instid0(VALU_DEP_1) | instskip(SKIP_3) | instid1(VALU_DEP_2)
	v_sub_f32_e32 v10, v10, v35
	s_waitcnt_depctr 0xfff
	v_mul_f32_e32 v36, v35, v9
	v_add_f32_e32 v7, v7, v10
	v_mul_f32_e32 v37, v13, v36
	v_add_f32_e32 v11, v11, v12
	s_delay_alu instid0(VALU_DEP_2) | instskip(NEXT) | instid1(VALU_DEP_1)
	v_fma_f32 v12, v36, v13, -v37
	v_fmac_f32_e32 v12, v36, v11
	s_delay_alu instid0(VALU_DEP_1) | instskip(NEXT) | instid1(VALU_DEP_1)
	v_add_f32_e32 v38, v37, v12
	v_dual_sub_f32 v10, v38, v37 :: v_dual_sub_f32 v39, v35, v38
	s_delay_alu instid0(VALU_DEP_1) | instskip(NEXT) | instid1(VALU_DEP_1)
	v_dual_sub_f32 v10, v10, v12 :: v_dual_sub_f32 v35, v35, v39
	v_sub_f32_e32 v35, v35, v38
	s_delay_alu instid0(VALU_DEP_1) | instskip(NEXT) | instid1(VALU_DEP_1)
	v_add_f32_e32 v7, v7, v35
	v_add_f32_e32 v7, v10, v7
	s_delay_alu instid0(VALU_DEP_1) | instskip(NEXT) | instid1(VALU_DEP_1)
	v_add_f32_e32 v10, v39, v7
	v_sub_f32_e32 v38, v39, v10
	v_mul_f32_e32 v12, v9, v10
	s_delay_alu instid0(VALU_DEP_2) | instskip(NEXT) | instid1(VALU_DEP_2)
	v_add_f32_e32 v7, v7, v38
	v_mul_f32_e32 v35, v13, v12
	s_delay_alu instid0(VALU_DEP_1) | instskip(NEXT) | instid1(VALU_DEP_1)
	v_fma_f32 v13, v12, v13, -v35
	v_fmac_f32_e32 v13, v12, v11
	s_delay_alu instid0(VALU_DEP_1) | instskip(NEXT) | instid1(VALU_DEP_1)
	v_add_f32_e32 v11, v35, v13
	v_sub_f32_e32 v37, v10, v11
	s_delay_alu instid0(VALU_DEP_1) | instskip(NEXT) | instid1(VALU_DEP_1)
	v_dual_sub_f32 v35, v11, v35 :: v_dual_sub_f32 v10, v10, v37
	v_dual_sub_f32 v10, v10, v11 :: v_dual_sub_f32 v11, v35, v13
	s_delay_alu instid0(VALU_DEP_1) | instskip(NEXT) | instid1(VALU_DEP_1)
	v_dual_add_f32 v7, v7, v10 :: v_dual_add_f32 v10, v36, v12
	v_add_f32_e32 v7, v11, v7
	s_delay_alu instid0(VALU_DEP_2) | instskip(NEXT) | instid1(VALU_DEP_2)
	v_sub_f32_e32 v11, v10, v36
	v_add_f32_e32 v7, v37, v7
	s_delay_alu instid0(VALU_DEP_2) | instskip(NEXT) | instid1(VALU_DEP_2)
	v_sub_f32_e32 v11, v12, v11
	v_mul_f32_e32 v7, v9, v7
	s_delay_alu instid0(VALU_DEP_1) | instskip(NEXT) | instid1(VALU_DEP_1)
	v_add_f32_e32 v7, v11, v7
	v_add_f32_e32 v9, v10, v7
	s_delay_alu instid0(VALU_DEP_1) | instskip(NEXT) | instid1(VALU_DEP_1)
	v_mul_f32_e32 v11, v9, v9
	v_fmaak_f32 v12, s42, v11, 0x3ecc95a3
	v_mul_f32_e32 v13, v9, v11
	s_delay_alu instid0(VALU_DEP_2) | instskip(SKIP_2) | instid1(VALU_DEP_3)
	v_fmaak_f32 v11, v11, v12, 0x3f2aaada
	v_ldexp_f32 v12, v9, 1
	v_sub_f32_e32 v9, v9, v10
	v_mul_f32_e32 v11, v13, v11
	v_mul_f32_e32 v13, 0x3f317218, v6
	s_delay_alu instid0(VALU_DEP_2) | instskip(NEXT) | instid1(VALU_DEP_1)
	v_dual_sub_f32 v7, v7, v9 :: v_dual_add_f32 v10, v12, v11
	v_ldexp_f32 v7, v7, 1
	s_delay_alu instid0(VALU_DEP_2) | instskip(NEXT) | instid1(VALU_DEP_4)
	v_sub_f32_e32 v9, v10, v12
	v_fma_f32 v12, 0x3f317218, v6, -v13
	s_delay_alu instid0(VALU_DEP_1) | instskip(NEXT) | instid1(VALU_DEP_1)
	v_dual_sub_f32 v9, v11, v9 :: v_dual_fmac_f32 v12, 0xb102e308, v6
	v_dual_add_f32 v6, v7, v9 :: v_dual_add_f32 v7, v13, v12
	s_delay_alu instid0(VALU_DEP_1) | instskip(NEXT) | instid1(VALU_DEP_2)
	v_add_f32_e32 v9, v10, v6
	v_sub_f32_e32 v13, v7, v13
	s_delay_alu instid0(VALU_DEP_2) | instskip(NEXT) | instid1(VALU_DEP_1)
	v_dual_add_f32 v11, v7, v9 :: v_dual_sub_f32 v10, v9, v10
	v_dual_sub_f32 v12, v12, v13 :: v_dual_sub_f32 v35, v11, v7
	s_delay_alu instid0(VALU_DEP_2) | instskip(NEXT) | instid1(VALU_DEP_2)
	v_sub_f32_e32 v6, v6, v10
	v_sub_f32_e32 v36, v11, v35
	s_delay_alu instid0(VALU_DEP_2) | instskip(NEXT) | instid1(VALU_DEP_2)
	v_dual_sub_f32 v9, v9, v35 :: v_dual_add_f32 v10, v12, v6
	v_sub_f32_e32 v7, v7, v36
	s_delay_alu instid0(VALU_DEP_1) | instskip(NEXT) | instid1(VALU_DEP_3)
	v_add_f32_e32 v7, v9, v7
	v_sub_f32_e32 v9, v10, v12
	s_delay_alu instid0(VALU_DEP_2) | instskip(NEXT) | instid1(VALU_DEP_2)
	v_add_f32_e32 v7, v10, v7
	v_sub_f32_e32 v10, v10, v9
	s_delay_alu instid0(VALU_DEP_2) | instskip(NEXT) | instid1(VALU_DEP_1)
	v_dual_sub_f32 v6, v6, v9 :: v_dual_add_f32 v13, v11, v7
	v_dual_sub_f32 v10, v12, v10 :: v_dual_sub_f32 v9, v13, v11
	s_delay_alu instid0(VALU_DEP_1) | instskip(NEXT) | instid1(VALU_DEP_1)
	v_dual_add_f32 v6, v6, v10 :: v_dual_sub_f32 v7, v7, v9
	v_add_f32_e32 v6, v6, v7
	s_delay_alu instid0(VALU_DEP_1) | instskip(NEXT) | instid1(VALU_DEP_1)
	v_add_f32_e32 v6, v13, v6
	v_cndmask_b32_e32 v35, v6, v8, vcc_lo
.LBB33_16:                              ;   in Loop: Header=BB33_12 Depth=1
	s_or_b32 exec_lo, exec_lo, s7
	v_lshlrev_b32_e32 v6, 16, v30
	s_delay_alu instid0(VALU_DEP_1) | instskip(NEXT) | instid1(VALU_DEP_1)
	v_add_f32_e32 v36, s52, v6
	v_cmp_ge_f32_e32 vcc_lo, 0x41a00000, v36
	s_and_b32 s6, s55, vcc_lo
	s_delay_alu instid0(SALU_CYCLE_1)
	s_and_saveexec_b32 s7, s6
	s_cbranch_execz .LBB33_18
; %bb.17:                               ;   in Loop: Header=BB33_12 Depth=1
	v_mul_f32_e32 v6, 0x3fb8aa3b, v36
	v_cmp_ngt_f32_e32 vcc_lo, 0xc2ce8ed0, v36
	s_delay_alu instid0(VALU_DEP_2) | instskip(SKIP_1) | instid1(VALU_DEP_2)
	v_rndne_f32_e32 v7, v6
	v_fma_f32 v8, 0x3fb8aa3b, v36, -v6
	v_sub_f32_e32 v6, v6, v7
	s_delay_alu instid0(VALU_DEP_2) | instskip(SKIP_1) | instid1(VALU_DEP_2)
	v_fmac_f32_e32 v8, 0x32a5705f, v36
	v_cvt_i32_f32_e32 v7, v7
	v_add_f32_e32 v6, v6, v8
	s_delay_alu instid0(VALU_DEP_1) | instskip(SKIP_2) | instid1(VALU_DEP_1)
	v_exp_f32_e32 v6, v6
	s_waitcnt_depctr 0xfff
	v_ldexp_f32 v6, v6, v7
	v_cndmask_b32_e32 v6, 0, v6, vcc_lo
	v_cmp_nlt_f32_e32 vcc_lo, 0x42b17218, v36
	s_delay_alu instid0(VALU_DEP_2) | instskip(NEXT) | instid1(VALU_DEP_1)
	v_cndmask_b32_e32 v8, 0x7f800000, v6, vcc_lo
	v_add_f32_e32 v9, 1.0, v8
	s_delay_alu instid0(VALU_DEP_1) | instskip(NEXT) | instid1(VALU_DEP_1)
	v_cvt_f64_f32_e32 v[6:7], v9
	v_frexp_exp_i32_f64_e32 v6, v[6:7]
	v_frexp_mant_f32_e32 v7, v9
	s_delay_alu instid0(VALU_DEP_1) | instskip(SKIP_1) | instid1(VALU_DEP_1)
	v_cmp_gt_f32_e32 vcc_lo, 0x3f2aaaab, v7
	v_add_f32_e32 v7, -1.0, v9
	v_sub_f32_e32 v11, v7, v9
	v_sub_f32_e32 v7, v8, v7
	s_delay_alu instid0(VALU_DEP_2) | instskip(NEXT) | instid1(VALU_DEP_1)
	v_add_f32_e32 v11, 1.0, v11
	v_add_f32_e32 v7, v7, v11
	v_cmp_gt_f32_e64 s6, 0x33800000, v8
	v_subrev_co_ci_u32_e32 v6, vcc_lo, 0, v6, vcc_lo
	v_cmp_eq_f32_e32 vcc_lo, 0x7f800000, v8
	s_delay_alu instid0(VALU_DEP_2) | instskip(SKIP_2) | instid1(VALU_DEP_2)
	v_sub_nc_u32_e32 v10, 0, v6
	v_cvt_f32_i32_e32 v6, v6
	s_or_b32 vcc_lo, s6, vcc_lo
	v_ldexp_f32 v9, v9, v10
	v_ldexp_f32 v7, v7, v10
	s_delay_alu instid0(VALU_DEP_2) | instskip(NEXT) | instid1(VALU_DEP_1)
	v_add_f32_e32 v12, 1.0, v9
	v_dual_add_f32 v10, -1.0, v9 :: v_dual_add_f32 v11, -1.0, v12
	s_delay_alu instid0(VALU_DEP_1) | instskip(NEXT) | instid1(VALU_DEP_2)
	v_add_f32_e32 v13, 1.0, v10
	v_sub_f32_e32 v11, v9, v11
	s_delay_alu instid0(VALU_DEP_2) | instskip(NEXT) | instid1(VALU_DEP_2)
	v_sub_f32_e32 v9, v9, v13
	v_add_f32_e32 v11, v7, v11
	s_delay_alu instid0(VALU_DEP_2) | instskip(NEXT) | instid1(VALU_DEP_1)
	v_add_f32_e32 v7, v7, v9
	v_add_f32_e32 v36, v10, v7
	s_delay_alu instid0(VALU_DEP_1) | instskip(NEXT) | instid1(VALU_DEP_1)
	v_dual_add_f32 v13, v12, v11 :: v_dual_sub_f32 v10, v10, v36
	v_rcp_f32_e32 v9, v13
	v_sub_f32_e32 v12, v12, v13
	s_delay_alu instid0(VALU_DEP_1) | instskip(SKIP_2) | instid1(VALU_DEP_1)
	v_add_f32_e32 v11, v11, v12
	s_waitcnt_depctr 0xfff
	v_mul_f32_e32 v37, v36, v9
	v_mul_f32_e32 v38, v13, v37
	s_delay_alu instid0(VALU_DEP_1) | instskip(NEXT) | instid1(VALU_DEP_1)
	v_fma_f32 v12, v37, v13, -v38
	v_dual_fmac_f32 v12, v37, v11 :: v_dual_add_f32 v7, v7, v10
	s_delay_alu instid0(VALU_DEP_1) | instskip(NEXT) | instid1(VALU_DEP_1)
	v_add_f32_e32 v39, v38, v12
	v_sub_f32_e32 v40, v36, v39
	v_sub_f32_e32 v10, v39, v38
	s_delay_alu instid0(VALU_DEP_2) | instskip(NEXT) | instid1(VALU_DEP_2)
	v_sub_f32_e32 v36, v36, v40
	v_sub_f32_e32 v10, v10, v12
	s_delay_alu instid0(VALU_DEP_2) | instskip(NEXT) | instid1(VALU_DEP_1)
	v_sub_f32_e32 v36, v36, v39
	v_add_f32_e32 v7, v7, v36
	s_delay_alu instid0(VALU_DEP_1) | instskip(NEXT) | instid1(VALU_DEP_1)
	v_add_f32_e32 v7, v10, v7
	v_add_f32_e32 v10, v40, v7
	s_delay_alu instid0(VALU_DEP_1) | instskip(NEXT) | instid1(VALU_DEP_1)
	v_mul_f32_e32 v12, v9, v10
	v_dual_sub_f32 v39, v40, v10 :: v_dual_mul_f32 v36, v13, v12
	s_delay_alu instid0(VALU_DEP_1) | instskip(NEXT) | instid1(VALU_DEP_2)
	v_add_f32_e32 v7, v7, v39
	v_fma_f32 v13, v12, v13, -v36
	s_delay_alu instid0(VALU_DEP_1) | instskip(NEXT) | instid1(VALU_DEP_1)
	v_fmac_f32_e32 v13, v12, v11
	v_add_f32_e32 v11, v36, v13
	s_delay_alu instid0(VALU_DEP_1) | instskip(NEXT) | instid1(VALU_DEP_1)
	v_sub_f32_e32 v38, v10, v11
	v_sub_f32_e32 v10, v10, v38
	s_delay_alu instid0(VALU_DEP_1) | instskip(NEXT) | instid1(VALU_DEP_1)
	v_sub_f32_e32 v10, v10, v11
	v_dual_add_f32 v7, v7, v10 :: v_dual_add_f32 v10, v37, v12
	v_sub_f32_e32 v36, v11, v36
	s_delay_alu instid0(VALU_DEP_1) | instskip(NEXT) | instid1(VALU_DEP_1)
	v_sub_f32_e32 v11, v36, v13
	v_add_f32_e32 v7, v11, v7
	s_delay_alu instid0(VALU_DEP_4) | instskip(NEXT) | instid1(VALU_DEP_2)
	v_sub_f32_e32 v11, v10, v37
	v_add_f32_e32 v7, v38, v7
	s_delay_alu instid0(VALU_DEP_2) | instskip(NEXT) | instid1(VALU_DEP_2)
	v_sub_f32_e32 v11, v12, v11
	v_mul_f32_e32 v7, v9, v7
	s_delay_alu instid0(VALU_DEP_1) | instskip(NEXT) | instid1(VALU_DEP_1)
	v_add_f32_e32 v7, v11, v7
	v_add_f32_e32 v9, v10, v7
	s_delay_alu instid0(VALU_DEP_1) | instskip(NEXT) | instid1(VALU_DEP_1)
	v_mul_f32_e32 v11, v9, v9
	v_fmaak_f32 v12, s42, v11, 0x3ecc95a3
	v_mul_f32_e32 v13, v9, v11
	s_delay_alu instid0(VALU_DEP_2) | instskip(SKIP_2) | instid1(VALU_DEP_3)
	v_fmaak_f32 v11, v11, v12, 0x3f2aaada
	v_ldexp_f32 v12, v9, 1
	v_sub_f32_e32 v9, v9, v10
	v_mul_f32_e32 v11, v13, v11
	v_mul_f32_e32 v13, 0x3f317218, v6
	s_delay_alu instid0(VALU_DEP_2) | instskip(NEXT) | instid1(VALU_DEP_1)
	v_dual_sub_f32 v7, v7, v9 :: v_dual_add_f32 v10, v12, v11
	v_ldexp_f32 v7, v7, 1
	s_delay_alu instid0(VALU_DEP_2) | instskip(NEXT) | instid1(VALU_DEP_4)
	v_sub_f32_e32 v9, v10, v12
	v_fma_f32 v12, 0x3f317218, v6, -v13
	s_delay_alu instid0(VALU_DEP_1) | instskip(NEXT) | instid1(VALU_DEP_1)
	v_dual_sub_f32 v9, v11, v9 :: v_dual_fmac_f32 v12, 0xb102e308, v6
	v_dual_add_f32 v6, v7, v9 :: v_dual_add_f32 v7, v13, v12
	s_delay_alu instid0(VALU_DEP_1) | instskip(NEXT) | instid1(VALU_DEP_2)
	v_add_f32_e32 v9, v10, v6
	v_sub_f32_e32 v13, v7, v13
	s_delay_alu instid0(VALU_DEP_2) | instskip(NEXT) | instid1(VALU_DEP_2)
	v_dual_add_f32 v11, v7, v9 :: v_dual_sub_f32 v10, v9, v10
	v_sub_f32_e32 v12, v12, v13
	s_delay_alu instid0(VALU_DEP_2) | instskip(NEXT) | instid1(VALU_DEP_1)
	v_sub_f32_e32 v36, v11, v7
	v_dual_sub_f32 v6, v6, v10 :: v_dual_sub_f32 v37, v11, v36
	s_delay_alu instid0(VALU_DEP_1) | instskip(NEXT) | instid1(VALU_DEP_2)
	v_dual_sub_f32 v9, v9, v36 :: v_dual_add_f32 v10, v12, v6
	v_sub_f32_e32 v7, v7, v37
	s_delay_alu instid0(VALU_DEP_1) | instskip(NEXT) | instid1(VALU_DEP_3)
	v_add_f32_e32 v7, v9, v7
	v_sub_f32_e32 v9, v10, v12
	s_delay_alu instid0(VALU_DEP_2) | instskip(NEXT) | instid1(VALU_DEP_2)
	v_add_f32_e32 v7, v10, v7
	v_sub_f32_e32 v10, v10, v9
	s_delay_alu instid0(VALU_DEP_2) | instskip(NEXT) | instid1(VALU_DEP_1)
	v_dual_sub_f32 v6, v6, v9 :: v_dual_add_f32 v13, v11, v7
	v_dual_sub_f32 v10, v12, v10 :: v_dual_sub_f32 v9, v13, v11
	s_delay_alu instid0(VALU_DEP_1) | instskip(NEXT) | instid1(VALU_DEP_1)
	v_dual_add_f32 v6, v6, v10 :: v_dual_sub_f32 v7, v7, v9
	v_add_f32_e32 v6, v6, v7
	s_delay_alu instid0(VALU_DEP_1) | instskip(NEXT) | instid1(VALU_DEP_1)
	v_add_f32_e32 v6, v13, v6
	v_cndmask_b32_e32 v36, v6, v8, vcc_lo
.LBB33_18:                              ;   in Loop: Header=BB33_12 Depth=1
	s_or_b32 exec_lo, exec_lo, s7
	v_lshlrev_b32_e32 v6, 16, v3
	s_delay_alu instid0(VALU_DEP_1) | instskip(NEXT) | instid1(VALU_DEP_1)
	v_add_f32_e32 v41, s52, v6
	v_cmp_ge_f32_e32 vcc_lo, 0x41a00000, v41
	s_and_b32 s6, s55, vcc_lo
	s_delay_alu instid0(SALU_CYCLE_1)
	s_and_saveexec_b32 s7, s6
	s_cbranch_execz .LBB33_20
; %bb.19:                               ;   in Loop: Header=BB33_12 Depth=1
	v_mul_f32_e32 v6, 0x3fb8aa3b, v41
	v_cmp_ngt_f32_e32 vcc_lo, 0xc2ce8ed0, v41
	s_delay_alu instid0(VALU_DEP_2) | instskip(SKIP_1) | instid1(VALU_DEP_2)
	v_rndne_f32_e32 v7, v6
	v_fma_f32 v8, 0x3fb8aa3b, v41, -v6
	v_sub_f32_e32 v6, v6, v7
	s_delay_alu instid0(VALU_DEP_2) | instskip(SKIP_1) | instid1(VALU_DEP_2)
	v_fmac_f32_e32 v8, 0x32a5705f, v41
	v_cvt_i32_f32_e32 v7, v7
	v_add_f32_e32 v6, v6, v8
	s_delay_alu instid0(VALU_DEP_1) | instskip(SKIP_2) | instid1(VALU_DEP_1)
	v_exp_f32_e32 v6, v6
	s_waitcnt_depctr 0xfff
	v_ldexp_f32 v6, v6, v7
	v_cndmask_b32_e32 v6, 0, v6, vcc_lo
	v_cmp_nlt_f32_e32 vcc_lo, 0x42b17218, v41
	s_delay_alu instid0(VALU_DEP_2) | instskip(NEXT) | instid1(VALU_DEP_1)
	v_cndmask_b32_e32 v8, 0x7f800000, v6, vcc_lo
	v_add_f32_e32 v9, 1.0, v8
	s_delay_alu instid0(VALU_DEP_1) | instskip(NEXT) | instid1(VALU_DEP_1)
	v_cvt_f64_f32_e32 v[6:7], v9
	v_frexp_exp_i32_f64_e32 v6, v[6:7]
	v_frexp_mant_f32_e32 v7, v9
	s_delay_alu instid0(VALU_DEP_1) | instskip(SKIP_1) | instid1(VALU_DEP_1)
	v_cmp_gt_f32_e32 vcc_lo, 0x3f2aaaab, v7
	v_add_f32_e32 v7, -1.0, v9
	v_sub_f32_e32 v11, v7, v9
	v_sub_f32_e32 v7, v8, v7
	s_delay_alu instid0(VALU_DEP_2) | instskip(NEXT) | instid1(VALU_DEP_1)
	v_add_f32_e32 v11, 1.0, v11
	v_add_f32_e32 v7, v7, v11
	v_cmp_gt_f32_e64 s6, 0x33800000, v8
	v_subrev_co_ci_u32_e32 v6, vcc_lo, 0, v6, vcc_lo
	v_cmp_eq_f32_e32 vcc_lo, 0x7f800000, v8
	s_delay_alu instid0(VALU_DEP_2) | instskip(SKIP_2) | instid1(VALU_DEP_2)
	v_sub_nc_u32_e32 v10, 0, v6
	v_cvt_f32_i32_e32 v6, v6
	s_or_b32 vcc_lo, s6, vcc_lo
	v_ldexp_f32 v9, v9, v10
	v_ldexp_f32 v7, v7, v10
	s_delay_alu instid0(VALU_DEP_2) | instskip(NEXT) | instid1(VALU_DEP_1)
	v_add_f32_e32 v12, 1.0, v9
	v_dual_add_f32 v10, -1.0, v9 :: v_dual_add_f32 v11, -1.0, v12
	s_delay_alu instid0(VALU_DEP_1) | instskip(NEXT) | instid1(VALU_DEP_2)
	v_add_f32_e32 v13, 1.0, v10
	v_sub_f32_e32 v11, v9, v11
	s_delay_alu instid0(VALU_DEP_2) | instskip(NEXT) | instid1(VALU_DEP_2)
	v_sub_f32_e32 v9, v9, v13
	v_add_f32_e32 v11, v7, v11
	s_delay_alu instid0(VALU_DEP_2) | instskip(NEXT) | instid1(VALU_DEP_2)
	v_add_f32_e32 v7, v7, v9
	v_add_f32_e32 v13, v12, v11
	s_delay_alu instid0(VALU_DEP_1) | instskip(NEXT) | instid1(VALU_DEP_2)
	v_rcp_f32_e32 v9, v13
	v_dual_add_f32 v37, v10, v7 :: v_dual_sub_f32 v12, v12, v13
	s_delay_alu instid0(VALU_DEP_1) | instskip(SKIP_2) | instid1(VALU_DEP_1)
	v_dual_sub_f32 v10, v10, v37 :: v_dual_add_f32 v11, v11, v12
	s_waitcnt_depctr 0xfff
	v_dual_mul_f32 v38, v37, v9 :: v_dual_add_f32 v7, v7, v10
	v_mul_f32_e32 v39, v13, v38
	s_delay_alu instid0(VALU_DEP_1) | instskip(NEXT) | instid1(VALU_DEP_1)
	v_fma_f32 v12, v38, v13, -v39
	v_fmac_f32_e32 v12, v38, v11
	s_delay_alu instid0(VALU_DEP_1) | instskip(NEXT) | instid1(VALU_DEP_1)
	v_add_f32_e32 v40, v39, v12
	v_dual_sub_f32 v41, v37, v40 :: v_dual_sub_f32 v10, v40, v39
	s_delay_alu instid0(VALU_DEP_1) | instskip(NEXT) | instid1(VALU_DEP_1)
	v_dual_sub_f32 v37, v37, v41 :: v_dual_sub_f32 v10, v10, v12
	v_sub_f32_e32 v37, v37, v40
	s_delay_alu instid0(VALU_DEP_1) | instskip(NEXT) | instid1(VALU_DEP_1)
	v_add_f32_e32 v7, v7, v37
	v_add_f32_e32 v7, v10, v7
	s_delay_alu instid0(VALU_DEP_1) | instskip(NEXT) | instid1(VALU_DEP_1)
	v_add_f32_e32 v10, v41, v7
	v_mul_f32_e32 v12, v9, v10
	v_sub_f32_e32 v40, v41, v10
	s_delay_alu instid0(VALU_DEP_2) | instskip(NEXT) | instid1(VALU_DEP_2)
	v_mul_f32_e32 v37, v13, v12
	v_add_f32_e32 v7, v7, v40
	s_delay_alu instid0(VALU_DEP_2) | instskip(NEXT) | instid1(VALU_DEP_1)
	v_fma_f32 v13, v12, v13, -v37
	v_fmac_f32_e32 v13, v12, v11
	s_delay_alu instid0(VALU_DEP_1) | instskip(NEXT) | instid1(VALU_DEP_1)
	v_add_f32_e32 v11, v37, v13
	v_sub_f32_e32 v39, v10, v11
	s_delay_alu instid0(VALU_DEP_1) | instskip(NEXT) | instid1(VALU_DEP_1)
	v_dual_sub_f32 v37, v11, v37 :: v_dual_sub_f32 v10, v10, v39
	v_sub_f32_e32 v10, v10, v11
	s_delay_alu instid0(VALU_DEP_1) | instskip(NEXT) | instid1(VALU_DEP_3)
	v_dual_add_f32 v7, v7, v10 :: v_dual_add_f32 v10, v38, v12
	v_sub_f32_e32 v11, v37, v13
	s_delay_alu instid0(VALU_DEP_1) | instskip(NEXT) | instid1(VALU_DEP_3)
	v_add_f32_e32 v7, v11, v7
	v_sub_f32_e32 v11, v10, v38
	s_delay_alu instid0(VALU_DEP_2) | instskip(NEXT) | instid1(VALU_DEP_2)
	v_add_f32_e32 v7, v39, v7
	v_sub_f32_e32 v11, v12, v11
	s_delay_alu instid0(VALU_DEP_2) | instskip(NEXT) | instid1(VALU_DEP_1)
	v_mul_f32_e32 v7, v9, v7
	v_add_f32_e32 v7, v11, v7
	s_delay_alu instid0(VALU_DEP_1) | instskip(NEXT) | instid1(VALU_DEP_1)
	v_add_f32_e32 v9, v10, v7
	v_mul_f32_e32 v11, v9, v9
	s_delay_alu instid0(VALU_DEP_1) | instskip(SKIP_1) | instid1(VALU_DEP_2)
	v_fmaak_f32 v12, s42, v11, 0x3ecc95a3
	v_mul_f32_e32 v13, v9, v11
	v_fmaak_f32 v11, v11, v12, 0x3f2aaada
	v_ldexp_f32 v12, v9, 1
	v_sub_f32_e32 v9, v9, v10
	s_delay_alu instid0(VALU_DEP_3) | instskip(SKIP_1) | instid1(VALU_DEP_2)
	v_mul_f32_e32 v11, v13, v11
	v_mul_f32_e32 v13, 0x3f317218, v6
	v_dual_sub_f32 v7, v7, v9 :: v_dual_add_f32 v10, v12, v11
	s_delay_alu instid0(VALU_DEP_1) | instskip(NEXT) | instid1(VALU_DEP_2)
	v_ldexp_f32 v7, v7, 1
	v_sub_f32_e32 v9, v10, v12
	s_delay_alu instid0(VALU_DEP_4) | instskip(NEXT) | instid1(VALU_DEP_1)
	v_fma_f32 v12, 0x3f317218, v6, -v13
	v_dual_sub_f32 v9, v11, v9 :: v_dual_fmac_f32 v12, 0xb102e308, v6
	s_delay_alu instid0(VALU_DEP_1) | instskip(NEXT) | instid1(VALU_DEP_1)
	v_dual_add_f32 v6, v7, v9 :: v_dual_add_f32 v7, v13, v12
	v_add_f32_e32 v9, v10, v6
	s_delay_alu instid0(VALU_DEP_2) | instskip(NEXT) | instid1(VALU_DEP_2)
	v_sub_f32_e32 v13, v7, v13
	v_dual_add_f32 v11, v7, v9 :: v_dual_sub_f32 v10, v9, v10
	s_delay_alu instid0(VALU_DEP_1) | instskip(NEXT) | instid1(VALU_DEP_2)
	v_dual_sub_f32 v12, v12, v13 :: v_dual_sub_f32 v37, v11, v7
	v_sub_f32_e32 v6, v6, v10
	s_delay_alu instid0(VALU_DEP_2) | instskip(NEXT) | instid1(VALU_DEP_2)
	v_sub_f32_e32 v38, v11, v37
	v_dual_sub_f32 v9, v9, v37 :: v_dual_add_f32 v10, v12, v6
	s_delay_alu instid0(VALU_DEP_2) | instskip(NEXT) | instid1(VALU_DEP_1)
	v_sub_f32_e32 v7, v7, v38
	v_add_f32_e32 v7, v9, v7
	s_delay_alu instid0(VALU_DEP_3) | instskip(NEXT) | instid1(VALU_DEP_2)
	v_sub_f32_e32 v9, v10, v12
	v_add_f32_e32 v7, v10, v7
	s_delay_alu instid0(VALU_DEP_2) | instskip(NEXT) | instid1(VALU_DEP_2)
	v_sub_f32_e32 v10, v10, v9
	v_dual_sub_f32 v6, v6, v9 :: v_dual_add_f32 v13, v11, v7
	s_delay_alu instid0(VALU_DEP_1) | instskip(NEXT) | instid1(VALU_DEP_1)
	v_dual_sub_f32 v10, v12, v10 :: v_dual_sub_f32 v9, v13, v11
	v_dual_add_f32 v6, v6, v10 :: v_dual_sub_f32 v7, v7, v9
	s_delay_alu instid0(VALU_DEP_1) | instskip(NEXT) | instid1(VALU_DEP_1)
	v_add_f32_e32 v6, v6, v7
	v_add_f32_e32 v6, v13, v6
	s_delay_alu instid0(VALU_DEP_1)
	v_cndmask_b32_e32 v41, v6, v8, vcc_lo
.LBB33_20:                              ;   in Loop: Header=BB33_12 Depth=1
	s_or_b32 exec_lo, exec_lo, s7
	v_lshlrev_b32_e32 v6, 16, v32
	s_delay_alu instid0(VALU_DEP_1) | instskip(NEXT) | instid1(VALU_DEP_1)
	v_add_f32_e32 v42, s52, v6
	v_cmp_ge_f32_e32 vcc_lo, 0x41a00000, v42
	s_and_b32 s6, s55, vcc_lo
	s_delay_alu instid0(SALU_CYCLE_1)
	s_and_saveexec_b32 s7, s6
	s_cbranch_execz .LBB33_22
; %bb.21:                               ;   in Loop: Header=BB33_12 Depth=1
	v_mul_f32_e32 v6, 0x3fb8aa3b, v42
	v_cmp_ngt_f32_e32 vcc_lo, 0xc2ce8ed0, v42
	s_delay_alu instid0(VALU_DEP_2) | instskip(SKIP_1) | instid1(VALU_DEP_2)
	v_rndne_f32_e32 v7, v6
	v_fma_f32 v8, 0x3fb8aa3b, v42, -v6
	v_sub_f32_e32 v6, v6, v7
	s_delay_alu instid0(VALU_DEP_2) | instskip(SKIP_1) | instid1(VALU_DEP_2)
	v_fmac_f32_e32 v8, 0x32a5705f, v42
	v_cvt_i32_f32_e32 v7, v7
	v_add_f32_e32 v6, v6, v8
	s_delay_alu instid0(VALU_DEP_1) | instskip(SKIP_2) | instid1(VALU_DEP_1)
	v_exp_f32_e32 v6, v6
	s_waitcnt_depctr 0xfff
	v_ldexp_f32 v6, v6, v7
	v_cndmask_b32_e32 v6, 0, v6, vcc_lo
	v_cmp_nlt_f32_e32 vcc_lo, 0x42b17218, v42
	s_delay_alu instid0(VALU_DEP_2) | instskip(NEXT) | instid1(VALU_DEP_1)
	v_cndmask_b32_e32 v8, 0x7f800000, v6, vcc_lo
	v_add_f32_e32 v9, 1.0, v8
	s_delay_alu instid0(VALU_DEP_1) | instskip(NEXT) | instid1(VALU_DEP_1)
	v_cvt_f64_f32_e32 v[6:7], v9
	v_frexp_exp_i32_f64_e32 v6, v[6:7]
	v_frexp_mant_f32_e32 v7, v9
	s_delay_alu instid0(VALU_DEP_1) | instskip(SKIP_1) | instid1(VALU_DEP_1)
	v_cmp_gt_f32_e32 vcc_lo, 0x3f2aaaab, v7
	v_add_f32_e32 v7, -1.0, v9
	v_sub_f32_e32 v11, v7, v9
	v_sub_f32_e32 v7, v8, v7
	s_delay_alu instid0(VALU_DEP_2) | instskip(NEXT) | instid1(VALU_DEP_1)
	v_add_f32_e32 v11, 1.0, v11
	v_add_f32_e32 v7, v7, v11
	v_cmp_gt_f32_e64 s6, 0x33800000, v8
	v_subrev_co_ci_u32_e32 v6, vcc_lo, 0, v6, vcc_lo
	v_cmp_eq_f32_e32 vcc_lo, 0x7f800000, v8
	s_delay_alu instid0(VALU_DEP_2) | instskip(SKIP_2) | instid1(VALU_DEP_2)
	v_sub_nc_u32_e32 v10, 0, v6
	v_cvt_f32_i32_e32 v6, v6
	s_or_b32 vcc_lo, s6, vcc_lo
	v_ldexp_f32 v9, v9, v10
	v_ldexp_f32 v7, v7, v10
	s_delay_alu instid0(VALU_DEP_2) | instskip(NEXT) | instid1(VALU_DEP_1)
	v_add_f32_e32 v12, 1.0, v9
	v_dual_add_f32 v10, -1.0, v9 :: v_dual_add_f32 v11, -1.0, v12
	s_delay_alu instid0(VALU_DEP_1) | instskip(NEXT) | instid1(VALU_DEP_2)
	v_add_f32_e32 v13, 1.0, v10
	v_sub_f32_e32 v11, v9, v11
	s_delay_alu instid0(VALU_DEP_2) | instskip(NEXT) | instid1(VALU_DEP_2)
	v_sub_f32_e32 v9, v9, v13
	v_add_f32_e32 v11, v7, v11
	s_delay_alu instid0(VALU_DEP_2) | instskip(NEXT) | instid1(VALU_DEP_2)
	v_add_f32_e32 v7, v7, v9
	v_add_f32_e32 v13, v12, v11
	s_delay_alu instid0(VALU_DEP_1) | instskip(NEXT) | instid1(VALU_DEP_2)
	v_rcp_f32_e32 v9, v13
	v_dual_add_f32 v37, v10, v7 :: v_dual_sub_f32 v12, v12, v13
	s_delay_alu instid0(VALU_DEP_1) | instskip(SKIP_2) | instid1(VALU_DEP_1)
	v_sub_f32_e32 v10, v10, v37
	s_waitcnt_depctr 0xfff
	v_mul_f32_e32 v38, v37, v9
	v_mul_f32_e32 v39, v13, v38
	v_add_f32_e32 v11, v11, v12
	s_delay_alu instid0(VALU_DEP_2) | instskip(NEXT) | instid1(VALU_DEP_1)
	v_fma_f32 v12, v38, v13, -v39
	v_fmac_f32_e32 v12, v38, v11
	s_delay_alu instid0(VALU_DEP_1) | instskip(NEXT) | instid1(VALU_DEP_1)
	v_add_f32_e32 v40, v39, v12
	v_dual_sub_f32 v42, v37, v40 :: v_dual_add_f32 v7, v7, v10
	s_delay_alu instid0(VALU_DEP_1) | instskip(NEXT) | instid1(VALU_DEP_1)
	v_dual_sub_f32 v10, v40, v39 :: v_dual_sub_f32 v37, v37, v42
	v_sub_f32_e32 v10, v10, v12
	s_delay_alu instid0(VALU_DEP_2) | instskip(NEXT) | instid1(VALU_DEP_1)
	v_sub_f32_e32 v37, v37, v40
	v_add_f32_e32 v7, v7, v37
	s_delay_alu instid0(VALU_DEP_1) | instskip(NEXT) | instid1(VALU_DEP_1)
	v_add_f32_e32 v7, v10, v7
	v_add_f32_e32 v10, v42, v7
	s_delay_alu instid0(VALU_DEP_1) | instskip(NEXT) | instid1(VALU_DEP_1)
	v_mul_f32_e32 v12, v9, v10
	v_dual_sub_f32 v40, v42, v10 :: v_dual_mul_f32 v37, v13, v12
	s_delay_alu instid0(VALU_DEP_1) | instskip(NEXT) | instid1(VALU_DEP_2)
	v_add_f32_e32 v7, v7, v40
	v_fma_f32 v13, v12, v13, -v37
	s_delay_alu instid0(VALU_DEP_1) | instskip(NEXT) | instid1(VALU_DEP_1)
	v_fmac_f32_e32 v13, v12, v11
	v_add_f32_e32 v11, v37, v13
	s_delay_alu instid0(VALU_DEP_1) | instskip(NEXT) | instid1(VALU_DEP_1)
	v_sub_f32_e32 v39, v10, v11
	v_sub_f32_e32 v10, v10, v39
	s_delay_alu instid0(VALU_DEP_1) | instskip(NEXT) | instid1(VALU_DEP_1)
	v_dual_sub_f32 v10, v10, v11 :: v_dual_sub_f32 v37, v11, v37
	v_dual_add_f32 v7, v7, v10 :: v_dual_add_f32 v10, v38, v12
	s_delay_alu instid0(VALU_DEP_2) | instskip(NEXT) | instid1(VALU_DEP_1)
	v_sub_f32_e32 v11, v37, v13
	v_add_f32_e32 v7, v11, v7
	s_delay_alu instid0(VALU_DEP_3) | instskip(NEXT) | instid1(VALU_DEP_2)
	v_sub_f32_e32 v11, v10, v38
	v_add_f32_e32 v7, v39, v7
	s_delay_alu instid0(VALU_DEP_2) | instskip(NEXT) | instid1(VALU_DEP_2)
	v_sub_f32_e32 v11, v12, v11
	v_mul_f32_e32 v7, v9, v7
	s_delay_alu instid0(VALU_DEP_1) | instskip(NEXT) | instid1(VALU_DEP_1)
	v_add_f32_e32 v7, v11, v7
	v_add_f32_e32 v9, v10, v7
	s_delay_alu instid0(VALU_DEP_1) | instskip(NEXT) | instid1(VALU_DEP_1)
	v_mul_f32_e32 v11, v9, v9
	v_fmaak_f32 v12, s42, v11, 0x3ecc95a3
	v_mul_f32_e32 v13, v9, v11
	s_delay_alu instid0(VALU_DEP_2) | instskip(SKIP_2) | instid1(VALU_DEP_3)
	v_fmaak_f32 v11, v11, v12, 0x3f2aaada
	v_ldexp_f32 v12, v9, 1
	v_sub_f32_e32 v9, v9, v10
	v_mul_f32_e32 v11, v13, v11
	v_mul_f32_e32 v13, 0x3f317218, v6
	s_delay_alu instid0(VALU_DEP_2) | instskip(NEXT) | instid1(VALU_DEP_1)
	v_dual_sub_f32 v7, v7, v9 :: v_dual_add_f32 v10, v12, v11
	v_ldexp_f32 v7, v7, 1
	s_delay_alu instid0(VALU_DEP_2) | instskip(NEXT) | instid1(VALU_DEP_4)
	v_sub_f32_e32 v9, v10, v12
	v_fma_f32 v12, 0x3f317218, v6, -v13
	s_delay_alu instid0(VALU_DEP_1) | instskip(NEXT) | instid1(VALU_DEP_1)
	v_dual_sub_f32 v9, v11, v9 :: v_dual_fmac_f32 v12, 0xb102e308, v6
	v_dual_add_f32 v6, v7, v9 :: v_dual_add_f32 v7, v13, v12
	s_delay_alu instid0(VALU_DEP_1) | instskip(NEXT) | instid1(VALU_DEP_2)
	v_add_f32_e32 v9, v10, v6
	v_sub_f32_e32 v13, v7, v13
	s_delay_alu instid0(VALU_DEP_2) | instskip(NEXT) | instid1(VALU_DEP_1)
	v_dual_add_f32 v11, v7, v9 :: v_dual_sub_f32 v10, v9, v10
	v_dual_sub_f32 v12, v12, v13 :: v_dual_sub_f32 v37, v11, v7
	s_delay_alu instid0(VALU_DEP_2) | instskip(NEXT) | instid1(VALU_DEP_2)
	v_sub_f32_e32 v6, v6, v10
	v_sub_f32_e32 v38, v11, v37
	s_delay_alu instid0(VALU_DEP_2) | instskip(NEXT) | instid1(VALU_DEP_2)
	v_dual_sub_f32 v9, v9, v37 :: v_dual_add_f32 v10, v12, v6
	v_sub_f32_e32 v7, v7, v38
	s_delay_alu instid0(VALU_DEP_1) | instskip(NEXT) | instid1(VALU_DEP_3)
	v_add_f32_e32 v7, v9, v7
	v_sub_f32_e32 v9, v10, v12
	s_delay_alu instid0(VALU_DEP_2) | instskip(NEXT) | instid1(VALU_DEP_2)
	v_add_f32_e32 v7, v10, v7
	v_sub_f32_e32 v10, v10, v9
	s_delay_alu instid0(VALU_DEP_2) | instskip(NEXT) | instid1(VALU_DEP_1)
	v_dual_sub_f32 v6, v6, v9 :: v_dual_add_f32 v13, v11, v7
	v_dual_sub_f32 v10, v12, v10 :: v_dual_sub_f32 v9, v13, v11
	s_delay_alu instid0(VALU_DEP_1) | instskip(NEXT) | instid1(VALU_DEP_1)
	v_dual_add_f32 v6, v6, v10 :: v_dual_sub_f32 v7, v7, v9
	v_add_f32_e32 v6, v6, v7
	s_delay_alu instid0(VALU_DEP_1) | instskip(NEXT) | instid1(VALU_DEP_1)
	v_add_f32_e32 v6, v13, v6
	v_cndmask_b32_e32 v42, v6, v8, vcc_lo
.LBB33_22:                              ;   in Loop: Header=BB33_12 Depth=1
	s_or_b32 exec_lo, exec_lo, s7
	v_lshlrev_b32_e32 v8, 16, v0
	v_lshlrev_b32_e32 v7, 16, v29
	v_lshlrev_b32_e32 v9, 16, v33
	s_lshl_b32 s20, s59, 8
	s_and_b32 vcc_lo, exec_lo, s56
	v_mul_f32_e32 v38, s53, v8
	v_dual_mul_f32 v39, s53, v7 :: v_dual_lshlrev_b32 v6, 16, v1
	v_mul_f32_e32 v40, s53, v9
	s_barrier
	s_delay_alu instid0(VALU_DEP_2)
	v_mul_f32_e32 v37, s53, v6
	buffer_gl0_inv
	s_cbranch_vccz .LBB33_54
; %bb.23:                               ;   in Loop: Header=BB33_12 Depth=1
	v_dual_mul_f32 v45, v36, v7 :: v_dual_mul_f32 v46, v35, v8
	v_add_nc_u32_e32 v7, -1, v28
	v_dual_mul_f32 v43, v42, v9 :: v_dual_mul_f32 v44, v41, v6
	v_and_b32_e32 v6, 15, v28
	v_and_b32_e32 v8, 16, v28
	s_delay_alu instid0(VALU_DEP_4)
	v_cmp_gt_i32_e32 vcc_lo, 0, v7
	v_and_b32_e32 v9, 1, v28
	s_sub_i32 s13, s34, s20
	v_add_co_u32 v47, s6, s44, v27
	v_cndmask_b32_e32 v7, v7, v28, vcc_lo
	v_add_co_ci_u32_e64 v48, null, s46, 0, s6
	v_add_co_u32 v49, s6, s37, v27
	v_cmp_gt_u32_e32 vcc_lo, s13, v15
	v_cmp_gt_u32_e64 s14, s13, v24
	v_cmp_gt_u32_e64 s15, s13, v25
	;; [unrolled: 1-line block ×3, first 2 shown]
	s_cmp_lg_u32 s59, 0
	v_add_co_ci_u32_e64 v50, null, s47, 0, s6
	v_cmp_ne_u32_e64 s6, 0, v6
	v_cmp_lt_u32_e64 s7, 1, v6
	v_cmp_lt_u32_e64 s8, 3, v6
	;; [unrolled: 1-line block ×3, first 2 shown]
	v_cmp_ne_u32_e64 s10, 0, v8
	v_cmp_eq_u32_e64 s11, 0, v9
	v_lshlrev_b32_e32 v51, 2, v7
	v_cmp_eq_u32_e64 s12, 0, v28
	s_mov_b32 s22, 0
	s_cselect_b32 s21, -1, 0
	s_cmp_eq_u32 s59, s58
	s_mov_b32 s28, s22
	s_cselect_b32 s60, -1, 0
	s_or_b32 s13, s57, vcc_lo
	s_or_b32 s14, s57, s14
	s_or_b32 s15, s57, s15
	;; [unrolled: 1-line block ×3, first 2 shown]
	s_mov_b32 s30, s22
	s_mov_b32 s38, s22
	s_mov_b32 s61, s35
	s_mov_b32 s62, s43
	s_branch .LBB33_25
.LBB33_24:                              ;   in Loop: Header=BB33_25 Depth=2
	s_or_b32 exec_lo, exec_lo, s17
	v_cndmask_b32_e64 v8, v61, v13, s12
	v_cndmask_b32_e64 v9, v60, v12, s12
	s_add_i32 s61, s61, -1
	s_add_i32 s62, s62, 8
	s_add_i32 s38, s38, s49
	v_fma_f32 v8, v8, v59, v56
	v_mul_f32_e32 v9, v9, v59
	s_add_i32 s30, s30, s36
	s_add_i32 s28, s28, s48
	;; [unrolled: 1-line block ×3, first 2 shown]
	v_cndmask_b32_e64 v8, v8, v56, s5
	v_cndmask_b32_e64 v9, v9, v59, s5
	s_cmp_eq_u32 s61, 0
	s_waitcnt lgkmcnt(0)
	s_delay_alu instid0(VALU_DEP_1) | instskip(NEXT) | instid1(VALU_DEP_1)
	v_dual_fmac_f32 v8, v10, v9 :: v_dual_and_b32 v9, 0xffff0000, v6
	v_fmac_f32_e32 v52, v8, v58
	v_lshlrev_b32_e32 v10, 16, v6
	v_alignbit_b32 v6, v7, v6, 16
	s_delay_alu instid0(VALU_DEP_3) | instskip(NEXT) | instid1(VALU_DEP_3)
	v_fmac_f32_e32 v53, v52, v57
	v_dual_fmac_f32 v38, v8, v10 :: v_dual_and_b32 v7, 0xffff0000, v7
	s_delay_alu instid0(VALU_DEP_3) | instskip(NEXT) | instid1(VALU_DEP_3)
	v_dual_fmac_f32 v39, v52, v9 :: v_dual_and_b32 v6, 0xffff0000, v6
	v_fmac_f32_e32 v54, v53, v55
	s_delay_alu instid0(VALU_DEP_1)
	v_dual_fmac_f32 v37, v53, v6 :: v_dual_fmac_f32 v40, v54, v7
	s_cbranch_scc1 .LBB33_54
.LBB33_25:                              ;   Parent Loop BB33_12 Depth=1
                                        ; =>  This Inner Loop Header: Depth=2
	s_lshl_b64 s[18:19], s[22:23], 2
	s_mov_b32 s29, s23
	s_add_u32 s18, s40, s18
	s_addc_u32 s19, s41, s19
	s_lshl_b64 s[64:65], s[28:29], 1
	s_mov_b32 s31, s23
	v_add_co_u32 v6, vcc_lo, v47, s64
	v_add_co_ci_u32_e32 v7, vcc_lo, s65, v48, vcc_lo
	s_lshl_b64 s[64:65], s[30:31], 1
	s_delay_alu instid0(SALU_CYCLE_1)
	v_add_co_u32 v8, vcc_lo, v49, s64
	v_add_co_ci_u32_e32 v9, vcc_lo, s65, v50, vcc_lo
	global_load_b32 v12, v14, s[18:19]
	global_load_b64 v[10:11], v[6:7], off
	global_load_b64 v[6:7], v[8:9], off
	s_and_not1_b32 vcc_lo, exec_lo, s21
	s_cbranch_vccnz .LBB33_27
; %bb.26:                               ;   in Loop: Header=BB33_25 Depth=2
	v_mov_b32_e32 v8, s62
	ds_load_b64 v[8:9], v8
	s_cbranch_execz .LBB33_28
	s_branch .LBB33_31
.LBB33_27:                              ;   in Loop: Header=BB33_25 Depth=2
                                        ; implicit-def: $vgpr8
.LBB33_28:                              ;   in Loop: Header=BB33_25 Depth=2
	s_waitcnt lgkmcnt(0)
	v_mov_b32_e32 v9, 0
	s_and_not1_b32 vcc_lo, exec_lo, s33
	s_cbranch_vccnz .LBB33_30
; %bb.29:                               ;   in Loop: Header=BB33_25 Depth=2
	s_mov_b32 s39, s23
	s_delay_alu instid0(SALU_CYCLE_1) | instskip(NEXT) | instid1(SALU_CYCLE_1)
	s_lshl_b64 s[18:19], s[38:39], 2
	s_add_u32 s18, s50, s18
	s_addc_u32 s19, s51, s19
	global_load_b32 v9, v14, s[18:19]
.LBB33_30:                              ;   in Loop: Header=BB33_25 Depth=2
	v_mov_b32_e32 v8, 1.0
.LBB33_31:                              ;   in Loop: Header=BB33_25 Depth=2
	s_waitcnt vmcnt(1)
	v_alignbit_b32 v13, v11, v10, 16
	s_delay_alu instid0(VALU_DEP_1) | instskip(NEXT) | instid1(VALU_DEP_1)
	v_and_b32_e32 v13, 0xffff0000, v13
	v_dual_mul_f32 v12, 0x3fb8aa3b, v12 :: v_dual_mul_f32 v13, v44, v13
	s_delay_alu instid0(VALU_DEP_1) | instskip(SKIP_2) | instid1(VALU_DEP_3)
	v_dual_mul_f32 v53, v12, v35 :: v_dual_and_b32 v52, 0xffff0000, v10
	v_dual_mul_f32 v55, v12, v41 :: v_dual_lshlrev_b32 v10, 16, v10
	v_dual_mul_f32 v54, v12, v36 :: v_dual_and_b32 v11, 0xffff0000, v11
	v_cmp_gt_f32_e32 vcc_lo, 0xc2fc0000, v53
	v_mul_f32_e32 v56, v12, v42
	s_delay_alu instid0(VALU_DEP_4)
	v_cmp_gt_f32_e64 s18, 0xc2fc0000, v55
	v_mul_f32_e32 v10, v46, v10
	v_cmp_gt_f32_e64 s17, 0xc2fc0000, v54
	v_cndmask_b32_e64 v53, 0, 0x42800000, vcc_lo
	v_cmp_gt_f32_e64 s19, 0xc2fc0000, v56
	v_cndmask_b32_e64 v55, 0, 0x42800000, s18
	v_mul_f32_e32 v52, v45, v52
	v_cndmask_b32_e64 v54, 0, 0x42800000, s17
	v_fmac_f32_e32 v53, v12, v35
	v_cndmask_b32_e64 v57, 0, 0x42800000, s19
	v_cndmask_b32_e64 v58, 1.0, 0x1f800000, vcc_lo
	v_cndmask_b32_e64 v56, 0, v10, s13
	v_fmac_f32_e32 v54, v12, v36
	v_exp_f32_e32 v53, v53
	v_fmac_f32_e32 v55, v12, v41
	v_fmac_f32_e32 v57, v12, v42
	v_cndmask_b32_e64 v10, 1.0, 0x1f800000, s17
	v_exp_f32_e32 v54, v54
	v_cndmask_b32_e64 v52, 0, v52, s14
	s_waitcnt_depctr 0xfff
	v_mul_f32_e32 v12, v53, v58
	v_exp_f32_e32 v55, v55
	v_cndmask_b32_e64 v53, 1.0, 0x1f800000, s18
	v_mul_f32_e32 v10, v54, v10
	s_delay_alu instid0(VALU_DEP_3) | instskip(SKIP_1) | instid1(VALU_DEP_3)
	v_cndmask_b32_e64 v59, 1.0, v12, s13
	v_cndmask_b32_e64 v54, 1.0, 0x1f800000, s19
	;; [unrolled: 1-line block ×3, first 2 shown]
	s_waitcnt_depctr 0xfff
	v_mul_f32_e32 v12, v55, v53
	v_exp_f32_e32 v60, v57
	v_cndmask_b32_e64 v53, 0, v13, s15
	v_mul_f32_e32 v10, v43, v11
	v_fma_f32 v13, v58, v56, v52
	v_cndmask_b32_e64 v57, 1.0, v12, s15
	s_waitcnt_depctr 0xfff
	v_dual_mul_f32 v12, v58, v59 :: v_dual_mul_f32 v11, v60, v54
	v_cndmask_b32_e64 v54, 0, v10, s16
	s_delay_alu instid0(VALU_DEP_2) | instskip(NEXT) | instid1(VALU_DEP_3)
	v_mul_f32_e32 v10, v12, v57
	v_cndmask_b32_e64 v55, 1.0, v11, s16
	v_fma_f32 v11, v13, v57, v53
	s_delay_alu instid0(VALU_DEP_2) | instskip(NEXT) | instid1(VALU_DEP_2)
	v_mul_f32_e32 v10, v10, v55
	v_fma_f32 v11, v11, v55, v54
	s_delay_alu instid0(VALU_DEP_2) | instskip(NEXT) | instid1(VALU_DEP_2)
	v_mov_b32_dpp v13, v10 row_shr:1 row_mask:0xf bank_mask:0xf
	v_mov_b32_dpp v12, v11 row_shr:1 row_mask:0xf bank_mask:0xf
	s_and_saveexec_b32 s17, s6
; %bb.32:                               ;   in Loop: Header=BB33_25 Depth=2
	s_delay_alu instid0(VALU_DEP_2) | instskip(NEXT) | instid1(VALU_DEP_1)
	v_mul_f32_e32 v13, v10, v13
	v_dual_fmac_f32 v11, v10, v12 :: v_dual_mov_b32 v10, v13
; %bb.33:                               ;   in Loop: Header=BB33_25 Depth=2
	s_or_b32 exec_lo, exec_lo, s17
	s_delay_alu instid0(VALU_DEP_1) | instskip(NEXT) | instid1(VALU_DEP_2)
	v_mov_b32_dpp v12, v10 row_shr:2 row_mask:0xf bank_mask:0xf
	v_mov_b32_dpp v13, v11 row_shr:2 row_mask:0xf bank_mask:0xf
	s_and_saveexec_b32 s17, s7
; %bb.34:                               ;   in Loop: Header=BB33_25 Depth=2
	s_delay_alu instid0(VALU_DEP_1) | instskip(NEXT) | instid1(VALU_DEP_3)
	v_fmac_f32_e32 v11, v10, v13
	v_mul_f32_e32 v10, v10, v12
; %bb.35:                               ;   in Loop: Header=BB33_25 Depth=2
	s_or_b32 exec_lo, exec_lo, s17
	s_delay_alu instid0(VALU_DEP_1) | instskip(NEXT) | instid1(VALU_DEP_3)
	v_mov_b32_dpp v12, v10 row_shr:4 row_mask:0xf bank_mask:0xf
	v_mov_b32_dpp v13, v11 row_shr:4 row_mask:0xf bank_mask:0xf
	s_and_saveexec_b32 s17, s8
; %bb.36:                               ;   in Loop: Header=BB33_25 Depth=2
	s_delay_alu instid0(VALU_DEP_1) | instskip(NEXT) | instid1(VALU_DEP_3)
	v_fmac_f32_e32 v11, v10, v13
	v_mul_f32_e32 v10, v10, v12
; %bb.37:                               ;   in Loop: Header=BB33_25 Depth=2
	s_or_b32 exec_lo, exec_lo, s17
	s_delay_alu instid0(VALU_DEP_1) | instskip(NEXT) | instid1(VALU_DEP_3)
	v_mov_b32_dpp v12, v10 row_shr:8 row_mask:0xf bank_mask:0xf
	v_mov_b32_dpp v13, v11 row_shr:8 row_mask:0xf bank_mask:0xf
	s_and_saveexec_b32 s17, s9
; %bb.38:                               ;   in Loop: Header=BB33_25 Depth=2
	s_delay_alu instid0(VALU_DEP_1) | instskip(NEXT) | instid1(VALU_DEP_3)
	v_fmac_f32_e32 v11, v10, v13
	v_mul_f32_e32 v10, v10, v12
; %bb.39:                               ;   in Loop: Header=BB33_25 Depth=2
	s_or_b32 exec_lo, exec_lo, s17
	ds_swizzle_b32 v13, v10 offset:swizzle(BROADCAST,32,15)
	ds_swizzle_b32 v12, v11 offset:swizzle(BROADCAST,32,15)
	s_and_saveexec_b32 s17, s10
	s_cbranch_execz .LBB33_41
; %bb.40:                               ;   in Loop: Header=BB33_25 Depth=2
	s_waitcnt lgkmcnt(1)
	v_mul_f32_e32 v13, v10, v13
	s_waitcnt lgkmcnt(0)
	s_delay_alu instid0(VALU_DEP_1)
	v_dual_fmac_f32 v11, v10, v12 :: v_dual_mov_b32 v10, v13
.LBB33_41:                              ;   in Loop: Header=BB33_25 Depth=2
	s_or_b32 exec_lo, exec_lo, s17
	s_and_saveexec_b32 s17, s1
	s_cbranch_execz .LBB33_43
; %bb.42:                               ;   in Loop: Header=BB33_25 Depth=2
	ds_store_b64 v16, v[10:11] offset:1056
.LBB33_43:                              ;   in Loop: Header=BB33_25 Depth=2
	s_or_b32 exec_lo, exec_lo, s17
	s_waitcnt vmcnt(0) lgkmcnt(0)
	s_waitcnt_vscnt null, 0x0
	s_barrier
	buffer_gl0_inv
	s_and_saveexec_b32 s17, s2
	s_cbranch_execz .LBB33_45
; %bb.44:                               ;   in Loop: Header=BB33_25 Depth=2
	ds_load_b64 v[12:13], v17 offset:1056
	s_waitcnt lgkmcnt(0)
	v_mov_b32_dpp v60, v12 row_shr:1 row_mask:0xf bank_mask:0xf
	v_mov_b32_dpp v61, v13 row_shr:1 row_mask:0xf bank_mask:0xf
	s_delay_alu instid0(VALU_DEP_2) | instskip(NEXT) | instid1(VALU_DEP_2)
	v_mul_f32_e32 v60, v12, v60
	v_fma_f32 v61, v12, v61, v13
	s_delay_alu instid0(VALU_DEP_2) | instskip(NEXT) | instid1(VALU_DEP_2)
	v_cndmask_b32_e64 v12, v60, v12, s11
	v_cndmask_b32_e64 v13, v61, v13, s11
	ds_store_b64 v17, v[12:13] offset:1056
.LBB33_45:                              ;   in Loop: Header=BB33_25 Depth=2
	s_or_b32 exec_lo, exec_lo, s17
	s_waitcnt lgkmcnt(0)
	s_barrier
	buffer_gl0_inv
                                        ; implicit-def: $vgpr13
	s_and_saveexec_b32 s17, s4
	s_cbranch_execz .LBB33_47
; %bb.46:                               ;   in Loop: Header=BB33_25 Depth=2
	ds_load_b64 v[12:13], v16 offset:1048
	s_waitcnt lgkmcnt(0)
	v_mul_f32_e32 v60, v10, v12
	s_delay_alu instid0(VALU_DEP_1)
	v_dual_fmac_f32 v11, v10, v13 :: v_dual_mov_b32 v10, v60
.LBB33_47:                              ;   in Loop: Header=BB33_25 Depth=2
	s_or_b32 exec_lo, exec_lo, s17
	ds_bpermute_b32 v60, v51, v10
	ds_bpermute_b32 v61, v51, v11
	s_and_saveexec_b32 s17, s3
	s_cbranch_execz .LBB33_51
; %bb.48:                               ;   in Loop: Header=BB33_25 Depth=2
	ds_load_b64 v[10:11], v14 offset:1064
	s_and_saveexec_b32 s18, s5
	s_cbranch_execz .LBB33_50
; %bb.49:                               ;   in Loop: Header=BB33_25 Depth=2
	ds_store_b64 v14, v[8:9] offset:1064
.LBB33_50:                              ;   in Loop: Header=BB33_25 Depth=2
	s_or_b32 exec_lo, exec_lo, s18
	s_waitcnt lgkmcnt(0)
	v_fmac_f32_e32 v11, v9, v10
	s_delay_alu instid0(VALU_DEP_1)
	v_dual_mul_f32 v8, v8, v10 :: v_dual_mov_b32 v9, v11
.LBB33_51:                              ;   in Loop: Header=BB33_25 Depth=2
	s_or_b32 exec_lo, exec_lo, s17
	s_waitcnt lgkmcnt(0)
	s_barrier
	buffer_gl0_inv
	ds_load_b32 v10, v14 offset:1068
	s_and_saveexec_b32 s17, s5
	s_cbranch_execz .LBB33_24
; %bb.52:                               ;   in Loop: Header=BB33_25 Depth=2
	v_mov_b32_e32 v11, s62
	s_and_not1_b32 vcc_lo, exec_lo, s60
	ds_store_b64 v11, v[8:9]
	s_cbranch_vccnz .LBB33_24
; %bb.53:                               ;   in Loop: Header=BB33_25 Depth=2
	s_mov_b32 s39, s23
	s_delay_alu instid0(SALU_CYCLE_1) | instskip(NEXT) | instid1(SALU_CYCLE_1)
	s_lshl_b64 s[18:19], s[38:39], 2
	s_add_u32 s18, s50, s18
	s_addc_u32 s19, s51, s19
	global_store_b32 v14, v9, s[18:19]
	s_branch .LBB33_24
.LBB33_54:                              ;   in Loop: Header=BB33_12 Depth=1
	s_delay_alu instid0(VALU_DEP_3) | instskip(SKIP_1) | instid1(VALU_DEP_3)
	v_bfe_u32 v6, v39, 16, 1
	v_bfe_u32 v7, v38, 16, 1
	;; [unrolled: 1-line block ×3, first 2 shown]
	v_cmp_o_f32_e32 vcc_lo, v39, v39
	v_bfe_u32 v8, v37, 16, 1
	v_add3_u32 v6, v39, v6, 0x7fff
	v_add3_u32 v7, v38, v7, 0x7fff
	;; [unrolled: 1-line block ×3, first 2 shown]
	s_mov_b32 s21, s23
	v_add3_u32 v8, v37, v8, 0x7fff
	v_and_b32_e32 v6, 0xffff0000, v6
	v_lshrrev_b32_e32 v7, 16, v7
	v_and_b32_e32 v9, 0xffff0000, v9
	s_lshl_b64 s[10:11], s[20:21], 1
	v_lshrrev_b32_e32 v8, 16, v8
	v_cndmask_b32_e32 v6, 0x7fc00000, v6, vcc_lo
	v_cmp_o_f32_e32 vcc_lo, v38, v38
	s_waitcnt_vscnt null, 0x0
	s_barrier
	buffer_gl0_inv
	v_cndmask_b32_e32 v7, 0x7fc0, v7, vcc_lo
	v_cmp_o_f32_e32 vcc_lo, v40, v40
	s_delay_alu instid0(VALU_DEP_2) | instskip(SKIP_2) | instid1(VALU_DEP_3)
	v_or_b32_e32 v6, v6, v7
	v_cndmask_b32_e32 v9, 0x7fc00000, v9, vcc_lo
	v_cmp_o_f32_e32 vcc_lo, v37, v37
	v_or3_b32 v6, v6, 0, 0
	v_cndmask_b32_e32 v8, 0x7fc0, v8, vcc_lo
	s_delay_alu instid0(VALU_DEP_1)
	v_or3_b32 v7, 0, v8, v9
	v_add_co_u32 v8, vcc_lo, v18, s10
	v_add_co_ci_u32_e32 v9, vcc_lo, s11, v19, vcc_lo
	global_store_b64 v[8:9], v[6:7], off
	s_waitcnt_vscnt null, 0x0
	s_barrier
	buffer_gl0_inv
	s_and_saveexec_b32 s6, s0
	s_cbranch_execz .LBB33_11
; %bb.55:                               ;   in Loop: Header=BB33_12 Depth=1
	v_add_co_u32 v4, vcc_lo, v20, s10
	v_add_co_ci_u32_e32 v5, vcc_lo, s11, v21, vcc_lo
	global_load_b64 v[4:5], v[4:5], off
	s_waitcnt vmcnt(0)
	v_lshrrev_b32_e32 v31, 16, v4
	v_lshrrev_b32_e32 v34, 16, v5
	s_branch .LBB33_11
.LBB33_56:
	s_nop 0
	s_sendmsg sendmsg(MSG_DEALLOC_VGPRS)
	s_endpgm
	.section	.rodata,"a",@progbits
	.p2align	6, 0x0
	.amdhsa_kernel _Z25selective_scan_fwd_kernelI32Selective_Scan_fwd_kernel_traitsILi64ELi4ELi1ELb1ELb1ELb1ELb1ELb0EN3c108BFloat16EffEEv13SSMParamsBase
		.amdhsa_group_segment_fixed_size 0
		.amdhsa_private_segment_fixed_size 0
		.amdhsa_kernarg_size 248
		.amdhsa_user_sgpr_count 14
		.amdhsa_user_sgpr_dispatch_ptr 0
		.amdhsa_user_sgpr_queue_ptr 0
		.amdhsa_user_sgpr_kernarg_segment_ptr 1
		.amdhsa_user_sgpr_dispatch_id 0
		.amdhsa_user_sgpr_private_segment_size 0
		.amdhsa_wavefront_size32 1
		.amdhsa_uses_dynamic_stack 0
		.amdhsa_enable_private_segment 0
		.amdhsa_system_sgpr_workgroup_id_x 1
		.amdhsa_system_sgpr_workgroup_id_y 1
		.amdhsa_system_sgpr_workgroup_id_z 0
		.amdhsa_system_sgpr_workgroup_info 0
		.amdhsa_system_vgpr_workitem_id 0
		.amdhsa_next_free_vgpr 62
		.amdhsa_next_free_sgpr 66
		.amdhsa_reserve_vcc 1
		.amdhsa_float_round_mode_32 0
		.amdhsa_float_round_mode_16_64 0
		.amdhsa_float_denorm_mode_32 3
		.amdhsa_float_denorm_mode_16_64 3
		.amdhsa_dx10_clamp 1
		.amdhsa_ieee_mode 1
		.amdhsa_fp16_overflow 0
		.amdhsa_workgroup_processor_mode 1
		.amdhsa_memory_ordered 1
		.amdhsa_forward_progress 0
		.amdhsa_shared_vgpr_count 0
		.amdhsa_exception_fp_ieee_invalid_op 0
		.amdhsa_exception_fp_denorm_src 0
		.amdhsa_exception_fp_ieee_div_zero 0
		.amdhsa_exception_fp_ieee_overflow 0
		.amdhsa_exception_fp_ieee_underflow 0
		.amdhsa_exception_fp_ieee_inexact 0
		.amdhsa_exception_int_div_zero 0
	.end_amdhsa_kernel
	.section	.text._Z25selective_scan_fwd_kernelI32Selective_Scan_fwd_kernel_traitsILi64ELi4ELi1ELb1ELb1ELb1ELb1ELb0EN3c108BFloat16EffEEv13SSMParamsBase,"axG",@progbits,_Z25selective_scan_fwd_kernelI32Selective_Scan_fwd_kernel_traitsILi64ELi4ELi1ELb1ELb1ELb1ELb1ELb0EN3c108BFloat16EffEEv13SSMParamsBase,comdat
.Lfunc_end33:
	.size	_Z25selective_scan_fwd_kernelI32Selective_Scan_fwd_kernel_traitsILi64ELi4ELi1ELb1ELb1ELb1ELb1ELb0EN3c108BFloat16EffEEv13SSMParamsBase, .Lfunc_end33-_Z25selective_scan_fwd_kernelI32Selective_Scan_fwd_kernel_traitsILi64ELi4ELi1ELb1ELb1ELb1ELb1ELb0EN3c108BFloat16EffEEv13SSMParamsBase
                                        ; -- End function
	.section	.AMDGPU.csdata,"",@progbits
; Kernel info:
; codeLenInByte = 7216
; NumSgprs: 68
; NumVgprs: 62
; ScratchSize: 0
; MemoryBound: 0
; FloatMode: 240
; IeeeMode: 1
; LDSByteSize: 0 bytes/workgroup (compile time only)
; SGPRBlocks: 8
; VGPRBlocks: 7
; NumSGPRsForWavesPerEU: 68
; NumVGPRsForWavesPerEU: 62
; Occupancy: 16
; WaveLimiterHint : 0
; COMPUTE_PGM_RSRC2:SCRATCH_EN: 0
; COMPUTE_PGM_RSRC2:USER_SGPR: 14
; COMPUTE_PGM_RSRC2:TRAP_HANDLER: 0
; COMPUTE_PGM_RSRC2:TGID_X_EN: 1
; COMPUTE_PGM_RSRC2:TGID_Y_EN: 1
; COMPUTE_PGM_RSRC2:TGID_Z_EN: 0
; COMPUTE_PGM_RSRC2:TIDIG_COMP_CNT: 0
	.section	.text._Z25selective_scan_fwd_kernelI32Selective_Scan_fwd_kernel_traitsILi64ELi4ELi1ELb1ELb1ELb1ELb0ELb1EN3c108BFloat16EffEEv13SSMParamsBase,"axG",@progbits,_Z25selective_scan_fwd_kernelI32Selective_Scan_fwd_kernel_traitsILi64ELi4ELi1ELb1ELb1ELb1ELb0ELb1EN3c108BFloat16EffEEv13SSMParamsBase,comdat
	.protected	_Z25selective_scan_fwd_kernelI32Selective_Scan_fwd_kernel_traitsILi64ELi4ELi1ELb1ELb1ELb1ELb0ELb1EN3c108BFloat16EffEEv13SSMParamsBase ; -- Begin function _Z25selective_scan_fwd_kernelI32Selective_Scan_fwd_kernel_traitsILi64ELi4ELi1ELb1ELb1ELb1ELb0ELb1EN3c108BFloat16EffEEv13SSMParamsBase
	.globl	_Z25selective_scan_fwd_kernelI32Selective_Scan_fwd_kernel_traitsILi64ELi4ELi1ELb1ELb1ELb1ELb0ELb1EN3c108BFloat16EffEEv13SSMParamsBase
	.p2align	8
	.type	_Z25selective_scan_fwd_kernelI32Selective_Scan_fwd_kernel_traitsILi64ELi4ELi1ELb1ELb1ELb1ELb0ELb1EN3c108BFloat16EffEEv13SSMParamsBase,@function
_Z25selective_scan_fwd_kernelI32Selective_Scan_fwd_kernel_traitsILi64ELi4ELi1ELb1ELb1ELb1ELb0ELb1EN3c108BFloat16EffEEv13SSMParamsBase: ; @_Z25selective_scan_fwd_kernelI32Selective_Scan_fwd_kernel_traitsILi64ELi4ELi1ELb1ELb1ELb1ELb0ELb1EN3c108BFloat16EffEEv13SSMParamsBase
; %bb.0:
	s_clause 0x2
	s_load_b32 s35, s[0:1], 0x18
	s_load_b128 s[4:7], s[0:1], 0xe0
	s_load_b64 s[10:11], s[0:1], 0xf0
	s_mov_b32 s12, s15
	s_ashr_i32 s15, s14, 31
	s_mov_b32 s33, 0
	s_lshl_b64 s[8:9], s[14:15], 2
	s_waitcnt lgkmcnt(0)
	s_abs_i32 s34, s35
	s_add_u32 s2, s4, s8
	v_cvt_f32_u32_e32 v1, s34
	s_addc_u32 s3, s5, s9
	s_cmp_eq_u64 s[10:11], 0
	s_delay_alu instid0(VALU_DEP_1) | instskip(SKIP_2) | instid1(VALU_DEP_1)
	v_rcp_iflag_f32_e32 v1, v1
	s_waitcnt_depctr 0xfff
	v_mul_f32_e32 v1, 0x4f7ffffe, v1
	v_cvt_u32_f32_e32 v1, v1
	s_delay_alu instid0(VALU_DEP_1)
	v_readfirstlane_b32 s36, v1
	s_cbranch_scc1 .LBB34_2
; %bb.1:
	v_mov_b32_e32 v1, 0
	s_add_u32 s4, s10, s14
	s_addc_u32 s5, s11, s15
	global_load_u8 v1, v1, s[4:5]
	s_waitcnt vmcnt(0)
	v_and_b32_e32 v1, 1, v1
	s_delay_alu instid0(VALU_DEP_1)
	v_cmp_eq_u32_e64 s33, 1, v1
.LBB34_2:
	s_load_b64 s[4:5], s[0:1], 0x20
	s_cmp_eq_u64 s[6:7], 0
	s_cbranch_scc1 .LBB34_4
; %bb.3:
	s_add_u32 s6, s6, s8
	s_addc_u32 s7, s7, s9
	s_load_b32 s14, s[6:7], 0x0
	s_waitcnt lgkmcnt(0)
	s_ashr_i32 s15, s14, 31
.LBB34_4:
	s_waitcnt lgkmcnt(0)
	s_cmp_eq_u64 s[4:5], s[14:15]
	s_cbranch_scc1 .LBB34_92
; %bb.5:
	s_load_b512 s[16:31], s[0:1], 0x88
	s_load_b64 s[10:11], s[2:3], 0x0
	s_mov_b32 s48, 0
	s_mov_b32 s49, 0
	s_waitcnt lgkmcnt(0)
	s_cmp_eq_u64 s[22:23], 0
	s_cbranch_scc1 .LBB34_7
; %bb.6:
	s_ashr_i32 s13, s12, 31
	s_delay_alu instid0(SALU_CYCLE_1) | instskip(NEXT) | instid1(SALU_CYCLE_1)
	s_lshl_b64 s[2:3], s[12:13], 2
	s_add_u32 s2, s22, s2
	s_addc_u32 s3, s23, s3
	s_load_b32 s49, s[2:3], 0x0
.LBB34_7:
	s_cmp_eq_u64 s[28:29], 0
	s_cbranch_scc1 .LBB34_9
; %bb.8:
	s_ashr_i32 s13, s12, 31
	s_delay_alu instid0(SALU_CYCLE_1) | instskip(NEXT) | instid1(SALU_CYCLE_1)
	s_lshl_b64 s[2:3], s[12:13], 2
	s_add_u32 s2, s28, s2
	s_addc_u32 s3, s29, s3
	s_load_b32 s48, s[2:3], 0x0
.LBB34_9:
	s_sub_i32 s23, s11, s10
	s_delay_alu instid0(SALU_CYCLE_1)
	s_cmp_lt_i32 s23, 1
	s_cbranch_scc1 .LBB34_92
; %bb.10:
	s_sub_i32 s2, 0, s34
	s_abs_i32 s5, s12
	s_mul_i32 s4, s2, s36
	s_clause 0x1
	s_load_b64 s[2:3], s[0:1], 0x5c
	s_load_b128 s[44:47], s[0:1], 0x4c
	s_mul_hi_u32 s4, s36, s4
	s_ashr_i32 s7, s35, 31
	s_add_i32 s36, s36, s4
	s_ashr_i32 s4, s12, 31
	s_mul_hi_u32 s6, s5, s36
	s_xor_b32 s7, s4, s7
	s_mul_i32 s8, s6, s34
	s_load_b256 s[36:43], s[0:1], 0x2c
	s_sub_i32 s4, s5, s8
	s_add_i32 s5, s6, 1
	s_sub_i32 s8, s4, s34
	s_cmp_ge_u32 s4, s34
	s_mov_b32 s29, 0
	s_cselect_b32 s5, s5, s6
	s_cselect_b32 s4, s8, s4
	s_add_i32 s6, s5, 1
	s_cmp_ge_u32 s4, s34
	v_lshlrev_b32_e32 v8, 2, v0
	s_cselect_b32 s4, s6, s5
	s_waitcnt lgkmcnt(0)
	s_mul_i32 s28, s10, s46
	s_xor_b32 s6, s4, s7
	s_lshl_b64 s[4:5], s[28:29], 1
	s_sub_i32 s6, s6, s7
	s_mul_i32 s28, s47, s12
	s_add_u32 s7, s24, s4
	s_addc_u32 s8, s25, s5
	s_lshl_b64 s[4:5], s[28:29], 1
	s_mul_i32 s28, s10, s2
	s_add_u32 s43, s7, s4
	s_addc_u32 s46, s8, s5
	s_lshl_b64 s[4:5], s[28:29], 1
	;; [unrolled: 4-line block ×3, first 2 shown]
	s_mul_i32 s28, s36, s12
	s_add_u32 s47, s4, s2
	s_addc_u32 s36, s5, s3
	s_clause 0x1
	s_load_b128 s[24:27], s[0:1], 0x7c
	s_load_b64 s[4:5], s[0:1], 0xc8
	s_lshl_b64 s[2:3], s[28:29], 2
	s_mul_i32 s28, s10, s38
	s_add_u32 s50, s16, s2
	s_addc_u32 s51, s17, s3
	s_lshl_b64 s[2:3], s[28:29], 1
	s_mul_i32 s28, s6, s41
	s_add_u32 s7, s18, s2
	v_mbcnt_lo_u32_b32 v1, -1, 0
	v_and_b32_e32 v2, 0x80, v8
	v_dual_mov_b32 v12, 0 :: v_dual_and_b32 v3, 32, v0
	s_addc_u32 s8, s19, s3
	s_lshl_b64 s[2:3], s[28:29], 1
	s_mul_i32 s28, s10, s42
	s_waitcnt lgkmcnt(0)
	s_add_u32 s27, s7, s2
	s_addc_u32 s41, s8, s3
	s_clause 0x1
	s_load_b32 s42, s[0:1], 0xc
	s_load_b32 s8, s[0:1], 0x28
	v_or_b32_e32 v9, v1, v2
	v_or_b32_e32 v4, v1, v3
	s_lshl_b64 s[2:3], s[28:29], 1
	s_mul_i32 s28, s6, s45
	s_add_u32 s7, s20, s2
	v_or_b32_e32 v11, 0x60, v9
	v_lshrrev_b32_e32 v14, 3, v4
	s_addc_u32 s6, s21, s3
	s_lshl_b64 s[2:3], s[28:29], 1
	s_mul_i32 s28, s14, s24
	s_load_b64 s[16:17], s[0:1], 0x6c
	s_add_u32 s45, s7, s2
	s_addc_u32 s52, s6, s3
	s_lshl_b64 s[0:1], s[28:29], 2
	v_or_b32_e32 v10, 64, v9
	v_lshrrev_b32_e32 v7, 5, v11
	v_and_b32_e32 v16, 6, v14
	s_mul_i32 s28, s25, s12
	s_add_u32 s2, s4, s0
	s_addc_u32 s3, s5, s1
	s_lshl_b64 s[0:1], s[28:29], 2
	v_lshrrev_b32_e32 v5, 5, v2
	s_add_u32 s53, s2, s0
	v_lshrrev_b32_e32 v6, 5, v10
	v_and_b32_e32 v7, 6, v7
	v_lshl_add_u32 v4, v4, 2, v16
	s_addc_u32 s54, s3, s1
	s_add_i32 s0, s23, 0x7ff
	v_add_lshl_u32 v5, v5, v9, 1
	s_lshr_b32 s55, s0, 11
	s_waitcnt lgkmcnt(0)
	s_bitcmp1_b32 s8, 0
	v_add_lshl_u32 v6, v6, v9, 1
	v_add_lshl_u32 v7, v7, v9, 1
	v_lshl_add_u32 v17, v4, 1, 0
	v_and_b32_e32 v4, 15, v1
	s_cselect_b32 s56, -1, 0
	s_cmp_gt_i32 s42, 0
	v_or_b32_e32 v3, 31, v3
	s_cselect_b32 s57, -1, 0
	s_add_i32 s0, 0, 0x210
	s_and_b32 s1, s23, 0xff
	v_add_nc_u32_e32 v18, s0, v5
	v_add_nc_u32_e32 v19, s0, v6
	s_cmp_eq_u32 s1, 0
	v_add_nc_u32_e32 v20, s0, v7
	v_cmp_ne_u32_e64 s0, 0, v4
	v_cmp_lt_u32_e64 s1, 1, v4
	v_cmp_lt_u32_e64 s2, 3, v4
	;; [unrolled: 1-line block ×3, first 2 shown]
	v_add_nc_u32_e32 v4, -1, v1
	s_mul_i32 s28, s10, s16
	s_cselect_b32 s58, -1, 0
	s_lshl_b64 s[14:15], s[28:29], 1
	s_add_i32 s59, s55, -1
	v_cmp_gt_i32_e32 vcc_lo, 0, v4
	s_mul_i32 s28, s17, s12
	v_add_nc_u32_e32 v14, 0, v5
	v_lshrrev_b32_e32 v5, 2, v0
	v_cmp_eq_u32_e64 s5, v3, v0
	v_cndmask_b32_e32 v4, v4, v1, vcc_lo
	v_and_b32_e32 v3, 1, v1
	v_cmp_gt_u32_e64 s6, 2, v0
	v_lshl_add_u32 v22, v0, 3, 0
	v_cmp_gt_u32_e64 s8, 32, v0
	v_cmp_lt_u32_e64 s9, 31, v0
	v_cmp_eq_u32_e64 s10, 0, v0
	s_add_u32 s11, s30, s14
	v_lshlrev_b32_e32 v0, 1, v1
	s_addc_u32 s14, s31, s15
	s_lshl_b64 s[12:13], s[28:29], 1
	v_cmp_eq_u32_e64 s7, 0, v3
	s_add_u32 s11, s11, s12
	s_addc_u32 s12, s14, s13
	v_lshlrev_b32_e32 v3, 1, v2
	v_add_co_u32 v0, s11, s11, v0
	v_add_nc_u32_e32 v15, 0, v6
	v_and_b32_e32 v6, 16, v1
	v_and_b32_e32 v5, 8, v5
	v_lshlrev_b32_e32 v23, 2, v4
	v_add_co_ci_u32_e64 v4, null, s12, 0, s11
	v_add_co_u32 v24, vcc_lo, v0, v3
	v_or_b32_e32 v13, 32, v9
	v_add_nc_u32_e32 v16, 0, v7
	v_cmp_ne_u32_e64 s4, 0, v6
	v_add_nc_u32_e32 v21, 0, v5
	v_cmp_eq_u32_e64 s11, 0, v1
	v_add_co_ci_u32_e32 v25, vcc_lo, 0, v4, vcc_lo
	v_or_b32_e32 v26, 1, v8
	v_or_b32_e32 v27, 2, v8
	;; [unrolled: 1-line block ×3, first 2 shown]
	v_lshlrev_b32_e32 v29, 1, v1
	v_lshlrev_b32_e32 v30, 1, v2
	s_mov_b32 s60, 0x3e9b6dac
	s_add_i32 s61, 0, 0x430
	s_mov_b32 s62, 0
	s_branch .LBB34_12
.LBB34_11:                              ;   in Loop: Header=BB34_12 Depth=1
	s_or_b32 exec_lo, exec_lo, s12
	s_add_u32 s47, s47, 0x200
	s_addc_u32 s36, s36, 0
	s_add_u32 s43, s43, 0x200
	s_addc_u32 s46, s46, 0
	;; [unrolled: 2-line block ×4, first 2 shown]
	s_add_i32 s62, s62, 1
	s_delay_alu instid0(SALU_CYCLE_1)
	s_cmp_eq_u32 s62, s55
	s_cbranch_scc1 .LBB34_92
.LBB34_12:                              ; =>This Loop Header: Depth=1
                                        ;     Child Loop BB34_37 Depth 2
	v_add_co_u32 v0, s12, s43, v29
	s_delay_alu instid0(VALU_DEP_1) | instskip(SKIP_1) | instid1(VALU_DEP_2)
	v_add_co_ci_u32_e64 v1, null, s46, 0, s12
	s_lshl_b32 s24, s62, 8
	v_add_co_u32 v0, vcc_lo, v0, v30
	s_sub_i32 s19, s23, s24
	s_delay_alu instid0(VALU_DEP_2)
	v_add_co_ci_u32_e32 v1, vcc_lo, 0, v1, vcc_lo
	v_cmp_gt_u32_e64 s12, s19, v9
	s_waitcnt lgkmcnt(0)
	v_mov_b32_e32 v2, 0
	s_waitcnt_vscnt null, 0x0
	s_barrier
	buffer_gl0_inv
	s_and_saveexec_b32 s13, s12
	s_cbranch_execz .LBB34_14
; %bb.13:                               ;   in Loop: Header=BB34_12 Depth=1
	global_load_u16 v2, v[0:1], off
.LBB34_14:                              ;   in Loop: Header=BB34_12 Depth=1
	s_or_b32 exec_lo, exec_lo, s13
	v_cmp_gt_u32_e64 s13, s19, v13
	v_mov_b32_e32 v3, 0
	v_mov_b32_e32 v5, 0
	s_delay_alu instid0(VALU_DEP_3)
	s_and_saveexec_b32 s14, s13
	s_cbranch_execz .LBB34_16
; %bb.15:                               ;   in Loop: Header=BB34_12 Depth=1
	global_load_u16 v5, v[0:1], off offset:64
.LBB34_16:                              ;   in Loop: Header=BB34_12 Depth=1
	s_or_b32 exec_lo, exec_lo, s14
	v_cmp_gt_u32_e64 s14, s19, v10
	s_delay_alu instid0(VALU_DEP_1)
	s_and_saveexec_b32 s15, s14
	s_cbranch_execz .LBB34_18
; %bb.17:                               ;   in Loop: Header=BB34_12 Depth=1
	global_load_u16 v3, v[0:1], off offset:128
.LBB34_18:                              ;   in Loop: Header=BB34_12 Depth=1
	s_or_b32 exec_lo, exec_lo, s15
	v_cmp_gt_u32_e64 s15, s19, v11
	v_mov_b32_e32 v4, 0
	v_mov_b32_e32 v6, 0
	s_delay_alu instid0(VALU_DEP_3)
	s_and_saveexec_b32 s16, s15
	s_cbranch_execz .LBB34_20
; %bb.19:                               ;   in Loop: Header=BB34_12 Depth=1
	global_load_u16 v6, v[0:1], off offset:192
.LBB34_20:                              ;   in Loop: Header=BB34_12 Depth=1
	s_or_b32 exec_lo, exec_lo, s16
	s_waitcnt vmcnt(0)
	ds_store_b16 v14, v2
	ds_store_b16 v14, v5 offset:64
	ds_store_b16 v15, v3 offset:128
	;; [unrolled: 1-line block ×3, first 2 shown]
	; wave barrier
	ds_load_b64 v[0:1], v17
	v_add_co_u32 v2, s16, s47, v29
	s_delay_alu instid0(VALU_DEP_1) | instskip(SKIP_1) | instid1(VALU_DEP_2)
	v_add_co_ci_u32_e64 v3, null, s36, 0, s16
	s_waitcnt lgkmcnt(0)
	v_add_co_u32 v2, vcc_lo, v2, v30
	s_delay_alu instid0(VALU_DEP_2)
	v_add_co_ci_u32_e32 v3, vcc_lo, 0, v3, vcc_lo
	s_barrier
	buffer_gl0_inv
	s_and_saveexec_b32 s16, s12
	s_cbranch_execz .LBB34_22
; %bb.21:                               ;   in Loop: Header=BB34_12 Depth=1
	global_load_u16 v4, v[2:3], off
.LBB34_22:                              ;   in Loop: Header=BB34_12 Depth=1
	s_or_b32 exec_lo, exec_lo, s16
	v_dual_mov_b32 v5, 0 :: v_dual_mov_b32 v6, 0
	s_and_saveexec_b32 s16, s13
	s_cbranch_execnz .LBB34_86
; %bb.23:                               ;   in Loop: Header=BB34_12 Depth=1
	s_or_b32 exec_lo, exec_lo, s16
	s_and_saveexec_b32 s16, s14
	s_cbranch_execnz .LBB34_87
.LBB34_24:                              ;   in Loop: Header=BB34_12 Depth=1
	s_or_b32 exec_lo, exec_lo, s16
	v_mov_b32_e32 v7, 0
	s_and_saveexec_b32 s16, s15
	s_cbranch_execz .LBB34_26
.LBB34_25:                              ;   in Loop: Header=BB34_12 Depth=1
	global_load_u16 v7, v[2:3], off offset:192
.LBB34_26:                              ;   in Loop: Header=BB34_12 Depth=1
	s_or_b32 exec_lo, exec_lo, s16
	s_waitcnt vmcnt(0)
	ds_store_b16 v14, v4
	ds_store_b16 v14, v6 offset:64
	ds_store_b16 v15, v5 offset:128
	;; [unrolled: 1-line block ×3, first 2 shown]
	; wave barrier
	ds_load_b64 v[2:3], v17
	s_waitcnt lgkmcnt(0)
	v_lshlrev_b32_e32 v4, 16, v2
	s_delay_alu instid0(VALU_DEP_1) | instskip(NEXT) | instid1(VALU_DEP_1)
	v_add_f32_e32 v31, s48, v4
	v_cmp_ge_f32_e32 vcc_lo, 0x41a00000, v31
	s_and_b32 s16, s56, vcc_lo
	s_delay_alu instid0(SALU_CYCLE_1)
	s_and_saveexec_b32 s17, s16
	s_cbranch_execz .LBB34_28
; %bb.27:                               ;   in Loop: Header=BB34_12 Depth=1
	v_mul_f32_e32 v4, 0x3fb8aa3b, v31
	v_cmp_ngt_f32_e32 vcc_lo, 0xc2ce8ed0, v31
	s_delay_alu instid0(VALU_DEP_2) | instskip(SKIP_1) | instid1(VALU_DEP_2)
	v_rndne_f32_e32 v5, v4
	v_fma_f32 v6, 0x3fb8aa3b, v31, -v4
	v_sub_f32_e32 v4, v4, v5
	s_delay_alu instid0(VALU_DEP_2) | instskip(SKIP_1) | instid1(VALU_DEP_2)
	v_fmac_f32_e32 v6, 0x32a5705f, v31
	v_cvt_i32_f32_e32 v5, v5
	v_add_f32_e32 v4, v4, v6
	s_delay_alu instid0(VALU_DEP_1) | instskip(SKIP_2) | instid1(VALU_DEP_1)
	v_exp_f32_e32 v4, v4
	s_waitcnt_depctr 0xfff
	v_ldexp_f32 v4, v4, v5
	v_cndmask_b32_e32 v4, 0, v4, vcc_lo
	v_cmp_nlt_f32_e32 vcc_lo, 0x42b17218, v31
	s_delay_alu instid0(VALU_DEP_2) | instskip(NEXT) | instid1(VALU_DEP_1)
	v_cndmask_b32_e32 v6, 0x7f800000, v4, vcc_lo
	v_add_f32_e32 v7, 1.0, v6
	s_delay_alu instid0(VALU_DEP_1) | instskip(NEXT) | instid1(VALU_DEP_1)
	v_cvt_f64_f32_e32 v[4:5], v7
	v_frexp_exp_i32_f64_e32 v4, v[4:5]
	v_frexp_mant_f32_e32 v5, v7
	s_delay_alu instid0(VALU_DEP_1) | instskip(SKIP_1) | instid1(VALU_DEP_1)
	v_cmp_gt_f32_e32 vcc_lo, 0x3f2aaaab, v5
	v_add_f32_e32 v5, -1.0, v7
	v_dual_sub_f32 v32, v5, v7 :: v_dual_sub_f32 v5, v6, v5
	s_delay_alu instid0(VALU_DEP_1) | instskip(NEXT) | instid1(VALU_DEP_1)
	v_add_f32_e32 v32, 1.0, v32
	v_add_f32_e32 v5, v5, v32
	v_subrev_co_ci_u32_e32 v4, vcc_lo, 0, v4, vcc_lo
	s_delay_alu instid0(VALU_DEP_1) | instskip(SKIP_1) | instid1(VALU_DEP_2)
	v_sub_nc_u32_e32 v31, 0, v4
	v_cvt_f32_i32_e32 v4, v4
	v_ldexp_f32 v7, v7, v31
	v_ldexp_f32 v5, v5, v31
	s_delay_alu instid0(VALU_DEP_2) | instskip(SKIP_3) | instid1(VALU_DEP_4)
	v_add_f32_e32 v33, 1.0, v7
	v_add_f32_e32 v31, -1.0, v7
	v_cmp_eq_f32_e32 vcc_lo, 0x7f800000, v6
	v_cmp_gt_f32_e64 s16, 0x33800000, v6
	v_add_f32_e32 v32, -1.0, v33
	s_delay_alu instid0(VALU_DEP_4) | instskip(NEXT) | instid1(VALU_DEP_3)
	v_add_f32_e32 v34, 1.0, v31
	s_or_b32 vcc_lo, s16, vcc_lo
	s_delay_alu instid0(VALU_DEP_2) | instskip(NEXT) | instid1(VALU_DEP_1)
	v_sub_f32_e32 v32, v7, v32
	v_dual_sub_f32 v7, v7, v34 :: v_dual_add_f32 v32, v5, v32
	s_delay_alu instid0(VALU_DEP_1) | instskip(NEXT) | instid1(VALU_DEP_1)
	v_add_f32_e32 v5, v5, v7
	v_dual_add_f32 v35, v31, v5 :: v_dual_add_f32 v34, v33, v32
	s_delay_alu instid0(VALU_DEP_1) | instskip(NEXT) | instid1(VALU_DEP_2)
	v_sub_f32_e32 v31, v31, v35
	v_rcp_f32_e32 v7, v34
	v_sub_f32_e32 v33, v33, v34
	s_delay_alu instid0(VALU_DEP_1) | instskip(SKIP_2) | instid1(VALU_DEP_1)
	v_dual_add_f32 v5, v5, v31 :: v_dual_add_f32 v32, v32, v33
	s_waitcnt_depctr 0xfff
	v_mul_f32_e32 v36, v35, v7
	v_mul_f32_e32 v37, v34, v36
	s_delay_alu instid0(VALU_DEP_1) | instskip(NEXT) | instid1(VALU_DEP_1)
	v_fma_f32 v33, v36, v34, -v37
	v_fmac_f32_e32 v33, v36, v32
	s_delay_alu instid0(VALU_DEP_1) | instskip(NEXT) | instid1(VALU_DEP_1)
	v_add_f32_e32 v38, v37, v33
	v_sub_f32_e32 v39, v35, v38
	s_delay_alu instid0(VALU_DEP_1) | instskip(SKIP_1) | instid1(VALU_DEP_2)
	v_sub_f32_e32 v35, v35, v39
	v_sub_f32_e32 v31, v38, v37
	;; [unrolled: 1-line block ×3, first 2 shown]
	s_delay_alu instid0(VALU_DEP_2) | instskip(NEXT) | instid1(VALU_DEP_2)
	v_sub_f32_e32 v31, v31, v33
	v_add_f32_e32 v5, v5, v35
	s_delay_alu instid0(VALU_DEP_1) | instskip(NEXT) | instid1(VALU_DEP_1)
	v_add_f32_e32 v5, v31, v5
	v_add_f32_e32 v31, v39, v5
	s_delay_alu instid0(VALU_DEP_1) | instskip(NEXT) | instid1(VALU_DEP_1)
	v_mul_f32_e32 v33, v7, v31
	v_dual_sub_f32 v38, v39, v31 :: v_dual_mul_f32 v35, v34, v33
	s_delay_alu instid0(VALU_DEP_1) | instskip(NEXT) | instid1(VALU_DEP_2)
	v_add_f32_e32 v5, v5, v38
	v_fma_f32 v34, v33, v34, -v35
	s_delay_alu instid0(VALU_DEP_1) | instskip(NEXT) | instid1(VALU_DEP_1)
	v_fmac_f32_e32 v34, v33, v32
	v_add_f32_e32 v32, v35, v34
	s_delay_alu instid0(VALU_DEP_1) | instskip(SKIP_1) | instid1(VALU_DEP_2)
	v_sub_f32_e32 v37, v31, v32
	v_sub_f32_e32 v35, v32, v35
	;; [unrolled: 1-line block ×3, first 2 shown]
	s_delay_alu instid0(VALU_DEP_1) | instskip(NEXT) | instid1(VALU_DEP_1)
	v_sub_f32_e32 v31, v31, v32
	v_dual_sub_f32 v32, v35, v34 :: v_dual_add_f32 v5, v5, v31
	v_add_f32_e32 v31, v36, v33
	s_delay_alu instid0(VALU_DEP_1) | instskip(NEXT) | instid1(VALU_DEP_1)
	v_dual_add_f32 v5, v32, v5 :: v_dual_sub_f32 v32, v31, v36
	v_add_f32_e32 v5, v37, v5
	s_delay_alu instid0(VALU_DEP_1) | instskip(NEXT) | instid1(VALU_DEP_1)
	v_dual_sub_f32 v32, v33, v32 :: v_dual_mul_f32 v5, v7, v5
	v_add_f32_e32 v5, v32, v5
	s_delay_alu instid0(VALU_DEP_1) | instskip(NEXT) | instid1(VALU_DEP_1)
	v_add_f32_e32 v7, v31, v5
	v_mul_f32_e32 v32, v7, v7
	s_delay_alu instid0(VALU_DEP_1) | instskip(SKIP_1) | instid1(VALU_DEP_2)
	v_fmaak_f32 v33, s60, v32, 0x3ecc95a3
	v_mul_f32_e32 v34, v7, v32
	v_fmaak_f32 v32, v32, v33, 0x3f2aaada
	v_ldexp_f32 v33, v7, 1
	s_delay_alu instid0(VALU_DEP_2) | instskip(NEXT) | instid1(VALU_DEP_1)
	v_dual_sub_f32 v7, v7, v31 :: v_dual_mul_f32 v32, v34, v32
	v_dual_mul_f32 v34, 0x3f317218, v4 :: v_dual_sub_f32 v5, v5, v7
	s_delay_alu instid0(VALU_DEP_2) | instskip(NEXT) | instid1(VALU_DEP_2)
	v_add_f32_e32 v31, v33, v32
	v_ldexp_f32 v5, v5, 1
	s_delay_alu instid0(VALU_DEP_2) | instskip(NEXT) | instid1(VALU_DEP_4)
	v_sub_f32_e32 v7, v31, v33
	v_fma_f32 v33, 0x3f317218, v4, -v34
	s_delay_alu instid0(VALU_DEP_2) | instskip(NEXT) | instid1(VALU_DEP_1)
	v_sub_f32_e32 v7, v32, v7
	v_dual_fmac_f32 v33, 0xb102e308, v4 :: v_dual_add_f32 v4, v5, v7
	s_delay_alu instid0(VALU_DEP_1) | instskip(NEXT) | instid1(VALU_DEP_1)
	v_add_f32_e32 v5, v34, v33
	v_dual_add_f32 v7, v31, v4 :: v_dual_sub_f32 v34, v5, v34
	s_delay_alu instid0(VALU_DEP_1) | instskip(SKIP_1) | instid1(VALU_DEP_3)
	v_add_f32_e32 v32, v5, v7
	v_sub_f32_e32 v31, v7, v31
	v_sub_f32_e32 v33, v33, v34
	s_delay_alu instid0(VALU_DEP_3) | instskip(NEXT) | instid1(VALU_DEP_3)
	v_sub_f32_e32 v35, v32, v5
	v_sub_f32_e32 v4, v4, v31
	s_delay_alu instid0(VALU_DEP_2) | instskip(SKIP_1) | instid1(VALU_DEP_3)
	v_sub_f32_e32 v36, v32, v35
	v_sub_f32_e32 v7, v7, v35
	v_add_f32_e32 v31, v33, v4
	s_delay_alu instid0(VALU_DEP_3) | instskip(NEXT) | instid1(VALU_DEP_1)
	v_sub_f32_e32 v5, v5, v36
	v_add_f32_e32 v5, v7, v5
	s_delay_alu instid0(VALU_DEP_3) | instskip(NEXT) | instid1(VALU_DEP_1)
	v_sub_f32_e32 v7, v31, v33
	v_dual_add_f32 v5, v31, v5 :: v_dual_sub_f32 v4, v4, v7
	s_delay_alu instid0(VALU_DEP_1) | instskip(NEXT) | instid1(VALU_DEP_1)
	v_dual_sub_f32 v31, v31, v7 :: v_dual_add_f32 v34, v32, v5
	v_sub_f32_e32 v31, v33, v31
	s_delay_alu instid0(VALU_DEP_1) | instskip(NEXT) | instid1(VALU_DEP_1)
	v_dual_sub_f32 v7, v34, v32 :: v_dual_add_f32 v4, v4, v31
	v_sub_f32_e32 v5, v5, v7
	s_delay_alu instid0(VALU_DEP_1) | instskip(NEXT) | instid1(VALU_DEP_1)
	v_add_f32_e32 v4, v4, v5
	v_add_f32_e32 v4, v34, v4
	s_delay_alu instid0(VALU_DEP_1)
	v_cndmask_b32_e32 v31, v4, v6, vcc_lo
.LBB34_28:                              ;   in Loop: Header=BB34_12 Depth=1
	s_or_b32 exec_lo, exec_lo, s17
	v_and_b32_e32 v2, 0xffff0000, v2
	s_delay_alu instid0(VALU_DEP_1) | instskip(NEXT) | instid1(VALU_DEP_1)
	v_add_f32_e32 v32, s48, v2
	v_cmp_ge_f32_e32 vcc_lo, 0x41a00000, v32
	s_and_b32 s16, s56, vcc_lo
	s_delay_alu instid0(SALU_CYCLE_1)
	s_and_saveexec_b32 s17, s16
	s_cbranch_execz .LBB34_30
; %bb.29:                               ;   in Loop: Header=BB34_12 Depth=1
	v_mul_f32_e32 v2, 0x3fb8aa3b, v32
	v_cmp_ngt_f32_e32 vcc_lo, 0xc2ce8ed0, v32
	s_delay_alu instid0(VALU_DEP_2) | instskip(SKIP_1) | instid1(VALU_DEP_2)
	v_rndne_f32_e32 v4, v2
	v_fma_f32 v5, 0x3fb8aa3b, v32, -v2
	v_sub_f32_e32 v2, v2, v4
	s_delay_alu instid0(VALU_DEP_2) | instskip(SKIP_1) | instid1(VALU_DEP_2)
	v_fmac_f32_e32 v5, 0x32a5705f, v32
	v_cvt_i32_f32_e32 v4, v4
	v_add_f32_e32 v2, v2, v5
	s_delay_alu instid0(VALU_DEP_1) | instskip(SKIP_2) | instid1(VALU_DEP_1)
	v_exp_f32_e32 v2, v2
	s_waitcnt_depctr 0xfff
	v_ldexp_f32 v2, v2, v4
	v_cndmask_b32_e32 v2, 0, v2, vcc_lo
	v_cmp_nlt_f32_e32 vcc_lo, 0x42b17218, v32
	s_delay_alu instid0(VALU_DEP_2) | instskip(NEXT) | instid1(VALU_DEP_1)
	v_cndmask_b32_e32 v2, 0x7f800000, v2, vcc_lo
	v_add_f32_e32 v6, 1.0, v2
	s_delay_alu instid0(VALU_DEP_1) | instskip(NEXT) | instid1(VALU_DEP_1)
	v_cvt_f64_f32_e32 v[4:5], v6
	v_frexp_exp_i32_f64_e32 v4, v[4:5]
	v_frexp_mant_f32_e32 v5, v6
	s_delay_alu instid0(VALU_DEP_1) | instskip(SKIP_1) | instid1(VALU_DEP_1)
	v_cmp_gt_f32_e32 vcc_lo, 0x3f2aaaab, v5
	v_add_f32_e32 v5, -1.0, v6
	v_dual_sub_f32 v32, v5, v6 :: v_dual_sub_f32 v5, v2, v5
	v_subrev_co_ci_u32_e32 v4, vcc_lo, 0, v4, vcc_lo
	s_delay_alu instid0(VALU_DEP_1) | instskip(SKIP_1) | instid1(VALU_DEP_2)
	v_sub_nc_u32_e32 v7, 0, v4
	v_cvt_f32_i32_e32 v4, v4
	v_ldexp_f32 v6, v6, v7
	s_delay_alu instid0(VALU_DEP_1) | instskip(NEXT) | instid1(VALU_DEP_1)
	v_dual_add_f32 v32, 1.0, v32 :: v_dual_add_f32 v33, 1.0, v6
	v_add_f32_e32 v5, v5, v32
	s_delay_alu instid0(VALU_DEP_1) | instskip(NEXT) | instid1(VALU_DEP_3)
	v_ldexp_f32 v5, v5, v7
	v_dual_add_f32 v7, -1.0, v6 :: v_dual_add_f32 v32, -1.0, v33
	s_delay_alu instid0(VALU_DEP_1) | instskip(NEXT) | instid1(VALU_DEP_2)
	v_add_f32_e32 v34, 1.0, v7
	v_sub_f32_e32 v32, v6, v32
	s_delay_alu instid0(VALU_DEP_2) | instskip(NEXT) | instid1(VALU_DEP_2)
	v_sub_f32_e32 v6, v6, v34
	v_add_f32_e32 v32, v5, v32
	s_delay_alu instid0(VALU_DEP_2) | instskip(NEXT) | instid1(VALU_DEP_1)
	v_add_f32_e32 v5, v5, v6
	v_dual_add_f32 v35, v7, v5 :: v_dual_add_f32 v34, v33, v32
	v_cmp_eq_f32_e32 vcc_lo, 0x7f800000, v2
	v_cmp_gt_f32_e64 s16, 0x33800000, v2
	s_delay_alu instid0(VALU_DEP_3) | instskip(NEXT) | instid1(VALU_DEP_4)
	v_sub_f32_e32 v7, v7, v35
	v_rcp_f32_e32 v6, v34
	v_sub_f32_e32 v33, v33, v34
	s_delay_alu instid0(VALU_DEP_3) | instskip(NEXT) | instid1(VALU_DEP_1)
	s_or_b32 vcc_lo, s16, vcc_lo
	v_dual_add_f32 v5, v5, v7 :: v_dual_add_f32 v32, v32, v33
	s_waitcnt_depctr 0xfff
	v_mul_f32_e32 v36, v35, v6
	s_delay_alu instid0(VALU_DEP_1) | instskip(NEXT) | instid1(VALU_DEP_1)
	v_mul_f32_e32 v37, v34, v36
	v_fma_f32 v33, v36, v34, -v37
	s_delay_alu instid0(VALU_DEP_1) | instskip(NEXT) | instid1(VALU_DEP_1)
	v_fmac_f32_e32 v33, v36, v32
	v_add_f32_e32 v38, v37, v33
	s_delay_alu instid0(VALU_DEP_1) | instskip(NEXT) | instid1(VALU_DEP_1)
	v_sub_f32_e32 v39, v35, v38
	v_sub_f32_e32 v35, v35, v39
	s_delay_alu instid0(VALU_DEP_1) | instskip(SKIP_1) | instid1(VALU_DEP_2)
	v_sub_f32_e32 v35, v35, v38
	v_sub_f32_e32 v7, v38, v37
	v_add_f32_e32 v5, v5, v35
	s_delay_alu instid0(VALU_DEP_2) | instskip(NEXT) | instid1(VALU_DEP_1)
	v_sub_f32_e32 v7, v7, v33
	v_add_f32_e32 v5, v7, v5
	s_delay_alu instid0(VALU_DEP_1) | instskip(NEXT) | instid1(VALU_DEP_1)
	v_add_f32_e32 v7, v39, v5
	v_mul_f32_e32 v33, v6, v7
	s_delay_alu instid0(VALU_DEP_1) | instskip(NEXT) | instid1(VALU_DEP_1)
	v_dual_sub_f32 v38, v39, v7 :: v_dual_mul_f32 v35, v34, v33
	v_add_f32_e32 v5, v5, v38
	s_delay_alu instid0(VALU_DEP_2) | instskip(NEXT) | instid1(VALU_DEP_1)
	v_fma_f32 v34, v33, v34, -v35
	v_fmac_f32_e32 v34, v33, v32
	s_delay_alu instid0(VALU_DEP_1) | instskip(NEXT) | instid1(VALU_DEP_1)
	v_add_f32_e32 v32, v35, v34
	v_sub_f32_e32 v37, v7, v32
	s_delay_alu instid0(VALU_DEP_1) | instskip(NEXT) | instid1(VALU_DEP_1)
	v_sub_f32_e32 v7, v7, v37
	v_sub_f32_e32 v7, v7, v32
	s_delay_alu instid0(VALU_DEP_1) | instskip(SKIP_2) | instid1(VALU_DEP_1)
	v_add_f32_e32 v5, v5, v7
	v_add_f32_e32 v7, v36, v33
	v_sub_f32_e32 v35, v32, v35
	v_sub_f32_e32 v32, v35, v34
	s_delay_alu instid0(VALU_DEP_1) | instskip(NEXT) | instid1(VALU_DEP_1)
	v_dual_add_f32 v5, v32, v5 :: v_dual_sub_f32 v32, v7, v36
	v_add_f32_e32 v5, v37, v5
	s_delay_alu instid0(VALU_DEP_1) | instskip(NEXT) | instid1(VALU_DEP_1)
	v_dual_sub_f32 v32, v33, v32 :: v_dual_mul_f32 v5, v6, v5
	v_add_f32_e32 v5, v32, v5
	s_delay_alu instid0(VALU_DEP_1) | instskip(NEXT) | instid1(VALU_DEP_1)
	v_add_f32_e32 v6, v7, v5
	v_mul_f32_e32 v32, v6, v6
	s_delay_alu instid0(VALU_DEP_1) | instskip(SKIP_1) | instid1(VALU_DEP_2)
	v_fmaak_f32 v33, s60, v32, 0x3ecc95a3
	v_mul_f32_e32 v34, v6, v32
	v_fmaak_f32 v32, v32, v33, 0x3f2aaada
	v_ldexp_f32 v33, v6, 1
	v_sub_f32_e32 v6, v6, v7
	s_delay_alu instid0(VALU_DEP_3) | instskip(SKIP_1) | instid1(VALU_DEP_2)
	v_mul_f32_e32 v32, v34, v32
	v_mul_f32_e32 v34, 0x3f317218, v4
	v_add_f32_e32 v7, v33, v32
	s_delay_alu instid0(VALU_DEP_1) | instskip(NEXT) | instid1(VALU_DEP_3)
	v_dual_sub_f32 v5, v5, v6 :: v_dual_sub_f32 v6, v7, v33
	v_fma_f32 v33, 0x3f317218, v4, -v34
	s_delay_alu instid0(VALU_DEP_2) | instskip(NEXT) | instid1(VALU_DEP_2)
	v_ldexp_f32 v5, v5, 1
	v_dual_sub_f32 v6, v32, v6 :: v_dual_fmac_f32 v33, 0xb102e308, v4
	s_delay_alu instid0(VALU_DEP_1) | instskip(NEXT) | instid1(VALU_DEP_1)
	v_dual_add_f32 v4, v5, v6 :: v_dual_add_f32 v5, v34, v33
	v_add_f32_e32 v6, v7, v4
	s_delay_alu instid0(VALU_DEP_1) | instskip(NEXT) | instid1(VALU_DEP_1)
	v_add_f32_e32 v32, v5, v6
	v_sub_f32_e32 v35, v32, v5
	s_delay_alu instid0(VALU_DEP_1) | instskip(SKIP_2) | instid1(VALU_DEP_2)
	v_sub_f32_e32 v36, v32, v35
	v_sub_f32_e32 v7, v6, v7
	;; [unrolled: 1-line block ×5, first 2 shown]
	s_delay_alu instid0(VALU_DEP_1) | instskip(NEXT) | instid1(VALU_DEP_1)
	v_sub_f32_e32 v33, v33, v34
	v_add_f32_e32 v7, v33, v4
	v_sub_f32_e32 v5, v5, v36
	s_delay_alu instid0(VALU_DEP_1) | instskip(NEXT) | instid1(VALU_DEP_3)
	v_add_f32_e32 v5, v6, v5
	v_sub_f32_e32 v6, v7, v33
	s_delay_alu instid0(VALU_DEP_1) | instskip(NEXT) | instid1(VALU_DEP_1)
	v_dual_sub_f32 v4, v4, v6 :: v_dual_add_f32 v5, v7, v5
	v_dual_sub_f32 v7, v7, v6 :: v_dual_add_f32 v34, v32, v5
	s_delay_alu instid0(VALU_DEP_1) | instskip(NEXT) | instid1(VALU_DEP_1)
	v_dual_sub_f32 v7, v33, v7 :: v_dual_sub_f32 v6, v34, v32
	v_dual_add_f32 v4, v4, v7 :: v_dual_sub_f32 v5, v5, v6
	s_delay_alu instid0(VALU_DEP_1) | instskip(NEXT) | instid1(VALU_DEP_1)
	v_add_f32_e32 v4, v4, v5
	v_add_f32_e32 v4, v34, v4
	s_delay_alu instid0(VALU_DEP_1)
	v_cndmask_b32_e32 v32, v4, v2, vcc_lo
.LBB34_30:                              ;   in Loop: Header=BB34_12 Depth=1
	s_or_b32 exec_lo, exec_lo, s17
	v_lshlrev_b32_e32 v2, 16, v3
	s_delay_alu instid0(VALU_DEP_1) | instskip(NEXT) | instid1(VALU_DEP_1)
	v_add_f32_e32 v33, s48, v2
	v_cmp_ge_f32_e32 vcc_lo, 0x41a00000, v33
	s_and_b32 s16, s56, vcc_lo
	s_delay_alu instid0(SALU_CYCLE_1)
	s_and_saveexec_b32 s17, s16
	s_cbranch_execz .LBB34_32
; %bb.31:                               ;   in Loop: Header=BB34_12 Depth=1
	v_mul_f32_e32 v2, 0x3fb8aa3b, v33
	v_cmp_ngt_f32_e32 vcc_lo, 0xc2ce8ed0, v33
	s_delay_alu instid0(VALU_DEP_2) | instskip(SKIP_1) | instid1(VALU_DEP_1)
	v_rndne_f32_e32 v4, v2
	v_fma_f32 v5, 0x3fb8aa3b, v33, -v2
	v_dual_sub_f32 v2, v2, v4 :: v_dual_fmac_f32 v5, 0x32a5705f, v33
	v_cvt_i32_f32_e32 v4, v4
	s_delay_alu instid0(VALU_DEP_2) | instskip(NEXT) | instid1(VALU_DEP_1)
	v_add_f32_e32 v2, v2, v5
	v_exp_f32_e32 v2, v2
	s_waitcnt_depctr 0xfff
	v_ldexp_f32 v2, v2, v4
	s_delay_alu instid0(VALU_DEP_1) | instskip(SKIP_1) | instid1(VALU_DEP_2)
	v_cndmask_b32_e32 v2, 0, v2, vcc_lo
	v_cmp_nlt_f32_e32 vcc_lo, 0x42b17218, v33
	v_cndmask_b32_e32 v2, 0x7f800000, v2, vcc_lo
	s_delay_alu instid0(VALU_DEP_1) | instskip(NEXT) | instid1(VALU_DEP_1)
	v_add_f32_e32 v6, 1.0, v2
	v_cvt_f64_f32_e32 v[4:5], v6
	s_delay_alu instid0(VALU_DEP_1) | instskip(SKIP_1) | instid1(VALU_DEP_1)
	v_frexp_exp_i32_f64_e32 v4, v[4:5]
	v_frexp_mant_f32_e32 v5, v6
	v_cmp_gt_f32_e32 vcc_lo, 0x3f2aaaab, v5
	v_add_f32_e32 v5, -1.0, v6
	s_delay_alu instid0(VALU_DEP_1) | instskip(SKIP_1) | instid1(VALU_DEP_2)
	v_sub_f32_e32 v33, v5, v6
	v_sub_f32_e32 v5, v2, v5
	v_add_f32_e32 v33, 1.0, v33
	s_delay_alu instid0(VALU_DEP_1) | instskip(SKIP_3) | instid1(VALU_DEP_2)
	v_add_f32_e32 v5, v5, v33
	v_cmp_gt_f32_e64 s16, 0x33800000, v2
	v_subrev_co_ci_u32_e32 v4, vcc_lo, 0, v4, vcc_lo
	v_cmp_eq_f32_e32 vcc_lo, 0x7f800000, v2
	v_sub_nc_u32_e32 v7, 0, v4
	v_cvt_f32_i32_e32 v4, v4
	s_or_b32 vcc_lo, s16, vcc_lo
	s_delay_alu instid0(VALU_DEP_2) | instskip(SKIP_1) | instid1(VALU_DEP_2)
	v_ldexp_f32 v6, v6, v7
	v_ldexp_f32 v5, v5, v7
	v_add_f32_e32 v34, 1.0, v6
	v_add_f32_e32 v7, -1.0, v6
	s_delay_alu instid0(VALU_DEP_1) | instskip(NEXT) | instid1(VALU_DEP_3)
	v_add_f32_e32 v35, 1.0, v7
	v_add_f32_e32 v33, -1.0, v34
	s_delay_alu instid0(VALU_DEP_1) | instskip(NEXT) | instid1(VALU_DEP_1)
	v_sub_f32_e32 v33, v6, v33
	v_dual_sub_f32 v6, v6, v35 :: v_dual_add_f32 v33, v5, v33
	s_delay_alu instid0(VALU_DEP_1) | instskip(NEXT) | instid1(VALU_DEP_2)
	v_add_f32_e32 v35, v34, v33
	v_add_f32_e32 v5, v5, v6
	s_delay_alu instid0(VALU_DEP_2) | instskip(SKIP_1) | instid1(VALU_DEP_1)
	v_rcp_f32_e32 v6, v35
	v_sub_f32_e32 v34, v34, v35
	v_dual_add_f32 v36, v7, v5 :: v_dual_add_f32 v33, v33, v34
	s_delay_alu instid0(VALU_DEP_1) | instskip(SKIP_2) | instid1(VALU_DEP_1)
	v_sub_f32_e32 v7, v7, v36
	s_waitcnt_depctr 0xfff
	v_mul_f32_e32 v37, v36, v6
	v_mul_f32_e32 v38, v35, v37
	s_delay_alu instid0(VALU_DEP_1) | instskip(NEXT) | instid1(VALU_DEP_1)
	v_fma_f32 v34, v37, v35, -v38
	v_fmac_f32_e32 v34, v37, v33
	s_delay_alu instid0(VALU_DEP_1) | instskip(NEXT) | instid1(VALU_DEP_1)
	v_add_f32_e32 v39, v38, v34
	v_sub_f32_e32 v40, v36, v39
	s_delay_alu instid0(VALU_DEP_1) | instskip(NEXT) | instid1(VALU_DEP_1)
	v_dual_sub_f32 v36, v36, v40 :: v_dual_add_f32 v5, v5, v7
	v_dual_sub_f32 v7, v39, v38 :: v_dual_sub_f32 v36, v36, v39
	s_delay_alu instid0(VALU_DEP_1) | instskip(NEXT) | instid1(VALU_DEP_2)
	v_sub_f32_e32 v7, v7, v34
	v_add_f32_e32 v5, v5, v36
	s_delay_alu instid0(VALU_DEP_1) | instskip(NEXT) | instid1(VALU_DEP_1)
	v_add_f32_e32 v5, v7, v5
	v_add_f32_e32 v7, v40, v5
	s_delay_alu instid0(VALU_DEP_1) | instskip(NEXT) | instid1(VALU_DEP_1)
	v_mul_f32_e32 v34, v6, v7
	v_dual_sub_f32 v39, v40, v7 :: v_dual_mul_f32 v36, v35, v34
	s_delay_alu instid0(VALU_DEP_1) | instskip(NEXT) | instid1(VALU_DEP_2)
	v_add_f32_e32 v5, v5, v39
	v_fma_f32 v35, v34, v35, -v36
	s_delay_alu instid0(VALU_DEP_1) | instskip(NEXT) | instid1(VALU_DEP_1)
	v_fmac_f32_e32 v35, v34, v33
	v_add_f32_e32 v33, v36, v35
	s_delay_alu instid0(VALU_DEP_1) | instskip(NEXT) | instid1(VALU_DEP_1)
	v_sub_f32_e32 v38, v7, v33
	v_dual_sub_f32 v36, v33, v36 :: v_dual_sub_f32 v7, v7, v38
	s_delay_alu instid0(VALU_DEP_1) | instskip(NEXT) | instid1(VALU_DEP_2)
	v_sub_f32_e32 v7, v7, v33
	v_sub_f32_e32 v33, v36, v35
	s_delay_alu instid0(VALU_DEP_2) | instskip(SKIP_1) | instid1(VALU_DEP_2)
	v_add_f32_e32 v5, v5, v7
	v_add_f32_e32 v7, v37, v34
	;; [unrolled: 1-line block ×3, first 2 shown]
	s_delay_alu instid0(VALU_DEP_2) | instskip(NEXT) | instid1(VALU_DEP_2)
	v_sub_f32_e32 v33, v7, v37
	v_add_f32_e32 v5, v38, v5
	s_delay_alu instid0(VALU_DEP_2) | instskip(NEXT) | instid1(VALU_DEP_2)
	v_sub_f32_e32 v33, v34, v33
	v_mul_f32_e32 v5, v6, v5
	s_delay_alu instid0(VALU_DEP_1) | instskip(NEXT) | instid1(VALU_DEP_1)
	v_add_f32_e32 v5, v33, v5
	v_add_f32_e32 v6, v7, v5
	s_delay_alu instid0(VALU_DEP_1) | instskip(NEXT) | instid1(VALU_DEP_1)
	v_mul_f32_e32 v33, v6, v6
	v_fmaak_f32 v34, s60, v33, 0x3ecc95a3
	v_mul_f32_e32 v35, v6, v33
	s_delay_alu instid0(VALU_DEP_2) | instskip(SKIP_1) | instid1(VALU_DEP_2)
	v_fmaak_f32 v33, v33, v34, 0x3f2aaada
	v_ldexp_f32 v34, v6, 1
	v_dual_sub_f32 v6, v6, v7 :: v_dual_mul_f32 v33, v35, v33
	v_mul_f32_e32 v35, 0x3f317218, v4
	s_delay_alu instid0(VALU_DEP_2) | instskip(NEXT) | instid1(VALU_DEP_3)
	v_sub_f32_e32 v5, v5, v6
	v_add_f32_e32 v7, v34, v33
	s_delay_alu instid0(VALU_DEP_2) | instskip(NEXT) | instid1(VALU_DEP_2)
	v_ldexp_f32 v5, v5, 1
	v_sub_f32_e32 v6, v7, v34
	v_fma_f32 v34, 0x3f317218, v4, -v35
	s_delay_alu instid0(VALU_DEP_2) | instskip(NEXT) | instid1(VALU_DEP_2)
	v_sub_f32_e32 v6, v33, v6
	v_fmac_f32_e32 v34, 0xb102e308, v4
	s_delay_alu instid0(VALU_DEP_2) | instskip(NEXT) | instid1(VALU_DEP_2)
	v_add_f32_e32 v4, v5, v6
	v_add_f32_e32 v5, v35, v34
	s_delay_alu instid0(VALU_DEP_1) | instskip(NEXT) | instid1(VALU_DEP_1)
	v_dual_add_f32 v6, v7, v4 :: v_dual_sub_f32 v35, v5, v35
	v_add_f32_e32 v33, v5, v6
	v_sub_f32_e32 v7, v6, v7
	s_delay_alu instid0(VALU_DEP_3) | instskip(NEXT) | instid1(VALU_DEP_3)
	v_sub_f32_e32 v34, v34, v35
	v_sub_f32_e32 v36, v33, v5
	s_delay_alu instid0(VALU_DEP_1) | instskip(SKIP_1) | instid1(VALU_DEP_2)
	v_dual_sub_f32 v4, v4, v7 :: v_dual_sub_f32 v37, v33, v36
	v_sub_f32_e32 v6, v6, v36
	v_add_f32_e32 v7, v34, v4
	s_delay_alu instid0(VALU_DEP_3) | instskip(NEXT) | instid1(VALU_DEP_1)
	v_sub_f32_e32 v5, v5, v37
	v_dual_add_f32 v5, v6, v5 :: v_dual_sub_f32 v6, v7, v34
	s_delay_alu instid0(VALU_DEP_1) | instskip(NEXT) | instid1(VALU_DEP_2)
	v_add_f32_e32 v5, v7, v5
	v_sub_f32_e32 v7, v7, v6
	s_delay_alu instid0(VALU_DEP_2) | instskip(NEXT) | instid1(VALU_DEP_1)
	v_dual_sub_f32 v4, v4, v6 :: v_dual_add_f32 v35, v33, v5
	v_dual_sub_f32 v7, v34, v7 :: v_dual_sub_f32 v6, v35, v33
	s_delay_alu instid0(VALU_DEP_1) | instskip(NEXT) | instid1(VALU_DEP_1)
	v_dual_add_f32 v4, v4, v7 :: v_dual_sub_f32 v5, v5, v6
	v_add_f32_e32 v4, v4, v5
	s_delay_alu instid0(VALU_DEP_1) | instskip(NEXT) | instid1(VALU_DEP_1)
	v_add_f32_e32 v4, v35, v4
	v_cndmask_b32_e32 v33, v4, v2, vcc_lo
.LBB34_32:                              ;   in Loop: Header=BB34_12 Depth=1
	s_or_b32 exec_lo, exec_lo, s17
	v_and_b32_e32 v2, 0xffff0000, v3
	s_delay_alu instid0(VALU_DEP_1) | instskip(NEXT) | instid1(VALU_DEP_1)
	v_add_f32_e32 v38, s48, v2
	v_cmp_ge_f32_e32 vcc_lo, 0x41a00000, v38
	s_and_b32 s16, s56, vcc_lo
	s_delay_alu instid0(SALU_CYCLE_1)
	s_and_saveexec_b32 s17, s16
	s_cbranch_execz .LBB34_34
; %bb.33:                               ;   in Loop: Header=BB34_12 Depth=1
	v_mul_f32_e32 v2, 0x3fb8aa3b, v38
	v_cmp_ngt_f32_e32 vcc_lo, 0xc2ce8ed0, v38
	s_delay_alu instid0(VALU_DEP_2) | instskip(SKIP_1) | instid1(VALU_DEP_2)
	v_rndne_f32_e32 v3, v2
	v_fma_f32 v4, 0x3fb8aa3b, v38, -v2
	v_sub_f32_e32 v2, v2, v3
	s_delay_alu instid0(VALU_DEP_2) | instskip(SKIP_1) | instid1(VALU_DEP_2)
	v_fmac_f32_e32 v4, 0x32a5705f, v38
	v_cvt_i32_f32_e32 v3, v3
	v_add_f32_e32 v2, v2, v4
	s_delay_alu instid0(VALU_DEP_1) | instskip(SKIP_2) | instid1(VALU_DEP_1)
	v_exp_f32_e32 v2, v2
	s_waitcnt_depctr 0xfff
	v_ldexp_f32 v2, v2, v3
	v_cndmask_b32_e32 v2, 0, v2, vcc_lo
	v_cmp_nlt_f32_e32 vcc_lo, 0x42b17218, v38
	s_delay_alu instid0(VALU_DEP_2) | instskip(NEXT) | instid1(VALU_DEP_1)
	v_cndmask_b32_e32 v4, 0x7f800000, v2, vcc_lo
	v_add_f32_e32 v5, 1.0, v4
	s_delay_alu instid0(VALU_DEP_1) | instskip(NEXT) | instid1(VALU_DEP_1)
	v_cvt_f64_f32_e32 v[2:3], v5
	v_frexp_exp_i32_f64_e32 v2, v[2:3]
	v_frexp_mant_f32_e32 v3, v5
	s_delay_alu instid0(VALU_DEP_1) | instskip(SKIP_1) | instid1(VALU_DEP_1)
	v_cmp_gt_f32_e32 vcc_lo, 0x3f2aaaab, v3
	v_add_f32_e32 v3, -1.0, v5
	v_sub_f32_e32 v7, v3, v5
	v_sub_f32_e32 v3, v4, v3
	s_delay_alu instid0(VALU_DEP_2) | instskip(NEXT) | instid1(VALU_DEP_1)
	v_add_f32_e32 v7, 1.0, v7
	v_add_f32_e32 v3, v3, v7
	v_cmp_gt_f32_e64 s16, 0x33800000, v4
	v_subrev_co_ci_u32_e32 v2, vcc_lo, 0, v2, vcc_lo
	v_cmp_eq_f32_e32 vcc_lo, 0x7f800000, v4
	s_delay_alu instid0(VALU_DEP_2) | instskip(SKIP_2) | instid1(VALU_DEP_2)
	v_sub_nc_u32_e32 v6, 0, v2
	v_cvt_f32_i32_e32 v2, v2
	s_or_b32 vcc_lo, s16, vcc_lo
	v_ldexp_f32 v5, v5, v6
	v_ldexp_f32 v3, v3, v6
	s_delay_alu instid0(VALU_DEP_2) | instskip(NEXT) | instid1(VALU_DEP_1)
	v_add_f32_e32 v34, 1.0, v5
	v_dual_add_f32 v6, -1.0, v5 :: v_dual_add_f32 v7, -1.0, v34
	s_delay_alu instid0(VALU_DEP_1) | instskip(NEXT) | instid1(VALU_DEP_2)
	v_add_f32_e32 v35, 1.0, v6
	v_sub_f32_e32 v7, v5, v7
	s_delay_alu instid0(VALU_DEP_2) | instskip(NEXT) | instid1(VALU_DEP_2)
	v_sub_f32_e32 v5, v5, v35
	v_add_f32_e32 v7, v3, v7
	s_delay_alu instid0(VALU_DEP_2) | instskip(NEXT) | instid1(VALU_DEP_1)
	v_add_f32_e32 v3, v3, v5
	v_add_f32_e32 v36, v6, v3
	s_delay_alu instid0(VALU_DEP_1) | instskip(NEXT) | instid1(VALU_DEP_4)
	v_sub_f32_e32 v6, v6, v36
	v_add_f32_e32 v35, v34, v7
	s_delay_alu instid0(VALU_DEP_1) | instskip(NEXT) | instid1(VALU_DEP_2)
	v_rcp_f32_e32 v5, v35
	v_dual_sub_f32 v34, v34, v35 :: v_dual_add_f32 v3, v3, v6
	s_delay_alu instid0(VALU_DEP_1) | instskip(SKIP_2) | instid1(VALU_DEP_1)
	v_add_f32_e32 v7, v7, v34
	s_waitcnt_depctr 0xfff
	v_mul_f32_e32 v37, v36, v5
	v_mul_f32_e32 v38, v35, v37
	s_delay_alu instid0(VALU_DEP_1) | instskip(NEXT) | instid1(VALU_DEP_1)
	v_fma_f32 v34, v37, v35, -v38
	v_fmac_f32_e32 v34, v37, v7
	s_delay_alu instid0(VALU_DEP_1) | instskip(NEXT) | instid1(VALU_DEP_1)
	v_add_f32_e32 v39, v38, v34
	v_sub_f32_e32 v40, v36, v39
	v_sub_f32_e32 v6, v39, v38
	s_delay_alu instid0(VALU_DEP_2) | instskip(NEXT) | instid1(VALU_DEP_1)
	v_sub_f32_e32 v36, v36, v40
	v_sub_f32_e32 v36, v36, v39
	s_delay_alu instid0(VALU_DEP_1) | instskip(NEXT) | instid1(VALU_DEP_1)
	v_dual_sub_f32 v6, v6, v34 :: v_dual_add_f32 v3, v3, v36
	v_add_f32_e32 v3, v6, v3
	s_delay_alu instid0(VALU_DEP_1) | instskip(NEXT) | instid1(VALU_DEP_1)
	v_add_f32_e32 v6, v40, v3
	v_mul_f32_e32 v34, v5, v6
	v_sub_f32_e32 v39, v40, v6
	s_delay_alu instid0(VALU_DEP_2) | instskip(NEXT) | instid1(VALU_DEP_2)
	v_mul_f32_e32 v36, v35, v34
	v_add_f32_e32 v3, v3, v39
	s_delay_alu instid0(VALU_DEP_2) | instskip(NEXT) | instid1(VALU_DEP_1)
	v_fma_f32 v35, v34, v35, -v36
	v_fmac_f32_e32 v35, v34, v7
	s_delay_alu instid0(VALU_DEP_1) | instskip(NEXT) | instid1(VALU_DEP_1)
	v_add_f32_e32 v7, v36, v35
	v_sub_f32_e32 v38, v6, v7
	s_delay_alu instid0(VALU_DEP_1) | instskip(NEXT) | instid1(VALU_DEP_1)
	v_sub_f32_e32 v6, v6, v38
	v_sub_f32_e32 v6, v6, v7
	s_delay_alu instid0(VALU_DEP_1) | instskip(SKIP_2) | instid1(VALU_DEP_1)
	v_add_f32_e32 v3, v3, v6
	v_add_f32_e32 v6, v37, v34
	v_sub_f32_e32 v36, v7, v36
	v_sub_f32_e32 v7, v36, v35
	s_delay_alu instid0(VALU_DEP_1) | instskip(NEXT) | instid1(VALU_DEP_4)
	v_add_f32_e32 v3, v7, v3
	v_sub_f32_e32 v7, v6, v37
	s_delay_alu instid0(VALU_DEP_2) | instskip(NEXT) | instid1(VALU_DEP_2)
	v_add_f32_e32 v3, v38, v3
	v_sub_f32_e32 v7, v34, v7
	s_delay_alu instid0(VALU_DEP_2) | instskip(NEXT) | instid1(VALU_DEP_1)
	v_mul_f32_e32 v3, v5, v3
	v_add_f32_e32 v3, v7, v3
	s_delay_alu instid0(VALU_DEP_1) | instskip(NEXT) | instid1(VALU_DEP_1)
	v_add_f32_e32 v5, v6, v3
	v_mul_f32_e32 v7, v5, v5
	s_delay_alu instid0(VALU_DEP_1) | instskip(SKIP_1) | instid1(VALU_DEP_2)
	v_fmaak_f32 v34, s60, v7, 0x3ecc95a3
	v_mul_f32_e32 v35, v5, v7
	v_fmaak_f32 v7, v7, v34, 0x3f2aaada
	v_ldexp_f32 v34, v5, 1
	v_sub_f32_e32 v5, v5, v6
	s_delay_alu instid0(VALU_DEP_3) | instskip(SKIP_1) | instid1(VALU_DEP_2)
	v_mul_f32_e32 v7, v35, v7
	v_mul_f32_e32 v35, 0x3f317218, v2
	v_dual_sub_f32 v3, v3, v5 :: v_dual_add_f32 v6, v34, v7
	s_delay_alu instid0(VALU_DEP_1) | instskip(NEXT) | instid1(VALU_DEP_2)
	v_ldexp_f32 v3, v3, 1
	v_sub_f32_e32 v5, v6, v34
	s_delay_alu instid0(VALU_DEP_4) | instskip(NEXT) | instid1(VALU_DEP_1)
	v_fma_f32 v34, 0x3f317218, v2, -v35
	v_dual_sub_f32 v5, v7, v5 :: v_dual_fmac_f32 v34, 0xb102e308, v2
	s_delay_alu instid0(VALU_DEP_1) | instskip(NEXT) | instid1(VALU_DEP_1)
	v_add_f32_e32 v2, v3, v5
	v_add_f32_e32 v5, v6, v2
	s_delay_alu instid0(VALU_DEP_1) | instskip(NEXT) | instid1(VALU_DEP_1)
	v_sub_f32_e32 v6, v5, v6
	v_sub_f32_e32 v2, v2, v6
	v_add_f32_e32 v3, v35, v34
	s_delay_alu instid0(VALU_DEP_1) | instskip(SKIP_1) | instid1(VALU_DEP_2)
	v_add_f32_e32 v7, v3, v5
	v_sub_f32_e32 v35, v3, v35
	v_sub_f32_e32 v36, v7, v3
	s_delay_alu instid0(VALU_DEP_1) | instskip(NEXT) | instid1(VALU_DEP_1)
	v_dual_sub_f32 v34, v34, v35 :: v_dual_sub_f32 v37, v7, v36
	v_dual_sub_f32 v5, v5, v36 :: v_dual_add_f32 v6, v34, v2
	s_delay_alu instid0(VALU_DEP_2) | instskip(NEXT) | instid1(VALU_DEP_1)
	v_sub_f32_e32 v3, v3, v37
	v_add_f32_e32 v3, v5, v3
	s_delay_alu instid0(VALU_DEP_3) | instskip(NEXT) | instid1(VALU_DEP_2)
	v_sub_f32_e32 v5, v6, v34
	v_add_f32_e32 v3, v6, v3
	s_delay_alu instid0(VALU_DEP_2) | instskip(NEXT) | instid1(VALU_DEP_2)
	v_sub_f32_e32 v6, v6, v5
	v_dual_sub_f32 v2, v2, v5 :: v_dual_add_f32 v35, v7, v3
	s_delay_alu instid0(VALU_DEP_1) | instskip(NEXT) | instid1(VALU_DEP_1)
	v_dual_sub_f32 v6, v34, v6 :: v_dual_sub_f32 v5, v35, v7
	v_dual_add_f32 v2, v2, v6 :: v_dual_sub_f32 v3, v3, v5
	s_delay_alu instid0(VALU_DEP_1) | instskip(NEXT) | instid1(VALU_DEP_1)
	v_add_f32_e32 v2, v2, v3
	v_add_f32_e32 v2, v35, v2
	s_delay_alu instid0(VALU_DEP_1)
	v_cndmask_b32_e32 v38, v2, v4, vcc_lo
.LBB34_34:                              ;   in Loop: Header=BB34_12 Depth=1
	s_or_b32 exec_lo, exec_lo, s17
	v_and_b32_e32 v3, 0xffff0000, v0
	v_lshlrev_b32_e32 v0, 16, v0
	v_lshlrev_b32_e32 v2, 16, v1
	v_and_b32_e32 v1, 0xffff0000, v1
	s_and_b32 vcc_lo, exec_lo, s57
	s_delay_alu instid0(VALU_DEP_3) | instskip(NEXT) | instid1(VALU_DEP_2)
	v_mul_f32_e32 v37, s49, v0
	v_dual_mul_f32 v35, s49, v2 :: v_dual_mul_f32 v36, s49, v1
	v_mul_f32_e32 v34, s49, v3
	s_barrier
	buffer_gl0_inv
	s_cbranch_vccz .LBB34_82
; %bb.35:                               ;   in Loop: Header=BB34_12 Depth=1
	v_dual_mul_f32 v39, v38, v1 :: v_dual_mul_f32 v44, v33, v2
	v_add_co_u32 v1, s16, s27, v29
	s_delay_alu instid0(VALU_DEP_1) | instskip(SKIP_1) | instid1(VALU_DEP_1)
	v_add_co_ci_u32_e64 v4, null, s41, 0, s16
	v_add_co_u32 v5, s16, s45, v29
	v_add_co_ci_u32_e64 v6, null, s52, 0, s16
	s_delay_alu instid0(VALU_DEP_4) | instskip(NEXT) | instid1(VALU_DEP_4)
	v_add_co_u32 v40, vcc_lo, v1, v30
	v_add_co_ci_u32_e32 v41, vcc_lo, 0, v4, vcc_lo
	s_delay_alu instid0(VALU_DEP_4) | instskip(NEXT) | instid1(VALU_DEP_4)
	v_add_co_u32 v42, vcc_lo, v5, v30
	v_add_co_ci_u32_e32 v43, vcc_lo, 0, v6, vcc_lo
	v_cmp_gt_u32_e32 vcc_lo, s19, v8
	v_cmp_gt_u32_e64 s17, s19, v26
	v_cmp_gt_u32_e64 s18, s19, v27
	;; [unrolled: 1-line block ×3, first 2 shown]
	s_cmp_lg_u32 s62, 0
	v_dual_mul_f32 v45, v32, v3 :: v_dual_mul_f32 v46, v31, v0
	s_mov_b32 s28, 0
	s_cselect_b32 s25, -1, 0
	s_cmp_eq_u32 s62, s59
	s_mov_b32 s30, s28
	s_cselect_b32 s63, -1, 0
	s_or_b32 s16, s58, vcc_lo
	s_or_b32 s17, s58, s17
	s_or_b32 s18, s58, s18
	;; [unrolled: 1-line block ×3, first 2 shown]
	s_mov_b32 s34, s28
	s_mov_b32 s38, s28
	;; [unrolled: 1-line block ×4, first 2 shown]
	s_branch .LBB34_37
.LBB34_36:                              ;   in Loop: Header=BB34_37 Depth=2
	s_or_b32 exec_lo, exec_lo, s20
	v_cndmask_b32_e64 v2, v56, v7, s11
	v_cndmask_b32_e64 v3, v55, v6, s11
	s_add_i32 s64, s64, -1
	s_add_i32 s65, s65, 8
	s_add_i32 s38, s38, s26
	v_fma_f32 v2, v2, v54, v52
	v_mul_f32_e32 v3, v3, v54
	s_add_i32 s34, s34, s44
	s_add_i32 s30, s30, s40
	s_add_i32 s28, s28, s37
	v_cndmask_b32_e64 v2, v2, v52, s10
	v_cndmask_b32_e64 v3, v3, v54, s10
	s_cmp_eq_u32 s64, 0
	s_waitcnt lgkmcnt(0)
	s_delay_alu instid0(VALU_DEP_1) | instskip(SKIP_3) | instid1(VALU_DEP_4)
	v_dual_fmac_f32 v2, v4, v3 :: v_dual_and_b32 v3, 0xffff0000, v0
	v_and_b32_e32 v4, 0xffff0000, v1
	v_lshlrev_b32_e32 v0, 16, v0
	v_lshlrev_b32_e32 v1, 16, v1
	v_fmac_f32_e32 v47, v2, v53
	s_delay_alu instid0(VALU_DEP_1) | instskip(NEXT) | instid1(VALU_DEP_1)
	v_fmac_f32_e32 v48, v47, v51
	v_fmac_f32_e32 v49, v48, v50
	s_delay_alu instid0(VALU_DEP_1)
	v_dual_fmac_f32 v35, v48, v1 :: v_dual_fmac_f32 v36, v49, v4
	v_dual_fmac_f32 v37, v2, v0 :: v_dual_fmac_f32 v34, v47, v3
	s_cbranch_scc1 .LBB34_82
.LBB34_37:                              ;   Parent Loop BB34_12 Depth=1
                                        ; =>  This Inner Loop Header: Depth=2
	s_lshl_b64 s[20:21], s[28:29], 2
	s_mov_b32 s31, s29
	s_add_u32 s20, s50, s20
	s_addc_u32 s21, s51, s21
	v_dual_mov_b32 v2, 0 :: v_dual_mov_b32 v3, 0
	global_load_b32 v6, v12, s[20:21]
	s_lshl_b64 s[20:21], s[30:31], 1
	s_delay_alu instid0(SALU_CYCLE_1)
	v_add_co_u32 v0, vcc_lo, v40, s20
	v_add_co_ci_u32_e32 v1, vcc_lo, s21, v41, vcc_lo
	s_and_saveexec_b32 s20, s12
	s_cbranch_execz .LBB34_39
; %bb.38:                               ;   in Loop: Header=BB34_37 Depth=2
	global_load_u16 v3, v[0:1], off
.LBB34_39:                              ;   in Loop: Header=BB34_37 Depth=2
	s_or_b32 exec_lo, exec_lo, s20
	s_and_saveexec_b32 s20, s13
	s_cbranch_execz .LBB34_41
; %bb.40:                               ;   in Loop: Header=BB34_37 Depth=2
	global_load_u16 v2, v[0:1], off offset:64
.LBB34_41:                              ;   in Loop: Header=BB34_37 Depth=2
	s_or_b32 exec_lo, exec_lo, s20
	v_dual_mov_b32 v4, 0 :: v_dual_mov_b32 v5, 0
	s_and_saveexec_b32 s20, s14
	s_cbranch_execz .LBB34_43
; %bb.42:                               ;   in Loop: Header=BB34_37 Depth=2
	global_load_u16 v5, v[0:1], off offset:128
.LBB34_43:                              ;   in Loop: Header=BB34_37 Depth=2
	s_or_b32 exec_lo, exec_lo, s20
	s_and_saveexec_b32 s20, s15
	s_cbranch_execz .LBB34_45
; %bb.44:                               ;   in Loop: Header=BB34_37 Depth=2
	global_load_u16 v4, v[0:1], off offset:192
.LBB34_45:                              ;   in Loop: Header=BB34_37 Depth=2
	s_or_b32 exec_lo, exec_lo, s20
	s_waitcnt vmcnt(0)
	ds_store_b16 v14, v3
	ds_store_b16 v14, v2 offset:64
	ds_store_b16 v15, v5 offset:128
	;; [unrolled: 1-line block ×3, first 2 shown]
	; wave barrier
	ds_load_b64 v[4:5], v17
	s_mov_b32 s35, s29
	v_dual_mov_b32 v2, 0 :: v_dual_mov_b32 v3, 0
	s_lshl_b64 s[20:21], s[34:35], 1
	s_delay_alu instid0(SALU_CYCLE_1)
	v_add_co_u32 v0, vcc_lo, v42, s20
	v_add_co_ci_u32_e32 v1, vcc_lo, s21, v43, vcc_lo
	s_and_saveexec_b32 s20, s12
	s_cbranch_execz .LBB34_47
; %bb.46:                               ;   in Loop: Header=BB34_37 Depth=2
	global_load_u16 v3, v[0:1], off
.LBB34_47:                              ;   in Loop: Header=BB34_37 Depth=2
	s_or_b32 exec_lo, exec_lo, s20
	s_and_saveexec_b32 s20, s13
	s_cbranch_execz .LBB34_49
; %bb.48:                               ;   in Loop: Header=BB34_37 Depth=2
	global_load_u16 v2, v[0:1], off offset:64
.LBB34_49:                              ;   in Loop: Header=BB34_37 Depth=2
	s_or_b32 exec_lo, exec_lo, s20
	v_mov_b32_e32 v7, 0
	v_mov_b32_e32 v47, 0
	s_and_saveexec_b32 s20, s14
	s_cbranch_execz .LBB34_51
; %bb.50:                               ;   in Loop: Header=BB34_37 Depth=2
	global_load_u16 v47, v[0:1], off offset:128
.LBB34_51:                              ;   in Loop: Header=BB34_37 Depth=2
	s_or_b32 exec_lo, exec_lo, s20
	s_and_saveexec_b32 s20, s15
	s_cbranch_execz .LBB34_53
; %bb.52:                               ;   in Loop: Header=BB34_37 Depth=2
	global_load_u16 v7, v[0:1], off offset:192
.LBB34_53:                              ;   in Loop: Header=BB34_37 Depth=2
	s_or_b32 exec_lo, exec_lo, s20
	s_waitcnt vmcnt(0)
	ds_store_b16 v14, v3 offset:528
	ds_store_b16 v18, v2 offset:64
	;; [unrolled: 1-line block ×4, first 2 shown]
	; wave barrier
	ds_load_b64 v[0:1], v17 offset:528
	s_and_not1_b32 vcc_lo, exec_lo, s25
	s_cbranch_vccnz .LBB34_55
; %bb.54:                               ;   in Loop: Header=BB34_37 Depth=2
	v_mov_b32_e32 v2, s65
	ds_load_b64 v[2:3], v2
	s_cbranch_execz .LBB34_56
	s_branch .LBB34_59
.LBB34_55:                              ;   in Loop: Header=BB34_37 Depth=2
                                        ; implicit-def: $vgpr2
.LBB34_56:                              ;   in Loop: Header=BB34_37 Depth=2
	s_waitcnt lgkmcnt(0)
	v_mov_b32_e32 v3, 0
	s_and_not1_b32 vcc_lo, exec_lo, s33
	s_cbranch_vccnz .LBB34_58
; %bb.57:                               ;   in Loop: Header=BB34_37 Depth=2
	s_mov_b32 s39, s29
	s_delay_alu instid0(SALU_CYCLE_1) | instskip(NEXT) | instid1(SALU_CYCLE_1)
	s_lshl_b64 s[20:21], s[38:39], 2
	s_add_u32 s20, s53, s20
	s_addc_u32 s21, s54, s21
	global_load_b32 v3, v12, s[20:21]
.LBB34_58:                              ;   in Loop: Header=BB34_37 Depth=2
	v_mov_b32_e32 v2, 1.0
.LBB34_59:                              ;   in Loop: Header=BB34_37 Depth=2
	s_waitcnt lgkmcnt(5)
	v_dual_mul_f32 v6, 0x3fb8aa3b, v6 :: v_dual_lshlrev_b32 v7, 16, v4
	v_lshlrev_b32_e32 v47, 16, v5
	v_and_b32_e32 v4, 0xffff0000, v4
	s_delay_alu instid0(VALU_DEP_3) | instskip(NEXT) | instid1(VALU_DEP_4)
	v_mul_f32_e32 v48, v6, v31
	v_mul_f32_e32 v7, v46, v7
	s_delay_alu instid0(VALU_DEP_3) | instskip(SKIP_1) | instid1(VALU_DEP_4)
	v_dual_mul_f32 v51, v6, v38 :: v_dual_mul_f32 v4, v45, v4
	v_dual_mul_f32 v50, v6, v33 :: v_dual_mul_f32 v55, v44, v47
	v_cmp_gt_f32_e32 vcc_lo, 0xc2fc0000, v48
	s_delay_alu instid0(VALU_DEP_3) | instskip(NEXT) | instid1(VALU_DEP_3)
	v_cmp_gt_f32_e64 s22, 0xc2fc0000, v51
	v_cmp_gt_f32_e64 s21, 0xc2fc0000, v50
	v_cndmask_b32_e64 v48, 0, 0x42800000, vcc_lo
	v_and_b32_e32 v5, 0xffff0000, v5
	s_delay_alu instid0(VALU_DEP_4) | instskip(SKIP_4) | instid1(VALU_DEP_3)
	v_cndmask_b32_e64 v51, 0, 0x42800000, s22
	v_cndmask_b32_e64 v52, 1.0, 0x1f800000, vcc_lo
	v_cndmask_b32_e64 v50, 0, 0x42800000, s21
	v_fmac_f32_e32 v48, v6, v31
	v_cndmask_b32_e64 v47, 1.0, 0x1f800000, s21
	v_fmac_f32_e32 v50, v6, v33
	s_delay_alu instid0(VALU_DEP_3) | instskip(SKIP_1) | instid1(VALU_DEP_2)
	v_exp_f32_e32 v48, v48
	v_fmac_f32_e32 v51, v6, v38
	v_exp_f32_e32 v50, v50
	s_waitcnt_depctr 0xfff
	v_mul_f32_e32 v48, v48, v52
	v_cndmask_b32_e64 v52, 0, v7, s16
	v_exp_f32_e32 v7, v51
	s_delay_alu instid0(VALU_DEP_2) | instskip(SKIP_2) | instid1(VALU_DEP_2)
	v_cndmask_b32_e64 v54, 1.0, v48, s16
	v_mul_f32_e32 v49, v6, v32
	v_cndmask_b32_e64 v48, 0, v55, s18
	v_cmp_gt_f32_e64 s20, 0xc2fc0000, v49
	s_delay_alu instid0(VALU_DEP_1) | instskip(NEXT) | instid1(VALU_DEP_1)
	v_cndmask_b32_e64 v49, 0, 0x42800000, s20
	v_fmac_f32_e32 v49, v6, v32
	v_cndmask_b32_e64 v6, 1.0, 0x1f800000, s20
	s_delay_alu instid0(VALU_DEP_2) | instskip(SKIP_4) | instid1(VALU_DEP_3)
	v_exp_f32_e32 v49, v49
	s_waitcnt_depctr 0xfff
	v_dual_mul_f32 v6, v49, v6 :: v_dual_mul_f32 v49, v50, v47
	v_cndmask_b32_e64 v47, 0, v4, s17
	v_cndmask_b32_e64 v4, 1.0, 0x1f800000, s22
	v_cndmask_b32_e64 v53, 1.0, v6, s17
	s_delay_alu instid0(VALU_DEP_4) | instskip(NEXT) | instid1(VALU_DEP_3)
	v_cndmask_b32_e64 v51, 1.0, v49, s18
	v_mul_f32_e32 v4, v7, v4
	s_delay_alu instid0(VALU_DEP_3) | instskip(SKIP_1) | instid1(VALU_DEP_3)
	v_dual_mul_f32 v6, v53, v54 :: v_dual_mul_f32 v5, v39, v5
	v_fma_f32 v7, v53, v52, v47
	v_cndmask_b32_e64 v50, 1.0, v4, s19
	s_delay_alu instid0(VALU_DEP_3) | instskip(NEXT) | instid1(VALU_DEP_4)
	v_mul_f32_e32 v4, v6, v51
	v_cndmask_b32_e64 v49, 0, v5, s19
	s_delay_alu instid0(VALU_DEP_4) | instskip(NEXT) | instid1(VALU_DEP_3)
	v_fma_f32 v5, v7, v51, v48
	v_mul_f32_e32 v4, v4, v50
	s_delay_alu instid0(VALU_DEP_2) | instskip(NEXT) | instid1(VALU_DEP_2)
	v_fma_f32 v5, v5, v50, v49
	v_mov_b32_dpp v7, v4 row_shr:1 row_mask:0xf bank_mask:0xf
	s_delay_alu instid0(VALU_DEP_2)
	v_mov_b32_dpp v6, v5 row_shr:1 row_mask:0xf bank_mask:0xf
	s_and_saveexec_b32 s20, s0
; %bb.60:                               ;   in Loop: Header=BB34_37 Depth=2
	s_delay_alu instid0(VALU_DEP_2) | instskip(NEXT) | instid1(VALU_DEP_1)
	v_mul_f32_e32 v7, v4, v7
	v_dual_fmac_f32 v5, v4, v6 :: v_dual_mov_b32 v4, v7
; %bb.61:                               ;   in Loop: Header=BB34_37 Depth=2
	s_or_b32 exec_lo, exec_lo, s20
	s_delay_alu instid0(VALU_DEP_1) | instskip(NEXT) | instid1(VALU_DEP_2)
	v_mov_b32_dpp v6, v4 row_shr:2 row_mask:0xf bank_mask:0xf
	v_mov_b32_dpp v7, v5 row_shr:2 row_mask:0xf bank_mask:0xf
	s_and_saveexec_b32 s20, s1
; %bb.62:                               ;   in Loop: Header=BB34_37 Depth=2
	s_delay_alu instid0(VALU_DEP_1) | instskip(NEXT) | instid1(VALU_DEP_3)
	v_fmac_f32_e32 v5, v4, v7
	v_mul_f32_e32 v4, v4, v6
; %bb.63:                               ;   in Loop: Header=BB34_37 Depth=2
	s_or_b32 exec_lo, exec_lo, s20
	s_delay_alu instid0(VALU_DEP_1) | instskip(NEXT) | instid1(VALU_DEP_3)
	v_mov_b32_dpp v6, v4 row_shr:4 row_mask:0xf bank_mask:0xf
	v_mov_b32_dpp v7, v5 row_shr:4 row_mask:0xf bank_mask:0xf
	s_and_saveexec_b32 s20, s2
; %bb.64:                               ;   in Loop: Header=BB34_37 Depth=2
	s_delay_alu instid0(VALU_DEP_1) | instskip(NEXT) | instid1(VALU_DEP_3)
	v_fmac_f32_e32 v5, v4, v7
	v_mul_f32_e32 v4, v4, v6
; %bb.65:                               ;   in Loop: Header=BB34_37 Depth=2
	s_or_b32 exec_lo, exec_lo, s20
	s_delay_alu instid0(VALU_DEP_1) | instskip(NEXT) | instid1(VALU_DEP_3)
	v_mov_b32_dpp v6, v4 row_shr:8 row_mask:0xf bank_mask:0xf
	v_mov_b32_dpp v7, v5 row_shr:8 row_mask:0xf bank_mask:0xf
	s_and_saveexec_b32 s20, s3
; %bb.66:                               ;   in Loop: Header=BB34_37 Depth=2
	s_delay_alu instid0(VALU_DEP_1) | instskip(NEXT) | instid1(VALU_DEP_3)
	v_fmac_f32_e32 v5, v4, v7
	v_mul_f32_e32 v4, v4, v6
; %bb.67:                               ;   in Loop: Header=BB34_37 Depth=2
	s_or_b32 exec_lo, exec_lo, s20
	ds_swizzle_b32 v7, v4 offset:swizzle(BROADCAST,32,15)
	ds_swizzle_b32 v6, v5 offset:swizzle(BROADCAST,32,15)
	s_and_saveexec_b32 s20, s4
	s_cbranch_execz .LBB34_69
; %bb.68:                               ;   in Loop: Header=BB34_37 Depth=2
	s_waitcnt lgkmcnt(1)
	v_mul_f32_e32 v7, v4, v7
	s_waitcnt lgkmcnt(0)
	s_delay_alu instid0(VALU_DEP_1)
	v_dual_fmac_f32 v5, v4, v6 :: v_dual_mov_b32 v4, v7
.LBB34_69:                              ;   in Loop: Header=BB34_37 Depth=2
	s_or_b32 exec_lo, exec_lo, s20
	s_and_saveexec_b32 s20, s5
	s_cbranch_execz .LBB34_71
; %bb.70:                               ;   in Loop: Header=BB34_37 Depth=2
	ds_store_b64 v21, v[4:5] offset:1056
.LBB34_71:                              ;   in Loop: Header=BB34_37 Depth=2
	s_or_b32 exec_lo, exec_lo, s20
	s_waitcnt vmcnt(0) lgkmcnt(0)
	s_waitcnt_vscnt null, 0x0
	s_barrier
	buffer_gl0_inv
	s_and_saveexec_b32 s20, s6
	s_cbranch_execz .LBB34_73
; %bb.72:                               ;   in Loop: Header=BB34_37 Depth=2
	ds_load_b64 v[6:7], v22 offset:1056
	s_waitcnt lgkmcnt(0)
	v_mov_b32_dpp v55, v6 row_shr:1 row_mask:0xf bank_mask:0xf
	v_mov_b32_dpp v56, v7 row_shr:1 row_mask:0xf bank_mask:0xf
	s_delay_alu instid0(VALU_DEP_2) | instskip(NEXT) | instid1(VALU_DEP_2)
	v_mul_f32_e32 v55, v6, v55
	v_fma_f32 v56, v6, v56, v7
	s_delay_alu instid0(VALU_DEP_2) | instskip(NEXT) | instid1(VALU_DEP_2)
	v_cndmask_b32_e64 v6, v55, v6, s7
	v_cndmask_b32_e64 v7, v56, v7, s7
	ds_store_b64 v22, v[6:7] offset:1056
.LBB34_73:                              ;   in Loop: Header=BB34_37 Depth=2
	s_or_b32 exec_lo, exec_lo, s20
	s_waitcnt lgkmcnt(0)
	s_barrier
	buffer_gl0_inv
                                        ; implicit-def: $vgpr7
	s_and_saveexec_b32 s20, s9
	s_cbranch_execz .LBB34_75
; %bb.74:                               ;   in Loop: Header=BB34_37 Depth=2
	ds_load_b64 v[6:7], v21 offset:1048
	s_waitcnt lgkmcnt(0)
	v_mul_f32_e32 v55, v4, v6
	s_delay_alu instid0(VALU_DEP_1)
	v_dual_fmac_f32 v5, v4, v7 :: v_dual_mov_b32 v4, v55
.LBB34_75:                              ;   in Loop: Header=BB34_37 Depth=2
	s_or_b32 exec_lo, exec_lo, s20
	ds_bpermute_b32 v55, v23, v4
	ds_bpermute_b32 v56, v23, v5
	s_and_saveexec_b32 s20, s8
	s_cbranch_execz .LBB34_79
; %bb.76:                               ;   in Loop: Header=BB34_37 Depth=2
	ds_load_b64 v[4:5], v12 offset:1064
	s_and_saveexec_b32 s21, s10
	s_cbranch_execz .LBB34_78
; %bb.77:                               ;   in Loop: Header=BB34_37 Depth=2
	ds_store_b64 v12, v[2:3] offset:1064
.LBB34_78:                              ;   in Loop: Header=BB34_37 Depth=2
	s_or_b32 exec_lo, exec_lo, s21
	s_waitcnt lgkmcnt(0)
	v_fmac_f32_e32 v5, v3, v4
	s_delay_alu instid0(VALU_DEP_1)
	v_dual_mul_f32 v2, v2, v4 :: v_dual_mov_b32 v3, v5
.LBB34_79:                              ;   in Loop: Header=BB34_37 Depth=2
	s_or_b32 exec_lo, exec_lo, s20
	s_waitcnt lgkmcnt(0)
	s_barrier
	buffer_gl0_inv
	ds_load_b32 v4, v12 offset:1068
	s_and_saveexec_b32 s20, s10
	s_cbranch_execz .LBB34_36
; %bb.80:                               ;   in Loop: Header=BB34_37 Depth=2
	v_mov_b32_e32 v5, s65
	s_and_not1_b32 vcc_lo, exec_lo, s63
	ds_store_b64 v5, v[2:3]
	s_cbranch_vccnz .LBB34_36
; %bb.81:                               ;   in Loop: Header=BB34_37 Depth=2
	s_mov_b32 s39, s29
	s_delay_alu instid0(SALU_CYCLE_1) | instskip(NEXT) | instid1(SALU_CYCLE_1)
	s_lshl_b64 s[66:67], s[38:39], 2
	s_add_u32 s66, s53, s66
	s_addc_u32 s67, s54, s67
	global_store_b32 v12, v3, s[66:67]
	s_branch .LBB34_36
.LBB34_82:                              ;   in Loop: Header=BB34_12 Depth=1
	s_delay_alu instid0(VALU_DEP_1) | instskip(NEXT) | instid1(VALU_DEP_3)
	v_bfe_u32 v0, v37, 16, 1
	v_bfe_u32 v2, v35, 16, 1
	;; [unrolled: 1-line block ×3, first 2 shown]
	v_cmp_o_f32_e32 vcc_lo, v37, v37
	v_bfe_u32 v1, v34, 16, 1
	v_add3_u32 v0, v37, v0, 0x7fff
	v_add3_u32 v2, v35, v2, 0x7fff
	;; [unrolled: 1-line block ×3, first 2 shown]
	s_waitcnt_vscnt null, 0x0
	v_add3_u32 v1, v34, v1, 0x7fff
	v_lshrrev_b32_e32 v0, 16, v0
	v_lshrrev_b32_e32 v2, 16, v2
	;; [unrolled: 1-line block ×3, first 2 shown]
	s_barrier
	v_lshrrev_b32_e32 v1, 16, v1
	v_cndmask_b32_e32 v0, 0x7fc0, v0, vcc_lo
	v_cmp_o_f32_e32 vcc_lo, v35, v35
	buffer_gl0_inv
	s_mov_b32 s25, s29
	s_delay_alu instid0(SALU_CYCLE_1)
	s_lshl_b64 s[16:17], s[24:25], 1
	v_cndmask_b32_e32 v2, 0x7fc0, v2, vcc_lo
	v_cmp_o_f32_e32 vcc_lo, v36, v36
	v_cndmask_b32_e32 v3, 0x7fc0, v3, vcc_lo
	v_cmp_o_f32_e32 vcc_lo, v34, v34
	v_cndmask_b32_e32 v4, 0x7fc0, v1, vcc_lo
	s_delay_alu instid0(VALU_DEP_3) | instskip(NEXT) | instid1(VALU_DEP_2)
	v_perm_b32 v1, v3, v2, 0x5040100
	v_perm_b32 v0, v4, v0, 0x5040100
	ds_store_b64 v17, v[0:1]
	; wave barrier
	ds_load_u16 v4, v14 offset:64
	ds_load_u16 v3, v15 offset:128
	;; [unrolled: 1-line block ×3, first 2 shown]
	v_add_co_u32 v0, vcc_lo, v24, s16
	v_add_co_ci_u32_e32 v1, vcc_lo, s17, v25, vcc_lo
	s_and_saveexec_b32 s16, s12
	s_cbranch_execnz .LBB34_88
; %bb.83:                               ;   in Loop: Header=BB34_12 Depth=1
	s_or_b32 exec_lo, exec_lo, s16
	s_and_saveexec_b32 s12, s13
	s_cbranch_execnz .LBB34_89
.LBB34_84:                              ;   in Loop: Header=BB34_12 Depth=1
	s_or_b32 exec_lo, exec_lo, s12
	s_and_saveexec_b32 s12, s14
	s_cbranch_execnz .LBB34_90
.LBB34_85:                              ;   in Loop: Header=BB34_12 Depth=1
	s_or_b32 exec_lo, exec_lo, s12
	s_and_saveexec_b32 s12, s15
	s_cbranch_execz .LBB34_11
	s_branch .LBB34_91
.LBB34_86:                              ;   in Loop: Header=BB34_12 Depth=1
	global_load_u16 v6, v[2:3], off offset:64
	s_or_b32 exec_lo, exec_lo, s16
	s_and_saveexec_b32 s16, s14
	s_cbranch_execz .LBB34_24
.LBB34_87:                              ;   in Loop: Header=BB34_12 Depth=1
	global_load_u16 v5, v[2:3], off offset:128
	s_or_b32 exec_lo, exec_lo, s16
	v_mov_b32_e32 v7, 0
	s_and_saveexec_b32 s16, s15
	s_cbranch_execnz .LBB34_25
	s_branch .LBB34_26
.LBB34_88:                              ;   in Loop: Header=BB34_12 Depth=1
	ds_load_u16 v5, v14
	s_waitcnt lgkmcnt(0)
	global_store_b16 v[0:1], v5, off
	s_or_b32 exec_lo, exec_lo, s16
	s_and_saveexec_b32 s12, s13
	s_cbranch_execz .LBB34_84
.LBB34_89:                              ;   in Loop: Header=BB34_12 Depth=1
	s_waitcnt lgkmcnt(2)
	global_store_b16 v[0:1], v4, off offset:64
	s_or_b32 exec_lo, exec_lo, s12
	s_and_saveexec_b32 s12, s14
	s_cbranch_execz .LBB34_85
.LBB34_90:                              ;   in Loop: Header=BB34_12 Depth=1
	s_waitcnt lgkmcnt(1)
	global_store_b16 v[0:1], v3, off offset:128
	s_or_b32 exec_lo, exec_lo, s12
	s_and_saveexec_b32 s12, s15
	s_cbranch_execz .LBB34_11
.LBB34_91:                              ;   in Loop: Header=BB34_12 Depth=1
	s_waitcnt lgkmcnt(0)
	global_store_b16 v[0:1], v2, off offset:192
	s_branch .LBB34_11
.LBB34_92:
	s_nop 0
	s_sendmsg sendmsg(MSG_DEALLOC_VGPRS)
	s_endpgm
	.section	.rodata,"a",@progbits
	.p2align	6, 0x0
	.amdhsa_kernel _Z25selective_scan_fwd_kernelI32Selective_Scan_fwd_kernel_traitsILi64ELi4ELi1ELb1ELb1ELb1ELb0ELb1EN3c108BFloat16EffEEv13SSMParamsBase
		.amdhsa_group_segment_fixed_size 0
		.amdhsa_private_segment_fixed_size 0
		.amdhsa_kernarg_size 248
		.amdhsa_user_sgpr_count 14
		.amdhsa_user_sgpr_dispatch_ptr 0
		.amdhsa_user_sgpr_queue_ptr 0
		.amdhsa_user_sgpr_kernarg_segment_ptr 1
		.amdhsa_user_sgpr_dispatch_id 0
		.amdhsa_user_sgpr_private_segment_size 0
		.amdhsa_wavefront_size32 1
		.amdhsa_uses_dynamic_stack 0
		.amdhsa_enable_private_segment 0
		.amdhsa_system_sgpr_workgroup_id_x 1
		.amdhsa_system_sgpr_workgroup_id_y 1
		.amdhsa_system_sgpr_workgroup_id_z 0
		.amdhsa_system_sgpr_workgroup_info 0
		.amdhsa_system_vgpr_workitem_id 0
		.amdhsa_next_free_vgpr 57
		.amdhsa_next_free_sgpr 68
		.amdhsa_reserve_vcc 1
		.amdhsa_float_round_mode_32 0
		.amdhsa_float_round_mode_16_64 0
		.amdhsa_float_denorm_mode_32 3
		.amdhsa_float_denorm_mode_16_64 3
		.amdhsa_dx10_clamp 1
		.amdhsa_ieee_mode 1
		.amdhsa_fp16_overflow 0
		.amdhsa_workgroup_processor_mode 1
		.amdhsa_memory_ordered 1
		.amdhsa_forward_progress 0
		.amdhsa_shared_vgpr_count 0
		.amdhsa_exception_fp_ieee_invalid_op 0
		.amdhsa_exception_fp_denorm_src 0
		.amdhsa_exception_fp_ieee_div_zero 0
		.amdhsa_exception_fp_ieee_overflow 0
		.amdhsa_exception_fp_ieee_underflow 0
		.amdhsa_exception_fp_ieee_inexact 0
		.amdhsa_exception_int_div_zero 0
	.end_amdhsa_kernel
	.section	.text._Z25selective_scan_fwd_kernelI32Selective_Scan_fwd_kernel_traitsILi64ELi4ELi1ELb1ELb1ELb1ELb0ELb1EN3c108BFloat16EffEEv13SSMParamsBase,"axG",@progbits,_Z25selective_scan_fwd_kernelI32Selective_Scan_fwd_kernel_traitsILi64ELi4ELi1ELb1ELb1ELb1ELb0ELb1EN3c108BFloat16EffEEv13SSMParamsBase,comdat
.Lfunc_end34:
	.size	_Z25selective_scan_fwd_kernelI32Selective_Scan_fwd_kernel_traitsILi64ELi4ELi1ELb1ELb1ELb1ELb0ELb1EN3c108BFloat16EffEEv13SSMParamsBase, .Lfunc_end34-_Z25selective_scan_fwd_kernelI32Selective_Scan_fwd_kernel_traitsILi64ELi4ELi1ELb1ELb1ELb1ELb0ELb1EN3c108BFloat16EffEEv13SSMParamsBase
                                        ; -- End function
	.section	.AMDGPU.csdata,"",@progbits
; Kernel info:
; codeLenInByte = 7040
; NumSgprs: 70
; NumVgprs: 57
; ScratchSize: 0
; MemoryBound: 0
; FloatMode: 240
; IeeeMode: 1
; LDSByteSize: 0 bytes/workgroup (compile time only)
; SGPRBlocks: 8
; VGPRBlocks: 7
; NumSGPRsForWavesPerEU: 70
; NumVGPRsForWavesPerEU: 57
; Occupancy: 16
; WaveLimiterHint : 1
; COMPUTE_PGM_RSRC2:SCRATCH_EN: 0
; COMPUTE_PGM_RSRC2:USER_SGPR: 14
; COMPUTE_PGM_RSRC2:TRAP_HANDLER: 0
; COMPUTE_PGM_RSRC2:TGID_X_EN: 1
; COMPUTE_PGM_RSRC2:TGID_Y_EN: 1
; COMPUTE_PGM_RSRC2:TGID_Z_EN: 0
; COMPUTE_PGM_RSRC2:TIDIG_COMP_CNT: 0
	.section	.text._Z25selective_scan_fwd_kernelI32Selective_Scan_fwd_kernel_traitsILi64ELi4ELi1ELb1ELb1ELb1ELb0ELb0EN3c108BFloat16EffEEv13SSMParamsBase,"axG",@progbits,_Z25selective_scan_fwd_kernelI32Selective_Scan_fwd_kernel_traitsILi64ELi4ELi1ELb1ELb1ELb1ELb0ELb0EN3c108BFloat16EffEEv13SSMParamsBase,comdat
	.protected	_Z25selective_scan_fwd_kernelI32Selective_Scan_fwd_kernel_traitsILi64ELi4ELi1ELb1ELb1ELb1ELb0ELb0EN3c108BFloat16EffEEv13SSMParamsBase ; -- Begin function _Z25selective_scan_fwd_kernelI32Selective_Scan_fwd_kernel_traitsILi64ELi4ELi1ELb1ELb1ELb1ELb0ELb0EN3c108BFloat16EffEEv13SSMParamsBase
	.globl	_Z25selective_scan_fwd_kernelI32Selective_Scan_fwd_kernel_traitsILi64ELi4ELi1ELb1ELb1ELb1ELb0ELb0EN3c108BFloat16EffEEv13SSMParamsBase
	.p2align	8
	.type	_Z25selective_scan_fwd_kernelI32Selective_Scan_fwd_kernel_traitsILi64ELi4ELi1ELb1ELb1ELb1ELb0ELb0EN3c108BFloat16EffEEv13SSMParamsBase,@function
_Z25selective_scan_fwd_kernelI32Selective_Scan_fwd_kernel_traitsILi64ELi4ELi1ELb1ELb1ELb1ELb0ELb0EN3c108BFloat16EffEEv13SSMParamsBase: ; @_Z25selective_scan_fwd_kernelI32Selective_Scan_fwd_kernel_traitsILi64ELi4ELi1ELb1ELb1ELb1ELb0ELb0EN3c108BFloat16EffEEv13SSMParamsBase
; %bb.0:
	s_clause 0x1
	s_load_b32 s11, s[0:1], 0x18
	s_load_b128 s[4:7], s[0:1], 0xe8
	s_mov_b32 s8, s15
	s_mov_b32 s33, 0
	s_waitcnt lgkmcnt(0)
	s_abs_i32 s10, s11
	s_cmp_eq_u64 s[6:7], 0
	v_cvt_f32_u32_e32 v1, s10
	s_delay_alu instid0(VALU_DEP_1) | instskip(SKIP_2) | instid1(VALU_DEP_1)
	v_rcp_iflag_f32_e32 v1, v1
	s_waitcnt_depctr 0xfff
	v_mul_f32_e32 v1, 0x4f7ffffe, v1
	v_cvt_u32_f32_e32 v1, v1
	s_delay_alu instid0(VALU_DEP_1)
	v_readfirstlane_b32 s12, v1
	s_cbranch_scc1 .LBB35_2
; %bb.1:
	v_mov_b32_e32 v1, 0
	s_ashr_i32 s3, s14, 31
	s_add_u32 s2, s6, s14
	s_addc_u32 s3, s7, s3
	global_load_u8 v1, v1, s[2:3]
	s_waitcnt vmcnt(0)
	v_and_b32_e32 v1, 1, v1
	s_delay_alu instid0(VALU_DEP_1)
	v_cmp_eq_u32_e64 s33, 1, v1
.LBB35_2:
	s_load_b64 s[6:7], s[0:1], 0x20
	s_cmp_eq_u64 s[4:5], 0
	s_cbranch_scc1 .LBB35_4
; %bb.3:
	s_ashr_i32 s15, s14, 31
	s_delay_alu instid0(SALU_CYCLE_1) | instskip(NEXT) | instid1(SALU_CYCLE_1)
	s_lshl_b64 s[2:3], s[14:15], 2
	s_add_u32 s2, s4, s2
	s_addc_u32 s3, s5, s3
	s_load_b32 s2, s[2:3], 0x0
	s_waitcnt lgkmcnt(0)
	s_ashr_i32 s3, s2, 31
	s_delay_alu instid0(SALU_CYCLE_1)
	s_cmp_eq_u64 s[6:7], s[2:3]
	s_cbranch_scc0 .LBB35_5
	s_branch .LBB35_54
.LBB35_4:
	s_mov_b32 s2, s14
	s_delay_alu instid0(SALU_CYCLE_1)
	s_ashr_i32 s3, s2, 31
	s_waitcnt lgkmcnt(0)
	s_cmp_eq_u64 s[6:7], s[2:3]
	s_cbranch_scc1 .LBB35_54
.LBB35_5:
	s_clause 0x1
	s_load_b512 s[16:31], s[0:1], 0x88
	s_load_b64 s[34:35], s[0:1], 0x8
	s_mov_b32 s48, 0
	s_mov_b32 s49, 0
	s_waitcnt lgkmcnt(0)
	s_cmp_eq_u64 s[22:23], 0
	s_cbranch_scc1 .LBB35_7
; %bb.6:
	s_ashr_i32 s9, s8, 31
	s_delay_alu instid0(SALU_CYCLE_1) | instskip(NEXT) | instid1(SALU_CYCLE_1)
	s_lshl_b64 s[4:5], s[8:9], 2
	s_add_u32 s4, s22, s4
	s_addc_u32 s5, s23, s5
	s_load_b32 s49, s[4:5], 0x0
.LBB35_7:
	s_cmp_eq_u64 s[28:29], 0
	s_cbranch_scc1 .LBB35_9
; %bb.8:
	s_ashr_i32 s9, s8, 31
	s_delay_alu instid0(SALU_CYCLE_1) | instskip(NEXT) | instid1(SALU_CYCLE_1)
	s_lshl_b64 s[4:5], s[8:9], 2
	s_add_u32 s4, s28, s4
	s_addc_u32 s5, s29, s5
	s_load_b32 s48, s[4:5], 0x0
.LBB35_9:
	s_cmp_lt_i32 s34, 1
	s_cbranch_scc1 .LBB35_54
; %bb.10:
	s_sub_i32 s3, 0, s10
	s_clause 0x1
	s_load_b64 s[4:5], s[0:1], 0x5c
	s_load_b128 s[44:47], s[0:1], 0x4c
	s_mul_i32 s3, s3, s12
	s_abs_i32 s6, s8
	s_mul_hi_u32 s3, s12, s3
	s_ashr_i32 s9, s11, 31
	s_add_i32 s12, s12, s3
	s_ashr_i32 s3, s8, 31
	s_mul_hi_u32 s7, s6, s12
	s_xor_b32 s3, s3, s9
	s_mul_i32 s11, s7, s10
	s_add_i32 s9, s7, 1
	s_sub_i32 s6, s6, s11
	s_load_b256 s[36:43], s[0:1], 0x2c
	s_sub_i32 s11, s6, s10
	s_cmp_ge_u32 s6, s10
	s_mov_b32 s23, 0
	s_cselect_b32 s7, s9, s7
	s_cselect_b32 s6, s11, s6
	s_add_i32 s9, s7, 1
	s_cmp_ge_u32 s6, s10
	s_waitcnt lgkmcnt(0)
	s_mul_i32 s22, s46, s14
	s_cselect_b32 s6, s9, s7
	v_lshrrev_b32_e32 v1, 2, v0
	s_xor_b32 s9, s6, s3
	s_lshl_b64 s[6:7], s[22:23], 1
	s_sub_i32 s3, s9, s3
	s_mul_i32 s22, s47, s8
	s_add_u32 s9, s24, s6
	s_addc_u32 s10, s25, s7
	s_lshl_b64 s[6:7], s[22:23], 1
	s_mul_i32 s22, s4, s14
	s_add_u32 s28, s9, s6
	s_addc_u32 s29, s10, s7
	s_lshl_b64 s[6:7], s[22:23], 1
	;; [unrolled: 4-line block ×3, first 2 shown]
	s_load_b128 s[24:27], s[0:1], 0x7c
	s_mul_i32 s22, s36, s8
	s_add_u32 s46, s6, s4
	s_addc_u32 s47, s7, s5
	s_lshl_b64 s[4:5], s[22:23], 2
	s_mul_i32 s22, s38, s14
	s_load_b64 s[6:7], s[0:1], 0xc8
	s_add_u32 s36, s16, s4
	s_waitcnt lgkmcnt(0)
	s_addc_u32 s27, s17, s5
	s_lshl_b64 s[4:5], s[22:23], 1
	s_mul_i32 s22, s3, s41
	s_add_u32 s9, s18, s4
	s_addc_u32 s10, s19, s5
	s_lshl_b64 s[4:5], s[22:23], 1
	s_mul_i32 s22, s42, s14
	s_add_u32 s41, s9, s4
	s_load_b32 s9, s[0:1], 0x28
	s_addc_u32 s42, s10, s5
	s_load_b64 s[10:11], s[0:1], 0x6c
	s_lshl_b64 s[4:5], s[22:23], 1
	s_mul_i32 s22, s3, s45
	s_add_u32 s12, s20, s4
	s_addc_u32 s3, s21, s5
	s_lshl_b64 s[4:5], s[22:23], 1
	s_mul_i32 s22, s2, s24
	s_add_u32 s43, s12, s4
	s_addc_u32 s45, s3, s5
	;; [unrolled: 4-line block ×3, first 2 shown]
	s_lshl_b64 s[0:1], s[22:23], 2
	v_lshlrev_b32_e32 v3, 3, v0
	s_add_u32 s50, s2, s0
	s_addc_u32 s51, s3, s1
	s_add_i32 s0, s34, 0x7ff
	v_dual_mov_b32 v12, 0 :: v_dual_and_b32 v1, 8, v1
	s_lshr_b32 s52, s0, 11
	s_waitcnt lgkmcnt(0)
	s_bitcmp1_b32 s9, 0
	s_mul_i32 s22, s10, s14
	s_cselect_b32 s53, -1, 0
	s_cmp_gt_i32 s35, 0
	v_or_b32_e32 v2, 31, v0
	s_cselect_b32 s54, -1, 0
	s_and_b32 s1, s34, 0xff
	v_lshlrev_b32_e32 v13, 2, v0
	s_cmp_eq_u32 s1, 0
	v_cmp_gt_u32_e64 s0, 64, v0
	s_cselect_b32 s55, -1, 0
	s_lshl_b64 s[6:7], s[22:23], 1
	s_add_i32 s56, s52, -1
	s_mul_i32 s22, s11, s8
	s_add_u32 s9, s30, s6
	s_addc_u32 s8, s31, s7
	s_lshl_b64 s[6:7], s[22:23], 1
	v_cmp_eq_u32_e64 s1, v2, v0
	s_add_u32 s6, s9, s6
	s_addc_u32 s7, s8, s7
	v_add_co_u32 v16, s6, s6, v3
	v_add_nc_u32_e32 v14, 0, v1
	v_cmp_gt_u32_e64 s2, 2, v0
	v_add_nc_u32_e32 v15, 0, v3
	v_cmp_gt_u32_e64 s3, 32, v0
	v_cmp_lt_u32_e64 s4, 31, v0
	v_cmp_eq_u32_e64 s5, 0, v0
	v_add_co_ci_u32_e64 v17, null, s7, 0, s6
	v_or_b32_e32 v18, 1, v13
	v_or_b32_e32 v19, 2, v13
	;; [unrolled: 1-line block ×3, first 2 shown]
	v_lshlrev_b32_e32 v21, 3, v0
	v_mbcnt_lo_u32_b32 v22, -1, 0
	s_mov_b32 s57, 0x3e9b6dac
	s_add_i32 s58, 0, 0x430
	s_mov_b32 s59, 0
                                        ; implicit-def: $vgpr25
                                        ; implicit-def: $vgpr3
                                        ; implicit-def: $vgpr24
                                        ; implicit-def: $vgpr0
                                        ; implicit-def: $vgpr23
                                        ; implicit-def: $vgpr26
	s_branch .LBB35_12
.LBB35_11:                              ;   in Loop: Header=BB35_12 Depth=1
	v_bfe_u32 v4, v33, 16, 1
	v_bfe_u32 v5, v31, 16, 1
	s_delay_alu instid0(VALU_DEP_3)
	v_bfe_u32 v7, v32, 16, 1
	v_cmp_o_f32_e32 vcc_lo, v33, v33
	v_bfe_u32 v6, v30, 16, 1
	v_add3_u32 v4, v33, v4, 0x7fff
	v_add3_u32 v5, v31, v5, 0x7fff
	;; [unrolled: 1-line block ×3, first 2 shown]
	s_add_u32 s46, s46, 0x200
	v_add3_u32 v6, v30, v6, 0x7fff
	v_and_b32_e32 v4, 0xffff0000, v4
	v_lshrrev_b32_e32 v5, 16, v5
	v_and_b32_e32 v7, 0xffff0000, v7
	s_addc_u32 s47, s47, 0
	v_lshrrev_b32_e32 v6, 16, v6
	v_cndmask_b32_e32 v4, 0x7fc00000, v4, vcc_lo
	v_cmp_o_f32_e32 vcc_lo, v31, v31
	s_mov_b32 s21, s23
	s_add_u32 s28, s28, 0x200
	s_addc_u32 s29, s29, 0
	s_lshl_b64 s[6:7], s[20:21], 1
	v_cndmask_b32_e32 v5, 0x7fc0, v5, vcc_lo
	v_cmp_o_f32_e32 vcc_lo, v32, v32
	s_add_u32 s41, s41, 0x200
	s_addc_u32 s42, s42, 0
	s_add_u32 s43, s43, 0x200
	v_or_b32_e32 v4, v4, v5
	v_cndmask_b32_e32 v7, 0x7fc00000, v7, vcc_lo
	v_cmp_o_f32_e32 vcc_lo, v30, v30
	s_addc_u32 s45, s45, 0
	s_add_i32 s59, s59, 1
	v_or3_b32 v4, v4, 0, 0
	s_cmp_eq_u32 s59, s52
	v_cndmask_b32_e32 v6, 0x7fc0, v6, vcc_lo
	s_waitcnt_vscnt null, 0x0
	s_barrier
	buffer_gl0_inv
	v_or3_b32 v5, 0, v6, v7
	v_add_co_u32 v6, vcc_lo, v16, s6
	v_add_co_ci_u32_e32 v7, vcc_lo, s7, v17, vcc_lo
	global_store_b64 v[6:7], v[4:5], off
	s_cbranch_scc1 .LBB35_54
.LBB35_12:                              ; =>This Loop Header: Depth=1
                                        ;     Child Loop BB35_25 Depth 2
	s_waitcnt_vscnt null, 0x0
	s_barrier
	buffer_gl0_inv
	s_and_saveexec_b32 s6, s0
	s_cbranch_execz .LBB35_14
; %bb.13:                               ;   in Loop: Header=BB35_12 Depth=1
	s_clause 0x1
	global_load_b64 v[0:1], v21, s[28:29]
	global_load_b64 v[2:3], v21, s[46:47]
	s_waitcnt vmcnt(1)
	v_lshrrev_b32_e32 v23, 16, v0
	v_lshrrev_b32_e32 v26, 16, v1
	s_waitcnt vmcnt(0)
	v_lshrrev_b32_e32 v24, 16, v2
	v_lshrrev_b32_e32 v25, 16, v3
.LBB35_14:                              ;   in Loop: Header=BB35_12 Depth=1
	s_or_b32 exec_lo, exec_lo, s6
	v_lshlrev_b32_e32 v4, 16, v2
	s_delay_alu instid0(VALU_DEP_1) | instskip(NEXT) | instid1(VALU_DEP_1)
	v_add_f32_e32 v27, s48, v4
	v_cmp_ge_f32_e32 vcc_lo, 0x41a00000, v27
	s_and_b32 s6, s53, vcc_lo
	s_delay_alu instid0(SALU_CYCLE_1)
	s_and_saveexec_b32 s7, s6
	s_cbranch_execz .LBB35_16
; %bb.15:                               ;   in Loop: Header=BB35_12 Depth=1
	v_mul_f32_e32 v4, 0x3fb8aa3b, v27
	v_cmp_ngt_f32_e32 vcc_lo, 0xc2ce8ed0, v27
	s_delay_alu instid0(VALU_DEP_2) | instskip(SKIP_1) | instid1(VALU_DEP_2)
	v_rndne_f32_e32 v5, v4
	v_fma_f32 v6, 0x3fb8aa3b, v27, -v4
	v_sub_f32_e32 v4, v4, v5
	s_delay_alu instid0(VALU_DEP_2) | instskip(SKIP_1) | instid1(VALU_DEP_2)
	v_fmac_f32_e32 v6, 0x32a5705f, v27
	v_cvt_i32_f32_e32 v5, v5
	v_add_f32_e32 v4, v4, v6
	s_delay_alu instid0(VALU_DEP_1) | instskip(SKIP_2) | instid1(VALU_DEP_1)
	v_exp_f32_e32 v4, v4
	s_waitcnt_depctr 0xfff
	v_ldexp_f32 v4, v4, v5
	v_cndmask_b32_e32 v4, 0, v4, vcc_lo
	v_cmp_nlt_f32_e32 vcc_lo, 0x42b17218, v27
	s_delay_alu instid0(VALU_DEP_2) | instskip(NEXT) | instid1(VALU_DEP_1)
	v_cndmask_b32_e32 v6, 0x7f800000, v4, vcc_lo
	v_add_f32_e32 v7, 1.0, v6
	s_delay_alu instid0(VALU_DEP_1) | instskip(NEXT) | instid1(VALU_DEP_1)
	v_cvt_f64_f32_e32 v[4:5], v7
	v_frexp_exp_i32_f64_e32 v4, v[4:5]
	v_frexp_mant_f32_e32 v5, v7
	s_delay_alu instid0(VALU_DEP_1) | instskip(SKIP_1) | instid1(VALU_DEP_1)
	v_cmp_gt_f32_e32 vcc_lo, 0x3f2aaaab, v5
	v_add_f32_e32 v5, -1.0, v7
	v_sub_f32_e32 v9, v5, v7
	v_sub_f32_e32 v5, v6, v5
	s_delay_alu instid0(VALU_DEP_2) | instskip(NEXT) | instid1(VALU_DEP_1)
	v_add_f32_e32 v9, 1.0, v9
	v_add_f32_e32 v5, v5, v9
	v_cmp_gt_f32_e64 s6, 0x33800000, v6
	v_subrev_co_ci_u32_e32 v4, vcc_lo, 0, v4, vcc_lo
	v_cmp_eq_f32_e32 vcc_lo, 0x7f800000, v6
	s_delay_alu instid0(VALU_DEP_2) | instskip(SKIP_2) | instid1(VALU_DEP_2)
	v_sub_nc_u32_e32 v8, 0, v4
	v_cvt_f32_i32_e32 v4, v4
	s_or_b32 vcc_lo, s6, vcc_lo
	v_ldexp_f32 v7, v7, v8
	v_ldexp_f32 v5, v5, v8
	s_delay_alu instid0(VALU_DEP_2) | instskip(NEXT) | instid1(VALU_DEP_1)
	v_add_f32_e32 v10, 1.0, v7
	v_dual_add_f32 v8, -1.0, v7 :: v_dual_add_f32 v9, -1.0, v10
	s_delay_alu instid0(VALU_DEP_1) | instskip(NEXT) | instid1(VALU_DEP_2)
	v_add_f32_e32 v11, 1.0, v8
	v_sub_f32_e32 v9, v7, v9
	s_delay_alu instid0(VALU_DEP_2) | instskip(NEXT) | instid1(VALU_DEP_2)
	v_sub_f32_e32 v7, v7, v11
	v_add_f32_e32 v9, v5, v9
	s_delay_alu instid0(VALU_DEP_2) | instskip(NEXT) | instid1(VALU_DEP_2)
	v_add_f32_e32 v5, v5, v7
	v_add_f32_e32 v11, v10, v9
	s_delay_alu instid0(VALU_DEP_1) | instskip(NEXT) | instid1(VALU_DEP_2)
	v_rcp_f32_e32 v7, v11
	v_dual_add_f32 v27, v8, v5 :: v_dual_sub_f32 v10, v10, v11
	s_delay_alu instid0(VALU_DEP_1) | instskip(SKIP_2) | instid1(VALU_DEP_1)
	v_dual_sub_f32 v8, v8, v27 :: v_dual_add_f32 v9, v9, v10
	s_waitcnt_depctr 0xfff
	v_dual_mul_f32 v28, v27, v7 :: v_dual_add_f32 v5, v5, v8
	v_mul_f32_e32 v29, v11, v28
	s_delay_alu instid0(VALU_DEP_1) | instskip(NEXT) | instid1(VALU_DEP_1)
	v_fma_f32 v10, v28, v11, -v29
	v_fmac_f32_e32 v10, v28, v9
	s_delay_alu instid0(VALU_DEP_1) | instskip(NEXT) | instid1(VALU_DEP_1)
	v_add_f32_e32 v30, v29, v10
	v_dual_sub_f32 v31, v27, v30 :: v_dual_sub_f32 v8, v30, v29
	s_delay_alu instid0(VALU_DEP_1) | instskip(NEXT) | instid1(VALU_DEP_1)
	v_dual_sub_f32 v27, v27, v31 :: v_dual_sub_f32 v8, v8, v10
	v_sub_f32_e32 v27, v27, v30
	s_delay_alu instid0(VALU_DEP_1) | instskip(NEXT) | instid1(VALU_DEP_1)
	v_add_f32_e32 v5, v5, v27
	v_add_f32_e32 v5, v8, v5
	s_delay_alu instid0(VALU_DEP_1) | instskip(NEXT) | instid1(VALU_DEP_1)
	v_add_f32_e32 v8, v31, v5
	v_mul_f32_e32 v10, v7, v8
	v_sub_f32_e32 v30, v31, v8
	s_delay_alu instid0(VALU_DEP_2) | instskip(NEXT) | instid1(VALU_DEP_2)
	v_mul_f32_e32 v27, v11, v10
	v_add_f32_e32 v5, v5, v30
	s_delay_alu instid0(VALU_DEP_2) | instskip(NEXT) | instid1(VALU_DEP_1)
	v_fma_f32 v11, v10, v11, -v27
	v_fmac_f32_e32 v11, v10, v9
	s_delay_alu instid0(VALU_DEP_1) | instskip(NEXT) | instid1(VALU_DEP_1)
	v_add_f32_e32 v9, v27, v11
	v_sub_f32_e32 v29, v8, v9
	s_delay_alu instid0(VALU_DEP_1) | instskip(NEXT) | instid1(VALU_DEP_1)
	v_dual_sub_f32 v27, v9, v27 :: v_dual_sub_f32 v8, v8, v29
	v_sub_f32_e32 v8, v8, v9
	s_delay_alu instid0(VALU_DEP_1) | instskip(NEXT) | instid1(VALU_DEP_3)
	v_dual_add_f32 v5, v5, v8 :: v_dual_add_f32 v8, v28, v10
	v_sub_f32_e32 v9, v27, v11
	s_delay_alu instid0(VALU_DEP_1) | instskip(NEXT) | instid1(VALU_DEP_3)
	v_add_f32_e32 v5, v9, v5
	v_sub_f32_e32 v9, v8, v28
	s_delay_alu instid0(VALU_DEP_2) | instskip(NEXT) | instid1(VALU_DEP_2)
	v_add_f32_e32 v5, v29, v5
	v_sub_f32_e32 v9, v10, v9
	s_delay_alu instid0(VALU_DEP_2) | instskip(NEXT) | instid1(VALU_DEP_1)
	v_mul_f32_e32 v5, v7, v5
	v_add_f32_e32 v5, v9, v5
	s_delay_alu instid0(VALU_DEP_1) | instskip(NEXT) | instid1(VALU_DEP_1)
	v_add_f32_e32 v7, v8, v5
	v_mul_f32_e32 v9, v7, v7
	s_delay_alu instid0(VALU_DEP_1) | instskip(SKIP_1) | instid1(VALU_DEP_2)
	v_fmaak_f32 v10, s57, v9, 0x3ecc95a3
	v_mul_f32_e32 v11, v7, v9
	v_fmaak_f32 v9, v9, v10, 0x3f2aaada
	v_ldexp_f32 v10, v7, 1
	v_sub_f32_e32 v7, v7, v8
	s_delay_alu instid0(VALU_DEP_3) | instskip(SKIP_1) | instid1(VALU_DEP_2)
	v_mul_f32_e32 v9, v11, v9
	v_mul_f32_e32 v11, 0x3f317218, v4
	v_dual_sub_f32 v5, v5, v7 :: v_dual_add_f32 v8, v10, v9
	s_delay_alu instid0(VALU_DEP_1) | instskip(NEXT) | instid1(VALU_DEP_2)
	v_ldexp_f32 v5, v5, 1
	v_sub_f32_e32 v7, v8, v10
	s_delay_alu instid0(VALU_DEP_4) | instskip(NEXT) | instid1(VALU_DEP_1)
	v_fma_f32 v10, 0x3f317218, v4, -v11
	v_dual_sub_f32 v7, v9, v7 :: v_dual_fmac_f32 v10, 0xb102e308, v4
	s_delay_alu instid0(VALU_DEP_1) | instskip(NEXT) | instid1(VALU_DEP_1)
	v_dual_add_f32 v4, v5, v7 :: v_dual_add_f32 v5, v11, v10
	v_add_f32_e32 v7, v8, v4
	s_delay_alu instid0(VALU_DEP_2) | instskip(NEXT) | instid1(VALU_DEP_2)
	v_sub_f32_e32 v11, v5, v11
	v_dual_add_f32 v9, v5, v7 :: v_dual_sub_f32 v8, v7, v8
	s_delay_alu instid0(VALU_DEP_1) | instskip(NEXT) | instid1(VALU_DEP_2)
	v_dual_sub_f32 v10, v10, v11 :: v_dual_sub_f32 v27, v9, v5
	v_sub_f32_e32 v4, v4, v8
	s_delay_alu instid0(VALU_DEP_2) | instskip(NEXT) | instid1(VALU_DEP_2)
	v_sub_f32_e32 v28, v9, v27
	v_dual_sub_f32 v7, v7, v27 :: v_dual_add_f32 v8, v10, v4
	s_delay_alu instid0(VALU_DEP_2) | instskip(NEXT) | instid1(VALU_DEP_1)
	v_sub_f32_e32 v5, v5, v28
	v_add_f32_e32 v5, v7, v5
	s_delay_alu instid0(VALU_DEP_3) | instskip(NEXT) | instid1(VALU_DEP_2)
	v_sub_f32_e32 v7, v8, v10
	v_add_f32_e32 v5, v8, v5
	s_delay_alu instid0(VALU_DEP_2) | instskip(NEXT) | instid1(VALU_DEP_2)
	v_sub_f32_e32 v8, v8, v7
	v_dual_sub_f32 v4, v4, v7 :: v_dual_add_f32 v11, v9, v5
	s_delay_alu instid0(VALU_DEP_1) | instskip(NEXT) | instid1(VALU_DEP_1)
	v_dual_sub_f32 v8, v10, v8 :: v_dual_sub_f32 v7, v11, v9
	v_dual_add_f32 v4, v4, v8 :: v_dual_sub_f32 v5, v5, v7
	s_delay_alu instid0(VALU_DEP_1) | instskip(NEXT) | instid1(VALU_DEP_1)
	v_add_f32_e32 v4, v4, v5
	v_add_f32_e32 v4, v11, v4
	s_delay_alu instid0(VALU_DEP_1)
	v_cndmask_b32_e32 v27, v4, v6, vcc_lo
.LBB35_16:                              ;   in Loop: Header=BB35_12 Depth=1
	s_or_b32 exec_lo, exec_lo, s7
	v_lshlrev_b32_e32 v4, 16, v24
	s_delay_alu instid0(VALU_DEP_1) | instskip(NEXT) | instid1(VALU_DEP_1)
	v_add_f32_e32 v28, s48, v4
	v_cmp_ge_f32_e32 vcc_lo, 0x41a00000, v28
	s_and_b32 s6, s53, vcc_lo
	s_delay_alu instid0(SALU_CYCLE_1)
	s_and_saveexec_b32 s7, s6
	s_cbranch_execz .LBB35_18
; %bb.17:                               ;   in Loop: Header=BB35_12 Depth=1
	v_mul_f32_e32 v4, 0x3fb8aa3b, v28
	v_cmp_ngt_f32_e32 vcc_lo, 0xc2ce8ed0, v28
	s_delay_alu instid0(VALU_DEP_2) | instskip(SKIP_1) | instid1(VALU_DEP_2)
	v_rndne_f32_e32 v5, v4
	v_fma_f32 v6, 0x3fb8aa3b, v28, -v4
	v_sub_f32_e32 v4, v4, v5
	s_delay_alu instid0(VALU_DEP_2) | instskip(SKIP_1) | instid1(VALU_DEP_2)
	v_fmac_f32_e32 v6, 0x32a5705f, v28
	v_cvt_i32_f32_e32 v5, v5
	v_add_f32_e32 v4, v4, v6
	s_delay_alu instid0(VALU_DEP_1) | instskip(SKIP_2) | instid1(VALU_DEP_1)
	v_exp_f32_e32 v4, v4
	s_waitcnt_depctr 0xfff
	v_ldexp_f32 v4, v4, v5
	v_cndmask_b32_e32 v4, 0, v4, vcc_lo
	v_cmp_nlt_f32_e32 vcc_lo, 0x42b17218, v28
	s_delay_alu instid0(VALU_DEP_2) | instskip(NEXT) | instid1(VALU_DEP_1)
	v_cndmask_b32_e32 v6, 0x7f800000, v4, vcc_lo
	v_add_f32_e32 v7, 1.0, v6
	s_delay_alu instid0(VALU_DEP_1) | instskip(NEXT) | instid1(VALU_DEP_1)
	v_cvt_f64_f32_e32 v[4:5], v7
	v_frexp_exp_i32_f64_e32 v4, v[4:5]
	v_frexp_mant_f32_e32 v5, v7
	s_delay_alu instid0(VALU_DEP_1) | instskip(SKIP_1) | instid1(VALU_DEP_1)
	v_cmp_gt_f32_e32 vcc_lo, 0x3f2aaaab, v5
	v_add_f32_e32 v5, -1.0, v7
	v_sub_f32_e32 v9, v5, v7
	v_sub_f32_e32 v5, v6, v5
	s_delay_alu instid0(VALU_DEP_2) | instskip(NEXT) | instid1(VALU_DEP_1)
	v_add_f32_e32 v9, 1.0, v9
	v_add_f32_e32 v5, v5, v9
	v_cmp_gt_f32_e64 s6, 0x33800000, v6
	v_subrev_co_ci_u32_e32 v4, vcc_lo, 0, v4, vcc_lo
	v_cmp_eq_f32_e32 vcc_lo, 0x7f800000, v6
	s_delay_alu instid0(VALU_DEP_2) | instskip(SKIP_2) | instid1(VALU_DEP_2)
	v_sub_nc_u32_e32 v8, 0, v4
	v_cvt_f32_i32_e32 v4, v4
	s_or_b32 vcc_lo, s6, vcc_lo
	v_ldexp_f32 v7, v7, v8
	v_ldexp_f32 v5, v5, v8
	s_delay_alu instid0(VALU_DEP_2) | instskip(NEXT) | instid1(VALU_DEP_1)
	v_add_f32_e32 v10, 1.0, v7
	v_dual_add_f32 v8, -1.0, v7 :: v_dual_add_f32 v9, -1.0, v10
	s_delay_alu instid0(VALU_DEP_1) | instskip(NEXT) | instid1(VALU_DEP_2)
	v_add_f32_e32 v11, 1.0, v8
	v_sub_f32_e32 v9, v7, v9
	s_delay_alu instid0(VALU_DEP_2) | instskip(NEXT) | instid1(VALU_DEP_2)
	v_sub_f32_e32 v7, v7, v11
	v_add_f32_e32 v9, v5, v9
	s_delay_alu instid0(VALU_DEP_2) | instskip(NEXT) | instid1(VALU_DEP_1)
	v_add_f32_e32 v5, v5, v7
	v_add_f32_e32 v28, v8, v5
	s_delay_alu instid0(VALU_DEP_1) | instskip(NEXT) | instid1(VALU_DEP_1)
	v_dual_add_f32 v11, v10, v9 :: v_dual_sub_f32 v8, v8, v28
	v_rcp_f32_e32 v7, v11
	v_sub_f32_e32 v10, v10, v11
	s_delay_alu instid0(VALU_DEP_1) | instskip(SKIP_2) | instid1(VALU_DEP_1)
	v_add_f32_e32 v9, v9, v10
	s_waitcnt_depctr 0xfff
	v_mul_f32_e32 v29, v28, v7
	v_mul_f32_e32 v30, v11, v29
	s_delay_alu instid0(VALU_DEP_1) | instskip(NEXT) | instid1(VALU_DEP_1)
	v_fma_f32 v10, v29, v11, -v30
	v_fmac_f32_e32 v10, v29, v9
	s_delay_alu instid0(VALU_DEP_1) | instskip(NEXT) | instid1(VALU_DEP_1)
	v_add_f32_e32 v31, v30, v10
	v_sub_f32_e32 v32, v28, v31
	s_delay_alu instid0(VALU_DEP_1) | instskip(SKIP_1) | instid1(VALU_DEP_2)
	v_sub_f32_e32 v28, v28, v32
	v_dual_add_f32 v5, v5, v8 :: v_dual_sub_f32 v8, v31, v30
	v_sub_f32_e32 v28, v28, v31
	s_delay_alu instid0(VALU_DEP_1) | instskip(NEXT) | instid1(VALU_DEP_1)
	v_dual_sub_f32 v8, v8, v10 :: v_dual_add_f32 v5, v5, v28
	v_add_f32_e32 v5, v8, v5
	s_delay_alu instid0(VALU_DEP_1) | instskip(NEXT) | instid1(VALU_DEP_1)
	v_add_f32_e32 v8, v32, v5
	v_mul_f32_e32 v10, v7, v8
	s_delay_alu instid0(VALU_DEP_1) | instskip(NEXT) | instid1(VALU_DEP_1)
	v_dual_sub_f32 v31, v32, v8 :: v_dual_mul_f32 v28, v11, v10
	v_add_f32_e32 v5, v5, v31
	s_delay_alu instid0(VALU_DEP_2) | instskip(NEXT) | instid1(VALU_DEP_1)
	v_fma_f32 v11, v10, v11, -v28
	v_fmac_f32_e32 v11, v10, v9
	s_delay_alu instid0(VALU_DEP_1) | instskip(NEXT) | instid1(VALU_DEP_1)
	v_add_f32_e32 v9, v28, v11
	v_sub_f32_e32 v30, v8, v9
	s_delay_alu instid0(VALU_DEP_1) | instskip(NEXT) | instid1(VALU_DEP_1)
	v_sub_f32_e32 v8, v8, v30
	v_sub_f32_e32 v8, v8, v9
	s_delay_alu instid0(VALU_DEP_1) | instskip(SKIP_2) | instid1(VALU_DEP_1)
	v_add_f32_e32 v5, v5, v8
	v_add_f32_e32 v8, v29, v10
	v_sub_f32_e32 v28, v9, v28
	v_sub_f32_e32 v9, v28, v11
	s_delay_alu instid0(VALU_DEP_1) | instskip(NEXT) | instid1(VALU_DEP_4)
	v_add_f32_e32 v5, v9, v5
	v_sub_f32_e32 v9, v8, v29
	s_delay_alu instid0(VALU_DEP_2) | instskip(NEXT) | instid1(VALU_DEP_2)
	v_add_f32_e32 v5, v30, v5
	v_sub_f32_e32 v9, v10, v9
	s_delay_alu instid0(VALU_DEP_2) | instskip(NEXT) | instid1(VALU_DEP_1)
	v_mul_f32_e32 v5, v7, v5
	v_add_f32_e32 v5, v9, v5
	s_delay_alu instid0(VALU_DEP_1) | instskip(NEXT) | instid1(VALU_DEP_1)
	v_add_f32_e32 v7, v8, v5
	v_mul_f32_e32 v9, v7, v7
	s_delay_alu instid0(VALU_DEP_1) | instskip(SKIP_1) | instid1(VALU_DEP_2)
	v_fmaak_f32 v10, s57, v9, 0x3ecc95a3
	v_mul_f32_e32 v11, v7, v9
	v_fmaak_f32 v9, v9, v10, 0x3f2aaada
	v_ldexp_f32 v10, v7, 1
	s_delay_alu instid0(VALU_DEP_2) | instskip(SKIP_1) | instid1(VALU_DEP_2)
	v_mul_f32_e32 v9, v11, v9
	v_sub_f32_e32 v7, v7, v8
	v_dual_mul_f32 v11, 0x3f317218, v4 :: v_dual_add_f32 v8, v10, v9
	s_delay_alu instid0(VALU_DEP_2) | instskip(NEXT) | instid1(VALU_DEP_2)
	v_sub_f32_e32 v5, v5, v7
	v_sub_f32_e32 v7, v8, v10
	s_delay_alu instid0(VALU_DEP_3) | instskip(NEXT) | instid1(VALU_DEP_3)
	v_fma_f32 v10, 0x3f317218, v4, -v11
	v_ldexp_f32 v5, v5, 1
	s_delay_alu instid0(VALU_DEP_2) | instskip(NEXT) | instid1(VALU_DEP_1)
	v_dual_sub_f32 v7, v9, v7 :: v_dual_fmac_f32 v10, 0xb102e308, v4
	v_dual_add_f32 v4, v5, v7 :: v_dual_add_f32 v5, v11, v10
	s_delay_alu instid0(VALU_DEP_1) | instskip(NEXT) | instid1(VALU_DEP_1)
	v_add_f32_e32 v7, v8, v4
	v_dual_add_f32 v9, v5, v7 :: v_dual_sub_f32 v8, v7, v8
	s_delay_alu instid0(VALU_DEP_1) | instskip(NEXT) | instid1(VALU_DEP_2)
	v_sub_f32_e32 v28, v9, v5
	v_dual_sub_f32 v11, v5, v11 :: v_dual_sub_f32 v4, v4, v8
	s_delay_alu instid0(VALU_DEP_1) | instskip(SKIP_1) | instid1(VALU_DEP_2)
	v_dual_sub_f32 v29, v9, v28 :: v_dual_sub_f32 v10, v10, v11
	v_sub_f32_e32 v7, v7, v28
	v_dual_sub_f32 v5, v5, v29 :: v_dual_add_f32 v8, v10, v4
	s_delay_alu instid0(VALU_DEP_1) | instskip(NEXT) | instid1(VALU_DEP_2)
	v_add_f32_e32 v5, v7, v5
	v_sub_f32_e32 v7, v8, v10
	s_delay_alu instid0(VALU_DEP_2) | instskip(NEXT) | instid1(VALU_DEP_2)
	v_add_f32_e32 v5, v8, v5
	v_sub_f32_e32 v8, v8, v7
	s_delay_alu instid0(VALU_DEP_2) | instskip(NEXT) | instid1(VALU_DEP_1)
	v_dual_sub_f32 v4, v4, v7 :: v_dual_add_f32 v11, v9, v5
	v_dual_sub_f32 v8, v10, v8 :: v_dual_sub_f32 v7, v11, v9
	s_delay_alu instid0(VALU_DEP_1) | instskip(NEXT) | instid1(VALU_DEP_1)
	v_dual_add_f32 v4, v4, v8 :: v_dual_sub_f32 v5, v5, v7
	v_add_f32_e32 v4, v4, v5
	s_delay_alu instid0(VALU_DEP_1) | instskip(NEXT) | instid1(VALU_DEP_1)
	v_add_f32_e32 v4, v11, v4
	v_cndmask_b32_e32 v28, v4, v6, vcc_lo
.LBB35_18:                              ;   in Loop: Header=BB35_12 Depth=1
	s_or_b32 exec_lo, exec_lo, s7
	v_lshlrev_b32_e32 v4, 16, v3
	s_delay_alu instid0(VALU_DEP_1) | instskip(NEXT) | instid1(VALU_DEP_1)
	v_add_f32_e32 v29, s48, v4
	v_cmp_ge_f32_e32 vcc_lo, 0x41a00000, v29
	s_and_b32 s6, s53, vcc_lo
	s_delay_alu instid0(SALU_CYCLE_1)
	s_and_saveexec_b32 s7, s6
	s_cbranch_execz .LBB35_20
; %bb.19:                               ;   in Loop: Header=BB35_12 Depth=1
	v_mul_f32_e32 v4, 0x3fb8aa3b, v29
	v_cmp_ngt_f32_e32 vcc_lo, 0xc2ce8ed0, v29
	s_delay_alu instid0(VALU_DEP_2) | instskip(SKIP_1) | instid1(VALU_DEP_2)
	v_rndne_f32_e32 v5, v4
	v_fma_f32 v6, 0x3fb8aa3b, v29, -v4
	v_sub_f32_e32 v4, v4, v5
	s_delay_alu instid0(VALU_DEP_2) | instskip(SKIP_1) | instid1(VALU_DEP_2)
	v_fmac_f32_e32 v6, 0x32a5705f, v29
	v_cvt_i32_f32_e32 v5, v5
	v_add_f32_e32 v4, v4, v6
	s_delay_alu instid0(VALU_DEP_1) | instskip(SKIP_2) | instid1(VALU_DEP_1)
	v_exp_f32_e32 v4, v4
	s_waitcnt_depctr 0xfff
	v_ldexp_f32 v4, v4, v5
	v_cndmask_b32_e32 v4, 0, v4, vcc_lo
	v_cmp_nlt_f32_e32 vcc_lo, 0x42b17218, v29
	s_delay_alu instid0(VALU_DEP_2) | instskip(NEXT) | instid1(VALU_DEP_1)
	v_cndmask_b32_e32 v6, 0x7f800000, v4, vcc_lo
	v_add_f32_e32 v7, 1.0, v6
	s_delay_alu instid0(VALU_DEP_1) | instskip(NEXT) | instid1(VALU_DEP_1)
	v_cvt_f64_f32_e32 v[4:5], v7
	v_frexp_exp_i32_f64_e32 v4, v[4:5]
	v_frexp_mant_f32_e32 v5, v7
	s_delay_alu instid0(VALU_DEP_1) | instskip(SKIP_1) | instid1(VALU_DEP_1)
	v_cmp_gt_f32_e32 vcc_lo, 0x3f2aaaab, v5
	v_add_f32_e32 v5, -1.0, v7
	v_sub_f32_e32 v9, v5, v7
	v_sub_f32_e32 v5, v6, v5
	s_delay_alu instid0(VALU_DEP_2) | instskip(NEXT) | instid1(VALU_DEP_1)
	v_add_f32_e32 v9, 1.0, v9
	v_add_f32_e32 v5, v5, v9
	v_cmp_gt_f32_e64 s6, 0x33800000, v6
	v_subrev_co_ci_u32_e32 v4, vcc_lo, 0, v4, vcc_lo
	v_cmp_eq_f32_e32 vcc_lo, 0x7f800000, v6
	s_delay_alu instid0(VALU_DEP_2) | instskip(SKIP_2) | instid1(VALU_DEP_2)
	v_sub_nc_u32_e32 v8, 0, v4
	v_cvt_f32_i32_e32 v4, v4
	s_or_b32 vcc_lo, s6, vcc_lo
	v_ldexp_f32 v7, v7, v8
	v_ldexp_f32 v5, v5, v8
	s_delay_alu instid0(VALU_DEP_2) | instskip(NEXT) | instid1(VALU_DEP_1)
	v_add_f32_e32 v10, 1.0, v7
	v_dual_add_f32 v8, -1.0, v7 :: v_dual_add_f32 v9, -1.0, v10
	s_delay_alu instid0(VALU_DEP_1) | instskip(NEXT) | instid1(VALU_DEP_2)
	v_add_f32_e32 v11, 1.0, v8
	v_sub_f32_e32 v9, v7, v9
	s_delay_alu instid0(VALU_DEP_2) | instskip(NEXT) | instid1(VALU_DEP_2)
	v_sub_f32_e32 v7, v7, v11
	v_add_f32_e32 v9, v5, v9
	s_delay_alu instid0(VALU_DEP_2) | instskip(NEXT) | instid1(VALU_DEP_2)
	v_add_f32_e32 v5, v5, v7
	v_add_f32_e32 v11, v10, v9
	s_delay_alu instid0(VALU_DEP_1) | instskip(NEXT) | instid1(VALU_DEP_2)
	v_rcp_f32_e32 v7, v11
	v_dual_add_f32 v29, v8, v5 :: v_dual_sub_f32 v10, v10, v11
	s_delay_alu instid0(VALU_DEP_1) | instskip(SKIP_3) | instid1(VALU_DEP_2)
	v_sub_f32_e32 v8, v8, v29
	s_waitcnt_depctr 0xfff
	v_mul_f32_e32 v30, v29, v7
	v_add_f32_e32 v5, v5, v8
	v_mul_f32_e32 v31, v11, v30
	v_add_f32_e32 v9, v9, v10
	s_delay_alu instid0(VALU_DEP_2) | instskip(NEXT) | instid1(VALU_DEP_1)
	v_fma_f32 v10, v30, v11, -v31
	v_fmac_f32_e32 v10, v30, v9
	s_delay_alu instid0(VALU_DEP_1) | instskip(NEXT) | instid1(VALU_DEP_1)
	v_add_f32_e32 v32, v31, v10
	v_dual_sub_f32 v8, v32, v31 :: v_dual_sub_f32 v33, v29, v32
	s_delay_alu instid0(VALU_DEP_1) | instskip(NEXT) | instid1(VALU_DEP_1)
	v_dual_sub_f32 v8, v8, v10 :: v_dual_sub_f32 v29, v29, v33
	v_sub_f32_e32 v29, v29, v32
	s_delay_alu instid0(VALU_DEP_1) | instskip(NEXT) | instid1(VALU_DEP_1)
	v_add_f32_e32 v5, v5, v29
	v_add_f32_e32 v5, v8, v5
	s_delay_alu instid0(VALU_DEP_1) | instskip(NEXT) | instid1(VALU_DEP_1)
	v_add_f32_e32 v8, v33, v5
	v_sub_f32_e32 v32, v33, v8
	v_mul_f32_e32 v10, v7, v8
	s_delay_alu instid0(VALU_DEP_2) | instskip(NEXT) | instid1(VALU_DEP_2)
	v_add_f32_e32 v5, v5, v32
	v_mul_f32_e32 v29, v11, v10
	s_delay_alu instid0(VALU_DEP_1) | instskip(NEXT) | instid1(VALU_DEP_1)
	v_fma_f32 v11, v10, v11, -v29
	v_fmac_f32_e32 v11, v10, v9
	s_delay_alu instid0(VALU_DEP_1) | instskip(NEXT) | instid1(VALU_DEP_1)
	v_add_f32_e32 v9, v29, v11
	v_sub_f32_e32 v31, v8, v9
	s_delay_alu instid0(VALU_DEP_1) | instskip(NEXT) | instid1(VALU_DEP_1)
	v_dual_sub_f32 v29, v9, v29 :: v_dual_sub_f32 v8, v8, v31
	v_dual_sub_f32 v8, v8, v9 :: v_dual_sub_f32 v9, v29, v11
	s_delay_alu instid0(VALU_DEP_1) | instskip(NEXT) | instid1(VALU_DEP_1)
	v_dual_add_f32 v5, v5, v8 :: v_dual_add_f32 v8, v30, v10
	v_add_f32_e32 v5, v9, v5
	s_delay_alu instid0(VALU_DEP_2) | instskip(NEXT) | instid1(VALU_DEP_2)
	v_sub_f32_e32 v9, v8, v30
	v_add_f32_e32 v5, v31, v5
	s_delay_alu instid0(VALU_DEP_2) | instskip(NEXT) | instid1(VALU_DEP_2)
	v_sub_f32_e32 v9, v10, v9
	v_mul_f32_e32 v5, v7, v5
	s_delay_alu instid0(VALU_DEP_1) | instskip(NEXT) | instid1(VALU_DEP_1)
	v_add_f32_e32 v5, v9, v5
	v_add_f32_e32 v7, v8, v5
	s_delay_alu instid0(VALU_DEP_1) | instskip(NEXT) | instid1(VALU_DEP_1)
	v_mul_f32_e32 v9, v7, v7
	v_fmaak_f32 v10, s57, v9, 0x3ecc95a3
	v_mul_f32_e32 v11, v7, v9
	s_delay_alu instid0(VALU_DEP_2) | instskip(SKIP_2) | instid1(VALU_DEP_3)
	v_fmaak_f32 v9, v9, v10, 0x3f2aaada
	v_ldexp_f32 v10, v7, 1
	v_sub_f32_e32 v7, v7, v8
	v_mul_f32_e32 v9, v11, v9
	v_mul_f32_e32 v11, 0x3f317218, v4
	s_delay_alu instid0(VALU_DEP_2) | instskip(NEXT) | instid1(VALU_DEP_1)
	v_dual_sub_f32 v5, v5, v7 :: v_dual_add_f32 v8, v10, v9
	v_ldexp_f32 v5, v5, 1
	s_delay_alu instid0(VALU_DEP_2) | instskip(NEXT) | instid1(VALU_DEP_4)
	v_sub_f32_e32 v7, v8, v10
	v_fma_f32 v10, 0x3f317218, v4, -v11
	s_delay_alu instid0(VALU_DEP_1) | instskip(NEXT) | instid1(VALU_DEP_1)
	v_dual_sub_f32 v7, v9, v7 :: v_dual_fmac_f32 v10, 0xb102e308, v4
	v_dual_add_f32 v4, v5, v7 :: v_dual_add_f32 v5, v11, v10
	s_delay_alu instid0(VALU_DEP_1) | instskip(NEXT) | instid1(VALU_DEP_2)
	v_add_f32_e32 v7, v8, v4
	v_sub_f32_e32 v11, v5, v11
	s_delay_alu instid0(VALU_DEP_2) | instskip(NEXT) | instid1(VALU_DEP_1)
	v_dual_add_f32 v9, v5, v7 :: v_dual_sub_f32 v8, v7, v8
	v_dual_sub_f32 v10, v10, v11 :: v_dual_sub_f32 v29, v9, v5
	s_delay_alu instid0(VALU_DEP_2) | instskip(NEXT) | instid1(VALU_DEP_2)
	v_sub_f32_e32 v4, v4, v8
	v_sub_f32_e32 v30, v9, v29
	s_delay_alu instid0(VALU_DEP_2) | instskip(NEXT) | instid1(VALU_DEP_2)
	v_dual_sub_f32 v7, v7, v29 :: v_dual_add_f32 v8, v10, v4
	v_sub_f32_e32 v5, v5, v30
	s_delay_alu instid0(VALU_DEP_1) | instskip(NEXT) | instid1(VALU_DEP_3)
	v_add_f32_e32 v5, v7, v5
	v_sub_f32_e32 v7, v8, v10
	s_delay_alu instid0(VALU_DEP_2) | instskip(NEXT) | instid1(VALU_DEP_2)
	v_add_f32_e32 v5, v8, v5
	v_sub_f32_e32 v8, v8, v7
	s_delay_alu instid0(VALU_DEP_2) | instskip(NEXT) | instid1(VALU_DEP_1)
	v_dual_sub_f32 v4, v4, v7 :: v_dual_add_f32 v11, v9, v5
	v_dual_sub_f32 v8, v10, v8 :: v_dual_sub_f32 v7, v11, v9
	s_delay_alu instid0(VALU_DEP_1) | instskip(NEXT) | instid1(VALU_DEP_1)
	v_dual_add_f32 v4, v4, v8 :: v_dual_sub_f32 v5, v5, v7
	v_add_f32_e32 v4, v4, v5
	s_delay_alu instid0(VALU_DEP_1) | instskip(NEXT) | instid1(VALU_DEP_1)
	v_add_f32_e32 v4, v11, v4
	v_cndmask_b32_e32 v29, v4, v6, vcc_lo
.LBB35_20:                              ;   in Loop: Header=BB35_12 Depth=1
	s_or_b32 exec_lo, exec_lo, s7
	v_lshlrev_b32_e32 v4, 16, v25
	s_delay_alu instid0(VALU_DEP_1) | instskip(NEXT) | instid1(VALU_DEP_1)
	v_add_f32_e32 v34, s48, v4
	v_cmp_ge_f32_e32 vcc_lo, 0x41a00000, v34
	s_and_b32 s6, s53, vcc_lo
	s_delay_alu instid0(SALU_CYCLE_1)
	s_and_saveexec_b32 s7, s6
	s_cbranch_execz .LBB35_22
; %bb.21:                               ;   in Loop: Header=BB35_12 Depth=1
	v_mul_f32_e32 v4, 0x3fb8aa3b, v34
	v_cmp_ngt_f32_e32 vcc_lo, 0xc2ce8ed0, v34
	s_delay_alu instid0(VALU_DEP_2) | instskip(SKIP_1) | instid1(VALU_DEP_2)
	v_rndne_f32_e32 v5, v4
	v_fma_f32 v6, 0x3fb8aa3b, v34, -v4
	v_sub_f32_e32 v4, v4, v5
	s_delay_alu instid0(VALU_DEP_2) | instskip(SKIP_1) | instid1(VALU_DEP_2)
	v_fmac_f32_e32 v6, 0x32a5705f, v34
	v_cvt_i32_f32_e32 v5, v5
	v_add_f32_e32 v4, v4, v6
	s_delay_alu instid0(VALU_DEP_1) | instskip(SKIP_2) | instid1(VALU_DEP_1)
	v_exp_f32_e32 v4, v4
	s_waitcnt_depctr 0xfff
	v_ldexp_f32 v4, v4, v5
	v_cndmask_b32_e32 v4, 0, v4, vcc_lo
	v_cmp_nlt_f32_e32 vcc_lo, 0x42b17218, v34
	s_delay_alu instid0(VALU_DEP_2) | instskip(NEXT) | instid1(VALU_DEP_1)
	v_cndmask_b32_e32 v6, 0x7f800000, v4, vcc_lo
	v_add_f32_e32 v7, 1.0, v6
	s_delay_alu instid0(VALU_DEP_1) | instskip(NEXT) | instid1(VALU_DEP_1)
	v_cvt_f64_f32_e32 v[4:5], v7
	v_frexp_exp_i32_f64_e32 v4, v[4:5]
	v_frexp_mant_f32_e32 v5, v7
	s_delay_alu instid0(VALU_DEP_1) | instskip(SKIP_1) | instid1(VALU_DEP_1)
	v_cmp_gt_f32_e32 vcc_lo, 0x3f2aaaab, v5
	v_add_f32_e32 v5, -1.0, v7
	v_sub_f32_e32 v9, v5, v7
	v_sub_f32_e32 v5, v6, v5
	s_delay_alu instid0(VALU_DEP_2) | instskip(NEXT) | instid1(VALU_DEP_1)
	v_add_f32_e32 v9, 1.0, v9
	v_add_f32_e32 v5, v5, v9
	v_cmp_gt_f32_e64 s6, 0x33800000, v6
	v_subrev_co_ci_u32_e32 v4, vcc_lo, 0, v4, vcc_lo
	v_cmp_eq_f32_e32 vcc_lo, 0x7f800000, v6
	s_delay_alu instid0(VALU_DEP_2) | instskip(SKIP_2) | instid1(VALU_DEP_2)
	v_sub_nc_u32_e32 v8, 0, v4
	v_cvt_f32_i32_e32 v4, v4
	s_or_b32 vcc_lo, s6, vcc_lo
	v_ldexp_f32 v7, v7, v8
	v_ldexp_f32 v5, v5, v8
	s_delay_alu instid0(VALU_DEP_2) | instskip(NEXT) | instid1(VALU_DEP_1)
	v_add_f32_e32 v10, 1.0, v7
	v_dual_add_f32 v8, -1.0, v7 :: v_dual_add_f32 v9, -1.0, v10
	s_delay_alu instid0(VALU_DEP_1) | instskip(NEXT) | instid1(VALU_DEP_2)
	v_add_f32_e32 v11, 1.0, v8
	v_sub_f32_e32 v9, v7, v9
	s_delay_alu instid0(VALU_DEP_2) | instskip(NEXT) | instid1(VALU_DEP_2)
	v_sub_f32_e32 v7, v7, v11
	v_add_f32_e32 v9, v5, v9
	s_delay_alu instid0(VALU_DEP_2) | instskip(NEXT) | instid1(VALU_DEP_1)
	v_add_f32_e32 v5, v5, v7
	v_add_f32_e32 v30, v8, v5
	s_delay_alu instid0(VALU_DEP_1) | instskip(NEXT) | instid1(VALU_DEP_1)
	v_dual_add_f32 v11, v10, v9 :: v_dual_sub_f32 v8, v8, v30
	v_rcp_f32_e32 v7, v11
	v_sub_f32_e32 v10, v10, v11
	s_delay_alu instid0(VALU_DEP_1) | instskip(SKIP_2) | instid1(VALU_DEP_1)
	v_add_f32_e32 v9, v9, v10
	s_waitcnt_depctr 0xfff
	v_mul_f32_e32 v31, v30, v7
	v_mul_f32_e32 v32, v11, v31
	s_delay_alu instid0(VALU_DEP_1) | instskip(NEXT) | instid1(VALU_DEP_1)
	v_fma_f32 v10, v31, v11, -v32
	v_dual_fmac_f32 v10, v31, v9 :: v_dual_add_f32 v5, v5, v8
	s_delay_alu instid0(VALU_DEP_1) | instskip(NEXT) | instid1(VALU_DEP_1)
	v_add_f32_e32 v33, v32, v10
	v_sub_f32_e32 v34, v30, v33
	v_sub_f32_e32 v8, v33, v32
	s_delay_alu instid0(VALU_DEP_2) | instskip(NEXT) | instid1(VALU_DEP_2)
	v_sub_f32_e32 v30, v30, v34
	v_sub_f32_e32 v8, v8, v10
	s_delay_alu instid0(VALU_DEP_2) | instskip(NEXT) | instid1(VALU_DEP_1)
	v_sub_f32_e32 v30, v30, v33
	v_add_f32_e32 v5, v5, v30
	s_delay_alu instid0(VALU_DEP_1) | instskip(NEXT) | instid1(VALU_DEP_1)
	v_add_f32_e32 v5, v8, v5
	v_add_f32_e32 v8, v34, v5
	s_delay_alu instid0(VALU_DEP_1) | instskip(NEXT) | instid1(VALU_DEP_1)
	v_mul_f32_e32 v10, v7, v8
	v_dual_sub_f32 v33, v34, v8 :: v_dual_mul_f32 v30, v11, v10
	s_delay_alu instid0(VALU_DEP_1) | instskip(NEXT) | instid1(VALU_DEP_2)
	v_add_f32_e32 v5, v5, v33
	v_fma_f32 v11, v10, v11, -v30
	s_delay_alu instid0(VALU_DEP_1) | instskip(NEXT) | instid1(VALU_DEP_1)
	v_fmac_f32_e32 v11, v10, v9
	v_add_f32_e32 v9, v30, v11
	s_delay_alu instid0(VALU_DEP_1) | instskip(NEXT) | instid1(VALU_DEP_1)
	v_sub_f32_e32 v32, v8, v9
	v_sub_f32_e32 v8, v8, v32
	s_delay_alu instid0(VALU_DEP_1) | instskip(NEXT) | instid1(VALU_DEP_1)
	v_sub_f32_e32 v8, v8, v9
	v_dual_add_f32 v5, v5, v8 :: v_dual_add_f32 v8, v31, v10
	v_sub_f32_e32 v30, v9, v30
	s_delay_alu instid0(VALU_DEP_1) | instskip(NEXT) | instid1(VALU_DEP_1)
	v_sub_f32_e32 v9, v30, v11
	v_add_f32_e32 v5, v9, v5
	s_delay_alu instid0(VALU_DEP_4) | instskip(NEXT) | instid1(VALU_DEP_2)
	v_sub_f32_e32 v9, v8, v31
	v_add_f32_e32 v5, v32, v5
	s_delay_alu instid0(VALU_DEP_2) | instskip(NEXT) | instid1(VALU_DEP_2)
	v_sub_f32_e32 v9, v10, v9
	v_mul_f32_e32 v5, v7, v5
	s_delay_alu instid0(VALU_DEP_1) | instskip(NEXT) | instid1(VALU_DEP_1)
	v_add_f32_e32 v5, v9, v5
	v_add_f32_e32 v7, v8, v5
	s_delay_alu instid0(VALU_DEP_1) | instskip(NEXT) | instid1(VALU_DEP_1)
	v_mul_f32_e32 v9, v7, v7
	v_fmaak_f32 v10, s57, v9, 0x3ecc95a3
	v_mul_f32_e32 v11, v7, v9
	s_delay_alu instid0(VALU_DEP_2) | instskip(SKIP_2) | instid1(VALU_DEP_3)
	v_fmaak_f32 v9, v9, v10, 0x3f2aaada
	v_ldexp_f32 v10, v7, 1
	v_sub_f32_e32 v7, v7, v8
	v_mul_f32_e32 v9, v11, v9
	v_mul_f32_e32 v11, 0x3f317218, v4
	s_delay_alu instid0(VALU_DEP_2) | instskip(NEXT) | instid1(VALU_DEP_1)
	v_dual_sub_f32 v5, v5, v7 :: v_dual_add_f32 v8, v10, v9
	v_ldexp_f32 v5, v5, 1
	s_delay_alu instid0(VALU_DEP_2) | instskip(NEXT) | instid1(VALU_DEP_4)
	v_sub_f32_e32 v7, v8, v10
	v_fma_f32 v10, 0x3f317218, v4, -v11
	s_delay_alu instid0(VALU_DEP_1) | instskip(NEXT) | instid1(VALU_DEP_1)
	v_dual_sub_f32 v7, v9, v7 :: v_dual_fmac_f32 v10, 0xb102e308, v4
	v_dual_add_f32 v4, v5, v7 :: v_dual_add_f32 v5, v11, v10
	s_delay_alu instid0(VALU_DEP_1) | instskip(NEXT) | instid1(VALU_DEP_2)
	v_add_f32_e32 v7, v8, v4
	v_sub_f32_e32 v11, v5, v11
	s_delay_alu instid0(VALU_DEP_2) | instskip(NEXT) | instid1(VALU_DEP_2)
	v_dual_add_f32 v9, v5, v7 :: v_dual_sub_f32 v8, v7, v8
	v_sub_f32_e32 v10, v10, v11
	s_delay_alu instid0(VALU_DEP_2) | instskip(NEXT) | instid1(VALU_DEP_1)
	v_sub_f32_e32 v30, v9, v5
	v_dual_sub_f32 v4, v4, v8 :: v_dual_sub_f32 v31, v9, v30
	s_delay_alu instid0(VALU_DEP_1) | instskip(NEXT) | instid1(VALU_DEP_2)
	v_dual_sub_f32 v7, v7, v30 :: v_dual_add_f32 v8, v10, v4
	v_sub_f32_e32 v5, v5, v31
	s_delay_alu instid0(VALU_DEP_1) | instskip(NEXT) | instid1(VALU_DEP_3)
	v_add_f32_e32 v5, v7, v5
	v_sub_f32_e32 v7, v8, v10
	s_delay_alu instid0(VALU_DEP_2) | instskip(NEXT) | instid1(VALU_DEP_2)
	v_add_f32_e32 v5, v8, v5
	v_sub_f32_e32 v8, v8, v7
	s_delay_alu instid0(VALU_DEP_2) | instskip(NEXT) | instid1(VALU_DEP_1)
	v_dual_sub_f32 v4, v4, v7 :: v_dual_add_f32 v11, v9, v5
	v_dual_sub_f32 v8, v10, v8 :: v_dual_sub_f32 v7, v11, v9
	s_delay_alu instid0(VALU_DEP_1) | instskip(NEXT) | instid1(VALU_DEP_1)
	v_dual_add_f32 v4, v4, v8 :: v_dual_sub_f32 v5, v5, v7
	v_add_f32_e32 v4, v4, v5
	s_delay_alu instid0(VALU_DEP_1) | instskip(NEXT) | instid1(VALU_DEP_1)
	v_add_f32_e32 v4, v11, v4
	v_cndmask_b32_e32 v34, v4, v6, vcc_lo
.LBB35_22:                              ;   in Loop: Header=BB35_12 Depth=1
	s_or_b32 exec_lo, exec_lo, s7
	v_lshlrev_b32_e32 v6, 16, v0
	v_lshlrev_b32_e32 v4, 16, v1
	v_lshlrev_b32_e32 v7, 16, v26
	s_lshl_b32 s20, s59, 8
	s_and_b32 vcc_lo, exec_lo, s54
	v_mul_f32_e32 v31, s49, v6
	v_dual_mul_f32 v30, s49, v4 :: v_dual_lshlrev_b32 v5, 16, v23
	v_mul_f32_e32 v32, s49, v7
	s_barrier
	s_delay_alu instid0(VALU_DEP_2)
	v_mul_f32_e32 v33, s49, v5
	buffer_gl0_inv
	s_cbranch_vccz .LBB35_11
; %bb.23:                               ;   in Loop: Header=BB35_12 Depth=1
	v_dual_mul_f32 v37, v28, v5 :: v_dual_mul_f32 v38, v27, v6
	v_add_nc_u32_e32 v5, -1, v22
	v_dual_mul_f32 v35, v34, v7 :: v_dual_mul_f32 v36, v29, v4
	v_and_b32_e32 v4, 15, v22
	v_and_b32_e32 v6, 16, v22
	s_delay_alu instid0(VALU_DEP_4)
	v_cmp_gt_i32_e32 vcc_lo, 0, v5
	v_and_b32_e32 v7, 1, v22
	s_sub_i32 s13, s34, s20
	v_add_co_u32 v39, s6, s41, v21
	v_cndmask_b32_e32 v5, v5, v22, vcc_lo
	v_add_co_ci_u32_e64 v40, null, s42, 0, s6
	v_add_co_u32 v41, s6, s43, v21
	v_cmp_gt_u32_e32 vcc_lo, s13, v13
	v_cmp_gt_u32_e64 s14, s13, v18
	v_cmp_gt_u32_e64 s15, s13, v19
	;; [unrolled: 1-line block ×3, first 2 shown]
	s_cmp_lg_u32 s59, 0
	v_add_co_ci_u32_e64 v42, null, s45, 0, s6
	v_cmp_ne_u32_e64 s6, 0, v4
	v_cmp_lt_u32_e64 s7, 1, v4
	v_cmp_lt_u32_e64 s8, 3, v4
	v_cmp_lt_u32_e64 s9, 7, v4
	v_cmp_ne_u32_e64 s10, 0, v6
	v_cmp_eq_u32_e64 s11, 0, v7
	v_lshlrev_b32_e32 v43, 2, v5
	v_cmp_eq_u32_e64 s12, 0, v22
	s_mov_b32 s22, 0
	s_cselect_b32 s21, -1, 0
	s_cmp_eq_u32 s59, s56
	s_mov_b32 s24, s22
	s_cselect_b32 s60, -1, 0
	s_or_b32 s13, s55, vcc_lo
	s_or_b32 s14, s55, s14
	s_or_b32 s15, s55, s15
	;; [unrolled: 1-line block ×3, first 2 shown]
	s_mov_b32 s30, s22
	s_mov_b32 s38, s22
	;; [unrolled: 1-line block ×4, first 2 shown]
	s_branch .LBB35_25
.LBB35_24:                              ;   in Loop: Header=BB35_25 Depth=2
	s_or_b32 exec_lo, exec_lo, s17
	v_cndmask_b32_e64 v6, v53, v11, s12
	v_cndmask_b32_e64 v7, v52, v10, s12
	s_add_i32 s61, s61, -1
	s_add_i32 s62, s62, 8
	s_add_i32 s38, s38, s26
	v_fma_f32 v6, v6, v51, v48
	v_mul_f32_e32 v7, v7, v51
	s_add_i32 s30, s30, s44
	s_add_i32 s24, s24, s40
	;; [unrolled: 1-line block ×3, first 2 shown]
	v_cndmask_b32_e64 v6, v6, v48, s5
	v_cndmask_b32_e64 v7, v7, v51, s5
	s_cmp_eq_u32 s61, 0
	s_waitcnt lgkmcnt(0)
	s_delay_alu instid0(VALU_DEP_1) | instskip(NEXT) | instid1(VALU_DEP_1)
	v_dual_fmac_f32 v6, v8, v7 :: v_dual_and_b32 v7, 0xffff0000, v4
	v_fmac_f32_e32 v44, v6, v50
	v_lshlrev_b32_e32 v8, 16, v4
	v_alignbit_b32 v4, v5, v4, 16
	s_delay_alu instid0(VALU_DEP_3) | instskip(SKIP_1) | instid1(VALU_DEP_3)
	v_fmac_f32_e32 v45, v44, v49
	v_and_b32_e32 v5, 0xffff0000, v5
	v_dual_fmac_f32 v33, v44, v7 :: v_dual_and_b32 v4, 0xffff0000, v4
	s_delay_alu instid0(VALU_DEP_3) | instskip(NEXT) | instid1(VALU_DEP_2)
	v_dual_fmac_f32 v31, v6, v8 :: v_dual_fmac_f32 v46, v45, v47
	v_fmac_f32_e32 v30, v45, v4
	s_delay_alu instid0(VALU_DEP_2)
	v_fmac_f32_e32 v32, v46, v5
	s_cbranch_scc1 .LBB35_11
.LBB35_25:                              ;   Parent Loop BB35_12 Depth=1
                                        ; =>  This Inner Loop Header: Depth=2
	s_lshl_b64 s[18:19], s[22:23], 2
	s_mov_b32 s25, s23
	s_add_u32 s18, s36, s18
	s_addc_u32 s19, s27, s19
	s_lshl_b64 s[64:65], s[24:25], 1
	s_mov_b32 s31, s23
	v_add_co_u32 v4, vcc_lo, v39, s64
	v_add_co_ci_u32_e32 v5, vcc_lo, s65, v40, vcc_lo
	s_lshl_b64 s[64:65], s[30:31], 1
	s_delay_alu instid0(SALU_CYCLE_1)
	v_add_co_u32 v6, vcc_lo, v41, s64
	v_add_co_ci_u32_e32 v7, vcc_lo, s65, v42, vcc_lo
	global_load_b32 v10, v12, s[18:19]
	global_load_b64 v[8:9], v[4:5], off
	global_load_b64 v[4:5], v[6:7], off
	s_and_not1_b32 vcc_lo, exec_lo, s21
	s_cbranch_vccnz .LBB35_27
; %bb.26:                               ;   in Loop: Header=BB35_25 Depth=2
	v_mov_b32_e32 v6, s62
	ds_load_b64 v[6:7], v6
	s_cbranch_execz .LBB35_28
	s_branch .LBB35_31
.LBB35_27:                              ;   in Loop: Header=BB35_25 Depth=2
                                        ; implicit-def: $vgpr6
.LBB35_28:                              ;   in Loop: Header=BB35_25 Depth=2
	s_waitcnt lgkmcnt(0)
	v_mov_b32_e32 v7, 0
	s_and_not1_b32 vcc_lo, exec_lo, s33
	s_cbranch_vccnz .LBB35_30
; %bb.29:                               ;   in Loop: Header=BB35_25 Depth=2
	s_mov_b32 s39, s23
	s_delay_alu instid0(SALU_CYCLE_1) | instskip(NEXT) | instid1(SALU_CYCLE_1)
	s_lshl_b64 s[18:19], s[38:39], 2
	s_add_u32 s18, s50, s18
	s_addc_u32 s19, s51, s19
	global_load_b32 v7, v12, s[18:19]
.LBB35_30:                              ;   in Loop: Header=BB35_25 Depth=2
	v_mov_b32_e32 v6, 1.0
.LBB35_31:                              ;   in Loop: Header=BB35_25 Depth=2
	s_waitcnt vmcnt(1)
	v_alignbit_b32 v11, v9, v8, 16
	s_delay_alu instid0(VALU_DEP_1) | instskip(NEXT) | instid1(VALU_DEP_1)
	v_and_b32_e32 v11, 0xffff0000, v11
	v_dual_mul_f32 v10, 0x3fb8aa3b, v10 :: v_dual_mul_f32 v11, v36, v11
	s_delay_alu instid0(VALU_DEP_1) | instskip(SKIP_2) | instid1(VALU_DEP_3)
	v_dual_mul_f32 v45, v10, v27 :: v_dual_and_b32 v44, 0xffff0000, v8
	v_dual_mul_f32 v47, v10, v29 :: v_dual_lshlrev_b32 v8, 16, v8
	v_dual_mul_f32 v46, v10, v28 :: v_dual_and_b32 v9, 0xffff0000, v9
	v_cmp_gt_f32_e32 vcc_lo, 0xc2fc0000, v45
	v_mul_f32_e32 v48, v10, v34
	s_delay_alu instid0(VALU_DEP_4)
	v_cmp_gt_f32_e64 s18, 0xc2fc0000, v47
	v_mul_f32_e32 v8, v38, v8
	v_cmp_gt_f32_e64 s17, 0xc2fc0000, v46
	v_cndmask_b32_e64 v45, 0, 0x42800000, vcc_lo
	v_cmp_gt_f32_e64 s19, 0xc2fc0000, v48
	v_cndmask_b32_e64 v47, 0, 0x42800000, s18
	v_mul_f32_e32 v44, v37, v44
	v_cndmask_b32_e64 v46, 0, 0x42800000, s17
	v_fmac_f32_e32 v45, v10, v27
	v_cndmask_b32_e64 v49, 0, 0x42800000, s19
	v_cndmask_b32_e64 v50, 1.0, 0x1f800000, vcc_lo
	v_cndmask_b32_e64 v48, 0, v8, s13
	v_fmac_f32_e32 v46, v10, v28
	v_exp_f32_e32 v45, v45
	v_fmac_f32_e32 v47, v10, v29
	v_fmac_f32_e32 v49, v10, v34
	v_cndmask_b32_e64 v8, 1.0, 0x1f800000, s17
	v_exp_f32_e32 v46, v46
	v_cndmask_b32_e64 v44, 0, v44, s14
	s_waitcnt_depctr 0xfff
	v_mul_f32_e32 v10, v45, v50
	v_exp_f32_e32 v47, v47
	v_cndmask_b32_e64 v45, 1.0, 0x1f800000, s18
	s_delay_alu instid0(VALU_DEP_2)
	v_cndmask_b32_e64 v51, 1.0, v10, s13
	s_waitcnt_depctr 0xfff
	v_mul_f32_e32 v10, v47, v45
	v_exp_f32_e32 v52, v49
	v_mul_f32_e32 v8, v46, v8
	v_cndmask_b32_e64 v46, 1.0, 0x1f800000, s19
	v_cndmask_b32_e64 v45, 0, v11, s15
	v_cndmask_b32_e64 v49, 1.0, v10, s15
	s_delay_alu instid0(VALU_DEP_4) | instskip(SKIP_4) | instid1(VALU_DEP_3)
	v_cndmask_b32_e64 v50, 1.0, v8, s14
	s_waitcnt_depctr 0xfff
	v_dual_mul_f32 v8, v35, v9 :: v_dual_mul_f32 v9, v52, v46
	v_mul_f32_e32 v10, v50, v51
	v_fma_f32 v11, v50, v48, v44
	v_cndmask_b32_e64 v46, 0, v8, s16
	s_delay_alu instid0(VALU_DEP_4) | instskip(NEXT) | instid1(VALU_DEP_4)
	v_cndmask_b32_e64 v47, 1.0, v9, s16
	v_mul_f32_e32 v8, v10, v49
	s_delay_alu instid0(VALU_DEP_4) | instskip(NEXT) | instid1(VALU_DEP_2)
	v_fma_f32 v9, v11, v49, v45
	v_mul_f32_e32 v8, v8, v47
	s_delay_alu instid0(VALU_DEP_2) | instskip(NEXT) | instid1(VALU_DEP_2)
	v_fma_f32 v9, v9, v47, v46
	v_mov_b32_dpp v11, v8 row_shr:1 row_mask:0xf bank_mask:0xf
	s_delay_alu instid0(VALU_DEP_2)
	v_mov_b32_dpp v10, v9 row_shr:1 row_mask:0xf bank_mask:0xf
	s_and_saveexec_b32 s17, s6
; %bb.32:                               ;   in Loop: Header=BB35_25 Depth=2
	s_delay_alu instid0(VALU_DEP_2) | instskip(NEXT) | instid1(VALU_DEP_1)
	v_mul_f32_e32 v11, v8, v11
	v_dual_fmac_f32 v9, v8, v10 :: v_dual_mov_b32 v8, v11
; %bb.33:                               ;   in Loop: Header=BB35_25 Depth=2
	s_or_b32 exec_lo, exec_lo, s17
	s_delay_alu instid0(VALU_DEP_1) | instskip(NEXT) | instid1(VALU_DEP_2)
	v_mov_b32_dpp v10, v8 row_shr:2 row_mask:0xf bank_mask:0xf
	v_mov_b32_dpp v11, v9 row_shr:2 row_mask:0xf bank_mask:0xf
	s_and_saveexec_b32 s17, s7
; %bb.34:                               ;   in Loop: Header=BB35_25 Depth=2
	s_delay_alu instid0(VALU_DEP_1) | instskip(NEXT) | instid1(VALU_DEP_3)
	v_fmac_f32_e32 v9, v8, v11
	v_mul_f32_e32 v8, v8, v10
; %bb.35:                               ;   in Loop: Header=BB35_25 Depth=2
	s_or_b32 exec_lo, exec_lo, s17
	s_delay_alu instid0(VALU_DEP_1) | instskip(NEXT) | instid1(VALU_DEP_3)
	v_mov_b32_dpp v10, v8 row_shr:4 row_mask:0xf bank_mask:0xf
	v_mov_b32_dpp v11, v9 row_shr:4 row_mask:0xf bank_mask:0xf
	s_and_saveexec_b32 s17, s8
; %bb.36:                               ;   in Loop: Header=BB35_25 Depth=2
	s_delay_alu instid0(VALU_DEP_1) | instskip(NEXT) | instid1(VALU_DEP_3)
	v_fmac_f32_e32 v9, v8, v11
	v_mul_f32_e32 v8, v8, v10
; %bb.37:                               ;   in Loop: Header=BB35_25 Depth=2
	s_or_b32 exec_lo, exec_lo, s17
	s_delay_alu instid0(VALU_DEP_1) | instskip(NEXT) | instid1(VALU_DEP_3)
	v_mov_b32_dpp v10, v8 row_shr:8 row_mask:0xf bank_mask:0xf
	v_mov_b32_dpp v11, v9 row_shr:8 row_mask:0xf bank_mask:0xf
	s_and_saveexec_b32 s17, s9
; %bb.38:                               ;   in Loop: Header=BB35_25 Depth=2
	s_delay_alu instid0(VALU_DEP_1) | instskip(NEXT) | instid1(VALU_DEP_3)
	v_fmac_f32_e32 v9, v8, v11
	v_mul_f32_e32 v8, v8, v10
; %bb.39:                               ;   in Loop: Header=BB35_25 Depth=2
	s_or_b32 exec_lo, exec_lo, s17
	ds_swizzle_b32 v11, v8 offset:swizzle(BROADCAST,32,15)
	ds_swizzle_b32 v10, v9 offset:swizzle(BROADCAST,32,15)
	s_and_saveexec_b32 s17, s10
	s_cbranch_execz .LBB35_41
; %bb.40:                               ;   in Loop: Header=BB35_25 Depth=2
	s_waitcnt lgkmcnt(1)
	v_mul_f32_e32 v11, v8, v11
	s_waitcnt lgkmcnt(0)
	s_delay_alu instid0(VALU_DEP_1)
	v_dual_fmac_f32 v9, v8, v10 :: v_dual_mov_b32 v8, v11
.LBB35_41:                              ;   in Loop: Header=BB35_25 Depth=2
	s_or_b32 exec_lo, exec_lo, s17
	s_and_saveexec_b32 s17, s1
	s_cbranch_execz .LBB35_43
; %bb.42:                               ;   in Loop: Header=BB35_25 Depth=2
	ds_store_b64 v14, v[8:9] offset:1056
.LBB35_43:                              ;   in Loop: Header=BB35_25 Depth=2
	s_or_b32 exec_lo, exec_lo, s17
	s_waitcnt vmcnt(0) lgkmcnt(0)
	s_waitcnt_vscnt null, 0x0
	s_barrier
	buffer_gl0_inv
	s_and_saveexec_b32 s17, s2
	s_cbranch_execz .LBB35_45
; %bb.44:                               ;   in Loop: Header=BB35_25 Depth=2
	ds_load_b64 v[10:11], v15 offset:1056
	s_waitcnt lgkmcnt(0)
	v_mov_b32_dpp v52, v10 row_shr:1 row_mask:0xf bank_mask:0xf
	v_mov_b32_dpp v53, v11 row_shr:1 row_mask:0xf bank_mask:0xf
	s_delay_alu instid0(VALU_DEP_2) | instskip(NEXT) | instid1(VALU_DEP_2)
	v_mul_f32_e32 v52, v10, v52
	v_fma_f32 v53, v10, v53, v11
	s_delay_alu instid0(VALU_DEP_2) | instskip(NEXT) | instid1(VALU_DEP_2)
	v_cndmask_b32_e64 v10, v52, v10, s11
	v_cndmask_b32_e64 v11, v53, v11, s11
	ds_store_b64 v15, v[10:11] offset:1056
.LBB35_45:                              ;   in Loop: Header=BB35_25 Depth=2
	s_or_b32 exec_lo, exec_lo, s17
	s_waitcnt lgkmcnt(0)
	s_barrier
	buffer_gl0_inv
                                        ; implicit-def: $vgpr11
	s_and_saveexec_b32 s17, s4
	s_cbranch_execz .LBB35_47
; %bb.46:                               ;   in Loop: Header=BB35_25 Depth=2
	ds_load_b64 v[10:11], v14 offset:1048
	s_waitcnt lgkmcnt(0)
	v_mul_f32_e32 v52, v8, v10
	v_fmac_f32_e32 v9, v8, v11
	s_delay_alu instid0(VALU_DEP_2)
	v_mov_b32_e32 v8, v52
.LBB35_47:                              ;   in Loop: Header=BB35_25 Depth=2
	s_or_b32 exec_lo, exec_lo, s17
	ds_bpermute_b32 v52, v43, v8
	ds_bpermute_b32 v53, v43, v9
	s_and_saveexec_b32 s17, s3
	s_cbranch_execz .LBB35_51
; %bb.48:                               ;   in Loop: Header=BB35_25 Depth=2
	ds_load_b64 v[8:9], v12 offset:1064
	s_and_saveexec_b32 s18, s5
	s_cbranch_execz .LBB35_50
; %bb.49:                               ;   in Loop: Header=BB35_25 Depth=2
	ds_store_b64 v12, v[6:7] offset:1064
.LBB35_50:                              ;   in Loop: Header=BB35_25 Depth=2
	s_or_b32 exec_lo, exec_lo, s18
	s_waitcnt lgkmcnt(0)
	v_fmac_f32_e32 v9, v7, v8
	s_delay_alu instid0(VALU_DEP_1)
	v_dual_mul_f32 v6, v6, v8 :: v_dual_mov_b32 v7, v9
.LBB35_51:                              ;   in Loop: Header=BB35_25 Depth=2
	s_or_b32 exec_lo, exec_lo, s17
	s_waitcnt lgkmcnt(0)
	s_barrier
	buffer_gl0_inv
	ds_load_b32 v8, v12 offset:1068
	s_and_saveexec_b32 s17, s5
	s_cbranch_execz .LBB35_24
; %bb.52:                               ;   in Loop: Header=BB35_25 Depth=2
	v_mov_b32_e32 v9, s62
	s_and_not1_b32 vcc_lo, exec_lo, s60
	ds_store_b64 v9, v[6:7]
	s_cbranch_vccnz .LBB35_24
; %bb.53:                               ;   in Loop: Header=BB35_25 Depth=2
	s_mov_b32 s39, s23
	s_delay_alu instid0(SALU_CYCLE_1) | instskip(NEXT) | instid1(SALU_CYCLE_1)
	s_lshl_b64 s[18:19], s[38:39], 2
	s_add_u32 s18, s50, s18
	s_addc_u32 s19, s51, s19
	global_store_b32 v12, v7, s[18:19]
	s_branch .LBB35_24
.LBB35_54:
	s_nop 0
	s_sendmsg sendmsg(MSG_DEALLOC_VGPRS)
	s_endpgm
	.section	.rodata,"a",@progbits
	.p2align	6, 0x0
	.amdhsa_kernel _Z25selective_scan_fwd_kernelI32Selective_Scan_fwd_kernel_traitsILi64ELi4ELi1ELb1ELb1ELb1ELb0ELb0EN3c108BFloat16EffEEv13SSMParamsBase
		.amdhsa_group_segment_fixed_size 0
		.amdhsa_private_segment_fixed_size 0
		.amdhsa_kernarg_size 248
		.amdhsa_user_sgpr_count 14
		.amdhsa_user_sgpr_dispatch_ptr 0
		.amdhsa_user_sgpr_queue_ptr 0
		.amdhsa_user_sgpr_kernarg_segment_ptr 1
		.amdhsa_user_sgpr_dispatch_id 0
		.amdhsa_user_sgpr_private_segment_size 0
		.amdhsa_wavefront_size32 1
		.amdhsa_uses_dynamic_stack 0
		.amdhsa_enable_private_segment 0
		.amdhsa_system_sgpr_workgroup_id_x 1
		.amdhsa_system_sgpr_workgroup_id_y 1
		.amdhsa_system_sgpr_workgroup_id_z 0
		.amdhsa_system_sgpr_workgroup_info 0
		.amdhsa_system_vgpr_workitem_id 0
		.amdhsa_next_free_vgpr 54
		.amdhsa_next_free_sgpr 66
		.amdhsa_reserve_vcc 1
		.amdhsa_float_round_mode_32 0
		.amdhsa_float_round_mode_16_64 0
		.amdhsa_float_denorm_mode_32 3
		.amdhsa_float_denorm_mode_16_64 3
		.amdhsa_dx10_clamp 1
		.amdhsa_ieee_mode 1
		.amdhsa_fp16_overflow 0
		.amdhsa_workgroup_processor_mode 1
		.amdhsa_memory_ordered 1
		.amdhsa_forward_progress 0
		.amdhsa_shared_vgpr_count 0
		.amdhsa_exception_fp_ieee_invalid_op 0
		.amdhsa_exception_fp_denorm_src 0
		.amdhsa_exception_fp_ieee_div_zero 0
		.amdhsa_exception_fp_ieee_overflow 0
		.amdhsa_exception_fp_ieee_underflow 0
		.amdhsa_exception_fp_ieee_inexact 0
		.amdhsa_exception_int_div_zero 0
	.end_amdhsa_kernel
	.section	.text._Z25selective_scan_fwd_kernelI32Selective_Scan_fwd_kernel_traitsILi64ELi4ELi1ELb1ELb1ELb1ELb0ELb0EN3c108BFloat16EffEEv13SSMParamsBase,"axG",@progbits,_Z25selective_scan_fwd_kernelI32Selective_Scan_fwd_kernel_traitsILi64ELi4ELi1ELb1ELb1ELb1ELb0ELb0EN3c108BFloat16EffEEv13SSMParamsBase,comdat
.Lfunc_end35:
	.size	_Z25selective_scan_fwd_kernelI32Selective_Scan_fwd_kernel_traitsILi64ELi4ELi1ELb1ELb1ELb1ELb0ELb0EN3c108BFloat16EffEEv13SSMParamsBase, .Lfunc_end35-_Z25selective_scan_fwd_kernelI32Selective_Scan_fwd_kernel_traitsILi64ELi4ELi1ELb1ELb1ELb1ELb0ELb0EN3c108BFloat16EffEEv13SSMParamsBase
                                        ; -- End function
	.section	.AMDGPU.csdata,"",@progbits
; Kernel info:
; codeLenInByte = 6008
; NumSgprs: 68
; NumVgprs: 54
; ScratchSize: 0
; MemoryBound: 0
; FloatMode: 240
; IeeeMode: 1
; LDSByteSize: 0 bytes/workgroup (compile time only)
; SGPRBlocks: 8
; VGPRBlocks: 6
; NumSGPRsForWavesPerEU: 68
; NumVGPRsForWavesPerEU: 54
; Occupancy: 16
; WaveLimiterHint : 0
; COMPUTE_PGM_RSRC2:SCRATCH_EN: 0
; COMPUTE_PGM_RSRC2:USER_SGPR: 14
; COMPUTE_PGM_RSRC2:TRAP_HANDLER: 0
; COMPUTE_PGM_RSRC2:TGID_X_EN: 1
; COMPUTE_PGM_RSRC2:TGID_Y_EN: 1
; COMPUTE_PGM_RSRC2:TGID_Z_EN: 0
; COMPUTE_PGM_RSRC2:TIDIG_COMP_CNT: 0
	.section	.text._Z25selective_scan_fwd_kernelI32Selective_Scan_fwd_kernel_traitsILi64ELi4ELi1ELb0ELb1ELb1ELb1ELb1EN3c108BFloat16EffEEv13SSMParamsBase,"axG",@progbits,_Z25selective_scan_fwd_kernelI32Selective_Scan_fwd_kernel_traitsILi64ELi4ELi1ELb0ELb1ELb1ELb1ELb1EN3c108BFloat16EffEEv13SSMParamsBase,comdat
	.protected	_Z25selective_scan_fwd_kernelI32Selective_Scan_fwd_kernel_traitsILi64ELi4ELi1ELb0ELb1ELb1ELb1ELb1EN3c108BFloat16EffEEv13SSMParamsBase ; -- Begin function _Z25selective_scan_fwd_kernelI32Selective_Scan_fwd_kernel_traitsILi64ELi4ELi1ELb0ELb1ELb1ELb1ELb1EN3c108BFloat16EffEEv13SSMParamsBase
	.globl	_Z25selective_scan_fwd_kernelI32Selective_Scan_fwd_kernel_traitsILi64ELi4ELi1ELb0ELb1ELb1ELb1ELb1EN3c108BFloat16EffEEv13SSMParamsBase
	.p2align	8
	.type	_Z25selective_scan_fwd_kernelI32Selective_Scan_fwd_kernel_traitsILi64ELi4ELi1ELb0ELb1ELb1ELb1ELb1EN3c108BFloat16EffEEv13SSMParamsBase,@function
_Z25selective_scan_fwd_kernelI32Selective_Scan_fwd_kernel_traitsILi64ELi4ELi1ELb0ELb1ELb1ELb1ELb1EN3c108BFloat16EffEEv13SSMParamsBase: ; @_Z25selective_scan_fwd_kernelI32Selective_Scan_fwd_kernel_traitsILi64ELi4ELi1ELb0ELb1ELb1ELb1ELb1EN3c108BFloat16EffEEv13SSMParamsBase
; %bb.0:
	s_clause 0x2
	s_load_b32 s11, s[0:1], 0x18
	s_load_b256 s[52:59], s[0:1], 0xc8
	s_load_b128 s[4:7], s[0:1], 0xe8
	s_mov_b32 s12, s15
	s_ashr_i32 s15, s14, 31
	s_mov_b32 s33, 0
	s_lshl_b64 s[8:9], s[14:15], 2
	s_waitcnt lgkmcnt(0)
	s_abs_i32 s10, s11
	s_add_u32 s2, s58, s8
	v_cvt_f32_u32_e32 v1, s10
	s_addc_u32 s3, s59, s9
	s_cmp_eq_u64 s[6:7], 0
	s_delay_alu instid0(VALU_DEP_1) | instskip(SKIP_2) | instid1(VALU_DEP_1)
	v_rcp_iflag_f32_e32 v1, v1
	s_waitcnt_depctr 0xfff
	v_mul_f32_e32 v1, 0x4f7ffffe, v1
	v_cvt_u32_f32_e32 v1, v1
	s_delay_alu instid0(VALU_DEP_1)
	v_readfirstlane_b32 s60, v1
	s_cbranch_scc1 .LBB36_2
; %bb.1:
	v_mov_b32_e32 v1, 0
	s_add_u32 s6, s6, s14
	s_addc_u32 s7, s7, s15
	global_load_u8 v1, v1, s[6:7]
	s_waitcnt vmcnt(0)
	v_and_b32_e32 v1, 1, v1
	s_delay_alu instid0(VALU_DEP_1)
	v_cmp_eq_u32_e64 s33, 1, v1
.LBB36_2:
	s_load_b64 s[6:7], s[0:1], 0x20
	s_cmp_eq_u64 s[4:5], 0
	s_cbranch_scc1 .LBB36_4
; %bb.3:
	s_add_u32 s4, s4, s8
	s_addc_u32 s5, s5, s9
	s_load_b32 s14, s[4:5], 0x0
	s_waitcnt lgkmcnt(0)
	s_ashr_i32 s15, s14, 31
.LBB36_4:
	s_waitcnt lgkmcnt(0)
	s_cmp_eq_u64 s[6:7], s[14:15]
	s_cbranch_scc1 .LBB36_108
; %bb.5:
	s_load_b512 s[16:31], s[0:1], 0x88
	s_load_b64 s[34:35], s[2:3], 0x0
	s_mov_b32 s58, 0
	s_mov_b32 s59, 0
	s_waitcnt lgkmcnt(0)
	s_cmp_eq_u64 s[22:23], 0
	s_cbranch_scc1 .LBB36_7
; %bb.6:
	s_ashr_i32 s13, s12, 31
	s_delay_alu instid0(SALU_CYCLE_1) | instskip(NEXT) | instid1(SALU_CYCLE_1)
	s_lshl_b64 s[2:3], s[12:13], 2
	s_add_u32 s2, s22, s2
	s_addc_u32 s3, s23, s3
	s_load_b32 s59, s[2:3], 0x0
.LBB36_7:
	s_cmp_eq_u64 s[28:29], 0
	s_cbranch_scc1 .LBB36_9
; %bb.8:
	s_ashr_i32 s13, s12, 31
	s_delay_alu instid0(SALU_CYCLE_1) | instskip(NEXT) | instid1(SALU_CYCLE_1)
	s_lshl_b64 s[2:3], s[12:13], 2
	s_add_u32 s2, s28, s2
	s_addc_u32 s3, s29, s3
	s_load_b32 s58, s[2:3], 0x0
.LBB36_9:
	s_sub_i32 s23, s35, s34
	s_delay_alu instid0(SALU_CYCLE_1)
	s_cmp_lt_i32 s23, 1
	s_cbranch_scc1 .LBB36_108
; %bb.10:
	s_sub_i32 s2, 0, s10
	s_load_b256 s[36:43], s[0:1], 0x4c
	s_mul_i32 s2, s2, s60
	s_abs_i32 s3, s12
	s_mul_hi_u32 s2, s60, s2
	s_ashr_i32 s5, s11, 31
	s_add_i32 s60, s60, s2
	s_ashr_i32 s2, s12, 31
	s_mul_hi_u32 s4, s3, s60
	s_xor_b32 s5, s2, s5
	s_mul_i32 s6, s4, s10
	s_load_b256 s[44:51], s[0:1], 0x2c
	s_sub_i32 s2, s3, s6
	s_add_i32 s3, s4, 1
	s_sub_i32 s6, s2, s10
	s_cmp_ge_u32 s2, s10
	s_mov_b32 s29, 0
	s_cselect_b32 s3, s3, s4
	s_cselect_b32 s2, s6, s2
	s_add_i32 s4, s3, 1
	s_cmp_ge_u32 s2, s10
	s_waitcnt lgkmcnt(0)
	s_mul_i32 s28, s34, s38
	s_cselect_b32 s4, s4, s3
	s_lshl_b64 s[2:3], s[28:29], 1
	s_xor_b32 s4, s4, s5
	s_mul_i32 s28, s39, s12
	s_sub_i32 s6, s4, s5
	s_add_u32 s4, s24, s2
	s_addc_u32 s5, s25, s3
	s_lshl_b64 s[2:3], s[28:29], 1
	s_mul_i32 s28, s34, s40
	s_add_u32 s38, s4, s2
	s_addc_u32 s39, s5, s3
	s_lshl_b64 s[2:3], s[28:29], 1
	s_mul_i32 s28, s41, s12
	;; [unrolled: 4-line block ×3, first 2 shown]
	s_add_u32 s40, s4, s2
	s_addc_u32 s41, s5, s3
	s_load_b64 s[4:5], s[0:1], 0x7c
	s_lshl_b64 s[2:3], s[28:29], 2
	v_lshlrev_b32_e32 v8, 2, v0
	s_mul_i32 s28, s34, s46
	s_add_u32 s44, s16, s2
	s_addc_u32 s46, s17, s3
	s_lshl_b64 s[2:3], s[28:29], 1
	s_mul_i32 s28, s6, s49
	s_add_u32 s7, s18, s2
	v_mbcnt_lo_u32_b32 v1, -1, 0
	v_and_b32_e32 v2, 0x80, v8
	v_dual_mov_b32 v12, 0 :: v_dual_and_b32 v3, 32, v0
	s_addc_u32 s8, s19, s3
	s_lshl_b64 s[2:3], s[28:29], 1
	s_mul_i32 s28, s34, s50
	s_add_u32 s47, s7, s2
	s_addc_u32 s49, s8, s3
	s_lshl_b64 s[2:3], s[28:29], 1
	s_mul_i32 s28, s6, s37
	s_clause 0x1
	s_load_b32 s37, s[0:1], 0xc
	s_load_b32 s8, s[0:1], 0x28
	v_or_b32_e32 v9, v1, v2
	v_or_b32_e32 v4, v1, v3
	s_add_u32 s7, s20, s2
	s_load_b128 s[16:19], s[0:1], 0x6c
	s_addc_u32 s6, s21, s3
	v_or_b32_e32 v11, 0x60, v9
	v_lshrrev_b32_e32 v14, 3, v4
	s_lshl_b64 s[2:3], s[28:29], 1
	s_waitcnt lgkmcnt(0)
	s_mul_i32 s28, s14, s4
	s_add_u32 s51, s7, s2
	s_load_b32 s50, s[0:1], 0x84
	s_addc_u32 s60, s6, s3
	s_lshl_b64 s[0:1], s[28:29], 2
	v_or_b32_e32 v10, 64, v9
	v_lshrrev_b32_e32 v7, 5, v11
	v_and_b32_e32 v16, 6, v14
	s_mul_i32 s28, s5, s12
	s_add_u32 s2, s52, s0
	s_addc_u32 s3, s53, s1
	s_lshl_b64 s[0:1], s[28:29], 2
	v_lshrrev_b32_e32 v5, 5, v2
	s_add_u32 s52, s2, s0
	v_lshrrev_b32_e32 v6, 5, v10
	v_and_b32_e32 v7, 6, v7
	v_lshl_add_u32 v4, v4, 2, v16
	s_addc_u32 s53, s3, s1
	s_add_i32 s0, s23, 0x7ff
	v_add_lshl_u32 v5, v5, v9, 1
	s_lshr_b32 s61, s0, 11
	s_bitcmp1_b32 s8, 0
	v_add_lshl_u32 v6, v6, v9, 1
	v_add_lshl_u32 v7, v7, v9, 1
	v_lshl_add_u32 v17, v4, 1, 0
	v_and_b32_e32 v4, 15, v1
	s_cselect_b32 s62, -1, 0
	s_cmp_gt_i32 s37, 0
	s_mul_i32 s28, s34, s16
	s_cselect_b32 s63, -1, 0
	s_add_i32 s0, 0, 0x210
	s_and_b32 s1, s23, 0xff
	v_add_nc_u32_e32 v18, s0, v5
	v_add_nc_u32_e32 v19, s0, v6
	s_cmp_eq_u32 s1, 0
	v_add_nc_u32_e32 v20, s0, v7
	v_cmp_ne_u32_e64 s0, 0, v4
	v_cmp_lt_u32_e64 s1, 1, v4
	v_cmp_lt_u32_e64 s2, 3, v4
	;; [unrolled: 1-line block ×3, first 2 shown]
	v_add_nc_u32_e32 v4, -1, v1
	v_or_b32_e32 v3, 31, v3
	s_cselect_b32 s64, -1, 0
	s_lshl_b64 s[14:15], s[28:29], 1
	s_add_i32 s65, s61, -1
	v_cmp_gt_i32_e32 vcc_lo, 0, v4
	s_mul_i32 s28, s17, s12
	v_add_nc_u32_e32 v14, 0, v5
	v_lshrrev_b32_e32 v5, 2, v0
	s_add_u32 s13, s30, s14
	v_cndmask_b32_e32 v4, v4, v1, vcc_lo
	s_addc_u32 s16, s31, s15
	s_lshl_b64 s[14:15], s[28:29], 1
	v_cmp_eq_u32_e64 s5, v3, v0
	v_and_b32_e32 v3, 1, v1
	v_cmp_gt_u32_e64 s6, 2, v0
	v_lshl_add_u32 v22, v0, 3, 0
	v_cmp_gt_u32_e64 s8, 32, v0
	v_cmp_lt_u32_e64 s9, 31, v0
	v_cmp_eq_u32_e64 s10, 0, v0
	s_mul_i32 s28, s34, s42
	v_lshlrev_b32_e32 v0, 1, v1
	s_add_u32 s13, s13, s14
	s_addc_u32 s16, s16, s15
	s_lshl_b64 s[14:15], s[28:29], 1
	v_and_b32_e32 v5, 8, v5
	s_mul_i32 s28, s43, s12
	s_add_u32 s17, s54, s14
	v_cmp_eq_u32_e64 s7, 0, v3
	s_addc_u32 s20, s55, s15
	s_lshl_b64 s[14:15], s[28:29], 1
	v_add_co_u32 v3, s13, s13, v0
	s_mul_i32 s28, s34, s18
	v_lshlrev_b32_e32 v23, 2, v4
	v_add_co_ci_u32_e64 v4, null, s16, 0, s13
	s_add_u32 s16, s17, s14
	v_add_nc_u32_e32 v21, 0, v5
	s_addc_u32 s17, s20, s15
	s_lshl_b64 s[14:15], s[28:29], 1
	v_lshlrev_b32_e32 v5, 1, v2
	s_mul_i32 s28, s19, s12
	s_add_u32 s14, s56, s14
	s_addc_u32 s15, s57, s15
	s_lshl_b64 s[12:13], s[28:29], 1
	v_add_nc_u32_e32 v15, 0, v6
	v_and_b32_e32 v6, 16, v1
	v_add_co_u32 v24, vcc_lo, v3, v5
	s_add_u32 s12, s14, s12
	v_add_co_u32 v3, s14, s16, v0
	v_add_co_ci_u32_e32 v25, vcc_lo, 0, v4, vcc_lo
	v_add_co_ci_u32_e64 v4, null, s17, 0, s14
	s_addc_u32 s13, s15, s13
	v_add_co_u32 v0, s12, s12, v0
	v_cmp_ne_u32_e64 s4, 0, v6
	v_add_co_ci_u32_e64 v6, null, s13, 0, s12
	v_add_co_u32 v26, vcc_lo, v3, v5
	v_add_co_ci_u32_e32 v27, vcc_lo, 0, v4, vcc_lo
	v_add_co_u32 v28, vcc_lo, v0, v5
	v_or_b32_e32 v13, 32, v9
	v_add_nc_u32_e32 v16, 0, v7
	v_cmp_eq_u32_e64 s11, 0, v1
	v_add_co_ci_u32_e32 v29, vcc_lo, 0, v6, vcc_lo
	v_or_b32_e32 v30, 1, v8
	v_or_b32_e32 v31, 2, v8
	;; [unrolled: 1-line block ×3, first 2 shown]
	v_lshlrev_b32_e32 v33, 1, v1
	v_lshlrev_b32_e32 v34, 1, v2
	s_mov_b32 s42, 0x3e9b6dac
	s_add_i32 s43, 0, 0x430
	s_mov_b32 s54, 0
	s_branch .LBB36_12
.LBB36_11:                              ;   in Loop: Header=BB36_12 Depth=1
	s_or_b32 exec_lo, exec_lo, s12
	s_add_u32 s40, s40, 0x200
	s_addc_u32 s41, s41, 0
	s_add_u32 s38, s38, 0x200
	s_addc_u32 s39, s39, 0
	;; [unrolled: 2-line block ×4, first 2 shown]
	s_add_i32 s54, s54, 1
	s_delay_alu instid0(SALU_CYCLE_1)
	s_cmp_lg_u32 s54, s61
	s_cbranch_scc0 .LBB36_108
.LBB36_12:                              ; =>This Loop Header: Depth=1
                                        ;     Child Loop BB36_37 Depth 2
	v_add_co_u32 v0, s12, s38, v33
	s_delay_alu instid0(VALU_DEP_1) | instskip(SKIP_1) | instid1(VALU_DEP_2)
	v_add_co_ci_u32_e64 v1, null, s39, 0, s12
	s_lshl_b32 s24, s54, 8
	v_add_co_u32 v0, vcc_lo, v0, v34
	s_sub_i32 s19, s23, s24
	s_delay_alu instid0(VALU_DEP_2)
	v_add_co_ci_u32_e32 v1, vcc_lo, 0, v1, vcc_lo
	v_cmp_gt_u32_e64 s12, s19, v9
	s_waitcnt lgkmcnt(0)
	v_mov_b32_e32 v2, 0
	s_waitcnt lgkmcnt(0)
	s_waitcnt_vscnt null, 0x0
	s_barrier
	buffer_gl0_inv
	s_and_saveexec_b32 s13, s12
	s_cbranch_execz .LBB36_14
; %bb.13:                               ;   in Loop: Header=BB36_12 Depth=1
	global_load_u16 v2, v[0:1], off
.LBB36_14:                              ;   in Loop: Header=BB36_12 Depth=1
	s_or_b32 exec_lo, exec_lo, s13
	v_cmp_gt_u32_e64 s13, s19, v13
	v_mov_b32_e32 v3, 0
	v_mov_b32_e32 v5, 0
	s_delay_alu instid0(VALU_DEP_3)
	s_and_saveexec_b32 s14, s13
	s_cbranch_execz .LBB36_16
; %bb.15:                               ;   in Loop: Header=BB36_12 Depth=1
	global_load_u16 v5, v[0:1], off offset:64
.LBB36_16:                              ;   in Loop: Header=BB36_12 Depth=1
	s_or_b32 exec_lo, exec_lo, s14
	v_cmp_gt_u32_e64 s14, s19, v10
	s_delay_alu instid0(VALU_DEP_1)
	s_and_saveexec_b32 s15, s14
	s_cbranch_execz .LBB36_18
; %bb.17:                               ;   in Loop: Header=BB36_12 Depth=1
	global_load_u16 v3, v[0:1], off offset:128
.LBB36_18:                              ;   in Loop: Header=BB36_12 Depth=1
	s_or_b32 exec_lo, exec_lo, s15
	v_cmp_gt_u32_e64 s15, s19, v11
	v_mov_b32_e32 v4, 0
	v_mov_b32_e32 v6, 0
	s_delay_alu instid0(VALU_DEP_3)
	s_and_saveexec_b32 s16, s15
	s_cbranch_execz .LBB36_20
; %bb.19:                               ;   in Loop: Header=BB36_12 Depth=1
	global_load_u16 v6, v[0:1], off offset:192
.LBB36_20:                              ;   in Loop: Header=BB36_12 Depth=1
	s_or_b32 exec_lo, exec_lo, s16
	s_waitcnt vmcnt(0)
	ds_store_b16 v14, v2
	ds_store_b16 v14, v5 offset:64
	ds_store_b16 v15, v3 offset:128
	;; [unrolled: 1-line block ×3, first 2 shown]
	; wave barrier
	ds_load_b64 v[0:1], v17
	v_add_co_u32 v2, s16, s40, v33
	s_delay_alu instid0(VALU_DEP_1) | instskip(SKIP_1) | instid1(VALU_DEP_2)
	v_add_co_ci_u32_e64 v3, null, s41, 0, s16
	s_waitcnt lgkmcnt(0)
	v_add_co_u32 v2, vcc_lo, v2, v34
	s_delay_alu instid0(VALU_DEP_2)
	v_add_co_ci_u32_e32 v3, vcc_lo, 0, v3, vcc_lo
	s_barrier
	buffer_gl0_inv
	s_and_saveexec_b32 s16, s12
	s_cbranch_execz .LBB36_22
; %bb.21:                               ;   in Loop: Header=BB36_12 Depth=1
	global_load_u16 v4, v[2:3], off
.LBB36_22:                              ;   in Loop: Header=BB36_12 Depth=1
	s_or_b32 exec_lo, exec_lo, s16
	v_dual_mov_b32 v5, 0 :: v_dual_mov_b32 v6, 0
	s_and_saveexec_b32 s16, s13
	s_cbranch_execnz .LBB36_99
; %bb.23:                               ;   in Loop: Header=BB36_12 Depth=1
	s_or_b32 exec_lo, exec_lo, s16
	s_and_saveexec_b32 s16, s14
	s_cbranch_execnz .LBB36_100
.LBB36_24:                              ;   in Loop: Header=BB36_12 Depth=1
	s_or_b32 exec_lo, exec_lo, s16
	v_mov_b32_e32 v7, 0
	s_and_saveexec_b32 s16, s15
	s_cbranch_execz .LBB36_26
.LBB36_25:                              ;   in Loop: Header=BB36_12 Depth=1
	global_load_u16 v7, v[2:3], off offset:192
.LBB36_26:                              ;   in Loop: Header=BB36_12 Depth=1
	s_or_b32 exec_lo, exec_lo, s16
	s_waitcnt vmcnt(0)
	ds_store_b16 v14, v4
	ds_store_b16 v14, v6 offset:64
	ds_store_b16 v15, v5 offset:128
	;; [unrolled: 1-line block ×3, first 2 shown]
	; wave barrier
	ds_load_b64 v[2:3], v17
	s_waitcnt lgkmcnt(0)
	v_lshlrev_b32_e32 v4, 16, v2
	s_delay_alu instid0(VALU_DEP_1) | instskip(NEXT) | instid1(VALU_DEP_1)
	v_add_f32_e32 v35, s58, v4
	v_cmp_ge_f32_e32 vcc_lo, 0x41a00000, v35
	s_and_b32 s16, s62, vcc_lo
	s_delay_alu instid0(SALU_CYCLE_1)
	s_and_saveexec_b32 s17, s16
	s_cbranch_execz .LBB36_28
; %bb.27:                               ;   in Loop: Header=BB36_12 Depth=1
	v_mul_f32_e32 v4, 0x3fb8aa3b, v35
	v_cmp_ngt_f32_e32 vcc_lo, 0xc2ce8ed0, v35
	s_delay_alu instid0(VALU_DEP_2) | instskip(SKIP_1) | instid1(VALU_DEP_2)
	v_rndne_f32_e32 v5, v4
	v_fma_f32 v6, 0x3fb8aa3b, v35, -v4
	v_sub_f32_e32 v4, v4, v5
	s_delay_alu instid0(VALU_DEP_2) | instskip(SKIP_1) | instid1(VALU_DEP_2)
	v_fmac_f32_e32 v6, 0x32a5705f, v35
	v_cvt_i32_f32_e32 v5, v5
	v_add_f32_e32 v4, v4, v6
	s_delay_alu instid0(VALU_DEP_1) | instskip(SKIP_2) | instid1(VALU_DEP_1)
	v_exp_f32_e32 v4, v4
	s_waitcnt_depctr 0xfff
	v_ldexp_f32 v4, v4, v5
	v_cndmask_b32_e32 v4, 0, v4, vcc_lo
	v_cmp_nlt_f32_e32 vcc_lo, 0x42b17218, v35
	s_delay_alu instid0(VALU_DEP_2) | instskip(NEXT) | instid1(VALU_DEP_1)
	v_cndmask_b32_e32 v6, 0x7f800000, v4, vcc_lo
	v_add_f32_e32 v7, 1.0, v6
	s_delay_alu instid0(VALU_DEP_1) | instskip(NEXT) | instid1(VALU_DEP_1)
	v_cvt_f64_f32_e32 v[4:5], v7
	v_frexp_exp_i32_f64_e32 v4, v[4:5]
	v_frexp_mant_f32_e32 v5, v7
	s_delay_alu instid0(VALU_DEP_1) | instskip(SKIP_1) | instid1(VALU_DEP_1)
	v_cmp_gt_f32_e32 vcc_lo, 0x3f2aaaab, v5
	v_add_f32_e32 v5, -1.0, v7
	v_dual_sub_f32 v36, v5, v7 :: v_dual_sub_f32 v5, v6, v5
	s_delay_alu instid0(VALU_DEP_1) | instskip(NEXT) | instid1(VALU_DEP_1)
	v_add_f32_e32 v36, 1.0, v36
	v_add_f32_e32 v5, v5, v36
	v_subrev_co_ci_u32_e32 v4, vcc_lo, 0, v4, vcc_lo
	s_delay_alu instid0(VALU_DEP_1) | instskip(SKIP_1) | instid1(VALU_DEP_2)
	v_sub_nc_u32_e32 v35, 0, v4
	v_cvt_f32_i32_e32 v4, v4
	v_ldexp_f32 v7, v7, v35
	v_ldexp_f32 v5, v5, v35
	s_delay_alu instid0(VALU_DEP_2) | instskip(SKIP_3) | instid1(VALU_DEP_4)
	v_add_f32_e32 v37, 1.0, v7
	v_add_f32_e32 v35, -1.0, v7
	v_cmp_eq_f32_e32 vcc_lo, 0x7f800000, v6
	v_cmp_gt_f32_e64 s16, 0x33800000, v6
	v_add_f32_e32 v36, -1.0, v37
	s_delay_alu instid0(VALU_DEP_4) | instskip(NEXT) | instid1(VALU_DEP_3)
	v_add_f32_e32 v38, 1.0, v35
	s_or_b32 vcc_lo, s16, vcc_lo
	s_delay_alu instid0(VALU_DEP_2) | instskip(NEXT) | instid1(VALU_DEP_1)
	v_sub_f32_e32 v36, v7, v36
	v_dual_sub_f32 v7, v7, v38 :: v_dual_add_f32 v36, v5, v36
	s_delay_alu instid0(VALU_DEP_1) | instskip(NEXT) | instid1(VALU_DEP_1)
	v_add_f32_e32 v5, v5, v7
	v_dual_add_f32 v39, v35, v5 :: v_dual_add_f32 v38, v37, v36
	s_delay_alu instid0(VALU_DEP_1) | instskip(NEXT) | instid1(VALU_DEP_2)
	v_sub_f32_e32 v35, v35, v39
	v_rcp_f32_e32 v7, v38
	v_sub_f32_e32 v37, v37, v38
	s_delay_alu instid0(VALU_DEP_1) | instskip(SKIP_2) | instid1(VALU_DEP_1)
	v_dual_add_f32 v5, v5, v35 :: v_dual_add_f32 v36, v36, v37
	s_waitcnt_depctr 0xfff
	v_mul_f32_e32 v40, v39, v7
	v_mul_f32_e32 v41, v38, v40
	s_delay_alu instid0(VALU_DEP_1) | instskip(NEXT) | instid1(VALU_DEP_1)
	v_fma_f32 v37, v40, v38, -v41
	v_fmac_f32_e32 v37, v40, v36
	s_delay_alu instid0(VALU_DEP_1) | instskip(NEXT) | instid1(VALU_DEP_1)
	v_add_f32_e32 v42, v41, v37
	v_sub_f32_e32 v43, v39, v42
	s_delay_alu instid0(VALU_DEP_1) | instskip(SKIP_1) | instid1(VALU_DEP_2)
	v_sub_f32_e32 v39, v39, v43
	v_sub_f32_e32 v35, v42, v41
	;; [unrolled: 1-line block ×3, first 2 shown]
	s_delay_alu instid0(VALU_DEP_2) | instskip(NEXT) | instid1(VALU_DEP_2)
	v_sub_f32_e32 v35, v35, v37
	v_add_f32_e32 v5, v5, v39
	s_delay_alu instid0(VALU_DEP_1) | instskip(NEXT) | instid1(VALU_DEP_1)
	v_add_f32_e32 v5, v35, v5
	v_add_f32_e32 v35, v43, v5
	s_delay_alu instid0(VALU_DEP_1) | instskip(NEXT) | instid1(VALU_DEP_1)
	v_mul_f32_e32 v37, v7, v35
	v_dual_sub_f32 v42, v43, v35 :: v_dual_mul_f32 v39, v38, v37
	s_delay_alu instid0(VALU_DEP_1) | instskip(NEXT) | instid1(VALU_DEP_2)
	v_add_f32_e32 v5, v5, v42
	v_fma_f32 v38, v37, v38, -v39
	s_delay_alu instid0(VALU_DEP_1) | instskip(NEXT) | instid1(VALU_DEP_1)
	v_fmac_f32_e32 v38, v37, v36
	v_add_f32_e32 v36, v39, v38
	s_delay_alu instid0(VALU_DEP_1) | instskip(SKIP_1) | instid1(VALU_DEP_2)
	v_sub_f32_e32 v41, v35, v36
	v_sub_f32_e32 v39, v36, v39
	;; [unrolled: 1-line block ×3, first 2 shown]
	s_delay_alu instid0(VALU_DEP_1) | instskip(NEXT) | instid1(VALU_DEP_1)
	v_sub_f32_e32 v35, v35, v36
	v_dual_sub_f32 v36, v39, v38 :: v_dual_add_f32 v5, v5, v35
	v_add_f32_e32 v35, v40, v37
	s_delay_alu instid0(VALU_DEP_1) | instskip(NEXT) | instid1(VALU_DEP_1)
	v_dual_add_f32 v5, v36, v5 :: v_dual_sub_f32 v36, v35, v40
	v_add_f32_e32 v5, v41, v5
	s_delay_alu instid0(VALU_DEP_1) | instskip(NEXT) | instid1(VALU_DEP_1)
	v_dual_sub_f32 v36, v37, v36 :: v_dual_mul_f32 v5, v7, v5
	v_add_f32_e32 v5, v36, v5
	s_delay_alu instid0(VALU_DEP_1) | instskip(NEXT) | instid1(VALU_DEP_1)
	v_add_f32_e32 v7, v35, v5
	v_mul_f32_e32 v36, v7, v7
	s_delay_alu instid0(VALU_DEP_1) | instskip(SKIP_1) | instid1(VALU_DEP_2)
	v_fmaak_f32 v37, s42, v36, 0x3ecc95a3
	v_mul_f32_e32 v38, v7, v36
	v_fmaak_f32 v36, v36, v37, 0x3f2aaada
	v_ldexp_f32 v37, v7, 1
	s_delay_alu instid0(VALU_DEP_2) | instskip(NEXT) | instid1(VALU_DEP_1)
	v_dual_sub_f32 v7, v7, v35 :: v_dual_mul_f32 v36, v38, v36
	v_dual_mul_f32 v38, 0x3f317218, v4 :: v_dual_sub_f32 v5, v5, v7
	s_delay_alu instid0(VALU_DEP_2) | instskip(NEXT) | instid1(VALU_DEP_2)
	v_add_f32_e32 v35, v37, v36
	v_ldexp_f32 v5, v5, 1
	s_delay_alu instid0(VALU_DEP_2) | instskip(NEXT) | instid1(VALU_DEP_4)
	v_sub_f32_e32 v7, v35, v37
	v_fma_f32 v37, 0x3f317218, v4, -v38
	s_delay_alu instid0(VALU_DEP_2) | instskip(NEXT) | instid1(VALU_DEP_1)
	v_sub_f32_e32 v7, v36, v7
	v_dual_fmac_f32 v37, 0xb102e308, v4 :: v_dual_add_f32 v4, v5, v7
	s_delay_alu instid0(VALU_DEP_1) | instskip(NEXT) | instid1(VALU_DEP_1)
	v_add_f32_e32 v5, v38, v37
	v_dual_add_f32 v7, v35, v4 :: v_dual_sub_f32 v38, v5, v38
	s_delay_alu instid0(VALU_DEP_1) | instskip(SKIP_1) | instid1(VALU_DEP_3)
	v_add_f32_e32 v36, v5, v7
	v_sub_f32_e32 v35, v7, v35
	v_sub_f32_e32 v37, v37, v38
	s_delay_alu instid0(VALU_DEP_3) | instskip(NEXT) | instid1(VALU_DEP_3)
	v_sub_f32_e32 v39, v36, v5
	v_sub_f32_e32 v4, v4, v35
	s_delay_alu instid0(VALU_DEP_2) | instskip(SKIP_1) | instid1(VALU_DEP_3)
	v_sub_f32_e32 v40, v36, v39
	v_sub_f32_e32 v7, v7, v39
	v_add_f32_e32 v35, v37, v4
	s_delay_alu instid0(VALU_DEP_3) | instskip(NEXT) | instid1(VALU_DEP_1)
	v_sub_f32_e32 v5, v5, v40
	v_add_f32_e32 v5, v7, v5
	s_delay_alu instid0(VALU_DEP_3) | instskip(NEXT) | instid1(VALU_DEP_1)
	v_sub_f32_e32 v7, v35, v37
	v_dual_add_f32 v5, v35, v5 :: v_dual_sub_f32 v4, v4, v7
	s_delay_alu instid0(VALU_DEP_1) | instskip(NEXT) | instid1(VALU_DEP_1)
	v_dual_sub_f32 v35, v35, v7 :: v_dual_add_f32 v38, v36, v5
	v_sub_f32_e32 v35, v37, v35
	s_delay_alu instid0(VALU_DEP_1) | instskip(NEXT) | instid1(VALU_DEP_1)
	v_dual_sub_f32 v7, v38, v36 :: v_dual_add_f32 v4, v4, v35
	v_sub_f32_e32 v5, v5, v7
	s_delay_alu instid0(VALU_DEP_1) | instskip(NEXT) | instid1(VALU_DEP_1)
	v_add_f32_e32 v4, v4, v5
	v_add_f32_e32 v4, v38, v4
	s_delay_alu instid0(VALU_DEP_1)
	v_cndmask_b32_e32 v35, v4, v6, vcc_lo
.LBB36_28:                              ;   in Loop: Header=BB36_12 Depth=1
	s_or_b32 exec_lo, exec_lo, s17
	v_and_b32_e32 v2, 0xffff0000, v2
	s_delay_alu instid0(VALU_DEP_1) | instskip(NEXT) | instid1(VALU_DEP_1)
	v_add_f32_e32 v36, s58, v2
	v_cmp_ge_f32_e32 vcc_lo, 0x41a00000, v36
	s_and_b32 s16, s62, vcc_lo
	s_delay_alu instid0(SALU_CYCLE_1)
	s_and_saveexec_b32 s17, s16
	s_cbranch_execz .LBB36_30
; %bb.29:                               ;   in Loop: Header=BB36_12 Depth=1
	v_mul_f32_e32 v2, 0x3fb8aa3b, v36
	v_cmp_ngt_f32_e32 vcc_lo, 0xc2ce8ed0, v36
	s_delay_alu instid0(VALU_DEP_2) | instskip(SKIP_1) | instid1(VALU_DEP_2)
	v_rndne_f32_e32 v4, v2
	v_fma_f32 v5, 0x3fb8aa3b, v36, -v2
	v_sub_f32_e32 v2, v2, v4
	s_delay_alu instid0(VALU_DEP_2) | instskip(SKIP_1) | instid1(VALU_DEP_2)
	v_fmac_f32_e32 v5, 0x32a5705f, v36
	v_cvt_i32_f32_e32 v4, v4
	v_add_f32_e32 v2, v2, v5
	s_delay_alu instid0(VALU_DEP_1) | instskip(SKIP_2) | instid1(VALU_DEP_1)
	v_exp_f32_e32 v2, v2
	s_waitcnt_depctr 0xfff
	v_ldexp_f32 v2, v2, v4
	v_cndmask_b32_e32 v2, 0, v2, vcc_lo
	v_cmp_nlt_f32_e32 vcc_lo, 0x42b17218, v36
	s_delay_alu instid0(VALU_DEP_2) | instskip(NEXT) | instid1(VALU_DEP_1)
	v_cndmask_b32_e32 v2, 0x7f800000, v2, vcc_lo
	v_add_f32_e32 v6, 1.0, v2
	s_delay_alu instid0(VALU_DEP_1) | instskip(NEXT) | instid1(VALU_DEP_1)
	v_cvt_f64_f32_e32 v[4:5], v6
	v_frexp_exp_i32_f64_e32 v4, v[4:5]
	v_frexp_mant_f32_e32 v5, v6
	s_delay_alu instid0(VALU_DEP_1) | instskip(SKIP_1) | instid1(VALU_DEP_1)
	v_cmp_gt_f32_e32 vcc_lo, 0x3f2aaaab, v5
	v_add_f32_e32 v5, -1.0, v6
	v_dual_sub_f32 v36, v5, v6 :: v_dual_sub_f32 v5, v2, v5
	v_subrev_co_ci_u32_e32 v4, vcc_lo, 0, v4, vcc_lo
	s_delay_alu instid0(VALU_DEP_1) | instskip(SKIP_1) | instid1(VALU_DEP_2)
	v_sub_nc_u32_e32 v7, 0, v4
	v_cvt_f32_i32_e32 v4, v4
	v_ldexp_f32 v6, v6, v7
	s_delay_alu instid0(VALU_DEP_1) | instskip(NEXT) | instid1(VALU_DEP_1)
	v_dual_add_f32 v36, 1.0, v36 :: v_dual_add_f32 v37, 1.0, v6
	v_add_f32_e32 v5, v5, v36
	s_delay_alu instid0(VALU_DEP_1) | instskip(NEXT) | instid1(VALU_DEP_3)
	v_ldexp_f32 v5, v5, v7
	v_dual_add_f32 v7, -1.0, v6 :: v_dual_add_f32 v36, -1.0, v37
	s_delay_alu instid0(VALU_DEP_1) | instskip(NEXT) | instid1(VALU_DEP_2)
	v_add_f32_e32 v38, 1.0, v7
	v_sub_f32_e32 v36, v6, v36
	s_delay_alu instid0(VALU_DEP_2) | instskip(NEXT) | instid1(VALU_DEP_2)
	v_sub_f32_e32 v6, v6, v38
	v_add_f32_e32 v36, v5, v36
	s_delay_alu instid0(VALU_DEP_2) | instskip(NEXT) | instid1(VALU_DEP_1)
	v_add_f32_e32 v5, v5, v6
	v_dual_add_f32 v39, v7, v5 :: v_dual_add_f32 v38, v37, v36
	v_cmp_eq_f32_e32 vcc_lo, 0x7f800000, v2
	v_cmp_gt_f32_e64 s16, 0x33800000, v2
	s_delay_alu instid0(VALU_DEP_3) | instskip(NEXT) | instid1(VALU_DEP_4)
	v_sub_f32_e32 v7, v7, v39
	v_rcp_f32_e32 v6, v38
	v_sub_f32_e32 v37, v37, v38
	s_delay_alu instid0(VALU_DEP_3) | instskip(NEXT) | instid1(VALU_DEP_1)
	s_or_b32 vcc_lo, s16, vcc_lo
	v_dual_add_f32 v5, v5, v7 :: v_dual_add_f32 v36, v36, v37
	s_waitcnt_depctr 0xfff
	v_mul_f32_e32 v40, v39, v6
	s_delay_alu instid0(VALU_DEP_1) | instskip(NEXT) | instid1(VALU_DEP_1)
	v_mul_f32_e32 v41, v38, v40
	v_fma_f32 v37, v40, v38, -v41
	s_delay_alu instid0(VALU_DEP_1) | instskip(NEXT) | instid1(VALU_DEP_1)
	v_fmac_f32_e32 v37, v40, v36
	v_add_f32_e32 v42, v41, v37
	s_delay_alu instid0(VALU_DEP_1) | instskip(NEXT) | instid1(VALU_DEP_1)
	v_sub_f32_e32 v43, v39, v42
	v_sub_f32_e32 v39, v39, v43
	s_delay_alu instid0(VALU_DEP_1) | instskip(SKIP_1) | instid1(VALU_DEP_2)
	v_sub_f32_e32 v39, v39, v42
	v_sub_f32_e32 v7, v42, v41
	v_add_f32_e32 v5, v5, v39
	s_delay_alu instid0(VALU_DEP_2) | instskip(NEXT) | instid1(VALU_DEP_1)
	v_sub_f32_e32 v7, v7, v37
	v_add_f32_e32 v5, v7, v5
	s_delay_alu instid0(VALU_DEP_1) | instskip(NEXT) | instid1(VALU_DEP_1)
	v_add_f32_e32 v7, v43, v5
	v_mul_f32_e32 v37, v6, v7
	s_delay_alu instid0(VALU_DEP_1) | instskip(NEXT) | instid1(VALU_DEP_1)
	v_dual_sub_f32 v42, v43, v7 :: v_dual_mul_f32 v39, v38, v37
	v_add_f32_e32 v5, v5, v42
	s_delay_alu instid0(VALU_DEP_2) | instskip(NEXT) | instid1(VALU_DEP_1)
	v_fma_f32 v38, v37, v38, -v39
	v_fmac_f32_e32 v38, v37, v36
	s_delay_alu instid0(VALU_DEP_1) | instskip(NEXT) | instid1(VALU_DEP_1)
	v_add_f32_e32 v36, v39, v38
	v_sub_f32_e32 v41, v7, v36
	s_delay_alu instid0(VALU_DEP_1) | instskip(NEXT) | instid1(VALU_DEP_1)
	v_sub_f32_e32 v7, v7, v41
	v_sub_f32_e32 v7, v7, v36
	s_delay_alu instid0(VALU_DEP_1) | instskip(SKIP_2) | instid1(VALU_DEP_1)
	v_add_f32_e32 v5, v5, v7
	v_add_f32_e32 v7, v40, v37
	v_sub_f32_e32 v39, v36, v39
	v_sub_f32_e32 v36, v39, v38
	s_delay_alu instid0(VALU_DEP_1) | instskip(NEXT) | instid1(VALU_DEP_1)
	v_dual_add_f32 v5, v36, v5 :: v_dual_sub_f32 v36, v7, v40
	v_add_f32_e32 v5, v41, v5
	s_delay_alu instid0(VALU_DEP_1) | instskip(NEXT) | instid1(VALU_DEP_1)
	v_dual_sub_f32 v36, v37, v36 :: v_dual_mul_f32 v5, v6, v5
	v_add_f32_e32 v5, v36, v5
	s_delay_alu instid0(VALU_DEP_1) | instskip(NEXT) | instid1(VALU_DEP_1)
	v_add_f32_e32 v6, v7, v5
	v_mul_f32_e32 v36, v6, v6
	s_delay_alu instid0(VALU_DEP_1) | instskip(SKIP_1) | instid1(VALU_DEP_2)
	v_fmaak_f32 v37, s42, v36, 0x3ecc95a3
	v_mul_f32_e32 v38, v6, v36
	v_fmaak_f32 v36, v36, v37, 0x3f2aaada
	v_ldexp_f32 v37, v6, 1
	v_sub_f32_e32 v6, v6, v7
	s_delay_alu instid0(VALU_DEP_3) | instskip(SKIP_1) | instid1(VALU_DEP_2)
	v_mul_f32_e32 v36, v38, v36
	v_mul_f32_e32 v38, 0x3f317218, v4
	v_add_f32_e32 v7, v37, v36
	s_delay_alu instid0(VALU_DEP_1) | instskip(NEXT) | instid1(VALU_DEP_3)
	v_dual_sub_f32 v5, v5, v6 :: v_dual_sub_f32 v6, v7, v37
	v_fma_f32 v37, 0x3f317218, v4, -v38
	s_delay_alu instid0(VALU_DEP_2) | instskip(NEXT) | instid1(VALU_DEP_2)
	v_ldexp_f32 v5, v5, 1
	v_dual_sub_f32 v6, v36, v6 :: v_dual_fmac_f32 v37, 0xb102e308, v4
	s_delay_alu instid0(VALU_DEP_1) | instskip(NEXT) | instid1(VALU_DEP_1)
	v_dual_add_f32 v4, v5, v6 :: v_dual_add_f32 v5, v38, v37
	v_add_f32_e32 v6, v7, v4
	s_delay_alu instid0(VALU_DEP_1) | instskip(NEXT) | instid1(VALU_DEP_1)
	v_add_f32_e32 v36, v5, v6
	v_sub_f32_e32 v39, v36, v5
	s_delay_alu instid0(VALU_DEP_1) | instskip(SKIP_2) | instid1(VALU_DEP_2)
	v_sub_f32_e32 v40, v36, v39
	v_sub_f32_e32 v7, v6, v7
	;; [unrolled: 1-line block ×5, first 2 shown]
	s_delay_alu instid0(VALU_DEP_1) | instskip(NEXT) | instid1(VALU_DEP_1)
	v_sub_f32_e32 v37, v37, v38
	v_add_f32_e32 v7, v37, v4
	v_sub_f32_e32 v5, v5, v40
	s_delay_alu instid0(VALU_DEP_1) | instskip(NEXT) | instid1(VALU_DEP_3)
	v_add_f32_e32 v5, v6, v5
	v_sub_f32_e32 v6, v7, v37
	s_delay_alu instid0(VALU_DEP_1) | instskip(NEXT) | instid1(VALU_DEP_1)
	v_dual_sub_f32 v4, v4, v6 :: v_dual_add_f32 v5, v7, v5
	v_dual_sub_f32 v7, v7, v6 :: v_dual_add_f32 v38, v36, v5
	s_delay_alu instid0(VALU_DEP_1) | instskip(NEXT) | instid1(VALU_DEP_1)
	v_dual_sub_f32 v7, v37, v7 :: v_dual_sub_f32 v6, v38, v36
	v_dual_add_f32 v4, v4, v7 :: v_dual_sub_f32 v5, v5, v6
	s_delay_alu instid0(VALU_DEP_1) | instskip(NEXT) | instid1(VALU_DEP_1)
	v_add_f32_e32 v4, v4, v5
	v_add_f32_e32 v4, v38, v4
	s_delay_alu instid0(VALU_DEP_1)
	v_cndmask_b32_e32 v36, v4, v2, vcc_lo
.LBB36_30:                              ;   in Loop: Header=BB36_12 Depth=1
	s_or_b32 exec_lo, exec_lo, s17
	v_lshlrev_b32_e32 v2, 16, v3
	s_delay_alu instid0(VALU_DEP_1) | instskip(NEXT) | instid1(VALU_DEP_1)
	v_add_f32_e32 v41, s58, v2
	v_cmp_ge_f32_e32 vcc_lo, 0x41a00000, v41
	s_and_b32 s16, s62, vcc_lo
	s_delay_alu instid0(SALU_CYCLE_1)
	s_and_saveexec_b32 s17, s16
	s_cbranch_execz .LBB36_32
; %bb.31:                               ;   in Loop: Header=BB36_12 Depth=1
	v_mul_f32_e32 v2, 0x3fb8aa3b, v41
	v_cmp_ngt_f32_e32 vcc_lo, 0xc2ce8ed0, v41
	s_delay_alu instid0(VALU_DEP_2) | instskip(SKIP_1) | instid1(VALU_DEP_1)
	v_rndne_f32_e32 v4, v2
	v_fma_f32 v5, 0x3fb8aa3b, v41, -v2
	v_dual_sub_f32 v2, v2, v4 :: v_dual_fmac_f32 v5, 0x32a5705f, v41
	v_cvt_i32_f32_e32 v4, v4
	s_delay_alu instid0(VALU_DEP_2) | instskip(NEXT) | instid1(VALU_DEP_1)
	v_add_f32_e32 v2, v2, v5
	v_exp_f32_e32 v2, v2
	s_waitcnt_depctr 0xfff
	v_ldexp_f32 v2, v2, v4
	s_delay_alu instid0(VALU_DEP_1) | instskip(SKIP_1) | instid1(VALU_DEP_2)
	v_cndmask_b32_e32 v2, 0, v2, vcc_lo
	v_cmp_nlt_f32_e32 vcc_lo, 0x42b17218, v41
	v_cndmask_b32_e32 v2, 0x7f800000, v2, vcc_lo
	s_delay_alu instid0(VALU_DEP_1) | instskip(NEXT) | instid1(VALU_DEP_1)
	v_add_f32_e32 v6, 1.0, v2
	v_cvt_f64_f32_e32 v[4:5], v6
	s_delay_alu instid0(VALU_DEP_1) | instskip(SKIP_1) | instid1(VALU_DEP_1)
	v_frexp_exp_i32_f64_e32 v4, v[4:5]
	v_frexp_mant_f32_e32 v5, v6
	v_cmp_gt_f32_e32 vcc_lo, 0x3f2aaaab, v5
	v_add_f32_e32 v5, -1.0, v6
	s_delay_alu instid0(VALU_DEP_1) | instskip(SKIP_1) | instid1(VALU_DEP_2)
	v_sub_f32_e32 v37, v5, v6
	v_sub_f32_e32 v5, v2, v5
	v_add_f32_e32 v37, 1.0, v37
	s_delay_alu instid0(VALU_DEP_1) | instskip(SKIP_3) | instid1(VALU_DEP_2)
	v_add_f32_e32 v5, v5, v37
	v_cmp_gt_f32_e64 s16, 0x33800000, v2
	v_subrev_co_ci_u32_e32 v4, vcc_lo, 0, v4, vcc_lo
	v_cmp_eq_f32_e32 vcc_lo, 0x7f800000, v2
	v_sub_nc_u32_e32 v7, 0, v4
	v_cvt_f32_i32_e32 v4, v4
	s_or_b32 vcc_lo, s16, vcc_lo
	s_delay_alu instid0(VALU_DEP_2) | instskip(SKIP_1) | instid1(VALU_DEP_2)
	v_ldexp_f32 v6, v6, v7
	v_ldexp_f32 v5, v5, v7
	v_add_f32_e32 v38, 1.0, v6
	v_add_f32_e32 v7, -1.0, v6
	s_delay_alu instid0(VALU_DEP_1) | instskip(NEXT) | instid1(VALU_DEP_3)
	v_add_f32_e32 v39, 1.0, v7
	v_add_f32_e32 v37, -1.0, v38
	s_delay_alu instid0(VALU_DEP_1) | instskip(NEXT) | instid1(VALU_DEP_1)
	v_sub_f32_e32 v37, v6, v37
	v_dual_sub_f32 v6, v6, v39 :: v_dual_add_f32 v37, v5, v37
	s_delay_alu instid0(VALU_DEP_1) | instskip(NEXT) | instid1(VALU_DEP_2)
	v_add_f32_e32 v39, v38, v37
	v_add_f32_e32 v5, v5, v6
	s_delay_alu instid0(VALU_DEP_2) | instskip(SKIP_1) | instid1(VALU_DEP_1)
	v_rcp_f32_e32 v6, v39
	v_sub_f32_e32 v38, v38, v39
	v_dual_add_f32 v40, v7, v5 :: v_dual_add_f32 v37, v37, v38
	s_delay_alu instid0(VALU_DEP_1) | instskip(SKIP_2) | instid1(VALU_DEP_1)
	v_sub_f32_e32 v7, v7, v40
	s_waitcnt_depctr 0xfff
	v_mul_f32_e32 v41, v40, v6
	v_mul_f32_e32 v42, v39, v41
	s_delay_alu instid0(VALU_DEP_1) | instskip(NEXT) | instid1(VALU_DEP_1)
	v_fma_f32 v38, v41, v39, -v42
	v_fmac_f32_e32 v38, v41, v37
	s_delay_alu instid0(VALU_DEP_1) | instskip(NEXT) | instid1(VALU_DEP_1)
	v_add_f32_e32 v43, v42, v38
	v_sub_f32_e32 v44, v40, v43
	s_delay_alu instid0(VALU_DEP_1) | instskip(NEXT) | instid1(VALU_DEP_1)
	v_dual_sub_f32 v40, v40, v44 :: v_dual_add_f32 v5, v5, v7
	v_dual_sub_f32 v7, v43, v42 :: v_dual_sub_f32 v40, v40, v43
	s_delay_alu instid0(VALU_DEP_1) | instskip(NEXT) | instid1(VALU_DEP_2)
	v_sub_f32_e32 v7, v7, v38
	v_add_f32_e32 v5, v5, v40
	s_delay_alu instid0(VALU_DEP_1) | instskip(NEXT) | instid1(VALU_DEP_1)
	v_add_f32_e32 v5, v7, v5
	v_add_f32_e32 v7, v44, v5
	s_delay_alu instid0(VALU_DEP_1) | instskip(NEXT) | instid1(VALU_DEP_1)
	v_mul_f32_e32 v38, v6, v7
	v_dual_sub_f32 v43, v44, v7 :: v_dual_mul_f32 v40, v39, v38
	s_delay_alu instid0(VALU_DEP_1) | instskip(NEXT) | instid1(VALU_DEP_2)
	v_add_f32_e32 v5, v5, v43
	v_fma_f32 v39, v38, v39, -v40
	s_delay_alu instid0(VALU_DEP_1) | instskip(NEXT) | instid1(VALU_DEP_1)
	v_fmac_f32_e32 v39, v38, v37
	v_add_f32_e32 v37, v40, v39
	s_delay_alu instid0(VALU_DEP_1) | instskip(NEXT) | instid1(VALU_DEP_1)
	v_sub_f32_e32 v42, v7, v37
	v_dual_sub_f32 v40, v37, v40 :: v_dual_sub_f32 v7, v7, v42
	s_delay_alu instid0(VALU_DEP_1) | instskip(NEXT) | instid1(VALU_DEP_2)
	v_sub_f32_e32 v7, v7, v37
	v_sub_f32_e32 v37, v40, v39
	s_delay_alu instid0(VALU_DEP_2) | instskip(SKIP_1) | instid1(VALU_DEP_2)
	v_add_f32_e32 v5, v5, v7
	v_add_f32_e32 v7, v41, v38
	;; [unrolled: 1-line block ×3, first 2 shown]
	s_delay_alu instid0(VALU_DEP_2) | instskip(NEXT) | instid1(VALU_DEP_2)
	v_sub_f32_e32 v37, v7, v41
	v_add_f32_e32 v5, v42, v5
	s_delay_alu instid0(VALU_DEP_2) | instskip(NEXT) | instid1(VALU_DEP_2)
	v_sub_f32_e32 v37, v38, v37
	v_mul_f32_e32 v5, v6, v5
	s_delay_alu instid0(VALU_DEP_1) | instskip(NEXT) | instid1(VALU_DEP_1)
	v_add_f32_e32 v5, v37, v5
	v_add_f32_e32 v6, v7, v5
	s_delay_alu instid0(VALU_DEP_1) | instskip(NEXT) | instid1(VALU_DEP_1)
	v_mul_f32_e32 v37, v6, v6
	v_fmaak_f32 v38, s42, v37, 0x3ecc95a3
	v_mul_f32_e32 v39, v6, v37
	s_delay_alu instid0(VALU_DEP_2) | instskip(SKIP_1) | instid1(VALU_DEP_2)
	v_fmaak_f32 v37, v37, v38, 0x3f2aaada
	v_ldexp_f32 v38, v6, 1
	v_dual_sub_f32 v6, v6, v7 :: v_dual_mul_f32 v37, v39, v37
	v_mul_f32_e32 v39, 0x3f317218, v4
	s_delay_alu instid0(VALU_DEP_2) | instskip(NEXT) | instid1(VALU_DEP_3)
	v_sub_f32_e32 v5, v5, v6
	v_add_f32_e32 v7, v38, v37
	s_delay_alu instid0(VALU_DEP_2) | instskip(NEXT) | instid1(VALU_DEP_2)
	v_ldexp_f32 v5, v5, 1
	v_sub_f32_e32 v6, v7, v38
	v_fma_f32 v38, 0x3f317218, v4, -v39
	s_delay_alu instid0(VALU_DEP_2) | instskip(NEXT) | instid1(VALU_DEP_2)
	v_sub_f32_e32 v6, v37, v6
	v_fmac_f32_e32 v38, 0xb102e308, v4
	s_delay_alu instid0(VALU_DEP_2) | instskip(NEXT) | instid1(VALU_DEP_2)
	v_add_f32_e32 v4, v5, v6
	v_add_f32_e32 v5, v39, v38
	s_delay_alu instid0(VALU_DEP_1) | instskip(NEXT) | instid1(VALU_DEP_1)
	v_dual_add_f32 v6, v7, v4 :: v_dual_sub_f32 v39, v5, v39
	v_add_f32_e32 v37, v5, v6
	v_sub_f32_e32 v7, v6, v7
	s_delay_alu instid0(VALU_DEP_3) | instskip(NEXT) | instid1(VALU_DEP_3)
	v_sub_f32_e32 v38, v38, v39
	v_sub_f32_e32 v40, v37, v5
	s_delay_alu instid0(VALU_DEP_1) | instskip(SKIP_1) | instid1(VALU_DEP_2)
	v_dual_sub_f32 v4, v4, v7 :: v_dual_sub_f32 v41, v37, v40
	v_sub_f32_e32 v6, v6, v40
	v_add_f32_e32 v7, v38, v4
	s_delay_alu instid0(VALU_DEP_3) | instskip(NEXT) | instid1(VALU_DEP_1)
	v_sub_f32_e32 v5, v5, v41
	v_dual_add_f32 v5, v6, v5 :: v_dual_sub_f32 v6, v7, v38
	s_delay_alu instid0(VALU_DEP_1) | instskip(NEXT) | instid1(VALU_DEP_2)
	v_add_f32_e32 v5, v7, v5
	v_sub_f32_e32 v7, v7, v6
	s_delay_alu instid0(VALU_DEP_2) | instskip(NEXT) | instid1(VALU_DEP_1)
	v_dual_sub_f32 v4, v4, v6 :: v_dual_add_f32 v39, v37, v5
	v_dual_sub_f32 v7, v38, v7 :: v_dual_sub_f32 v6, v39, v37
	s_delay_alu instid0(VALU_DEP_1) | instskip(NEXT) | instid1(VALU_DEP_1)
	v_dual_add_f32 v4, v4, v7 :: v_dual_sub_f32 v5, v5, v6
	v_add_f32_e32 v4, v4, v5
	s_delay_alu instid0(VALU_DEP_1) | instskip(NEXT) | instid1(VALU_DEP_1)
	v_add_f32_e32 v4, v39, v4
	v_cndmask_b32_e32 v41, v4, v2, vcc_lo
.LBB36_32:                              ;   in Loop: Header=BB36_12 Depth=1
	s_or_b32 exec_lo, exec_lo, s17
	v_and_b32_e32 v2, 0xffff0000, v3
	s_delay_alu instid0(VALU_DEP_1) | instskip(NEXT) | instid1(VALU_DEP_1)
	v_add_f32_e32 v42, s58, v2
	v_cmp_ge_f32_e32 vcc_lo, 0x41a00000, v42
	s_and_b32 s16, s62, vcc_lo
	s_delay_alu instid0(SALU_CYCLE_1)
	s_and_saveexec_b32 s17, s16
	s_cbranch_execz .LBB36_34
; %bb.33:                               ;   in Loop: Header=BB36_12 Depth=1
	v_mul_f32_e32 v2, 0x3fb8aa3b, v42
	v_cmp_ngt_f32_e32 vcc_lo, 0xc2ce8ed0, v42
	s_delay_alu instid0(VALU_DEP_2) | instskip(SKIP_1) | instid1(VALU_DEP_2)
	v_rndne_f32_e32 v3, v2
	v_fma_f32 v4, 0x3fb8aa3b, v42, -v2
	v_sub_f32_e32 v2, v2, v3
	s_delay_alu instid0(VALU_DEP_2) | instskip(SKIP_1) | instid1(VALU_DEP_2)
	v_fmac_f32_e32 v4, 0x32a5705f, v42
	v_cvt_i32_f32_e32 v3, v3
	v_add_f32_e32 v2, v2, v4
	s_delay_alu instid0(VALU_DEP_1) | instskip(SKIP_2) | instid1(VALU_DEP_1)
	v_exp_f32_e32 v2, v2
	s_waitcnt_depctr 0xfff
	v_ldexp_f32 v2, v2, v3
	v_cndmask_b32_e32 v2, 0, v2, vcc_lo
	v_cmp_nlt_f32_e32 vcc_lo, 0x42b17218, v42
	s_delay_alu instid0(VALU_DEP_2) | instskip(NEXT) | instid1(VALU_DEP_1)
	v_cndmask_b32_e32 v4, 0x7f800000, v2, vcc_lo
	v_add_f32_e32 v5, 1.0, v4
	s_delay_alu instid0(VALU_DEP_1) | instskip(NEXT) | instid1(VALU_DEP_1)
	v_cvt_f64_f32_e32 v[2:3], v5
	v_frexp_exp_i32_f64_e32 v2, v[2:3]
	v_frexp_mant_f32_e32 v3, v5
	s_delay_alu instid0(VALU_DEP_1) | instskip(SKIP_1) | instid1(VALU_DEP_1)
	v_cmp_gt_f32_e32 vcc_lo, 0x3f2aaaab, v3
	v_add_f32_e32 v3, -1.0, v5
	v_sub_f32_e32 v7, v3, v5
	s_delay_alu instid0(VALU_DEP_1) | instskip(SKIP_1) | instid1(VALU_DEP_1)
	v_add_f32_e32 v7, 1.0, v7
	v_subrev_co_ci_u32_e32 v2, vcc_lo, 0, v2, vcc_lo
	v_sub_nc_u32_e32 v6, 0, v2
	v_cvt_f32_i32_e32 v2, v2
	s_delay_alu instid0(VALU_DEP_2) | instskip(NEXT) | instid1(VALU_DEP_1)
	v_ldexp_f32 v5, v5, v6
	v_add_f32_e32 v37, 1.0, v5
	v_sub_f32_e32 v3, v4, v3
	v_cmp_eq_f32_e32 vcc_lo, 0x7f800000, v4
	v_cmp_gt_f32_e64 s16, 0x33800000, v4
	s_delay_alu instid0(VALU_DEP_3) | instskip(NEXT) | instid1(VALU_DEP_2)
	v_add_f32_e32 v3, v3, v7
	s_or_b32 vcc_lo, s16, vcc_lo
	s_delay_alu instid0(VALU_DEP_1) | instskip(SKIP_1) | instid1(VALU_DEP_1)
	v_ldexp_f32 v3, v3, v6
	v_add_f32_e32 v6, -1.0, v5
	v_dual_add_f32 v7, -1.0, v37 :: v_dual_add_f32 v38, 1.0, v6
	s_delay_alu instid0(VALU_DEP_1) | instskip(NEXT) | instid1(VALU_DEP_2)
	v_sub_f32_e32 v7, v5, v7
	v_sub_f32_e32 v5, v5, v38
	s_delay_alu instid0(VALU_DEP_2) | instskip(NEXT) | instid1(VALU_DEP_1)
	v_add_f32_e32 v7, v3, v7
	v_dual_add_f32 v3, v3, v5 :: v_dual_add_f32 v38, v37, v7
	s_delay_alu instid0(VALU_DEP_1) | instskip(NEXT) | instid1(VALU_DEP_2)
	v_add_f32_e32 v39, v6, v3
	v_rcp_f32_e32 v5, v38
	s_delay_alu instid0(VALU_DEP_1) | instskip(NEXT) | instid1(VALU_DEP_1)
	v_dual_sub_f32 v37, v37, v38 :: v_dual_sub_f32 v6, v6, v39
	v_add_f32_e32 v3, v3, v6
	s_waitcnt_depctr 0xfff
	v_mul_f32_e32 v40, v39, v5
	s_delay_alu instid0(VALU_DEP_1) | instskip(NEXT) | instid1(VALU_DEP_1)
	v_dual_mul_f32 v42, v38, v40 :: v_dual_add_f32 v7, v7, v37
	v_fma_f32 v37, v40, v38, -v42
	s_delay_alu instid0(VALU_DEP_1) | instskip(NEXT) | instid1(VALU_DEP_1)
	v_fmac_f32_e32 v37, v40, v7
	v_add_f32_e32 v43, v42, v37
	s_delay_alu instid0(VALU_DEP_1) | instskip(SKIP_1) | instid1(VALU_DEP_1)
	v_sub_f32_e32 v6, v43, v42
	v_sub_f32_e32 v44, v39, v43
	v_dual_sub_f32 v6, v6, v37 :: v_dual_sub_f32 v39, v39, v44
	s_delay_alu instid0(VALU_DEP_1) | instskip(NEXT) | instid1(VALU_DEP_1)
	v_sub_f32_e32 v39, v39, v43
	v_add_f32_e32 v3, v3, v39
	s_delay_alu instid0(VALU_DEP_1) | instskip(NEXT) | instid1(VALU_DEP_1)
	v_add_f32_e32 v3, v6, v3
	v_add_f32_e32 v6, v44, v3
	s_delay_alu instid0(VALU_DEP_1) | instskip(SKIP_1) | instid1(VALU_DEP_2)
	v_mul_f32_e32 v37, v5, v6
	v_sub_f32_e32 v43, v44, v6
	v_mul_f32_e32 v39, v38, v37
	s_delay_alu instid0(VALU_DEP_2) | instskip(NEXT) | instid1(VALU_DEP_2)
	v_add_f32_e32 v3, v3, v43
	v_fma_f32 v38, v37, v38, -v39
	s_delay_alu instid0(VALU_DEP_1) | instskip(NEXT) | instid1(VALU_DEP_1)
	v_fmac_f32_e32 v38, v37, v7
	v_add_f32_e32 v7, v39, v38
	s_delay_alu instid0(VALU_DEP_1) | instskip(NEXT) | instid1(VALU_DEP_1)
	v_sub_f32_e32 v42, v6, v7
	v_dual_sub_f32 v39, v7, v39 :: v_dual_sub_f32 v6, v6, v42
	s_delay_alu instid0(VALU_DEP_1) | instskip(NEXT) | instid1(VALU_DEP_1)
	v_dual_sub_f32 v6, v6, v7 :: v_dual_sub_f32 v7, v39, v38
	v_dual_add_f32 v3, v3, v6 :: v_dual_add_f32 v6, v40, v37
	s_delay_alu instid0(VALU_DEP_1) | instskip(NEXT) | instid1(VALU_DEP_2)
	v_add_f32_e32 v3, v7, v3
	v_sub_f32_e32 v7, v6, v40
	s_delay_alu instid0(VALU_DEP_2) | instskip(NEXT) | instid1(VALU_DEP_2)
	v_add_f32_e32 v3, v42, v3
	v_sub_f32_e32 v7, v37, v7
	s_delay_alu instid0(VALU_DEP_2) | instskip(NEXT) | instid1(VALU_DEP_1)
	v_mul_f32_e32 v3, v5, v3
	v_add_f32_e32 v3, v7, v3
	s_delay_alu instid0(VALU_DEP_1) | instskip(NEXT) | instid1(VALU_DEP_1)
	v_add_f32_e32 v5, v6, v3
	v_mul_f32_e32 v7, v5, v5
	s_delay_alu instid0(VALU_DEP_1) | instskip(NEXT) | instid1(VALU_DEP_1)
	v_fmaak_f32 v37, s42, v7, 0x3ecc95a3
	v_dual_mul_f32 v38, v5, v7 :: v_dual_fmaak_f32 v7, v7, v37, 0x3f2aaada
	v_ldexp_f32 v37, v5, 1
	v_sub_f32_e32 v5, v5, v6
	s_delay_alu instid0(VALU_DEP_3) | instskip(NEXT) | instid1(VALU_DEP_1)
	v_dual_mul_f32 v7, v38, v7 :: v_dual_mul_f32 v38, 0x3f317218, v2
	v_dual_sub_f32 v3, v3, v5 :: v_dual_add_f32 v6, v37, v7
	s_delay_alu instid0(VALU_DEP_1) | instskip(NEXT) | instid1(VALU_DEP_2)
	v_ldexp_f32 v3, v3, 1
	v_sub_f32_e32 v5, v6, v37
	s_delay_alu instid0(VALU_DEP_4) | instskip(NEXT) | instid1(VALU_DEP_2)
	v_fma_f32 v37, 0x3f317218, v2, -v38
	v_sub_f32_e32 v5, v7, v5
	s_delay_alu instid0(VALU_DEP_1) | instskip(NEXT) | instid1(VALU_DEP_1)
	v_dual_fmac_f32 v37, 0xb102e308, v2 :: v_dual_add_f32 v2, v3, v5
	v_add_f32_e32 v3, v38, v37
	s_delay_alu instid0(VALU_DEP_2) | instskip(NEXT) | instid1(VALU_DEP_2)
	v_add_f32_e32 v5, v6, v2
	v_sub_f32_e32 v38, v3, v38
	s_delay_alu instid0(VALU_DEP_2) | instskip(NEXT) | instid1(VALU_DEP_2)
	v_dual_add_f32 v7, v3, v5 :: v_dual_sub_f32 v6, v5, v6
	v_sub_f32_e32 v37, v37, v38
	s_delay_alu instid0(VALU_DEP_2) | instskip(NEXT) | instid1(VALU_DEP_1)
	v_dual_sub_f32 v39, v7, v3 :: v_dual_sub_f32 v2, v2, v6
	v_sub_f32_e32 v40, v7, v39
	v_sub_f32_e32 v5, v5, v39
	s_delay_alu instid0(VALU_DEP_2) | instskip(NEXT) | instid1(VALU_DEP_1)
	v_dual_add_f32 v6, v37, v2 :: v_dual_sub_f32 v3, v3, v40
	v_add_f32_e32 v3, v5, v3
	s_delay_alu instid0(VALU_DEP_2) | instskip(NEXT) | instid1(VALU_DEP_2)
	v_sub_f32_e32 v5, v6, v37
	v_add_f32_e32 v3, v6, v3
	s_delay_alu instid0(VALU_DEP_2) | instskip(SKIP_1) | instid1(VALU_DEP_3)
	v_sub_f32_e32 v6, v6, v5
	v_sub_f32_e32 v2, v2, v5
	v_add_f32_e32 v38, v7, v3
	s_delay_alu instid0(VALU_DEP_1) | instskip(NEXT) | instid1(VALU_DEP_1)
	v_dual_sub_f32 v6, v37, v6 :: v_dual_sub_f32 v5, v38, v7
	v_dual_add_f32 v2, v2, v6 :: v_dual_sub_f32 v3, v3, v5
	s_delay_alu instid0(VALU_DEP_1) | instskip(NEXT) | instid1(VALU_DEP_1)
	v_add_f32_e32 v2, v2, v3
	v_add_f32_e32 v2, v38, v2
	s_delay_alu instid0(VALU_DEP_1)
	v_cndmask_b32_e32 v42, v2, v4, vcc_lo
.LBB36_34:                              ;   in Loop: Header=BB36_12 Depth=1
	s_or_b32 exec_lo, exec_lo, s17
	v_lshlrev_b32_e32 v2, 16, v1
	v_and_b32_e32 v3, 0xffff0000, v0
	v_lshlrev_b32_e32 v0, 16, v0
	v_and_b32_e32 v1, 0xffff0000, v1
	s_and_b32 vcc_lo, exec_lo, s63
	s_delay_alu instid0(VALU_DEP_3) | instskip(NEXT) | instid1(VALU_DEP_2)
	v_dual_mul_f32 v37, s59, v2 :: v_dual_mul_f32 v40, s59, v3
	v_dual_mul_f32 v38, s59, v0 :: v_dual_mul_f32 v39, s59, v1
	s_barrier
	buffer_gl0_inv
	s_cbranch_vccz .LBB36_82
; %bb.35:                               ;   in Loop: Header=BB36_12 Depth=1
	v_dual_mul_f32 v43, v42, v1 :: v_dual_mul_f32 v48, v41, v2
	v_add_co_u32 v1, s16, s47, v33
	s_delay_alu instid0(VALU_DEP_1) | instskip(SKIP_1) | instid1(VALU_DEP_1)
	v_add_co_ci_u32_e64 v4, null, s49, 0, s16
	v_add_co_u32 v5, s16, s51, v33
	v_add_co_ci_u32_e64 v6, null, s60, 0, s16
	s_delay_alu instid0(VALU_DEP_4) | instskip(NEXT) | instid1(VALU_DEP_4)
	v_add_co_u32 v44, vcc_lo, v1, v34
	v_add_co_ci_u32_e32 v45, vcc_lo, 0, v4, vcc_lo
	s_delay_alu instid0(VALU_DEP_4) | instskip(NEXT) | instid1(VALU_DEP_4)
	v_add_co_u32 v46, vcc_lo, v5, v34
	v_add_co_ci_u32_e32 v47, vcc_lo, 0, v6, vcc_lo
	v_cmp_gt_u32_e32 vcc_lo, s19, v8
	v_cmp_gt_u32_e64 s17, s19, v30
	v_cmp_gt_u32_e64 s18, s19, v31
	v_cmp_gt_u32_e64 s19, s19, v32
	s_cmp_lg_u32 s54, 0
	v_dual_mul_f32 v49, v36, v3 :: v_dual_mul_f32 v50, v35, v0
	s_mov_b32 s28, 0
	s_cselect_b32 s25, -1, 0
	s_cmp_eq_u32 s54, s65
	s_mov_b32 s26, s28
	s_cselect_b32 s55, -1, 0
	s_or_b32 s16, s64, vcc_lo
	s_or_b32 s17, s64, s17
	s_or_b32 s18, s64, s18
	s_or_b32 s19, s64, s19
	s_mov_b32 s30, s28
	s_mov_b32 s34, s28
	;; [unrolled: 1-line block ×4, first 2 shown]
	s_branch .LBB36_37
.LBB36_36:                              ;   in Loop: Header=BB36_37 Depth=2
	s_or_b32 exec_lo, exec_lo, s20
	v_cndmask_b32_e64 v2, v60, v7, s11
	v_cndmask_b32_e64 v3, v59, v6, s11
	s_add_i32 s56, s56, -1
	s_add_i32 s57, s57, 8
	s_add_i32 s34, s34, s50
	v_fma_f32 v2, v2, v58, v56
	v_mul_f32_e32 v3, v3, v58
	s_add_i32 s30, s30, s36
	s_add_i32 s26, s26, s48
	;; [unrolled: 1-line block ×3, first 2 shown]
	v_cndmask_b32_e64 v2, v2, v56, s10
	v_cndmask_b32_e64 v3, v3, v58, s10
	s_cmp_eq_u32 s56, 0
	s_waitcnt lgkmcnt(0)
	s_delay_alu instid0(VALU_DEP_1) | instskip(NEXT) | instid1(VALU_DEP_1)
	v_dual_fmac_f32 v2, v4, v3 :: v_dual_and_b32 v3, 0xffff0000, v0
	v_dual_fmac_f32 v51, v2, v57 :: v_dual_lshlrev_b32 v0, 16, v0
	s_delay_alu instid0(VALU_DEP_1) | instskip(SKIP_1) | instid1(VALU_DEP_3)
	v_fmac_f32_e32 v52, v51, v55
	v_and_b32_e32 v4, 0xffff0000, v1
	v_dual_fmac_f32 v38, v2, v0 :: v_dual_lshlrev_b32 v1, 16, v1
	s_delay_alu instid0(VALU_DEP_3) | instskip(NEXT) | instid1(VALU_DEP_2)
	v_dual_fmac_f32 v53, v52, v54 :: v_dual_fmac_f32 v40, v51, v3
	v_fmac_f32_e32 v37, v52, v1
	s_delay_alu instid0(VALU_DEP_2)
	v_fmac_f32_e32 v39, v53, v4
	s_cbranch_scc1 .LBB36_82
.LBB36_37:                              ;   Parent Loop BB36_12 Depth=1
                                        ; =>  This Inner Loop Header: Depth=2
	s_lshl_b64 s[20:21], s[28:29], 2
	s_mov_b32 s27, s29
	s_add_u32 s20, s44, s20
	s_addc_u32 s21, s46, s21
	v_dual_mov_b32 v2, 0 :: v_dual_mov_b32 v3, 0
	global_load_b32 v6, v12, s[20:21]
	s_lshl_b64 s[20:21], s[26:27], 1
	s_delay_alu instid0(SALU_CYCLE_1)
	v_add_co_u32 v0, vcc_lo, v44, s20
	v_add_co_ci_u32_e32 v1, vcc_lo, s21, v45, vcc_lo
	s_and_saveexec_b32 s20, s12
	s_cbranch_execz .LBB36_39
; %bb.38:                               ;   in Loop: Header=BB36_37 Depth=2
	global_load_u16 v3, v[0:1], off
.LBB36_39:                              ;   in Loop: Header=BB36_37 Depth=2
	s_or_b32 exec_lo, exec_lo, s20
	s_and_saveexec_b32 s20, s13
	s_cbranch_execz .LBB36_41
; %bb.40:                               ;   in Loop: Header=BB36_37 Depth=2
	global_load_u16 v2, v[0:1], off offset:64
.LBB36_41:                              ;   in Loop: Header=BB36_37 Depth=2
	s_or_b32 exec_lo, exec_lo, s20
	v_dual_mov_b32 v4, 0 :: v_dual_mov_b32 v5, 0
	s_and_saveexec_b32 s20, s14
	s_cbranch_execz .LBB36_43
; %bb.42:                               ;   in Loop: Header=BB36_37 Depth=2
	global_load_u16 v5, v[0:1], off offset:128
.LBB36_43:                              ;   in Loop: Header=BB36_37 Depth=2
	s_or_b32 exec_lo, exec_lo, s20
	s_and_saveexec_b32 s20, s15
	s_cbranch_execz .LBB36_45
; %bb.44:                               ;   in Loop: Header=BB36_37 Depth=2
	global_load_u16 v4, v[0:1], off offset:192
.LBB36_45:                              ;   in Loop: Header=BB36_37 Depth=2
	s_or_b32 exec_lo, exec_lo, s20
	s_waitcnt vmcnt(0)
	ds_store_b16 v14, v3
	ds_store_b16 v14, v2 offset:64
	ds_store_b16 v15, v5 offset:128
	;; [unrolled: 1-line block ×3, first 2 shown]
	; wave barrier
	ds_load_b64 v[4:5], v17
	s_mov_b32 s31, s29
	v_dual_mov_b32 v2, 0 :: v_dual_mov_b32 v3, 0
	s_lshl_b64 s[20:21], s[30:31], 1
	s_delay_alu instid0(SALU_CYCLE_1)
	v_add_co_u32 v0, vcc_lo, v46, s20
	v_add_co_ci_u32_e32 v1, vcc_lo, s21, v47, vcc_lo
	s_and_saveexec_b32 s20, s12
	s_cbranch_execz .LBB36_47
; %bb.46:                               ;   in Loop: Header=BB36_37 Depth=2
	global_load_u16 v3, v[0:1], off
.LBB36_47:                              ;   in Loop: Header=BB36_37 Depth=2
	s_or_b32 exec_lo, exec_lo, s20
	s_and_saveexec_b32 s20, s13
	s_cbranch_execz .LBB36_49
; %bb.48:                               ;   in Loop: Header=BB36_37 Depth=2
	global_load_u16 v2, v[0:1], off offset:64
.LBB36_49:                              ;   in Loop: Header=BB36_37 Depth=2
	s_or_b32 exec_lo, exec_lo, s20
	v_mov_b32_e32 v7, 0
	v_mov_b32_e32 v51, 0
	s_and_saveexec_b32 s20, s14
	s_cbranch_execz .LBB36_51
; %bb.50:                               ;   in Loop: Header=BB36_37 Depth=2
	global_load_u16 v51, v[0:1], off offset:128
.LBB36_51:                              ;   in Loop: Header=BB36_37 Depth=2
	s_or_b32 exec_lo, exec_lo, s20
	s_and_saveexec_b32 s20, s15
	s_cbranch_execz .LBB36_53
; %bb.52:                               ;   in Loop: Header=BB36_37 Depth=2
	global_load_u16 v7, v[0:1], off offset:192
.LBB36_53:                              ;   in Loop: Header=BB36_37 Depth=2
	s_or_b32 exec_lo, exec_lo, s20
	s_waitcnt vmcnt(0)
	ds_store_b16 v14, v3 offset:528
	ds_store_b16 v18, v2 offset:64
	;; [unrolled: 1-line block ×4, first 2 shown]
	; wave barrier
	ds_load_b64 v[0:1], v17 offset:528
	s_and_not1_b32 vcc_lo, exec_lo, s25
	s_cbranch_vccnz .LBB36_55
; %bb.54:                               ;   in Loop: Header=BB36_37 Depth=2
	v_mov_b32_e32 v2, s57
	ds_load_b64 v[2:3], v2
	s_cbranch_execz .LBB36_56
	s_branch .LBB36_59
.LBB36_55:                              ;   in Loop: Header=BB36_37 Depth=2
                                        ; implicit-def: $vgpr2
.LBB36_56:                              ;   in Loop: Header=BB36_37 Depth=2
	s_waitcnt lgkmcnt(0)
	v_mov_b32_e32 v3, 0
	s_and_not1_b32 vcc_lo, exec_lo, s33
	s_cbranch_vccnz .LBB36_58
; %bb.57:                               ;   in Loop: Header=BB36_37 Depth=2
	s_mov_b32 s35, s29
	s_delay_alu instid0(SALU_CYCLE_1) | instskip(NEXT) | instid1(SALU_CYCLE_1)
	s_lshl_b64 s[20:21], s[34:35], 2
	s_add_u32 s20, s52, s20
	s_addc_u32 s21, s53, s21
	global_load_b32 v3, v12, s[20:21]
.LBB36_58:                              ;   in Loop: Header=BB36_37 Depth=2
	v_mov_b32_e32 v2, 1.0
.LBB36_59:                              ;   in Loop: Header=BB36_37 Depth=2
	s_waitcnt lgkmcnt(5)
	v_dual_mul_f32 v6, 0x3fb8aa3b, v6 :: v_dual_lshlrev_b32 v7, 16, v4
	v_lshlrev_b32_e32 v51, 16, v5
	v_and_b32_e32 v4, 0xffff0000, v4
	s_delay_alu instid0(VALU_DEP_3) | instskip(NEXT) | instid1(VALU_DEP_4)
	v_mul_f32_e32 v52, v6, v35
	v_mul_f32_e32 v7, v50, v7
	s_delay_alu instid0(VALU_DEP_3) | instskip(SKIP_1) | instid1(VALU_DEP_4)
	v_dual_mul_f32 v55, v6, v42 :: v_dual_mul_f32 v4, v49, v4
	v_dual_mul_f32 v54, v6, v41 :: v_dual_mul_f32 v59, v48, v51
	v_cmp_gt_f32_e32 vcc_lo, 0xc2fc0000, v52
	s_delay_alu instid0(VALU_DEP_3) | instskip(NEXT) | instid1(VALU_DEP_3)
	v_cmp_gt_f32_e64 s22, 0xc2fc0000, v55
	v_cmp_gt_f32_e64 s21, 0xc2fc0000, v54
	v_cndmask_b32_e64 v52, 0, 0x42800000, vcc_lo
	v_and_b32_e32 v5, 0xffff0000, v5
	s_delay_alu instid0(VALU_DEP_4) | instskip(SKIP_4) | instid1(VALU_DEP_3)
	v_cndmask_b32_e64 v55, 0, 0x42800000, s22
	v_cndmask_b32_e64 v56, 1.0, 0x1f800000, vcc_lo
	v_cndmask_b32_e64 v54, 0, 0x42800000, s21
	v_fmac_f32_e32 v52, v6, v35
	v_cndmask_b32_e64 v51, 1.0, 0x1f800000, s21
	v_fmac_f32_e32 v54, v6, v41
	s_delay_alu instid0(VALU_DEP_3) | instskip(SKIP_1) | instid1(VALU_DEP_2)
	v_exp_f32_e32 v52, v52
	v_fmac_f32_e32 v55, v6, v42
	v_exp_f32_e32 v54, v54
	s_waitcnt_depctr 0xfff
	v_mul_f32_e32 v52, v52, v56
	v_cndmask_b32_e64 v56, 0, v7, s16
	v_exp_f32_e32 v7, v55
	s_delay_alu instid0(VALU_DEP_2) | instskip(SKIP_2) | instid1(VALU_DEP_2)
	v_cndmask_b32_e64 v58, 1.0, v52, s16
	v_mul_f32_e32 v53, v6, v36
	v_cndmask_b32_e64 v52, 0, v59, s18
	v_cmp_gt_f32_e64 s20, 0xc2fc0000, v53
	s_delay_alu instid0(VALU_DEP_1) | instskip(NEXT) | instid1(VALU_DEP_1)
	v_cndmask_b32_e64 v53, 0, 0x42800000, s20
	v_fmac_f32_e32 v53, v6, v36
	v_cndmask_b32_e64 v6, 1.0, 0x1f800000, s20
	s_delay_alu instid0(VALU_DEP_2) | instskip(SKIP_4) | instid1(VALU_DEP_3)
	v_exp_f32_e32 v53, v53
	s_waitcnt_depctr 0xfff
	v_dual_mul_f32 v6, v53, v6 :: v_dual_mul_f32 v53, v54, v51
	v_cndmask_b32_e64 v51, 0, v4, s17
	v_cndmask_b32_e64 v4, 1.0, 0x1f800000, s22
	v_cndmask_b32_e64 v57, 1.0, v6, s17
	s_delay_alu instid0(VALU_DEP_4) | instskip(NEXT) | instid1(VALU_DEP_3)
	v_cndmask_b32_e64 v55, 1.0, v53, s18
	v_mul_f32_e32 v4, v7, v4
	s_delay_alu instid0(VALU_DEP_3) | instskip(SKIP_1) | instid1(VALU_DEP_3)
	v_dual_mul_f32 v6, v57, v58 :: v_dual_mul_f32 v5, v43, v5
	v_fma_f32 v7, v57, v56, v51
	v_cndmask_b32_e64 v54, 1.0, v4, s19
	s_delay_alu instid0(VALU_DEP_3) | instskip(NEXT) | instid1(VALU_DEP_4)
	v_mul_f32_e32 v4, v6, v55
	v_cndmask_b32_e64 v53, 0, v5, s19
	s_delay_alu instid0(VALU_DEP_4) | instskip(NEXT) | instid1(VALU_DEP_3)
	v_fma_f32 v5, v7, v55, v52
	v_mul_f32_e32 v4, v4, v54
	s_delay_alu instid0(VALU_DEP_2) | instskip(NEXT) | instid1(VALU_DEP_2)
	v_fma_f32 v5, v5, v54, v53
	v_mov_b32_dpp v7, v4 row_shr:1 row_mask:0xf bank_mask:0xf
	s_delay_alu instid0(VALU_DEP_2)
	v_mov_b32_dpp v6, v5 row_shr:1 row_mask:0xf bank_mask:0xf
	s_and_saveexec_b32 s20, s0
; %bb.60:                               ;   in Loop: Header=BB36_37 Depth=2
	s_delay_alu instid0(VALU_DEP_2) | instskip(NEXT) | instid1(VALU_DEP_1)
	v_mul_f32_e32 v7, v4, v7
	v_dual_fmac_f32 v5, v4, v6 :: v_dual_mov_b32 v4, v7
; %bb.61:                               ;   in Loop: Header=BB36_37 Depth=2
	s_or_b32 exec_lo, exec_lo, s20
	s_delay_alu instid0(VALU_DEP_1) | instskip(NEXT) | instid1(VALU_DEP_2)
	v_mov_b32_dpp v6, v4 row_shr:2 row_mask:0xf bank_mask:0xf
	v_mov_b32_dpp v7, v5 row_shr:2 row_mask:0xf bank_mask:0xf
	s_and_saveexec_b32 s20, s1
; %bb.62:                               ;   in Loop: Header=BB36_37 Depth=2
	s_delay_alu instid0(VALU_DEP_1) | instskip(NEXT) | instid1(VALU_DEP_3)
	v_fmac_f32_e32 v5, v4, v7
	v_mul_f32_e32 v4, v4, v6
; %bb.63:                               ;   in Loop: Header=BB36_37 Depth=2
	s_or_b32 exec_lo, exec_lo, s20
	s_delay_alu instid0(VALU_DEP_1) | instskip(NEXT) | instid1(VALU_DEP_3)
	v_mov_b32_dpp v6, v4 row_shr:4 row_mask:0xf bank_mask:0xf
	v_mov_b32_dpp v7, v5 row_shr:4 row_mask:0xf bank_mask:0xf
	s_and_saveexec_b32 s20, s2
; %bb.64:                               ;   in Loop: Header=BB36_37 Depth=2
	s_delay_alu instid0(VALU_DEP_1) | instskip(NEXT) | instid1(VALU_DEP_3)
	v_fmac_f32_e32 v5, v4, v7
	v_mul_f32_e32 v4, v4, v6
; %bb.65:                               ;   in Loop: Header=BB36_37 Depth=2
	s_or_b32 exec_lo, exec_lo, s20
	s_delay_alu instid0(VALU_DEP_1) | instskip(NEXT) | instid1(VALU_DEP_3)
	v_mov_b32_dpp v6, v4 row_shr:8 row_mask:0xf bank_mask:0xf
	v_mov_b32_dpp v7, v5 row_shr:8 row_mask:0xf bank_mask:0xf
	s_and_saveexec_b32 s20, s3
; %bb.66:                               ;   in Loop: Header=BB36_37 Depth=2
	s_delay_alu instid0(VALU_DEP_1) | instskip(NEXT) | instid1(VALU_DEP_3)
	v_fmac_f32_e32 v5, v4, v7
	v_mul_f32_e32 v4, v4, v6
; %bb.67:                               ;   in Loop: Header=BB36_37 Depth=2
	s_or_b32 exec_lo, exec_lo, s20
	ds_swizzle_b32 v7, v4 offset:swizzle(BROADCAST,32,15)
	ds_swizzle_b32 v6, v5 offset:swizzle(BROADCAST,32,15)
	s_and_saveexec_b32 s20, s4
	s_cbranch_execz .LBB36_69
; %bb.68:                               ;   in Loop: Header=BB36_37 Depth=2
	s_waitcnt lgkmcnt(1)
	v_mul_f32_e32 v7, v4, v7
	s_waitcnt lgkmcnt(0)
	s_delay_alu instid0(VALU_DEP_1)
	v_dual_fmac_f32 v5, v4, v6 :: v_dual_mov_b32 v4, v7
.LBB36_69:                              ;   in Loop: Header=BB36_37 Depth=2
	s_or_b32 exec_lo, exec_lo, s20
	s_and_saveexec_b32 s20, s5
	s_cbranch_execz .LBB36_71
; %bb.70:                               ;   in Loop: Header=BB36_37 Depth=2
	ds_store_b64 v21, v[4:5] offset:1056
.LBB36_71:                              ;   in Loop: Header=BB36_37 Depth=2
	s_or_b32 exec_lo, exec_lo, s20
	s_waitcnt vmcnt(0) lgkmcnt(0)
	s_waitcnt_vscnt null, 0x0
	s_barrier
	buffer_gl0_inv
	s_and_saveexec_b32 s20, s6
	s_cbranch_execz .LBB36_73
; %bb.72:                               ;   in Loop: Header=BB36_37 Depth=2
	ds_load_b64 v[6:7], v22 offset:1056
	s_waitcnt lgkmcnt(0)
	v_mov_b32_dpp v59, v6 row_shr:1 row_mask:0xf bank_mask:0xf
	v_mov_b32_dpp v60, v7 row_shr:1 row_mask:0xf bank_mask:0xf
	s_delay_alu instid0(VALU_DEP_2) | instskip(NEXT) | instid1(VALU_DEP_2)
	v_mul_f32_e32 v59, v6, v59
	v_fma_f32 v60, v6, v60, v7
	s_delay_alu instid0(VALU_DEP_2) | instskip(NEXT) | instid1(VALU_DEP_2)
	v_cndmask_b32_e64 v6, v59, v6, s7
	v_cndmask_b32_e64 v7, v60, v7, s7
	ds_store_b64 v22, v[6:7] offset:1056
.LBB36_73:                              ;   in Loop: Header=BB36_37 Depth=2
	s_or_b32 exec_lo, exec_lo, s20
	s_waitcnt lgkmcnt(0)
	s_barrier
	buffer_gl0_inv
                                        ; implicit-def: $vgpr7
	s_and_saveexec_b32 s20, s9
	s_cbranch_execz .LBB36_75
; %bb.74:                               ;   in Loop: Header=BB36_37 Depth=2
	ds_load_b64 v[6:7], v21 offset:1048
	s_waitcnt lgkmcnt(0)
	v_mul_f32_e32 v59, v4, v6
	s_delay_alu instid0(VALU_DEP_1)
	v_dual_fmac_f32 v5, v4, v7 :: v_dual_mov_b32 v4, v59
.LBB36_75:                              ;   in Loop: Header=BB36_37 Depth=2
	s_or_b32 exec_lo, exec_lo, s20
	ds_bpermute_b32 v59, v23, v4
	ds_bpermute_b32 v60, v23, v5
	s_and_saveexec_b32 s20, s8
	s_cbranch_execz .LBB36_79
; %bb.76:                               ;   in Loop: Header=BB36_37 Depth=2
	ds_load_b64 v[4:5], v12 offset:1064
	s_and_saveexec_b32 s21, s10
	s_cbranch_execz .LBB36_78
; %bb.77:                               ;   in Loop: Header=BB36_37 Depth=2
	ds_store_b64 v12, v[2:3] offset:1064
.LBB36_78:                              ;   in Loop: Header=BB36_37 Depth=2
	s_or_b32 exec_lo, exec_lo, s21
	s_waitcnt lgkmcnt(0)
	v_fmac_f32_e32 v5, v3, v4
	s_delay_alu instid0(VALU_DEP_1)
	v_dual_mul_f32 v2, v2, v4 :: v_dual_mov_b32 v3, v5
.LBB36_79:                              ;   in Loop: Header=BB36_37 Depth=2
	s_or_b32 exec_lo, exec_lo, s20
	s_waitcnt lgkmcnt(0)
	s_barrier
	buffer_gl0_inv
	ds_load_b32 v4, v12 offset:1068
	s_and_saveexec_b32 s20, s10
	s_cbranch_execz .LBB36_36
; %bb.80:                               ;   in Loop: Header=BB36_37 Depth=2
	v_mov_b32_e32 v5, s57
	s_and_not1_b32 vcc_lo, exec_lo, s55
	ds_store_b64 v5, v[2:3]
	s_cbranch_vccnz .LBB36_36
; %bb.81:                               ;   in Loop: Header=BB36_37 Depth=2
	s_mov_b32 s35, s29
	s_delay_alu instid0(SALU_CYCLE_1) | instskip(NEXT) | instid1(SALU_CYCLE_1)
	s_lshl_b64 s[66:67], s[34:35], 2
	s_add_u32 s66, s52, s66
	s_addc_u32 s67, s53, s67
	global_store_b32 v12, v3, s[66:67]
	s_branch .LBB36_36
.LBB36_82:                              ;   in Loop: Header=BB36_12 Depth=1
	v_bfe_u32 v0, v38, 16, 1
	s_delay_alu instid0(VALU_DEP_3) | instskip(NEXT) | instid1(VALU_DEP_3)
	v_bfe_u32 v2, v37, 16, 1
	v_bfe_u32 v3, v39, 16, 1
	v_cmp_o_f32_e32 vcc_lo, v38, v38
	v_bfe_u32 v1, v40, 16, 1
	v_add3_u32 v0, v38, v0, 0x7fff
	v_add3_u32 v2, v37, v2, 0x7fff
	;; [unrolled: 1-line block ×3, first 2 shown]
	s_waitcnt_vscnt null, 0x0
	v_add3_u32 v1, v40, v1, 0x7fff
	v_lshrrev_b32_e32 v0, 16, v0
	v_lshrrev_b32_e32 v2, 16, v2
	;; [unrolled: 1-line block ×3, first 2 shown]
	s_barrier
	v_lshrrev_b32_e32 v1, 16, v1
	v_cndmask_b32_e32 v0, 0x7fc0, v0, vcc_lo
	v_cmp_o_f32_e32 vcc_lo, v37, v37
	buffer_gl0_inv
	s_mov_b32 s25, s29
	s_delay_alu instid0(SALU_CYCLE_1)
	s_lshl_b64 s[20:21], s[24:25], 1
	v_cndmask_b32_e32 v2, 0x7fc0, v2, vcc_lo
	v_cmp_o_f32_e32 vcc_lo, v39, v39
	v_cndmask_b32_e32 v3, 0x7fc0, v3, vcc_lo
	v_cmp_o_f32_e32 vcc_lo, v40, v40
	v_cndmask_b32_e32 v4, 0x7fc0, v1, vcc_lo
	s_delay_alu instid0(VALU_DEP_3) | instskip(NEXT) | instid1(VALU_DEP_2)
	v_perm_b32 v1, v3, v2, 0x5040100
	v_perm_b32 v0, v4, v0, 0x5040100
	ds_store_b64 v17, v[0:1]
	; wave barrier
	ds_load_u16 v4, v14 offset:64
	ds_load_u16 v3, v15 offset:128
	;; [unrolled: 1-line block ×3, first 2 shown]
	v_add_co_u32 v0, vcc_lo, v24, s20
	v_add_co_ci_u32_e32 v1, vcc_lo, s21, v25, vcc_lo
	s_and_saveexec_b32 s16, s12
	s_cbranch_execnz .LBB36_101
; %bb.83:                               ;   in Loop: Header=BB36_12 Depth=1
	s_or_b32 exec_lo, exec_lo, s16
	s_and_saveexec_b32 s16, s13
	s_cbranch_execnz .LBB36_102
.LBB36_84:                              ;   in Loop: Header=BB36_12 Depth=1
	s_or_b32 exec_lo, exec_lo, s16
	s_and_saveexec_b32 s16, s14
	s_cbranch_execnz .LBB36_103
.LBB36_85:                              ;   in Loop: Header=BB36_12 Depth=1
	s_or_b32 exec_lo, exec_lo, s16
	s_and_saveexec_b32 s16, s15
	s_cbranch_execz .LBB36_87
.LBB36_86:                              ;   in Loop: Header=BB36_12 Depth=1
	s_waitcnt lgkmcnt(0)
	global_store_b16 v[0:1], v2, off offset:192
.LBB36_87:                              ;   in Loop: Header=BB36_12 Depth=1
	s_or_b32 exec_lo, exec_lo, s16
	v_add_co_u32 v0, vcc_lo, v26, s20
	v_add_co_ci_u32_e32 v1, vcc_lo, s21, v27, vcc_lo
	s_waitcnt lgkmcnt(0)
	v_dual_mov_b32 v2, 0 :: v_dual_mov_b32 v3, 0
	s_waitcnt_vscnt null, 0x0
	s_barrier
	buffer_gl0_inv
	s_and_saveexec_b32 s16, s12
	s_cbranch_execz .LBB36_89
; %bb.88:                               ;   in Loop: Header=BB36_12 Depth=1
	global_load_u16 v3, v[0:1], off
.LBB36_89:                              ;   in Loop: Header=BB36_12 Depth=1
	s_or_b32 exec_lo, exec_lo, s16
	s_and_saveexec_b32 s16, s13
	s_cbranch_execz .LBB36_91
; %bb.90:                               ;   in Loop: Header=BB36_12 Depth=1
	global_load_u16 v2, v[0:1], off offset:64
.LBB36_91:                              ;   in Loop: Header=BB36_12 Depth=1
	s_or_b32 exec_lo, exec_lo, s16
	v_dual_mov_b32 v4, 0 :: v_dual_mov_b32 v5, 0
	s_and_saveexec_b32 s16, s14
	s_cbranch_execz .LBB36_93
; %bb.92:                               ;   in Loop: Header=BB36_12 Depth=1
	global_load_u16 v5, v[0:1], off offset:128
.LBB36_93:                              ;   in Loop: Header=BB36_12 Depth=1
	s_or_b32 exec_lo, exec_lo, s16
	s_and_saveexec_b32 s16, s15
	s_cbranch_execz .LBB36_95
; %bb.94:                               ;   in Loop: Header=BB36_12 Depth=1
	global_load_u16 v4, v[0:1], off offset:192
.LBB36_95:                              ;   in Loop: Header=BB36_12 Depth=1
	s_or_b32 exec_lo, exec_lo, s16
	s_waitcnt vmcnt(0)
	ds_store_b16 v14, v3
	ds_store_b16 v14, v2 offset:64
	ds_store_b16 v15, v5 offset:128
	;; [unrolled: 1-line block ×3, first 2 shown]
	; wave barrier
	ds_load_b64 v[0:1], v17
	s_waitcnt lgkmcnt(0)
	s_barrier
	buffer_gl0_inv
	v_and_b32_e32 v2, 0xffff0000, v0
	v_and_b32_e32 v3, 0xffff0000, v1
	v_lshlrev_b32_e32 v1, 16, v1
	s_delay_alu instid0(VALU_DEP_1) | instskip(NEXT) | instid1(VALU_DEP_1)
	v_dual_mul_f32 v7, 0xbfb8aa3b, v1 :: v_dual_lshlrev_b32 v0, 16, v0
	v_mul_f32_e32 v5, 0xbfb8aa3b, v0
	s_delay_alu instid0(VALU_DEP_2) | instskip(NEXT) | instid1(VALU_DEP_2)
	v_rndne_f32_e32 v45, v7
	v_rndne_f32_e32 v41, v5
	v_fma_f32 v42, 0xbfb8aa3b, v0, -v5
	s_delay_alu instid0(VALU_DEP_2) | instskip(SKIP_2) | instid1(VALU_DEP_4)
	v_dual_sub_f32 v5, v5, v41 :: v_dual_mul_f32 v4, 0xbfb8aa3b, v2
	v_fma_f32 v46, 0xbfb8aa3b, v1, -v7
	v_cmp_nlt_f32_e32 vcc_lo, 0x42ce8ed0, v2
	v_fmac_f32_e32 v42, 0xb2a5705f, v0
	s_delay_alu instid0(VALU_DEP_4) | instskip(SKIP_1) | instid1(VALU_DEP_3)
	v_fma_f32 v35, 0xbfb8aa3b, v2, -v4
	v_rndne_f32_e32 v36, v4
	v_dual_fmac_f32 v46, 0xb2a5705f, v1 :: v_dual_add_f32 v5, v5, v42
	v_cvt_i32_f32_e32 v42, v45
	s_delay_alu instid0(VALU_DEP_3) | instskip(SKIP_1) | instid1(VALU_DEP_4)
	v_dual_fmac_f32 v35, 0xb2a5705f, v2 :: v_dual_sub_f32 v4, v4, v36
	v_dual_mul_f32 v6, 0xbfb8aa3b, v3 :: v_dual_sub_f32 v7, v7, v45
	v_exp_f32_e32 v5, v5
	s_delay_alu instid0(VALU_DEP_2) | instskip(NEXT) | instid1(VALU_DEP_2)
	v_add_f32_e32 v4, v4, v35
	v_fma_f32 v43, 0xbfb8aa3b, v3, -v6
	v_rndne_f32_e32 v44, v6
	v_cvt_i32_f32_e32 v35, v36
	v_add_f32_e32 v7, v7, v46
	v_exp_f32_e32 v4, v4
	s_delay_alu instid0(VALU_DEP_3) | instskip(SKIP_1) | instid1(VALU_DEP_3)
	v_dual_fmac_f32 v43, 0xb2a5705f, v3 :: v_dual_sub_f32 v6, v6, v44
	v_cvt_i32_f32_e32 v36, v41
	v_exp_f32_e32 v7, v7
	v_cvt_i32_f32_e32 v41, v44
	s_delay_alu instid0(VALU_DEP_3) | instskip(NEXT) | instid1(VALU_DEP_3)
	v_add_f32_e32 v6, v6, v43
	v_ldexp_f32 v5, v5, v36
	s_delay_alu instid0(TRANS32_DEP_2) | instskip(NEXT) | instid1(VALU_DEP_3)
	v_ldexp_f32 v4, v4, v35
	v_exp_f32_e32 v6, v6
	s_waitcnt_depctr 0xfff
	v_ldexp_f32 v7, v7, v42
	v_cndmask_b32_e32 v4, 0, v4, vcc_lo
	v_cmp_nlt_f32_e32 vcc_lo, 0x42ce8ed0, v0
	v_cndmask_b32_e32 v5, 0, v5, vcc_lo
	v_ldexp_f32 v6, v6, v41
	v_cmp_nlt_f32_e32 vcc_lo, 0x42ce8ed0, v3
	s_delay_alu instid0(VALU_DEP_2)
	v_cndmask_b32_e32 v6, 0, v6, vcc_lo
	v_cmp_nlt_f32_e32 vcc_lo, 0x42ce8ed0, v1
	v_cndmask_b32_e32 v7, 0, v7, vcc_lo
	v_cmp_ngt_f32_e32 vcc_lo, 0xc2b17218, v2
	v_cndmask_b32_e32 v4, 0x7f800000, v4, vcc_lo
	v_cmp_ngt_f32_e32 vcc_lo, 0xc2b17218, v0
	;; [unrolled: 2-line block ×3, first 2 shown]
	s_delay_alu instid0(VALU_DEP_2) | instskip(SKIP_2) | instid1(VALU_DEP_3)
	v_dual_add_f32 v5, 1.0, v5 :: v_dual_add_f32 v4, 1.0, v4
	v_cndmask_b32_e32 v6, 0x7f800000, v6, vcc_lo
	v_cmp_ngt_f32_e32 vcc_lo, 0xc2b17218, v1
	v_div_scale_f32 v36, null, v5, v5, v0
	s_delay_alu instid0(VALU_DEP_4) | instskip(SKIP_1) | instid1(VALU_DEP_3)
	v_div_scale_f32 v35, null, v4, v4, v2
	v_cndmask_b32_e32 v7, 0x7f800000, v7, vcc_lo
	v_rcp_f32_e32 v44, v36
	v_div_scale_f32 v47, vcc_lo, v2, v4, v2
	s_delay_alu instid0(VALU_DEP_3) | instskip(NEXT) | instid1(VALU_DEP_2)
	v_rcp_f32_e32 v43, v35
	v_dual_add_f32 v7, 1.0, v7 :: v_dual_add_f32 v6, 1.0, v6
	v_div_scale_f32 v48, s16, v0, v5, v0
	s_delay_alu instid0(VALU_DEP_2) | instskip(NEXT) | instid1(VALU_DEP_3)
	v_div_scale_f32 v42, null, v7, v7, v1
	v_div_scale_f32 v41, null, v6, v6, v3
	s_waitcnt_depctr 0xfff
	v_fma_f32 v50, -v35, v43, 1.0
	v_rcp_f32_e32 v46, v42
	v_fma_f32 v51, -v36, v44, 1.0
	v_rcp_f32_e32 v45, v41
	v_div_scale_f32 v49, s17, v3, v6, v3
	s_delay_alu instid0(VALU_DEP_2)
	v_dual_fmac_f32 v43, v50, v43 :: v_dual_fmac_f32 v44, v51, v44
	v_div_scale_f32 v54, s18, v1, v7, v1
	s_waitcnt_depctr 0xfff
	v_fma_f32 v53, -v42, v46, 1.0
	v_dual_mul_f32 v50, v47, v43 :: v_dual_mul_f32 v51, v48, v44
	v_fma_f32 v52, -v41, v45, 1.0
	s_delay_alu instid0(VALU_DEP_3) | instskip(NEXT) | instid1(VALU_DEP_3)
	v_fmac_f32_e32 v46, v53, v46
	v_fma_f32 v55, -v35, v50, v47
	s_delay_alu instid0(VALU_DEP_4) | instskip(NEXT) | instid1(VALU_DEP_4)
	v_fma_f32 v56, -v36, v51, v48
	v_fmac_f32_e32 v45, v52, v45
	s_delay_alu instid0(VALU_DEP_3) | instskip(NEXT) | instid1(VALU_DEP_2)
	v_dual_mul_f32 v53, v54, v46 :: v_dual_fmac_f32 v50, v55, v43
	v_dual_fmac_f32 v51, v56, v44 :: v_dual_mul_f32 v52, v49, v45
	s_delay_alu instid0(VALU_DEP_2) | instskip(NEXT) | instid1(VALU_DEP_3)
	v_fma_f32 v58, -v42, v53, v54
	v_fma_f32 v35, -v35, v50, v47
	s_delay_alu instid0(VALU_DEP_3) | instskip(NEXT) | instid1(VALU_DEP_4)
	v_fma_f32 v36, -v36, v51, v48
	v_fma_f32 v57, -v41, v52, v49
	s_delay_alu instid0(VALU_DEP_4) | instskip(NEXT) | instid1(VALU_DEP_4)
	v_fmac_f32_e32 v53, v58, v46
	v_div_fmas_f32 v35, v35, v43, v50
	s_mov_b32 vcc_lo, s16
	s_delay_alu instid0(VALU_DEP_3)
	v_fmac_f32_e32 v52, v57, v45
	v_div_fmas_f32 v36, v36, v44, v51
	s_mov_b32 vcc_lo, s17
	v_fma_f32 v42, -v42, v53, v54
	v_div_fixup_f32 v2, v35, v4, v2
	v_fma_f32 v41, -v41, v52, v49
	v_div_fixup_f32 v0, v36, v5, v0
	s_delay_alu instid0(VALU_DEP_2) | instskip(SKIP_2) | instid1(VALU_DEP_2)
	v_div_fmas_f32 v41, v41, v45, v52
	s_mov_b32 vcc_lo, s18
	v_div_fmas_f32 v4, v42, v46, v53
	v_div_fixup_f32 v3, v41, v6, v3
	v_mul_f32_e32 v2, v40, v2
	s_delay_alu instid0(VALU_DEP_3) | instskip(NEXT) | instid1(VALU_DEP_3)
	v_div_fixup_f32 v1, v4, v7, v1
	v_dual_mul_f32 v0, v38, v0 :: v_dual_mul_f32 v3, v39, v3
	s_delay_alu instid0(VALU_DEP_3) | instskip(SKIP_1) | instid1(VALU_DEP_4)
	v_bfe_u32 v4, v2, 16, 1
	v_cmp_o_f32_e32 vcc_lo, v2, v2
	v_mul_f32_e32 v1, v37, v1
	s_delay_alu instid0(VALU_DEP_4) | instskip(SKIP_2) | instid1(VALU_DEP_4)
	v_bfe_u32 v5, v0, 16, 1
	v_bfe_u32 v6, v3, 16, 1
	v_add3_u32 v4, v2, v4, 0x7fff
	v_bfe_u32 v7, v1, 16, 1
	s_delay_alu instid0(VALU_DEP_4) | instskip(NEXT) | instid1(VALU_DEP_4)
	v_add3_u32 v5, v0, v5, 0x7fff
	v_add3_u32 v6, v3, v6, 0x7fff
	s_delay_alu instid0(VALU_DEP_4) | instskip(NEXT) | instid1(VALU_DEP_4)
	v_lshrrev_b32_e32 v4, 16, v4
	v_add3_u32 v7, v1, v7, 0x7fff
	s_delay_alu instid0(VALU_DEP_4) | instskip(NEXT) | instid1(VALU_DEP_4)
	v_lshrrev_b32_e32 v5, 16, v5
	v_lshrrev_b32_e32 v6, 16, v6
	s_delay_alu instid0(VALU_DEP_4) | instskip(SKIP_4) | instid1(VALU_DEP_2)
	v_cndmask_b32_e32 v2, 0x7fc0, v4, vcc_lo
	v_cmp_o_f32_e32 vcc_lo, v0, v0
	v_lshrrev_b32_e32 v4, 16, v7
	v_cndmask_b32_e32 v0, 0x7fc0, v5, vcc_lo
	v_cmp_o_f32_e32 vcc_lo, v3, v3
	v_perm_b32 v0, v2, v0, 0x5040100
	v_cndmask_b32_e32 v3, 0x7fc0, v6, vcc_lo
	v_cmp_o_f32_e32 vcc_lo, v1, v1
	v_cndmask_b32_e32 v1, 0x7fc0, v4, vcc_lo
	s_delay_alu instid0(VALU_DEP_1)
	v_perm_b32 v1, v3, v1, 0x5040100
	ds_store_b64 v17, v[0:1]
	; wave barrier
	ds_load_u16 v4, v14 offset:64
	ds_load_u16 v3, v15 offset:128
	;; [unrolled: 1-line block ×3, first 2 shown]
	v_add_co_u32 v0, vcc_lo, v28, s20
	v_add_co_ci_u32_e32 v1, vcc_lo, s21, v29, vcc_lo
	s_and_saveexec_b32 s16, s12
	s_cbranch_execnz .LBB36_104
; %bb.96:                               ;   in Loop: Header=BB36_12 Depth=1
	s_or_b32 exec_lo, exec_lo, s16
	s_and_saveexec_b32 s12, s13
	s_cbranch_execnz .LBB36_105
.LBB36_97:                              ;   in Loop: Header=BB36_12 Depth=1
	s_or_b32 exec_lo, exec_lo, s12
	s_and_saveexec_b32 s12, s14
	s_cbranch_execnz .LBB36_106
.LBB36_98:                              ;   in Loop: Header=BB36_12 Depth=1
	s_or_b32 exec_lo, exec_lo, s12
	s_and_saveexec_b32 s12, s15
	s_cbranch_execz .LBB36_11
	s_branch .LBB36_107
.LBB36_99:                              ;   in Loop: Header=BB36_12 Depth=1
	global_load_u16 v6, v[2:3], off offset:64
	s_or_b32 exec_lo, exec_lo, s16
	s_and_saveexec_b32 s16, s14
	s_cbranch_execz .LBB36_24
.LBB36_100:                             ;   in Loop: Header=BB36_12 Depth=1
	global_load_u16 v5, v[2:3], off offset:128
	s_or_b32 exec_lo, exec_lo, s16
	v_mov_b32_e32 v7, 0
	s_and_saveexec_b32 s16, s15
	s_cbranch_execnz .LBB36_25
	s_branch .LBB36_26
.LBB36_101:                             ;   in Loop: Header=BB36_12 Depth=1
	ds_load_u16 v5, v14
	s_waitcnt lgkmcnt(0)
	global_store_b16 v[0:1], v5, off
	s_or_b32 exec_lo, exec_lo, s16
	s_and_saveexec_b32 s16, s13
	s_cbranch_execz .LBB36_84
.LBB36_102:                             ;   in Loop: Header=BB36_12 Depth=1
	s_waitcnt lgkmcnt(2)
	global_store_b16 v[0:1], v4, off offset:64
	s_or_b32 exec_lo, exec_lo, s16
	s_and_saveexec_b32 s16, s14
	s_cbranch_execz .LBB36_85
.LBB36_103:                             ;   in Loop: Header=BB36_12 Depth=1
	s_waitcnt lgkmcnt(1)
	global_store_b16 v[0:1], v3, off offset:128
	s_or_b32 exec_lo, exec_lo, s16
	s_and_saveexec_b32 s16, s15
	s_cbranch_execnz .LBB36_86
	s_branch .LBB36_87
.LBB36_104:                             ;   in Loop: Header=BB36_12 Depth=1
	ds_load_u16 v5, v14
	s_waitcnt lgkmcnt(0)
	global_store_b16 v[0:1], v5, off
	s_or_b32 exec_lo, exec_lo, s16
	s_and_saveexec_b32 s12, s13
	s_cbranch_execz .LBB36_97
.LBB36_105:                             ;   in Loop: Header=BB36_12 Depth=1
	s_waitcnt lgkmcnt(2)
	global_store_b16 v[0:1], v4, off offset:64
	s_or_b32 exec_lo, exec_lo, s12
	s_and_saveexec_b32 s12, s14
	s_cbranch_execz .LBB36_98
.LBB36_106:                             ;   in Loop: Header=BB36_12 Depth=1
	s_waitcnt lgkmcnt(1)
	global_store_b16 v[0:1], v3, off offset:128
	s_or_b32 exec_lo, exec_lo, s12
	s_and_saveexec_b32 s12, s15
	s_cbranch_execz .LBB36_11
.LBB36_107:                             ;   in Loop: Header=BB36_12 Depth=1
	s_waitcnt lgkmcnt(0)
	global_store_b16 v[0:1], v2, off offset:192
	s_branch .LBB36_11
.LBB36_108:
	s_nop 0
	s_sendmsg sendmsg(MSG_DEALLOC_VGPRS)
	s_endpgm
	.section	.rodata,"a",@progbits
	.p2align	6, 0x0
	.amdhsa_kernel _Z25selective_scan_fwd_kernelI32Selective_Scan_fwd_kernel_traitsILi64ELi4ELi1ELb0ELb1ELb1ELb1ELb1EN3c108BFloat16EffEEv13SSMParamsBase
		.amdhsa_group_segment_fixed_size 0
		.amdhsa_private_segment_fixed_size 0
		.amdhsa_kernarg_size 248
		.amdhsa_user_sgpr_count 14
		.amdhsa_user_sgpr_dispatch_ptr 0
		.amdhsa_user_sgpr_queue_ptr 0
		.amdhsa_user_sgpr_kernarg_segment_ptr 1
		.amdhsa_user_sgpr_dispatch_id 0
		.amdhsa_user_sgpr_private_segment_size 0
		.amdhsa_wavefront_size32 1
		.amdhsa_uses_dynamic_stack 0
		.amdhsa_enable_private_segment 0
		.amdhsa_system_sgpr_workgroup_id_x 1
		.amdhsa_system_sgpr_workgroup_id_y 1
		.amdhsa_system_sgpr_workgroup_id_z 0
		.amdhsa_system_sgpr_workgroup_info 0
		.amdhsa_system_vgpr_workitem_id 0
		.amdhsa_next_free_vgpr 61
		.amdhsa_next_free_sgpr 68
		.amdhsa_reserve_vcc 1
		.amdhsa_float_round_mode_32 0
		.amdhsa_float_round_mode_16_64 0
		.amdhsa_float_denorm_mode_32 3
		.amdhsa_float_denorm_mode_16_64 3
		.amdhsa_dx10_clamp 1
		.amdhsa_ieee_mode 1
		.amdhsa_fp16_overflow 0
		.amdhsa_workgroup_processor_mode 1
		.amdhsa_memory_ordered 1
		.amdhsa_forward_progress 0
		.amdhsa_shared_vgpr_count 0
		.amdhsa_exception_fp_ieee_invalid_op 0
		.amdhsa_exception_fp_denorm_src 0
		.amdhsa_exception_fp_ieee_div_zero 0
		.amdhsa_exception_fp_ieee_overflow 0
		.amdhsa_exception_fp_ieee_underflow 0
		.amdhsa_exception_fp_ieee_inexact 0
		.amdhsa_exception_int_div_zero 0
	.end_amdhsa_kernel
	.section	.text._Z25selective_scan_fwd_kernelI32Selective_Scan_fwd_kernel_traitsILi64ELi4ELi1ELb0ELb1ELb1ELb1ELb1EN3c108BFloat16EffEEv13SSMParamsBase,"axG",@progbits,_Z25selective_scan_fwd_kernelI32Selective_Scan_fwd_kernel_traitsILi64ELi4ELi1ELb0ELb1ELb1ELb1ELb1EN3c108BFloat16EffEEv13SSMParamsBase,comdat
.Lfunc_end36:
	.size	_Z25selective_scan_fwd_kernelI32Selective_Scan_fwd_kernel_traitsILi64ELi4ELi1ELb0ELb1ELb1ELb1ELb1EN3c108BFloat16EffEEv13SSMParamsBase, .Lfunc_end36-_Z25selective_scan_fwd_kernelI32Selective_Scan_fwd_kernel_traitsILi64ELi4ELi1ELb0ELb1ELb1ELb1ELb1EN3c108BFloat16EffEEv13SSMParamsBase
                                        ; -- End function
	.section	.AMDGPU.csdata,"",@progbits
; Kernel info:
; codeLenInByte = 8516
; NumSgprs: 70
; NumVgprs: 61
; ScratchSize: 0
; MemoryBound: 0
; FloatMode: 240
; IeeeMode: 1
; LDSByteSize: 0 bytes/workgroup (compile time only)
; SGPRBlocks: 8
; VGPRBlocks: 7
; NumSGPRsForWavesPerEU: 70
; NumVGPRsForWavesPerEU: 61
; Occupancy: 16
; WaveLimiterHint : 1
; COMPUTE_PGM_RSRC2:SCRATCH_EN: 0
; COMPUTE_PGM_RSRC2:USER_SGPR: 14
; COMPUTE_PGM_RSRC2:TRAP_HANDLER: 0
; COMPUTE_PGM_RSRC2:TGID_X_EN: 1
; COMPUTE_PGM_RSRC2:TGID_Y_EN: 1
; COMPUTE_PGM_RSRC2:TGID_Z_EN: 0
; COMPUTE_PGM_RSRC2:TIDIG_COMP_CNT: 0
	.section	.text._Z25selective_scan_fwd_kernelI32Selective_Scan_fwd_kernel_traitsILi64ELi4ELi1ELb0ELb1ELb1ELb1ELb0EN3c108BFloat16EffEEv13SSMParamsBase,"axG",@progbits,_Z25selective_scan_fwd_kernelI32Selective_Scan_fwd_kernel_traitsILi64ELi4ELi1ELb0ELb1ELb1ELb1ELb0EN3c108BFloat16EffEEv13SSMParamsBase,comdat
	.protected	_Z25selective_scan_fwd_kernelI32Selective_Scan_fwd_kernel_traitsILi64ELi4ELi1ELb0ELb1ELb1ELb1ELb0EN3c108BFloat16EffEEv13SSMParamsBase ; -- Begin function _Z25selective_scan_fwd_kernelI32Selective_Scan_fwd_kernel_traitsILi64ELi4ELi1ELb0ELb1ELb1ELb1ELb0EN3c108BFloat16EffEEv13SSMParamsBase
	.globl	_Z25selective_scan_fwd_kernelI32Selective_Scan_fwd_kernel_traitsILi64ELi4ELi1ELb0ELb1ELb1ELb1ELb0EN3c108BFloat16EffEEv13SSMParamsBase
	.p2align	8
	.type	_Z25selective_scan_fwd_kernelI32Selective_Scan_fwd_kernel_traitsILi64ELi4ELi1ELb0ELb1ELb1ELb1ELb0EN3c108BFloat16EffEEv13SSMParamsBase,@function
_Z25selective_scan_fwd_kernelI32Selective_Scan_fwd_kernel_traitsILi64ELi4ELi1ELb0ELb1ELb1ELb1ELb0EN3c108BFloat16EffEEv13SSMParamsBase: ; @_Z25selective_scan_fwd_kernelI32Selective_Scan_fwd_kernel_traitsILi64ELi4ELi1ELb0ELb1ELb1ELb1ELb0EN3c108BFloat16EffEEv13SSMParamsBase
; %bb.0:
	s_clause 0x1
	s_load_b32 s9, s[0:1], 0x18
	s_load_b128 s[4:7], s[0:1], 0xe8
	s_mov_b32 s12, s15
	s_mov_b32 s33, 0
	s_waitcnt lgkmcnt(0)
	s_abs_i32 s8, s9
	s_cmp_eq_u64 s[6:7], 0
	v_cvt_f32_u32_e32 v1, s8
	s_delay_alu instid0(VALU_DEP_1) | instskip(SKIP_2) | instid1(VALU_DEP_1)
	v_rcp_iflag_f32_e32 v1, v1
	s_waitcnt_depctr 0xfff
	v_mul_f32_e32 v1, 0x4f7ffffe, v1
	v_cvt_u32_f32_e32 v1, v1
	s_delay_alu instid0(VALU_DEP_1)
	v_readfirstlane_b32 s10, v1
	s_cbranch_scc1 .LBB37_2
; %bb.1:
	v_mov_b32_e32 v1, 0
	s_ashr_i32 s3, s14, 31
	s_add_u32 s2, s6, s14
	s_addc_u32 s3, s7, s3
	global_load_u8 v1, v1, s[2:3]
	s_waitcnt vmcnt(0)
	v_and_b32_e32 v1, 1, v1
	s_delay_alu instid0(VALU_DEP_1)
	v_cmp_eq_u32_e64 s33, 1, v1
.LBB37_2:
	s_load_b64 s[6:7], s[0:1], 0x20
	s_cmp_eq_u64 s[4:5], 0
	s_cbranch_scc1 .LBB37_4
; %bb.3:
	s_ashr_i32 s15, s14, 31
	s_delay_alu instid0(SALU_CYCLE_1) | instskip(NEXT) | instid1(SALU_CYCLE_1)
	s_lshl_b64 s[2:3], s[14:15], 2
	s_add_u32 s2, s4, s2
	s_addc_u32 s3, s5, s3
	s_load_b32 s2, s[2:3], 0x0
	s_waitcnt lgkmcnt(0)
	s_ashr_i32 s3, s2, 31
	s_delay_alu instid0(SALU_CYCLE_1)
	s_cmp_eq_u64 s[6:7], s[2:3]
	s_cbranch_scc0 .LBB37_5
	s_branch .LBB37_108
.LBB37_4:
	s_mov_b32 s2, s14
	s_delay_alu instid0(SALU_CYCLE_1)
	s_ashr_i32 s3, s2, 31
	s_waitcnt lgkmcnt(0)
	s_cmp_eq_u64 s[6:7], s[2:3]
	s_cbranch_scc1 .LBB37_108
.LBB37_5:
	s_clause 0x1
	s_load_b512 s[16:31], s[0:1], 0x88
	s_load_b64 s[34:35], s[0:1], 0x8
	s_mov_b32 s52, 0
	s_mov_b32 s53, 0
	s_waitcnt lgkmcnt(0)
	s_cmp_eq_u64 s[22:23], 0
	s_cbranch_scc1 .LBB37_7
; %bb.6:
	s_ashr_i32 s13, s12, 31
	s_delay_alu instid0(SALU_CYCLE_1) | instskip(NEXT) | instid1(SALU_CYCLE_1)
	s_lshl_b64 s[4:5], s[12:13], 2
	s_add_u32 s4, s22, s4
	s_addc_u32 s5, s23, s5
	s_load_b32 s53, s[4:5], 0x0
.LBB37_7:
	s_cmp_eq_u64 s[28:29], 0
	s_cbranch_scc1 .LBB37_9
; %bb.8:
	s_ashr_i32 s13, s12, 31
	s_delay_alu instid0(SALU_CYCLE_1) | instskip(NEXT) | instid1(SALU_CYCLE_1)
	s_lshl_b64 s[4:5], s[12:13], 2
	s_add_u32 s4, s28, s4
	s_addc_u32 s5, s29, s5
	s_load_b32 s52, s[4:5], 0x0
.LBB37_9:
	s_cmp_lt_i32 s34, 1
	s_cbranch_scc1 .LBB37_108
; %bb.10:
	s_sub_i32 s3, 0, s8
	s_load_b256 s[36:43], s[0:1], 0x4c
	s_mul_i32 s3, s3, s10
	s_abs_i32 s4, s12
	s_mul_hi_u32 s3, s10, s3
	s_ashr_i32 s6, s9, 31
	s_add_i32 s10, s10, s3
	s_ashr_i32 s3, s12, 31
	s_mul_hi_u32 s5, s4, s10
	s_xor_b32 s3, s3, s6
	s_mul_i32 s7, s5, s8
	s_add_i32 s6, s5, 1
	s_sub_i32 s4, s4, s7
	s_load_b256 s[44:51], s[0:1], 0x2c
	s_sub_i32 s7, s4, s8
	s_cmp_ge_u32 s4, s8
	s_mov_b32 s29, 0
	s_cselect_b32 s5, s6, s5
	s_cselect_b32 s4, s7, s4
	s_add_i32 s6, s5, 1
	s_cmp_ge_u32 s4, s8
	s_waitcnt lgkmcnt(0)
	s_mul_i32 s28, s38, s14
	s_cselect_b32 s6, s6, s5
	s_lshl_b64 s[4:5], s[28:29], 1
	s_xor_b32 s6, s6, s3
	s_mul_i32 s28, s39, s12
	s_sub_i32 s3, s6, s3
	s_add_u32 s6, s24, s4
	s_addc_u32 s7, s25, s5
	s_lshl_b64 s[4:5], s[28:29], 1
	s_mul_i32 s28, s40, s14
	s_add_u32 s47, s6, s4
	s_addc_u32 s40, s7, s5
	s_lshl_b64 s[4:5], s[28:29], 1
	s_mul_i32 s28, s41, s12
	;; [unrolled: 4-line block ×4, first 2 shown]
	s_add_u32 s51, s16, s4
	s_addc_u32 s46, s17, s5
	s_lshl_b64 s[4:5], s[28:29], 1
	s_clause 0x1
	s_load_b64 s[6:7], s[0:1], 0x7c
	s_load_b128 s[24:27], s[0:1], 0x6c
	v_lshlrev_b32_e32 v8, 2, v0
	s_add_u32 s8, s18, s4
	s_addc_u32 s9, s19, s5
	s_clause 0x1
	s_load_b128 s[16:19], s[0:1], 0xc8
	s_load_b64 s[22:23], s[0:1], 0xd8
	s_mul_i32 s28, s3, s49
	v_mbcnt_lo_u32_b32 v1, -1, 0
	v_and_b32_e32 v2, 0x80, v8
	v_dual_mov_b32 v12, 0 :: v_dual_and_b32 v3, 32, v0
	s_lshl_b64 s[4:5], s[28:29], 1
	s_mul_i32 s28, s50, s14
	s_add_u32 s49, s8, s4
	s_addc_u32 s50, s9, s5
	s_clause 0x1
	s_load_b32 s54, s[0:1], 0x84
	s_load_b32 s9, s[0:1], 0x28
	v_or_b32_e32 v9, v1, v2
	v_or_b32_e32 v4, v1, v3
	s_lshl_b64 s[4:5], s[28:29], 1
	s_mul_i32 s28, s3, s37
	s_add_u32 s8, s20, s4
	v_or_b32_e32 v11, 0x60, v9
	v_lshrrev_b32_e32 v14, 3, v4
	s_addc_u32 s3, s21, s5
	s_lshl_b64 s[4:5], s[28:29], 1
	s_waitcnt lgkmcnt(0)
	s_mul_i32 s28, s2, s6
	s_add_u32 s37, s8, s4
	s_addc_u32 s55, s3, s5
	s_lshl_b64 s[0:1], s[28:29], 2
	v_or_b32_e32 v10, 64, v9
	v_lshrrev_b32_e32 v7, 5, v11
	v_and_b32_e32 v16, 6, v14
	s_mul_i32 s28, s7, s12
	s_add_u32 s2, s16, s0
	s_addc_u32 s3, s17, s1
	s_lshl_b64 s[0:1], s[28:29], 2
	v_lshrrev_b32_e32 v5, 5, v2
	s_add_u32 s56, s2, s0
	v_lshrrev_b32_e32 v6, 5, v10
	v_and_b32_e32 v7, 6, v7
	v_lshl_add_u32 v4, v4, 2, v16
	s_addc_u32 s57, s3, s1
	s_add_i32 s0, s34, 0x7ff
	v_add_lshl_u32 v5, v5, v9, 1
	s_lshr_b32 s58, s0, 11
	s_bitcmp1_b32 s9, 0
	v_add_lshl_u32 v6, v6, v9, 1
	v_add_lshl_u32 v7, v7, v9, 1
	v_lshl_add_u32 v17, v4, 1, 0
	v_and_b32_e32 v4, 15, v1
	s_cselect_b32 s59, -1, 0
	s_cmp_gt_i32 s35, 0
	s_mul_i32 s28, s24, s14
	s_cselect_b32 s60, -1, 0
	s_add_i32 s0, 0, 0x210
	s_and_b32 s1, s34, 0xff
	v_add_nc_u32_e32 v18, s0, v5
	v_add_nc_u32_e32 v19, s0, v6
	s_cmp_eq_u32 s1, 0
	v_add_nc_u32_e32 v20, s0, v7
	v_cmp_ne_u32_e64 s0, 0, v4
	v_cmp_lt_u32_e64 s1, 1, v4
	v_cmp_lt_u32_e64 s2, 3, v4
	;; [unrolled: 1-line block ×3, first 2 shown]
	v_add_nc_u32_e32 v4, -1, v1
	s_cselect_b32 s61, -1, 0
	v_or_b32_e32 v3, 31, v3
	s_lshl_b64 s[16:17], s[28:29], 1
	s_add_i32 s62, s58, -1
	s_mul_i32 s28, s25, s12
	v_add_nc_u32_e32 v14, 0, v5
	v_lshrrev_b32_e32 v5, 2, v0
	v_cmp_gt_i32_e32 vcc_lo, 0, v4
	s_add_u32 s13, s30, s16
	s_addc_u32 s15, s31, s17
	s_lshl_b64 s[16:17], s[28:29], 1
	s_mul_i32 s28, s42, s14
	v_cndmask_b32_e32 v4, v4, v1, vcc_lo
	v_cmp_eq_u32_e64 s5, v3, v0
	v_and_b32_e32 v3, 1, v1
	v_cmp_gt_u32_e64 s6, 2, v0
	v_lshl_add_u32 v22, v0, 3, 0
	v_cmp_gt_u32_e64 s8, 32, v0
	v_cmp_lt_u32_e64 s9, 31, v0
	v_cmp_eq_u32_e64 s10, 0, v0
	s_add_u32 s13, s13, s16
	v_lshlrev_b32_e32 v0, 1, v1
	s_addc_u32 s15, s15, s17
	s_lshl_b64 s[16:17], s[28:29], 1
	v_and_b32_e32 v5, 8, v5
	s_mul_i32 s28, s43, s12
	s_add_u32 s18, s18, s16
	s_addc_u32 s19, s19, s17
	s_lshl_b64 s[16:17], s[28:29], 1
	v_cmp_eq_u32_e64 s7, 0, v3
	v_add_co_u32 v3, s13, s13, v0
	s_mul_i32 s28, s26, s14
	s_add_u32 s16, s18, s16
	v_add_nc_u32_e32 v21, 0, v5
	v_lshlrev_b32_e32 v23, 2, v4
	v_add_co_ci_u32_e64 v4, null, s15, 0, s13
	s_addc_u32 s17, s19, s17
	s_lshl_b64 s[14:15], s[28:29], 1
	v_lshlrev_b32_e32 v5, 1, v2
	s_mul_i32 s28, s27, s12
	s_add_u32 s14, s22, s14
	s_addc_u32 s15, s23, s15
	s_lshl_b64 s[12:13], s[28:29], 1
	v_add_nc_u32_e32 v15, 0, v6
	v_and_b32_e32 v6, 16, v1
	v_add_co_u32 v24, vcc_lo, v3, v5
	s_add_u32 s12, s14, s12
	v_add_co_u32 v3, s14, s16, v0
	v_add_co_ci_u32_e32 v25, vcc_lo, 0, v4, vcc_lo
	v_add_co_ci_u32_e64 v4, null, s17, 0, s14
	s_addc_u32 s13, s15, s13
	v_add_co_u32 v0, s12, s12, v0
	v_cmp_ne_u32_e64 s4, 0, v6
	v_add_co_ci_u32_e64 v6, null, s13, 0, s12
	v_add_co_u32 v26, vcc_lo, v3, v5
	v_add_co_ci_u32_e32 v27, vcc_lo, 0, v4, vcc_lo
	v_add_co_u32 v28, vcc_lo, v0, v5
	v_or_b32_e32 v13, 32, v9
	v_add_nc_u32_e32 v16, 0, v7
	v_cmp_eq_u32_e64 s11, 0, v1
	v_add_co_ci_u32_e32 v29, vcc_lo, 0, v6, vcc_lo
	v_or_b32_e32 v30, 1, v8
	v_or_b32_e32 v31, 2, v8
	;; [unrolled: 1-line block ×3, first 2 shown]
	v_lshlrev_b32_e32 v33, 1, v1
	v_lshlrev_b32_e32 v34, 1, v2
	s_mov_b32 s23, 0x3e9b6dac
	s_add_i32 s42, 0, 0x430
	s_mov_b32 s43, 0
	s_branch .LBB37_12
.LBB37_11:                              ;   in Loop: Header=BB37_12 Depth=1
	s_or_b32 exec_lo, exec_lo, s12
	s_add_u32 s41, s41, 0x200
	s_addc_u32 s44, s44, 0
	s_add_u32 s47, s47, 0x200
	s_addc_u32 s40, s40, 0
	s_add_u32 s49, s49, 0x200
	s_addc_u32 s50, s50, 0
	s_add_u32 s37, s37, 0x200
	s_addc_u32 s55, s55, 0
	s_add_i32 s43, s43, 1
	s_delay_alu instid0(SALU_CYCLE_1)
	s_cmp_lg_u32 s43, s58
	s_cbranch_scc0 .LBB37_108
.LBB37_12:                              ; =>This Loop Header: Depth=1
                                        ;     Child Loop BB37_37 Depth 2
	v_add_co_u32 v0, s12, s47, v33
	s_delay_alu instid0(VALU_DEP_1) | instskip(SKIP_1) | instid1(VALU_DEP_2)
	v_add_co_ci_u32_e64 v1, null, s40, 0, s12
	s_lshl_b32 s24, s43, 8
	v_add_co_u32 v0, vcc_lo, v0, v34
	s_sub_i32 s19, s34, s24
	s_delay_alu instid0(VALU_DEP_2)
	v_add_co_ci_u32_e32 v1, vcc_lo, 0, v1, vcc_lo
	v_cmp_gt_u32_e64 s12, s19, v9
	s_waitcnt lgkmcnt(0)
	v_mov_b32_e32 v2, 0
	s_waitcnt_vscnt null, 0x0
	s_barrier
	buffer_gl0_inv
	s_and_saveexec_b32 s13, s12
	s_cbranch_execz .LBB37_14
; %bb.13:                               ;   in Loop: Header=BB37_12 Depth=1
	global_load_u16 v2, v[0:1], off
.LBB37_14:                              ;   in Loop: Header=BB37_12 Depth=1
	s_or_b32 exec_lo, exec_lo, s13
	v_cmp_gt_u32_e64 s13, s19, v13
	v_mov_b32_e32 v3, 0
	v_mov_b32_e32 v5, 0
	s_delay_alu instid0(VALU_DEP_3)
	s_and_saveexec_b32 s14, s13
	s_cbranch_execz .LBB37_16
; %bb.15:                               ;   in Loop: Header=BB37_12 Depth=1
	global_load_u16 v5, v[0:1], off offset:64
.LBB37_16:                              ;   in Loop: Header=BB37_12 Depth=1
	s_or_b32 exec_lo, exec_lo, s14
	v_cmp_gt_u32_e64 s14, s19, v10
	s_delay_alu instid0(VALU_DEP_1)
	s_and_saveexec_b32 s15, s14
	s_cbranch_execz .LBB37_18
; %bb.17:                               ;   in Loop: Header=BB37_12 Depth=1
	global_load_u16 v3, v[0:1], off offset:128
.LBB37_18:                              ;   in Loop: Header=BB37_12 Depth=1
	s_or_b32 exec_lo, exec_lo, s15
	v_cmp_gt_u32_e64 s15, s19, v11
	v_mov_b32_e32 v4, 0
	v_mov_b32_e32 v6, 0
	s_delay_alu instid0(VALU_DEP_3)
	s_and_saveexec_b32 s16, s15
	s_cbranch_execz .LBB37_20
; %bb.19:                               ;   in Loop: Header=BB37_12 Depth=1
	global_load_u16 v6, v[0:1], off offset:192
.LBB37_20:                              ;   in Loop: Header=BB37_12 Depth=1
	s_or_b32 exec_lo, exec_lo, s16
	s_waitcnt vmcnt(0)
	ds_store_b16 v14, v2
	ds_store_b16 v14, v5 offset:64
	ds_store_b16 v15, v3 offset:128
	;; [unrolled: 1-line block ×3, first 2 shown]
	; wave barrier
	ds_load_b64 v[0:1], v17
	v_add_co_u32 v2, s16, s41, v33
	s_delay_alu instid0(VALU_DEP_1) | instskip(SKIP_1) | instid1(VALU_DEP_2)
	v_add_co_ci_u32_e64 v3, null, s44, 0, s16
	s_waitcnt lgkmcnt(0)
	v_add_co_u32 v2, vcc_lo, v2, v34
	s_delay_alu instid0(VALU_DEP_2)
	v_add_co_ci_u32_e32 v3, vcc_lo, 0, v3, vcc_lo
	s_barrier
	buffer_gl0_inv
	s_and_saveexec_b32 s16, s12
	s_cbranch_execz .LBB37_22
; %bb.21:                               ;   in Loop: Header=BB37_12 Depth=1
	global_load_u16 v4, v[2:3], off
.LBB37_22:                              ;   in Loop: Header=BB37_12 Depth=1
	s_or_b32 exec_lo, exec_lo, s16
	v_dual_mov_b32 v5, 0 :: v_dual_mov_b32 v6, 0
	s_and_saveexec_b32 s16, s13
	s_cbranch_execnz .LBB37_99
; %bb.23:                               ;   in Loop: Header=BB37_12 Depth=1
	s_or_b32 exec_lo, exec_lo, s16
	s_and_saveexec_b32 s16, s14
	s_cbranch_execnz .LBB37_100
.LBB37_24:                              ;   in Loop: Header=BB37_12 Depth=1
	s_or_b32 exec_lo, exec_lo, s16
	v_mov_b32_e32 v7, 0
	s_and_saveexec_b32 s16, s15
	s_cbranch_execz .LBB37_26
.LBB37_25:                              ;   in Loop: Header=BB37_12 Depth=1
	global_load_u16 v7, v[2:3], off offset:192
.LBB37_26:                              ;   in Loop: Header=BB37_12 Depth=1
	s_or_b32 exec_lo, exec_lo, s16
	s_waitcnt vmcnt(0)
	ds_store_b16 v14, v4
	ds_store_b16 v14, v6 offset:64
	ds_store_b16 v15, v5 offset:128
	;; [unrolled: 1-line block ×3, first 2 shown]
	; wave barrier
	ds_load_b64 v[2:3], v17
	s_waitcnt lgkmcnt(0)
	v_lshlrev_b32_e32 v4, 16, v2
	s_delay_alu instid0(VALU_DEP_1) | instskip(NEXT) | instid1(VALU_DEP_1)
	v_add_f32_e32 v35, s52, v4
	v_cmp_ge_f32_e32 vcc_lo, 0x41a00000, v35
	s_and_b32 s16, s59, vcc_lo
	s_delay_alu instid0(SALU_CYCLE_1)
	s_and_saveexec_b32 s17, s16
	s_cbranch_execz .LBB37_28
; %bb.27:                               ;   in Loop: Header=BB37_12 Depth=1
	v_mul_f32_e32 v4, 0x3fb8aa3b, v35
	v_cmp_ngt_f32_e32 vcc_lo, 0xc2ce8ed0, v35
	s_delay_alu instid0(VALU_DEP_2) | instskip(SKIP_1) | instid1(VALU_DEP_2)
	v_rndne_f32_e32 v5, v4
	v_fma_f32 v6, 0x3fb8aa3b, v35, -v4
	v_sub_f32_e32 v4, v4, v5
	s_delay_alu instid0(VALU_DEP_2) | instskip(SKIP_1) | instid1(VALU_DEP_2)
	v_fmac_f32_e32 v6, 0x32a5705f, v35
	v_cvt_i32_f32_e32 v5, v5
	v_add_f32_e32 v4, v4, v6
	s_delay_alu instid0(VALU_DEP_1) | instskip(SKIP_2) | instid1(VALU_DEP_1)
	v_exp_f32_e32 v4, v4
	s_waitcnt_depctr 0xfff
	v_ldexp_f32 v4, v4, v5
	v_cndmask_b32_e32 v4, 0, v4, vcc_lo
	v_cmp_nlt_f32_e32 vcc_lo, 0x42b17218, v35
	s_delay_alu instid0(VALU_DEP_2) | instskip(NEXT) | instid1(VALU_DEP_1)
	v_cndmask_b32_e32 v6, 0x7f800000, v4, vcc_lo
	v_add_f32_e32 v7, 1.0, v6
	s_delay_alu instid0(VALU_DEP_1) | instskip(NEXT) | instid1(VALU_DEP_1)
	v_cvt_f64_f32_e32 v[4:5], v7
	v_frexp_exp_i32_f64_e32 v4, v[4:5]
	v_frexp_mant_f32_e32 v5, v7
	s_delay_alu instid0(VALU_DEP_1) | instskip(SKIP_1) | instid1(VALU_DEP_1)
	v_cmp_gt_f32_e32 vcc_lo, 0x3f2aaaab, v5
	v_add_f32_e32 v5, -1.0, v7
	v_dual_sub_f32 v36, v5, v7 :: v_dual_sub_f32 v5, v6, v5
	s_delay_alu instid0(VALU_DEP_1) | instskip(NEXT) | instid1(VALU_DEP_1)
	v_add_f32_e32 v36, 1.0, v36
	v_add_f32_e32 v5, v5, v36
	v_subrev_co_ci_u32_e32 v4, vcc_lo, 0, v4, vcc_lo
	s_delay_alu instid0(VALU_DEP_1) | instskip(SKIP_1) | instid1(VALU_DEP_2)
	v_sub_nc_u32_e32 v35, 0, v4
	v_cvt_f32_i32_e32 v4, v4
	v_ldexp_f32 v7, v7, v35
	v_ldexp_f32 v5, v5, v35
	s_delay_alu instid0(VALU_DEP_2) | instskip(SKIP_3) | instid1(VALU_DEP_4)
	v_add_f32_e32 v37, 1.0, v7
	v_add_f32_e32 v35, -1.0, v7
	v_cmp_eq_f32_e32 vcc_lo, 0x7f800000, v6
	v_cmp_gt_f32_e64 s16, 0x33800000, v6
	v_add_f32_e32 v36, -1.0, v37
	s_delay_alu instid0(VALU_DEP_4) | instskip(NEXT) | instid1(VALU_DEP_3)
	v_add_f32_e32 v38, 1.0, v35
	s_or_b32 vcc_lo, s16, vcc_lo
	s_delay_alu instid0(VALU_DEP_2) | instskip(NEXT) | instid1(VALU_DEP_1)
	v_sub_f32_e32 v36, v7, v36
	v_dual_sub_f32 v7, v7, v38 :: v_dual_add_f32 v36, v5, v36
	s_delay_alu instid0(VALU_DEP_1) | instskip(NEXT) | instid1(VALU_DEP_1)
	v_add_f32_e32 v5, v5, v7
	v_dual_add_f32 v39, v35, v5 :: v_dual_add_f32 v38, v37, v36
	s_delay_alu instid0(VALU_DEP_1) | instskip(NEXT) | instid1(VALU_DEP_2)
	v_sub_f32_e32 v35, v35, v39
	v_rcp_f32_e32 v7, v38
	v_sub_f32_e32 v37, v37, v38
	s_delay_alu instid0(VALU_DEP_1) | instskip(SKIP_2) | instid1(VALU_DEP_1)
	v_dual_add_f32 v5, v5, v35 :: v_dual_add_f32 v36, v36, v37
	s_waitcnt_depctr 0xfff
	v_mul_f32_e32 v40, v39, v7
	v_mul_f32_e32 v41, v38, v40
	s_delay_alu instid0(VALU_DEP_1) | instskip(NEXT) | instid1(VALU_DEP_1)
	v_fma_f32 v37, v40, v38, -v41
	v_fmac_f32_e32 v37, v40, v36
	s_delay_alu instid0(VALU_DEP_1) | instskip(NEXT) | instid1(VALU_DEP_1)
	v_add_f32_e32 v42, v41, v37
	v_sub_f32_e32 v43, v39, v42
	s_delay_alu instid0(VALU_DEP_1) | instskip(SKIP_1) | instid1(VALU_DEP_2)
	v_sub_f32_e32 v39, v39, v43
	v_sub_f32_e32 v35, v42, v41
	;; [unrolled: 1-line block ×3, first 2 shown]
	s_delay_alu instid0(VALU_DEP_2) | instskip(NEXT) | instid1(VALU_DEP_2)
	v_sub_f32_e32 v35, v35, v37
	v_add_f32_e32 v5, v5, v39
	s_delay_alu instid0(VALU_DEP_1) | instskip(NEXT) | instid1(VALU_DEP_1)
	v_add_f32_e32 v5, v35, v5
	v_add_f32_e32 v35, v43, v5
	s_delay_alu instid0(VALU_DEP_1) | instskip(NEXT) | instid1(VALU_DEP_1)
	v_mul_f32_e32 v37, v7, v35
	v_dual_sub_f32 v42, v43, v35 :: v_dual_mul_f32 v39, v38, v37
	s_delay_alu instid0(VALU_DEP_1) | instskip(NEXT) | instid1(VALU_DEP_2)
	v_add_f32_e32 v5, v5, v42
	v_fma_f32 v38, v37, v38, -v39
	s_delay_alu instid0(VALU_DEP_1) | instskip(NEXT) | instid1(VALU_DEP_1)
	v_fmac_f32_e32 v38, v37, v36
	v_add_f32_e32 v36, v39, v38
	s_delay_alu instid0(VALU_DEP_1) | instskip(SKIP_1) | instid1(VALU_DEP_2)
	v_sub_f32_e32 v41, v35, v36
	v_sub_f32_e32 v39, v36, v39
	;; [unrolled: 1-line block ×3, first 2 shown]
	s_delay_alu instid0(VALU_DEP_1) | instskip(NEXT) | instid1(VALU_DEP_1)
	v_sub_f32_e32 v35, v35, v36
	v_dual_sub_f32 v36, v39, v38 :: v_dual_add_f32 v5, v5, v35
	v_add_f32_e32 v35, v40, v37
	s_delay_alu instid0(VALU_DEP_1) | instskip(NEXT) | instid1(VALU_DEP_1)
	v_dual_add_f32 v5, v36, v5 :: v_dual_sub_f32 v36, v35, v40
	v_add_f32_e32 v5, v41, v5
	s_delay_alu instid0(VALU_DEP_1) | instskip(NEXT) | instid1(VALU_DEP_1)
	v_dual_sub_f32 v36, v37, v36 :: v_dual_mul_f32 v5, v7, v5
	v_add_f32_e32 v5, v36, v5
	s_delay_alu instid0(VALU_DEP_1) | instskip(NEXT) | instid1(VALU_DEP_1)
	v_add_f32_e32 v7, v35, v5
	v_mul_f32_e32 v36, v7, v7
	s_delay_alu instid0(VALU_DEP_1) | instskip(SKIP_1) | instid1(VALU_DEP_2)
	v_fmaak_f32 v37, s23, v36, 0x3ecc95a3
	v_mul_f32_e32 v38, v7, v36
	v_fmaak_f32 v36, v36, v37, 0x3f2aaada
	v_ldexp_f32 v37, v7, 1
	s_delay_alu instid0(VALU_DEP_2) | instskip(NEXT) | instid1(VALU_DEP_1)
	v_dual_sub_f32 v7, v7, v35 :: v_dual_mul_f32 v36, v38, v36
	v_dual_mul_f32 v38, 0x3f317218, v4 :: v_dual_sub_f32 v5, v5, v7
	s_delay_alu instid0(VALU_DEP_2) | instskip(NEXT) | instid1(VALU_DEP_2)
	v_add_f32_e32 v35, v37, v36
	v_ldexp_f32 v5, v5, 1
	s_delay_alu instid0(VALU_DEP_2) | instskip(NEXT) | instid1(VALU_DEP_4)
	v_sub_f32_e32 v7, v35, v37
	v_fma_f32 v37, 0x3f317218, v4, -v38
	s_delay_alu instid0(VALU_DEP_2) | instskip(NEXT) | instid1(VALU_DEP_1)
	v_sub_f32_e32 v7, v36, v7
	v_dual_fmac_f32 v37, 0xb102e308, v4 :: v_dual_add_f32 v4, v5, v7
	s_delay_alu instid0(VALU_DEP_1) | instskip(NEXT) | instid1(VALU_DEP_1)
	v_add_f32_e32 v5, v38, v37
	v_dual_add_f32 v7, v35, v4 :: v_dual_sub_f32 v38, v5, v38
	s_delay_alu instid0(VALU_DEP_1) | instskip(SKIP_1) | instid1(VALU_DEP_3)
	v_add_f32_e32 v36, v5, v7
	v_sub_f32_e32 v35, v7, v35
	v_sub_f32_e32 v37, v37, v38
	s_delay_alu instid0(VALU_DEP_3) | instskip(NEXT) | instid1(VALU_DEP_3)
	v_sub_f32_e32 v39, v36, v5
	v_sub_f32_e32 v4, v4, v35
	s_delay_alu instid0(VALU_DEP_2) | instskip(SKIP_1) | instid1(VALU_DEP_3)
	v_sub_f32_e32 v40, v36, v39
	v_sub_f32_e32 v7, v7, v39
	v_add_f32_e32 v35, v37, v4
	s_delay_alu instid0(VALU_DEP_3) | instskip(NEXT) | instid1(VALU_DEP_1)
	v_sub_f32_e32 v5, v5, v40
	v_add_f32_e32 v5, v7, v5
	s_delay_alu instid0(VALU_DEP_3) | instskip(NEXT) | instid1(VALU_DEP_1)
	v_sub_f32_e32 v7, v35, v37
	v_dual_add_f32 v5, v35, v5 :: v_dual_sub_f32 v4, v4, v7
	s_delay_alu instid0(VALU_DEP_1) | instskip(NEXT) | instid1(VALU_DEP_1)
	v_dual_sub_f32 v35, v35, v7 :: v_dual_add_f32 v38, v36, v5
	v_sub_f32_e32 v35, v37, v35
	s_delay_alu instid0(VALU_DEP_1) | instskip(NEXT) | instid1(VALU_DEP_1)
	v_dual_sub_f32 v7, v38, v36 :: v_dual_add_f32 v4, v4, v35
	v_sub_f32_e32 v5, v5, v7
	s_delay_alu instid0(VALU_DEP_1) | instskip(NEXT) | instid1(VALU_DEP_1)
	v_add_f32_e32 v4, v4, v5
	v_add_f32_e32 v4, v38, v4
	s_delay_alu instid0(VALU_DEP_1)
	v_cndmask_b32_e32 v35, v4, v6, vcc_lo
.LBB37_28:                              ;   in Loop: Header=BB37_12 Depth=1
	s_or_b32 exec_lo, exec_lo, s17
	v_and_b32_e32 v2, 0xffff0000, v2
	s_delay_alu instid0(VALU_DEP_1) | instskip(NEXT) | instid1(VALU_DEP_1)
	v_add_f32_e32 v36, s52, v2
	v_cmp_ge_f32_e32 vcc_lo, 0x41a00000, v36
	s_and_b32 s16, s59, vcc_lo
	s_delay_alu instid0(SALU_CYCLE_1)
	s_and_saveexec_b32 s17, s16
	s_cbranch_execz .LBB37_30
; %bb.29:                               ;   in Loop: Header=BB37_12 Depth=1
	v_mul_f32_e32 v2, 0x3fb8aa3b, v36
	v_cmp_ngt_f32_e32 vcc_lo, 0xc2ce8ed0, v36
	s_delay_alu instid0(VALU_DEP_2) | instskip(SKIP_1) | instid1(VALU_DEP_2)
	v_rndne_f32_e32 v4, v2
	v_fma_f32 v5, 0x3fb8aa3b, v36, -v2
	v_sub_f32_e32 v2, v2, v4
	s_delay_alu instid0(VALU_DEP_2) | instskip(SKIP_1) | instid1(VALU_DEP_2)
	v_fmac_f32_e32 v5, 0x32a5705f, v36
	v_cvt_i32_f32_e32 v4, v4
	v_add_f32_e32 v2, v2, v5
	s_delay_alu instid0(VALU_DEP_1) | instskip(SKIP_2) | instid1(VALU_DEP_1)
	v_exp_f32_e32 v2, v2
	s_waitcnt_depctr 0xfff
	v_ldexp_f32 v2, v2, v4
	v_cndmask_b32_e32 v2, 0, v2, vcc_lo
	v_cmp_nlt_f32_e32 vcc_lo, 0x42b17218, v36
	s_delay_alu instid0(VALU_DEP_2) | instskip(NEXT) | instid1(VALU_DEP_1)
	v_cndmask_b32_e32 v2, 0x7f800000, v2, vcc_lo
	v_add_f32_e32 v6, 1.0, v2
	s_delay_alu instid0(VALU_DEP_1) | instskip(NEXT) | instid1(VALU_DEP_1)
	v_cvt_f64_f32_e32 v[4:5], v6
	v_frexp_exp_i32_f64_e32 v4, v[4:5]
	v_frexp_mant_f32_e32 v5, v6
	s_delay_alu instid0(VALU_DEP_1) | instskip(SKIP_1) | instid1(VALU_DEP_1)
	v_cmp_gt_f32_e32 vcc_lo, 0x3f2aaaab, v5
	v_add_f32_e32 v5, -1.0, v6
	v_dual_sub_f32 v36, v5, v6 :: v_dual_sub_f32 v5, v2, v5
	v_subrev_co_ci_u32_e32 v4, vcc_lo, 0, v4, vcc_lo
	s_delay_alu instid0(VALU_DEP_1) | instskip(SKIP_1) | instid1(VALU_DEP_2)
	v_sub_nc_u32_e32 v7, 0, v4
	v_cvt_f32_i32_e32 v4, v4
	v_ldexp_f32 v6, v6, v7
	s_delay_alu instid0(VALU_DEP_1) | instskip(NEXT) | instid1(VALU_DEP_1)
	v_dual_add_f32 v36, 1.0, v36 :: v_dual_add_f32 v37, 1.0, v6
	v_add_f32_e32 v5, v5, v36
	s_delay_alu instid0(VALU_DEP_1) | instskip(NEXT) | instid1(VALU_DEP_3)
	v_ldexp_f32 v5, v5, v7
	v_dual_add_f32 v7, -1.0, v6 :: v_dual_add_f32 v36, -1.0, v37
	s_delay_alu instid0(VALU_DEP_1) | instskip(NEXT) | instid1(VALU_DEP_2)
	v_add_f32_e32 v38, 1.0, v7
	v_sub_f32_e32 v36, v6, v36
	s_delay_alu instid0(VALU_DEP_2) | instskip(NEXT) | instid1(VALU_DEP_2)
	v_sub_f32_e32 v6, v6, v38
	v_add_f32_e32 v36, v5, v36
	s_delay_alu instid0(VALU_DEP_2) | instskip(NEXT) | instid1(VALU_DEP_1)
	v_add_f32_e32 v5, v5, v6
	v_dual_add_f32 v39, v7, v5 :: v_dual_add_f32 v38, v37, v36
	v_cmp_eq_f32_e32 vcc_lo, 0x7f800000, v2
	v_cmp_gt_f32_e64 s16, 0x33800000, v2
	s_delay_alu instid0(VALU_DEP_3) | instskip(NEXT) | instid1(VALU_DEP_4)
	v_sub_f32_e32 v7, v7, v39
	v_rcp_f32_e32 v6, v38
	v_sub_f32_e32 v37, v37, v38
	s_delay_alu instid0(VALU_DEP_3) | instskip(NEXT) | instid1(VALU_DEP_1)
	s_or_b32 vcc_lo, s16, vcc_lo
	v_dual_add_f32 v5, v5, v7 :: v_dual_add_f32 v36, v36, v37
	s_waitcnt_depctr 0xfff
	v_mul_f32_e32 v40, v39, v6
	s_delay_alu instid0(VALU_DEP_1) | instskip(NEXT) | instid1(VALU_DEP_1)
	v_mul_f32_e32 v41, v38, v40
	v_fma_f32 v37, v40, v38, -v41
	s_delay_alu instid0(VALU_DEP_1) | instskip(NEXT) | instid1(VALU_DEP_1)
	v_fmac_f32_e32 v37, v40, v36
	v_add_f32_e32 v42, v41, v37
	s_delay_alu instid0(VALU_DEP_1) | instskip(NEXT) | instid1(VALU_DEP_1)
	v_sub_f32_e32 v43, v39, v42
	v_sub_f32_e32 v39, v39, v43
	s_delay_alu instid0(VALU_DEP_1) | instskip(SKIP_1) | instid1(VALU_DEP_2)
	v_sub_f32_e32 v39, v39, v42
	v_sub_f32_e32 v7, v42, v41
	v_add_f32_e32 v5, v5, v39
	s_delay_alu instid0(VALU_DEP_2) | instskip(NEXT) | instid1(VALU_DEP_1)
	v_sub_f32_e32 v7, v7, v37
	v_add_f32_e32 v5, v7, v5
	s_delay_alu instid0(VALU_DEP_1) | instskip(NEXT) | instid1(VALU_DEP_1)
	v_add_f32_e32 v7, v43, v5
	v_mul_f32_e32 v37, v6, v7
	s_delay_alu instid0(VALU_DEP_1) | instskip(NEXT) | instid1(VALU_DEP_1)
	v_dual_sub_f32 v42, v43, v7 :: v_dual_mul_f32 v39, v38, v37
	v_add_f32_e32 v5, v5, v42
	s_delay_alu instid0(VALU_DEP_2) | instskip(NEXT) | instid1(VALU_DEP_1)
	v_fma_f32 v38, v37, v38, -v39
	v_fmac_f32_e32 v38, v37, v36
	s_delay_alu instid0(VALU_DEP_1) | instskip(NEXT) | instid1(VALU_DEP_1)
	v_add_f32_e32 v36, v39, v38
	v_sub_f32_e32 v41, v7, v36
	s_delay_alu instid0(VALU_DEP_1) | instskip(NEXT) | instid1(VALU_DEP_1)
	v_sub_f32_e32 v7, v7, v41
	v_sub_f32_e32 v7, v7, v36
	s_delay_alu instid0(VALU_DEP_1) | instskip(SKIP_2) | instid1(VALU_DEP_1)
	v_add_f32_e32 v5, v5, v7
	v_add_f32_e32 v7, v40, v37
	v_sub_f32_e32 v39, v36, v39
	v_sub_f32_e32 v36, v39, v38
	s_delay_alu instid0(VALU_DEP_1) | instskip(NEXT) | instid1(VALU_DEP_1)
	v_dual_add_f32 v5, v36, v5 :: v_dual_sub_f32 v36, v7, v40
	v_add_f32_e32 v5, v41, v5
	s_delay_alu instid0(VALU_DEP_1) | instskip(NEXT) | instid1(VALU_DEP_1)
	v_dual_sub_f32 v36, v37, v36 :: v_dual_mul_f32 v5, v6, v5
	v_add_f32_e32 v5, v36, v5
	s_delay_alu instid0(VALU_DEP_1) | instskip(NEXT) | instid1(VALU_DEP_1)
	v_add_f32_e32 v6, v7, v5
	v_mul_f32_e32 v36, v6, v6
	s_delay_alu instid0(VALU_DEP_1) | instskip(SKIP_1) | instid1(VALU_DEP_2)
	v_fmaak_f32 v37, s23, v36, 0x3ecc95a3
	v_mul_f32_e32 v38, v6, v36
	v_fmaak_f32 v36, v36, v37, 0x3f2aaada
	v_ldexp_f32 v37, v6, 1
	v_sub_f32_e32 v6, v6, v7
	s_delay_alu instid0(VALU_DEP_3) | instskip(SKIP_1) | instid1(VALU_DEP_2)
	v_mul_f32_e32 v36, v38, v36
	v_mul_f32_e32 v38, 0x3f317218, v4
	v_add_f32_e32 v7, v37, v36
	s_delay_alu instid0(VALU_DEP_1) | instskip(NEXT) | instid1(VALU_DEP_3)
	v_dual_sub_f32 v5, v5, v6 :: v_dual_sub_f32 v6, v7, v37
	v_fma_f32 v37, 0x3f317218, v4, -v38
	s_delay_alu instid0(VALU_DEP_2) | instskip(NEXT) | instid1(VALU_DEP_2)
	v_ldexp_f32 v5, v5, 1
	v_dual_sub_f32 v6, v36, v6 :: v_dual_fmac_f32 v37, 0xb102e308, v4
	s_delay_alu instid0(VALU_DEP_1) | instskip(NEXT) | instid1(VALU_DEP_1)
	v_dual_add_f32 v4, v5, v6 :: v_dual_add_f32 v5, v38, v37
	v_add_f32_e32 v6, v7, v4
	s_delay_alu instid0(VALU_DEP_1) | instskip(NEXT) | instid1(VALU_DEP_1)
	v_add_f32_e32 v36, v5, v6
	v_sub_f32_e32 v39, v36, v5
	s_delay_alu instid0(VALU_DEP_1) | instskip(SKIP_2) | instid1(VALU_DEP_2)
	v_sub_f32_e32 v40, v36, v39
	v_sub_f32_e32 v7, v6, v7
	;; [unrolled: 1-line block ×5, first 2 shown]
	s_delay_alu instid0(VALU_DEP_1) | instskip(NEXT) | instid1(VALU_DEP_1)
	v_sub_f32_e32 v37, v37, v38
	v_add_f32_e32 v7, v37, v4
	v_sub_f32_e32 v5, v5, v40
	s_delay_alu instid0(VALU_DEP_1) | instskip(NEXT) | instid1(VALU_DEP_3)
	v_add_f32_e32 v5, v6, v5
	v_sub_f32_e32 v6, v7, v37
	s_delay_alu instid0(VALU_DEP_1) | instskip(NEXT) | instid1(VALU_DEP_1)
	v_dual_sub_f32 v4, v4, v6 :: v_dual_add_f32 v5, v7, v5
	v_dual_sub_f32 v7, v7, v6 :: v_dual_add_f32 v38, v36, v5
	s_delay_alu instid0(VALU_DEP_1) | instskip(NEXT) | instid1(VALU_DEP_1)
	v_dual_sub_f32 v7, v37, v7 :: v_dual_sub_f32 v6, v38, v36
	v_dual_add_f32 v4, v4, v7 :: v_dual_sub_f32 v5, v5, v6
	s_delay_alu instid0(VALU_DEP_1) | instskip(NEXT) | instid1(VALU_DEP_1)
	v_add_f32_e32 v4, v4, v5
	v_add_f32_e32 v4, v38, v4
	s_delay_alu instid0(VALU_DEP_1)
	v_cndmask_b32_e32 v36, v4, v2, vcc_lo
.LBB37_30:                              ;   in Loop: Header=BB37_12 Depth=1
	s_or_b32 exec_lo, exec_lo, s17
	v_lshlrev_b32_e32 v2, 16, v3
	s_delay_alu instid0(VALU_DEP_1) | instskip(NEXT) | instid1(VALU_DEP_1)
	v_add_f32_e32 v41, s52, v2
	v_cmp_ge_f32_e32 vcc_lo, 0x41a00000, v41
	s_and_b32 s16, s59, vcc_lo
	s_delay_alu instid0(SALU_CYCLE_1)
	s_and_saveexec_b32 s17, s16
	s_cbranch_execz .LBB37_32
; %bb.31:                               ;   in Loop: Header=BB37_12 Depth=1
	v_mul_f32_e32 v2, 0x3fb8aa3b, v41
	v_cmp_ngt_f32_e32 vcc_lo, 0xc2ce8ed0, v41
	s_delay_alu instid0(VALU_DEP_2) | instskip(SKIP_1) | instid1(VALU_DEP_1)
	v_rndne_f32_e32 v4, v2
	v_fma_f32 v5, 0x3fb8aa3b, v41, -v2
	v_dual_sub_f32 v2, v2, v4 :: v_dual_fmac_f32 v5, 0x32a5705f, v41
	v_cvt_i32_f32_e32 v4, v4
	s_delay_alu instid0(VALU_DEP_2) | instskip(NEXT) | instid1(VALU_DEP_1)
	v_add_f32_e32 v2, v2, v5
	v_exp_f32_e32 v2, v2
	s_waitcnt_depctr 0xfff
	v_ldexp_f32 v2, v2, v4
	s_delay_alu instid0(VALU_DEP_1) | instskip(SKIP_1) | instid1(VALU_DEP_2)
	v_cndmask_b32_e32 v2, 0, v2, vcc_lo
	v_cmp_nlt_f32_e32 vcc_lo, 0x42b17218, v41
	v_cndmask_b32_e32 v2, 0x7f800000, v2, vcc_lo
	s_delay_alu instid0(VALU_DEP_1) | instskip(NEXT) | instid1(VALU_DEP_1)
	v_add_f32_e32 v6, 1.0, v2
	v_cvt_f64_f32_e32 v[4:5], v6
	s_delay_alu instid0(VALU_DEP_1) | instskip(SKIP_1) | instid1(VALU_DEP_1)
	v_frexp_exp_i32_f64_e32 v4, v[4:5]
	v_frexp_mant_f32_e32 v5, v6
	v_cmp_gt_f32_e32 vcc_lo, 0x3f2aaaab, v5
	v_add_f32_e32 v5, -1.0, v6
	s_delay_alu instid0(VALU_DEP_1) | instskip(SKIP_1) | instid1(VALU_DEP_2)
	v_sub_f32_e32 v37, v5, v6
	v_sub_f32_e32 v5, v2, v5
	v_add_f32_e32 v37, 1.0, v37
	s_delay_alu instid0(VALU_DEP_1) | instskip(SKIP_3) | instid1(VALU_DEP_2)
	v_add_f32_e32 v5, v5, v37
	v_cmp_gt_f32_e64 s16, 0x33800000, v2
	v_subrev_co_ci_u32_e32 v4, vcc_lo, 0, v4, vcc_lo
	v_cmp_eq_f32_e32 vcc_lo, 0x7f800000, v2
	v_sub_nc_u32_e32 v7, 0, v4
	v_cvt_f32_i32_e32 v4, v4
	s_or_b32 vcc_lo, s16, vcc_lo
	s_delay_alu instid0(VALU_DEP_2) | instskip(SKIP_1) | instid1(VALU_DEP_2)
	v_ldexp_f32 v6, v6, v7
	v_ldexp_f32 v5, v5, v7
	v_add_f32_e32 v38, 1.0, v6
	v_add_f32_e32 v7, -1.0, v6
	s_delay_alu instid0(VALU_DEP_1) | instskip(NEXT) | instid1(VALU_DEP_3)
	v_add_f32_e32 v39, 1.0, v7
	v_add_f32_e32 v37, -1.0, v38
	s_delay_alu instid0(VALU_DEP_1) | instskip(NEXT) | instid1(VALU_DEP_1)
	v_sub_f32_e32 v37, v6, v37
	v_dual_sub_f32 v6, v6, v39 :: v_dual_add_f32 v37, v5, v37
	s_delay_alu instid0(VALU_DEP_1) | instskip(NEXT) | instid1(VALU_DEP_2)
	v_add_f32_e32 v39, v38, v37
	v_add_f32_e32 v5, v5, v6
	s_delay_alu instid0(VALU_DEP_2) | instskip(SKIP_1) | instid1(VALU_DEP_1)
	v_rcp_f32_e32 v6, v39
	v_sub_f32_e32 v38, v38, v39
	v_dual_add_f32 v40, v7, v5 :: v_dual_add_f32 v37, v37, v38
	s_delay_alu instid0(VALU_DEP_1) | instskip(SKIP_2) | instid1(VALU_DEP_1)
	v_sub_f32_e32 v7, v7, v40
	s_waitcnt_depctr 0xfff
	v_mul_f32_e32 v41, v40, v6
	v_mul_f32_e32 v42, v39, v41
	s_delay_alu instid0(VALU_DEP_1) | instskip(NEXT) | instid1(VALU_DEP_1)
	v_fma_f32 v38, v41, v39, -v42
	v_fmac_f32_e32 v38, v41, v37
	s_delay_alu instid0(VALU_DEP_1) | instskip(NEXT) | instid1(VALU_DEP_1)
	v_add_f32_e32 v43, v42, v38
	v_sub_f32_e32 v44, v40, v43
	s_delay_alu instid0(VALU_DEP_1) | instskip(NEXT) | instid1(VALU_DEP_1)
	v_dual_sub_f32 v40, v40, v44 :: v_dual_add_f32 v5, v5, v7
	v_dual_sub_f32 v7, v43, v42 :: v_dual_sub_f32 v40, v40, v43
	s_delay_alu instid0(VALU_DEP_1) | instskip(NEXT) | instid1(VALU_DEP_2)
	v_sub_f32_e32 v7, v7, v38
	v_add_f32_e32 v5, v5, v40
	s_delay_alu instid0(VALU_DEP_1) | instskip(NEXT) | instid1(VALU_DEP_1)
	v_add_f32_e32 v5, v7, v5
	v_add_f32_e32 v7, v44, v5
	s_delay_alu instid0(VALU_DEP_1) | instskip(NEXT) | instid1(VALU_DEP_1)
	v_mul_f32_e32 v38, v6, v7
	v_dual_sub_f32 v43, v44, v7 :: v_dual_mul_f32 v40, v39, v38
	s_delay_alu instid0(VALU_DEP_1) | instskip(NEXT) | instid1(VALU_DEP_2)
	v_add_f32_e32 v5, v5, v43
	v_fma_f32 v39, v38, v39, -v40
	s_delay_alu instid0(VALU_DEP_1) | instskip(NEXT) | instid1(VALU_DEP_1)
	v_fmac_f32_e32 v39, v38, v37
	v_add_f32_e32 v37, v40, v39
	s_delay_alu instid0(VALU_DEP_1) | instskip(NEXT) | instid1(VALU_DEP_1)
	v_sub_f32_e32 v42, v7, v37
	v_dual_sub_f32 v40, v37, v40 :: v_dual_sub_f32 v7, v7, v42
	s_delay_alu instid0(VALU_DEP_1) | instskip(NEXT) | instid1(VALU_DEP_2)
	v_sub_f32_e32 v7, v7, v37
	v_sub_f32_e32 v37, v40, v39
	s_delay_alu instid0(VALU_DEP_2) | instskip(SKIP_1) | instid1(VALU_DEP_2)
	v_add_f32_e32 v5, v5, v7
	v_add_f32_e32 v7, v41, v38
	;; [unrolled: 1-line block ×3, first 2 shown]
	s_delay_alu instid0(VALU_DEP_2) | instskip(NEXT) | instid1(VALU_DEP_2)
	v_sub_f32_e32 v37, v7, v41
	v_add_f32_e32 v5, v42, v5
	s_delay_alu instid0(VALU_DEP_2) | instskip(NEXT) | instid1(VALU_DEP_2)
	v_sub_f32_e32 v37, v38, v37
	v_mul_f32_e32 v5, v6, v5
	s_delay_alu instid0(VALU_DEP_1) | instskip(NEXT) | instid1(VALU_DEP_1)
	v_add_f32_e32 v5, v37, v5
	v_add_f32_e32 v6, v7, v5
	s_delay_alu instid0(VALU_DEP_1) | instskip(NEXT) | instid1(VALU_DEP_1)
	v_mul_f32_e32 v37, v6, v6
	v_fmaak_f32 v38, s23, v37, 0x3ecc95a3
	v_mul_f32_e32 v39, v6, v37
	s_delay_alu instid0(VALU_DEP_2) | instskip(SKIP_1) | instid1(VALU_DEP_2)
	v_fmaak_f32 v37, v37, v38, 0x3f2aaada
	v_ldexp_f32 v38, v6, 1
	v_dual_sub_f32 v6, v6, v7 :: v_dual_mul_f32 v37, v39, v37
	v_mul_f32_e32 v39, 0x3f317218, v4
	s_delay_alu instid0(VALU_DEP_2) | instskip(NEXT) | instid1(VALU_DEP_3)
	v_sub_f32_e32 v5, v5, v6
	v_add_f32_e32 v7, v38, v37
	s_delay_alu instid0(VALU_DEP_2) | instskip(NEXT) | instid1(VALU_DEP_2)
	v_ldexp_f32 v5, v5, 1
	v_sub_f32_e32 v6, v7, v38
	v_fma_f32 v38, 0x3f317218, v4, -v39
	s_delay_alu instid0(VALU_DEP_2) | instskip(NEXT) | instid1(VALU_DEP_2)
	v_sub_f32_e32 v6, v37, v6
	v_fmac_f32_e32 v38, 0xb102e308, v4
	s_delay_alu instid0(VALU_DEP_2) | instskip(NEXT) | instid1(VALU_DEP_2)
	v_add_f32_e32 v4, v5, v6
	v_add_f32_e32 v5, v39, v38
	s_delay_alu instid0(VALU_DEP_1) | instskip(NEXT) | instid1(VALU_DEP_1)
	v_dual_add_f32 v6, v7, v4 :: v_dual_sub_f32 v39, v5, v39
	v_add_f32_e32 v37, v5, v6
	v_sub_f32_e32 v7, v6, v7
	s_delay_alu instid0(VALU_DEP_3) | instskip(NEXT) | instid1(VALU_DEP_3)
	v_sub_f32_e32 v38, v38, v39
	v_sub_f32_e32 v40, v37, v5
	s_delay_alu instid0(VALU_DEP_1) | instskip(SKIP_1) | instid1(VALU_DEP_2)
	v_dual_sub_f32 v4, v4, v7 :: v_dual_sub_f32 v41, v37, v40
	v_sub_f32_e32 v6, v6, v40
	v_add_f32_e32 v7, v38, v4
	s_delay_alu instid0(VALU_DEP_3) | instskip(NEXT) | instid1(VALU_DEP_1)
	v_sub_f32_e32 v5, v5, v41
	v_dual_add_f32 v5, v6, v5 :: v_dual_sub_f32 v6, v7, v38
	s_delay_alu instid0(VALU_DEP_1) | instskip(NEXT) | instid1(VALU_DEP_2)
	v_add_f32_e32 v5, v7, v5
	v_sub_f32_e32 v7, v7, v6
	s_delay_alu instid0(VALU_DEP_2) | instskip(NEXT) | instid1(VALU_DEP_1)
	v_dual_sub_f32 v4, v4, v6 :: v_dual_add_f32 v39, v37, v5
	v_dual_sub_f32 v7, v38, v7 :: v_dual_sub_f32 v6, v39, v37
	s_delay_alu instid0(VALU_DEP_1) | instskip(NEXT) | instid1(VALU_DEP_1)
	v_dual_add_f32 v4, v4, v7 :: v_dual_sub_f32 v5, v5, v6
	v_add_f32_e32 v4, v4, v5
	s_delay_alu instid0(VALU_DEP_1) | instskip(NEXT) | instid1(VALU_DEP_1)
	v_add_f32_e32 v4, v39, v4
	v_cndmask_b32_e32 v41, v4, v2, vcc_lo
.LBB37_32:                              ;   in Loop: Header=BB37_12 Depth=1
	s_or_b32 exec_lo, exec_lo, s17
	v_and_b32_e32 v2, 0xffff0000, v3
	s_delay_alu instid0(VALU_DEP_1) | instskip(NEXT) | instid1(VALU_DEP_1)
	v_add_f32_e32 v42, s52, v2
	v_cmp_ge_f32_e32 vcc_lo, 0x41a00000, v42
	s_and_b32 s16, s59, vcc_lo
	s_delay_alu instid0(SALU_CYCLE_1)
	s_and_saveexec_b32 s17, s16
	s_cbranch_execz .LBB37_34
; %bb.33:                               ;   in Loop: Header=BB37_12 Depth=1
	v_mul_f32_e32 v2, 0x3fb8aa3b, v42
	v_cmp_ngt_f32_e32 vcc_lo, 0xc2ce8ed0, v42
	s_delay_alu instid0(VALU_DEP_2) | instskip(SKIP_1) | instid1(VALU_DEP_2)
	v_rndne_f32_e32 v3, v2
	v_fma_f32 v4, 0x3fb8aa3b, v42, -v2
	v_sub_f32_e32 v2, v2, v3
	s_delay_alu instid0(VALU_DEP_2) | instskip(SKIP_1) | instid1(VALU_DEP_2)
	v_fmac_f32_e32 v4, 0x32a5705f, v42
	v_cvt_i32_f32_e32 v3, v3
	v_add_f32_e32 v2, v2, v4
	s_delay_alu instid0(VALU_DEP_1) | instskip(SKIP_2) | instid1(VALU_DEP_1)
	v_exp_f32_e32 v2, v2
	s_waitcnt_depctr 0xfff
	v_ldexp_f32 v2, v2, v3
	v_cndmask_b32_e32 v2, 0, v2, vcc_lo
	v_cmp_nlt_f32_e32 vcc_lo, 0x42b17218, v42
	s_delay_alu instid0(VALU_DEP_2) | instskip(NEXT) | instid1(VALU_DEP_1)
	v_cndmask_b32_e32 v4, 0x7f800000, v2, vcc_lo
	v_add_f32_e32 v5, 1.0, v4
	s_delay_alu instid0(VALU_DEP_1) | instskip(NEXT) | instid1(VALU_DEP_1)
	v_cvt_f64_f32_e32 v[2:3], v5
	v_frexp_exp_i32_f64_e32 v2, v[2:3]
	v_frexp_mant_f32_e32 v3, v5
	s_delay_alu instid0(VALU_DEP_1) | instskip(SKIP_1) | instid1(VALU_DEP_1)
	v_cmp_gt_f32_e32 vcc_lo, 0x3f2aaaab, v3
	v_add_f32_e32 v3, -1.0, v5
	v_sub_f32_e32 v7, v3, v5
	s_delay_alu instid0(VALU_DEP_1) | instskip(SKIP_1) | instid1(VALU_DEP_1)
	v_add_f32_e32 v7, 1.0, v7
	v_subrev_co_ci_u32_e32 v2, vcc_lo, 0, v2, vcc_lo
	v_sub_nc_u32_e32 v6, 0, v2
	v_cvt_f32_i32_e32 v2, v2
	s_delay_alu instid0(VALU_DEP_2) | instskip(NEXT) | instid1(VALU_DEP_1)
	v_ldexp_f32 v5, v5, v6
	v_add_f32_e32 v37, 1.0, v5
	v_sub_f32_e32 v3, v4, v3
	v_cmp_eq_f32_e32 vcc_lo, 0x7f800000, v4
	v_cmp_gt_f32_e64 s16, 0x33800000, v4
	s_delay_alu instid0(VALU_DEP_3) | instskip(NEXT) | instid1(VALU_DEP_2)
	v_add_f32_e32 v3, v3, v7
	s_or_b32 vcc_lo, s16, vcc_lo
	s_delay_alu instid0(VALU_DEP_1) | instskip(SKIP_1) | instid1(VALU_DEP_1)
	v_ldexp_f32 v3, v3, v6
	v_add_f32_e32 v6, -1.0, v5
	v_dual_add_f32 v7, -1.0, v37 :: v_dual_add_f32 v38, 1.0, v6
	s_delay_alu instid0(VALU_DEP_1) | instskip(NEXT) | instid1(VALU_DEP_2)
	v_sub_f32_e32 v7, v5, v7
	v_sub_f32_e32 v5, v5, v38
	s_delay_alu instid0(VALU_DEP_2) | instskip(NEXT) | instid1(VALU_DEP_1)
	v_add_f32_e32 v7, v3, v7
	v_dual_add_f32 v3, v3, v5 :: v_dual_add_f32 v38, v37, v7
	s_delay_alu instid0(VALU_DEP_1) | instskip(NEXT) | instid1(VALU_DEP_2)
	v_add_f32_e32 v39, v6, v3
	v_rcp_f32_e32 v5, v38
	s_delay_alu instid0(VALU_DEP_1) | instskip(NEXT) | instid1(VALU_DEP_1)
	v_dual_sub_f32 v37, v37, v38 :: v_dual_sub_f32 v6, v6, v39
	v_add_f32_e32 v3, v3, v6
	s_waitcnt_depctr 0xfff
	v_mul_f32_e32 v40, v39, v5
	s_delay_alu instid0(VALU_DEP_1) | instskip(NEXT) | instid1(VALU_DEP_1)
	v_dual_mul_f32 v42, v38, v40 :: v_dual_add_f32 v7, v7, v37
	v_fma_f32 v37, v40, v38, -v42
	s_delay_alu instid0(VALU_DEP_1) | instskip(NEXT) | instid1(VALU_DEP_1)
	v_fmac_f32_e32 v37, v40, v7
	v_add_f32_e32 v43, v42, v37
	s_delay_alu instid0(VALU_DEP_1) | instskip(SKIP_1) | instid1(VALU_DEP_1)
	v_sub_f32_e32 v6, v43, v42
	v_sub_f32_e32 v44, v39, v43
	v_dual_sub_f32 v6, v6, v37 :: v_dual_sub_f32 v39, v39, v44
	s_delay_alu instid0(VALU_DEP_1) | instskip(NEXT) | instid1(VALU_DEP_1)
	v_sub_f32_e32 v39, v39, v43
	v_add_f32_e32 v3, v3, v39
	s_delay_alu instid0(VALU_DEP_1) | instskip(NEXT) | instid1(VALU_DEP_1)
	v_add_f32_e32 v3, v6, v3
	v_add_f32_e32 v6, v44, v3
	s_delay_alu instid0(VALU_DEP_1) | instskip(SKIP_1) | instid1(VALU_DEP_2)
	v_mul_f32_e32 v37, v5, v6
	v_sub_f32_e32 v43, v44, v6
	v_mul_f32_e32 v39, v38, v37
	s_delay_alu instid0(VALU_DEP_2) | instskip(NEXT) | instid1(VALU_DEP_2)
	v_add_f32_e32 v3, v3, v43
	v_fma_f32 v38, v37, v38, -v39
	s_delay_alu instid0(VALU_DEP_1) | instskip(NEXT) | instid1(VALU_DEP_1)
	v_fmac_f32_e32 v38, v37, v7
	v_add_f32_e32 v7, v39, v38
	s_delay_alu instid0(VALU_DEP_1) | instskip(NEXT) | instid1(VALU_DEP_1)
	v_sub_f32_e32 v42, v6, v7
	v_dual_sub_f32 v39, v7, v39 :: v_dual_sub_f32 v6, v6, v42
	s_delay_alu instid0(VALU_DEP_1) | instskip(NEXT) | instid1(VALU_DEP_1)
	v_dual_sub_f32 v6, v6, v7 :: v_dual_sub_f32 v7, v39, v38
	v_dual_add_f32 v3, v3, v6 :: v_dual_add_f32 v6, v40, v37
	s_delay_alu instid0(VALU_DEP_1) | instskip(NEXT) | instid1(VALU_DEP_2)
	v_add_f32_e32 v3, v7, v3
	v_sub_f32_e32 v7, v6, v40
	s_delay_alu instid0(VALU_DEP_2) | instskip(NEXT) | instid1(VALU_DEP_2)
	v_add_f32_e32 v3, v42, v3
	v_sub_f32_e32 v7, v37, v7
	s_delay_alu instid0(VALU_DEP_2) | instskip(NEXT) | instid1(VALU_DEP_1)
	v_mul_f32_e32 v3, v5, v3
	v_add_f32_e32 v3, v7, v3
	s_delay_alu instid0(VALU_DEP_1) | instskip(NEXT) | instid1(VALU_DEP_1)
	v_add_f32_e32 v5, v6, v3
	v_mul_f32_e32 v7, v5, v5
	s_delay_alu instid0(VALU_DEP_1) | instskip(NEXT) | instid1(VALU_DEP_1)
	v_fmaak_f32 v37, s23, v7, 0x3ecc95a3
	v_dual_mul_f32 v38, v5, v7 :: v_dual_fmaak_f32 v7, v7, v37, 0x3f2aaada
	v_ldexp_f32 v37, v5, 1
	v_sub_f32_e32 v5, v5, v6
	s_delay_alu instid0(VALU_DEP_3) | instskip(NEXT) | instid1(VALU_DEP_1)
	v_dual_mul_f32 v7, v38, v7 :: v_dual_mul_f32 v38, 0x3f317218, v2
	v_dual_sub_f32 v3, v3, v5 :: v_dual_add_f32 v6, v37, v7
	s_delay_alu instid0(VALU_DEP_1) | instskip(NEXT) | instid1(VALU_DEP_2)
	v_ldexp_f32 v3, v3, 1
	v_sub_f32_e32 v5, v6, v37
	s_delay_alu instid0(VALU_DEP_4) | instskip(NEXT) | instid1(VALU_DEP_2)
	v_fma_f32 v37, 0x3f317218, v2, -v38
	v_sub_f32_e32 v5, v7, v5
	s_delay_alu instid0(VALU_DEP_1) | instskip(NEXT) | instid1(VALU_DEP_1)
	v_dual_fmac_f32 v37, 0xb102e308, v2 :: v_dual_add_f32 v2, v3, v5
	v_add_f32_e32 v3, v38, v37
	s_delay_alu instid0(VALU_DEP_2) | instskip(NEXT) | instid1(VALU_DEP_2)
	v_add_f32_e32 v5, v6, v2
	v_sub_f32_e32 v38, v3, v38
	s_delay_alu instid0(VALU_DEP_2) | instskip(NEXT) | instid1(VALU_DEP_2)
	v_dual_add_f32 v7, v3, v5 :: v_dual_sub_f32 v6, v5, v6
	v_sub_f32_e32 v37, v37, v38
	s_delay_alu instid0(VALU_DEP_2) | instskip(NEXT) | instid1(VALU_DEP_1)
	v_dual_sub_f32 v39, v7, v3 :: v_dual_sub_f32 v2, v2, v6
	v_sub_f32_e32 v40, v7, v39
	v_sub_f32_e32 v5, v5, v39
	s_delay_alu instid0(VALU_DEP_2) | instskip(NEXT) | instid1(VALU_DEP_1)
	v_dual_add_f32 v6, v37, v2 :: v_dual_sub_f32 v3, v3, v40
	v_add_f32_e32 v3, v5, v3
	s_delay_alu instid0(VALU_DEP_2) | instskip(NEXT) | instid1(VALU_DEP_2)
	v_sub_f32_e32 v5, v6, v37
	v_add_f32_e32 v3, v6, v3
	s_delay_alu instid0(VALU_DEP_2) | instskip(SKIP_1) | instid1(VALU_DEP_3)
	v_sub_f32_e32 v6, v6, v5
	v_sub_f32_e32 v2, v2, v5
	v_add_f32_e32 v38, v7, v3
	s_delay_alu instid0(VALU_DEP_1) | instskip(NEXT) | instid1(VALU_DEP_1)
	v_dual_sub_f32 v6, v37, v6 :: v_dual_sub_f32 v5, v38, v7
	v_dual_add_f32 v2, v2, v6 :: v_dual_sub_f32 v3, v3, v5
	s_delay_alu instid0(VALU_DEP_1) | instskip(NEXT) | instid1(VALU_DEP_1)
	v_add_f32_e32 v2, v2, v3
	v_add_f32_e32 v2, v38, v2
	s_delay_alu instid0(VALU_DEP_1)
	v_cndmask_b32_e32 v42, v2, v4, vcc_lo
.LBB37_34:                              ;   in Loop: Header=BB37_12 Depth=1
	s_or_b32 exec_lo, exec_lo, s17
	v_lshlrev_b32_e32 v2, 16, v1
	v_and_b32_e32 v3, 0xffff0000, v0
	v_lshlrev_b32_e32 v0, 16, v0
	v_and_b32_e32 v1, 0xffff0000, v1
	s_and_b32 vcc_lo, exec_lo, s60
	s_delay_alu instid0(VALU_DEP_3) | instskip(NEXT) | instid1(VALU_DEP_2)
	v_dual_mul_f32 v37, s53, v2 :: v_dual_mul_f32 v40, s53, v3
	v_dual_mul_f32 v38, s53, v0 :: v_dual_mul_f32 v39, s53, v1
	s_barrier
	buffer_gl0_inv
	s_cbranch_vccz .LBB37_82
; %bb.35:                               ;   in Loop: Header=BB37_12 Depth=1
	v_dual_mul_f32 v43, v42, v1 :: v_dual_mul_f32 v48, v41, v2
	v_add_co_u32 v1, s16, s49, v33
	s_delay_alu instid0(VALU_DEP_1) | instskip(SKIP_1) | instid1(VALU_DEP_1)
	v_add_co_ci_u32_e64 v4, null, s50, 0, s16
	v_add_co_u32 v5, s16, s37, v33
	v_add_co_ci_u32_e64 v6, null, s55, 0, s16
	s_delay_alu instid0(VALU_DEP_4) | instskip(NEXT) | instid1(VALU_DEP_4)
	v_add_co_u32 v44, vcc_lo, v1, v34
	v_add_co_ci_u32_e32 v45, vcc_lo, 0, v4, vcc_lo
	s_delay_alu instid0(VALU_DEP_4) | instskip(NEXT) | instid1(VALU_DEP_4)
	v_add_co_u32 v46, vcc_lo, v5, v34
	v_add_co_ci_u32_e32 v47, vcc_lo, 0, v6, vcc_lo
	v_cmp_gt_u32_e32 vcc_lo, s19, v8
	v_cmp_gt_u32_e64 s17, s19, v30
	v_cmp_gt_u32_e64 s18, s19, v31
	;; [unrolled: 1-line block ×3, first 2 shown]
	s_cmp_lg_u32 s43, 0
	v_dual_mul_f32 v49, v36, v3 :: v_dual_mul_f32 v50, v35, v0
	s_mov_b32 s28, 0
	s_cselect_b32 s25, -1, 0
	s_cmp_eq_u32 s43, s62
	s_mov_b32 s26, s28
	s_cselect_b32 s63, -1, 0
	s_or_b32 s16, s61, vcc_lo
	s_or_b32 s17, s61, s17
	s_or_b32 s18, s61, s18
	s_or_b32 s19, s61, s19
	s_mov_b32 s30, s28
	s_mov_b32 s38, s28
	;; [unrolled: 1-line block ×4, first 2 shown]
	s_branch .LBB37_37
.LBB37_36:                              ;   in Loop: Header=BB37_37 Depth=2
	s_or_b32 exec_lo, exec_lo, s20
	v_cndmask_b32_e64 v2, v60, v7, s11
	v_cndmask_b32_e64 v3, v59, v6, s11
	s_add_i32 s64, s64, -1
	s_add_i32 s65, s65, 8
	s_add_i32 s38, s38, s54
	v_fma_f32 v2, v2, v58, v56
	v_mul_f32_e32 v3, v3, v58
	s_add_i32 s30, s30, s36
	s_add_i32 s26, s26, s48
	;; [unrolled: 1-line block ×3, first 2 shown]
	v_cndmask_b32_e64 v2, v2, v56, s10
	v_cndmask_b32_e64 v3, v3, v58, s10
	s_cmp_eq_u32 s64, 0
	s_waitcnt lgkmcnt(0)
	s_delay_alu instid0(VALU_DEP_1) | instskip(NEXT) | instid1(VALU_DEP_1)
	v_dual_fmac_f32 v2, v4, v3 :: v_dual_and_b32 v3, 0xffff0000, v0
	v_dual_fmac_f32 v51, v2, v57 :: v_dual_lshlrev_b32 v0, 16, v0
	s_delay_alu instid0(VALU_DEP_1) | instskip(SKIP_1) | instid1(VALU_DEP_3)
	v_fmac_f32_e32 v52, v51, v55
	v_and_b32_e32 v4, 0xffff0000, v1
	v_dual_fmac_f32 v38, v2, v0 :: v_dual_lshlrev_b32 v1, 16, v1
	s_delay_alu instid0(VALU_DEP_3) | instskip(NEXT) | instid1(VALU_DEP_2)
	v_dual_fmac_f32 v53, v52, v54 :: v_dual_fmac_f32 v40, v51, v3
	v_fmac_f32_e32 v37, v52, v1
	s_delay_alu instid0(VALU_DEP_2)
	v_fmac_f32_e32 v39, v53, v4
	s_cbranch_scc1 .LBB37_82
.LBB37_37:                              ;   Parent Loop BB37_12 Depth=1
                                        ; =>  This Inner Loop Header: Depth=2
	s_lshl_b64 s[20:21], s[28:29], 2
	s_mov_b32 s27, s29
	s_add_u32 s20, s51, s20
	s_addc_u32 s21, s46, s21
	v_dual_mov_b32 v2, 0 :: v_dual_mov_b32 v3, 0
	global_load_b32 v6, v12, s[20:21]
	s_lshl_b64 s[20:21], s[26:27], 1
	s_delay_alu instid0(SALU_CYCLE_1)
	v_add_co_u32 v0, vcc_lo, v44, s20
	v_add_co_ci_u32_e32 v1, vcc_lo, s21, v45, vcc_lo
	s_and_saveexec_b32 s20, s12
	s_cbranch_execz .LBB37_39
; %bb.38:                               ;   in Loop: Header=BB37_37 Depth=2
	global_load_u16 v3, v[0:1], off
.LBB37_39:                              ;   in Loop: Header=BB37_37 Depth=2
	s_or_b32 exec_lo, exec_lo, s20
	s_and_saveexec_b32 s20, s13
	s_cbranch_execz .LBB37_41
; %bb.40:                               ;   in Loop: Header=BB37_37 Depth=2
	global_load_u16 v2, v[0:1], off offset:64
.LBB37_41:                              ;   in Loop: Header=BB37_37 Depth=2
	s_or_b32 exec_lo, exec_lo, s20
	v_dual_mov_b32 v4, 0 :: v_dual_mov_b32 v5, 0
	s_and_saveexec_b32 s20, s14
	s_cbranch_execz .LBB37_43
; %bb.42:                               ;   in Loop: Header=BB37_37 Depth=2
	global_load_u16 v5, v[0:1], off offset:128
.LBB37_43:                              ;   in Loop: Header=BB37_37 Depth=2
	s_or_b32 exec_lo, exec_lo, s20
	s_and_saveexec_b32 s20, s15
	s_cbranch_execz .LBB37_45
; %bb.44:                               ;   in Loop: Header=BB37_37 Depth=2
	global_load_u16 v4, v[0:1], off offset:192
.LBB37_45:                              ;   in Loop: Header=BB37_37 Depth=2
	s_or_b32 exec_lo, exec_lo, s20
	s_waitcnt vmcnt(0)
	ds_store_b16 v14, v3
	ds_store_b16 v14, v2 offset:64
	ds_store_b16 v15, v5 offset:128
	ds_store_b16 v16, v4 offset:192
	; wave barrier
	ds_load_b64 v[4:5], v17
	s_mov_b32 s31, s29
	v_dual_mov_b32 v2, 0 :: v_dual_mov_b32 v3, 0
	s_lshl_b64 s[20:21], s[30:31], 1
	s_delay_alu instid0(SALU_CYCLE_1)
	v_add_co_u32 v0, vcc_lo, v46, s20
	v_add_co_ci_u32_e32 v1, vcc_lo, s21, v47, vcc_lo
	s_and_saveexec_b32 s20, s12
	s_cbranch_execz .LBB37_47
; %bb.46:                               ;   in Loop: Header=BB37_37 Depth=2
	global_load_u16 v3, v[0:1], off
.LBB37_47:                              ;   in Loop: Header=BB37_37 Depth=2
	s_or_b32 exec_lo, exec_lo, s20
	s_and_saveexec_b32 s20, s13
	s_cbranch_execz .LBB37_49
; %bb.48:                               ;   in Loop: Header=BB37_37 Depth=2
	global_load_u16 v2, v[0:1], off offset:64
.LBB37_49:                              ;   in Loop: Header=BB37_37 Depth=2
	s_or_b32 exec_lo, exec_lo, s20
	v_mov_b32_e32 v7, 0
	v_mov_b32_e32 v51, 0
	s_and_saveexec_b32 s20, s14
	s_cbranch_execz .LBB37_51
; %bb.50:                               ;   in Loop: Header=BB37_37 Depth=2
	global_load_u16 v51, v[0:1], off offset:128
.LBB37_51:                              ;   in Loop: Header=BB37_37 Depth=2
	s_or_b32 exec_lo, exec_lo, s20
	s_and_saveexec_b32 s20, s15
	s_cbranch_execz .LBB37_53
; %bb.52:                               ;   in Loop: Header=BB37_37 Depth=2
	global_load_u16 v7, v[0:1], off offset:192
.LBB37_53:                              ;   in Loop: Header=BB37_37 Depth=2
	s_or_b32 exec_lo, exec_lo, s20
	s_waitcnt vmcnt(0)
	ds_store_b16 v14, v3 offset:528
	ds_store_b16 v18, v2 offset:64
	;; [unrolled: 1-line block ×4, first 2 shown]
	; wave barrier
	ds_load_b64 v[0:1], v17 offset:528
	s_and_not1_b32 vcc_lo, exec_lo, s25
	s_cbranch_vccnz .LBB37_55
; %bb.54:                               ;   in Loop: Header=BB37_37 Depth=2
	v_mov_b32_e32 v2, s65
	ds_load_b64 v[2:3], v2
	s_cbranch_execz .LBB37_56
	s_branch .LBB37_59
.LBB37_55:                              ;   in Loop: Header=BB37_37 Depth=2
                                        ; implicit-def: $vgpr2
.LBB37_56:                              ;   in Loop: Header=BB37_37 Depth=2
	s_waitcnt lgkmcnt(0)
	v_mov_b32_e32 v3, 0
	s_and_not1_b32 vcc_lo, exec_lo, s33
	s_cbranch_vccnz .LBB37_58
; %bb.57:                               ;   in Loop: Header=BB37_37 Depth=2
	s_mov_b32 s39, s29
	s_delay_alu instid0(SALU_CYCLE_1) | instskip(NEXT) | instid1(SALU_CYCLE_1)
	s_lshl_b64 s[20:21], s[38:39], 2
	s_add_u32 s20, s56, s20
	s_addc_u32 s21, s57, s21
	global_load_b32 v3, v12, s[20:21]
.LBB37_58:                              ;   in Loop: Header=BB37_37 Depth=2
	v_mov_b32_e32 v2, 1.0
.LBB37_59:                              ;   in Loop: Header=BB37_37 Depth=2
	s_waitcnt lgkmcnt(5)
	v_dual_mul_f32 v6, 0x3fb8aa3b, v6 :: v_dual_lshlrev_b32 v7, 16, v4
	v_lshlrev_b32_e32 v51, 16, v5
	v_and_b32_e32 v4, 0xffff0000, v4
	s_delay_alu instid0(VALU_DEP_3) | instskip(NEXT) | instid1(VALU_DEP_4)
	v_mul_f32_e32 v52, v6, v35
	v_mul_f32_e32 v7, v50, v7
	s_delay_alu instid0(VALU_DEP_3) | instskip(SKIP_1) | instid1(VALU_DEP_4)
	v_dual_mul_f32 v55, v6, v42 :: v_dual_mul_f32 v4, v49, v4
	v_dual_mul_f32 v54, v6, v41 :: v_dual_mul_f32 v59, v48, v51
	v_cmp_gt_f32_e32 vcc_lo, 0xc2fc0000, v52
	s_delay_alu instid0(VALU_DEP_3) | instskip(NEXT) | instid1(VALU_DEP_3)
	v_cmp_gt_f32_e64 s22, 0xc2fc0000, v55
	v_cmp_gt_f32_e64 s21, 0xc2fc0000, v54
	v_cndmask_b32_e64 v52, 0, 0x42800000, vcc_lo
	v_and_b32_e32 v5, 0xffff0000, v5
	s_delay_alu instid0(VALU_DEP_4) | instskip(SKIP_4) | instid1(VALU_DEP_3)
	v_cndmask_b32_e64 v55, 0, 0x42800000, s22
	v_cndmask_b32_e64 v56, 1.0, 0x1f800000, vcc_lo
	v_cndmask_b32_e64 v54, 0, 0x42800000, s21
	v_fmac_f32_e32 v52, v6, v35
	v_cndmask_b32_e64 v51, 1.0, 0x1f800000, s21
	v_fmac_f32_e32 v54, v6, v41
	s_delay_alu instid0(VALU_DEP_3) | instskip(SKIP_1) | instid1(VALU_DEP_2)
	v_exp_f32_e32 v52, v52
	v_fmac_f32_e32 v55, v6, v42
	v_exp_f32_e32 v54, v54
	s_waitcnt_depctr 0xfff
	v_mul_f32_e32 v52, v52, v56
	v_cndmask_b32_e64 v56, 0, v7, s16
	v_exp_f32_e32 v7, v55
	s_delay_alu instid0(VALU_DEP_2) | instskip(SKIP_2) | instid1(VALU_DEP_2)
	v_cndmask_b32_e64 v58, 1.0, v52, s16
	v_mul_f32_e32 v53, v6, v36
	v_cndmask_b32_e64 v52, 0, v59, s18
	v_cmp_gt_f32_e64 s20, 0xc2fc0000, v53
	s_delay_alu instid0(VALU_DEP_1) | instskip(NEXT) | instid1(VALU_DEP_1)
	v_cndmask_b32_e64 v53, 0, 0x42800000, s20
	v_fmac_f32_e32 v53, v6, v36
	v_cndmask_b32_e64 v6, 1.0, 0x1f800000, s20
	s_delay_alu instid0(VALU_DEP_2) | instskip(SKIP_4) | instid1(VALU_DEP_3)
	v_exp_f32_e32 v53, v53
	s_waitcnt_depctr 0xfff
	v_dual_mul_f32 v6, v53, v6 :: v_dual_mul_f32 v53, v54, v51
	v_cndmask_b32_e64 v51, 0, v4, s17
	v_cndmask_b32_e64 v4, 1.0, 0x1f800000, s22
	v_cndmask_b32_e64 v57, 1.0, v6, s17
	s_delay_alu instid0(VALU_DEP_4) | instskip(NEXT) | instid1(VALU_DEP_3)
	v_cndmask_b32_e64 v55, 1.0, v53, s18
	v_mul_f32_e32 v4, v7, v4
	s_delay_alu instid0(VALU_DEP_3) | instskip(SKIP_1) | instid1(VALU_DEP_3)
	v_dual_mul_f32 v6, v57, v58 :: v_dual_mul_f32 v5, v43, v5
	v_fma_f32 v7, v57, v56, v51
	v_cndmask_b32_e64 v54, 1.0, v4, s19
	s_delay_alu instid0(VALU_DEP_3) | instskip(NEXT) | instid1(VALU_DEP_4)
	v_mul_f32_e32 v4, v6, v55
	v_cndmask_b32_e64 v53, 0, v5, s19
	s_delay_alu instid0(VALU_DEP_4) | instskip(NEXT) | instid1(VALU_DEP_3)
	v_fma_f32 v5, v7, v55, v52
	v_mul_f32_e32 v4, v4, v54
	s_delay_alu instid0(VALU_DEP_2) | instskip(NEXT) | instid1(VALU_DEP_2)
	v_fma_f32 v5, v5, v54, v53
	v_mov_b32_dpp v7, v4 row_shr:1 row_mask:0xf bank_mask:0xf
	s_delay_alu instid0(VALU_DEP_2)
	v_mov_b32_dpp v6, v5 row_shr:1 row_mask:0xf bank_mask:0xf
	s_and_saveexec_b32 s20, s0
; %bb.60:                               ;   in Loop: Header=BB37_37 Depth=2
	s_delay_alu instid0(VALU_DEP_2) | instskip(NEXT) | instid1(VALU_DEP_1)
	v_mul_f32_e32 v7, v4, v7
	v_dual_fmac_f32 v5, v4, v6 :: v_dual_mov_b32 v4, v7
; %bb.61:                               ;   in Loop: Header=BB37_37 Depth=2
	s_or_b32 exec_lo, exec_lo, s20
	s_delay_alu instid0(VALU_DEP_1) | instskip(NEXT) | instid1(VALU_DEP_2)
	v_mov_b32_dpp v6, v4 row_shr:2 row_mask:0xf bank_mask:0xf
	v_mov_b32_dpp v7, v5 row_shr:2 row_mask:0xf bank_mask:0xf
	s_and_saveexec_b32 s20, s1
; %bb.62:                               ;   in Loop: Header=BB37_37 Depth=2
	s_delay_alu instid0(VALU_DEP_1) | instskip(NEXT) | instid1(VALU_DEP_3)
	v_fmac_f32_e32 v5, v4, v7
	v_mul_f32_e32 v4, v4, v6
; %bb.63:                               ;   in Loop: Header=BB37_37 Depth=2
	s_or_b32 exec_lo, exec_lo, s20
	s_delay_alu instid0(VALU_DEP_1) | instskip(NEXT) | instid1(VALU_DEP_3)
	v_mov_b32_dpp v6, v4 row_shr:4 row_mask:0xf bank_mask:0xf
	v_mov_b32_dpp v7, v5 row_shr:4 row_mask:0xf bank_mask:0xf
	s_and_saveexec_b32 s20, s2
; %bb.64:                               ;   in Loop: Header=BB37_37 Depth=2
	s_delay_alu instid0(VALU_DEP_1) | instskip(NEXT) | instid1(VALU_DEP_3)
	v_fmac_f32_e32 v5, v4, v7
	v_mul_f32_e32 v4, v4, v6
; %bb.65:                               ;   in Loop: Header=BB37_37 Depth=2
	s_or_b32 exec_lo, exec_lo, s20
	s_delay_alu instid0(VALU_DEP_1) | instskip(NEXT) | instid1(VALU_DEP_3)
	v_mov_b32_dpp v6, v4 row_shr:8 row_mask:0xf bank_mask:0xf
	v_mov_b32_dpp v7, v5 row_shr:8 row_mask:0xf bank_mask:0xf
	s_and_saveexec_b32 s20, s3
; %bb.66:                               ;   in Loop: Header=BB37_37 Depth=2
	s_delay_alu instid0(VALU_DEP_1) | instskip(NEXT) | instid1(VALU_DEP_3)
	v_fmac_f32_e32 v5, v4, v7
	v_mul_f32_e32 v4, v4, v6
; %bb.67:                               ;   in Loop: Header=BB37_37 Depth=2
	s_or_b32 exec_lo, exec_lo, s20
	ds_swizzle_b32 v7, v4 offset:swizzle(BROADCAST,32,15)
	ds_swizzle_b32 v6, v5 offset:swizzle(BROADCAST,32,15)
	s_and_saveexec_b32 s20, s4
	s_cbranch_execz .LBB37_69
; %bb.68:                               ;   in Loop: Header=BB37_37 Depth=2
	s_waitcnt lgkmcnt(1)
	v_mul_f32_e32 v7, v4, v7
	s_waitcnt lgkmcnt(0)
	s_delay_alu instid0(VALU_DEP_1)
	v_dual_fmac_f32 v5, v4, v6 :: v_dual_mov_b32 v4, v7
.LBB37_69:                              ;   in Loop: Header=BB37_37 Depth=2
	s_or_b32 exec_lo, exec_lo, s20
	s_and_saveexec_b32 s20, s5
	s_cbranch_execz .LBB37_71
; %bb.70:                               ;   in Loop: Header=BB37_37 Depth=2
	ds_store_b64 v21, v[4:5] offset:1056
.LBB37_71:                              ;   in Loop: Header=BB37_37 Depth=2
	s_or_b32 exec_lo, exec_lo, s20
	s_waitcnt vmcnt(0) lgkmcnt(0)
	s_waitcnt_vscnt null, 0x0
	s_barrier
	buffer_gl0_inv
	s_and_saveexec_b32 s20, s6
	s_cbranch_execz .LBB37_73
; %bb.72:                               ;   in Loop: Header=BB37_37 Depth=2
	ds_load_b64 v[6:7], v22 offset:1056
	s_waitcnt lgkmcnt(0)
	v_mov_b32_dpp v59, v6 row_shr:1 row_mask:0xf bank_mask:0xf
	v_mov_b32_dpp v60, v7 row_shr:1 row_mask:0xf bank_mask:0xf
	s_delay_alu instid0(VALU_DEP_2) | instskip(NEXT) | instid1(VALU_DEP_2)
	v_mul_f32_e32 v59, v6, v59
	v_fma_f32 v60, v6, v60, v7
	s_delay_alu instid0(VALU_DEP_2) | instskip(NEXT) | instid1(VALU_DEP_2)
	v_cndmask_b32_e64 v6, v59, v6, s7
	v_cndmask_b32_e64 v7, v60, v7, s7
	ds_store_b64 v22, v[6:7] offset:1056
.LBB37_73:                              ;   in Loop: Header=BB37_37 Depth=2
	s_or_b32 exec_lo, exec_lo, s20
	s_waitcnt lgkmcnt(0)
	s_barrier
	buffer_gl0_inv
                                        ; implicit-def: $vgpr7
	s_and_saveexec_b32 s20, s9
	s_cbranch_execz .LBB37_75
; %bb.74:                               ;   in Loop: Header=BB37_37 Depth=2
	ds_load_b64 v[6:7], v21 offset:1048
	s_waitcnt lgkmcnt(0)
	v_mul_f32_e32 v59, v4, v6
	s_delay_alu instid0(VALU_DEP_1)
	v_dual_fmac_f32 v5, v4, v7 :: v_dual_mov_b32 v4, v59
.LBB37_75:                              ;   in Loop: Header=BB37_37 Depth=2
	s_or_b32 exec_lo, exec_lo, s20
	ds_bpermute_b32 v59, v23, v4
	ds_bpermute_b32 v60, v23, v5
	s_and_saveexec_b32 s20, s8
	s_cbranch_execz .LBB37_79
; %bb.76:                               ;   in Loop: Header=BB37_37 Depth=2
	ds_load_b64 v[4:5], v12 offset:1064
	s_and_saveexec_b32 s21, s10
	s_cbranch_execz .LBB37_78
; %bb.77:                               ;   in Loop: Header=BB37_37 Depth=2
	ds_store_b64 v12, v[2:3] offset:1064
.LBB37_78:                              ;   in Loop: Header=BB37_37 Depth=2
	s_or_b32 exec_lo, exec_lo, s21
	s_waitcnt lgkmcnt(0)
	v_fmac_f32_e32 v5, v3, v4
	s_delay_alu instid0(VALU_DEP_1)
	v_dual_mul_f32 v2, v2, v4 :: v_dual_mov_b32 v3, v5
.LBB37_79:                              ;   in Loop: Header=BB37_37 Depth=2
	s_or_b32 exec_lo, exec_lo, s20
	s_waitcnt lgkmcnt(0)
	s_barrier
	buffer_gl0_inv
	ds_load_b32 v4, v12 offset:1068
	s_and_saveexec_b32 s20, s10
	s_cbranch_execz .LBB37_36
; %bb.80:                               ;   in Loop: Header=BB37_37 Depth=2
	v_mov_b32_e32 v5, s65
	s_and_not1_b32 vcc_lo, exec_lo, s63
	ds_store_b64 v5, v[2:3]
	s_cbranch_vccnz .LBB37_36
; %bb.81:                               ;   in Loop: Header=BB37_37 Depth=2
	s_mov_b32 s39, s29
	s_delay_alu instid0(SALU_CYCLE_1) | instskip(NEXT) | instid1(SALU_CYCLE_1)
	s_lshl_b64 s[66:67], s[38:39], 2
	s_add_u32 s66, s56, s66
	s_addc_u32 s67, s57, s67
	global_store_b32 v12, v3, s[66:67]
	s_branch .LBB37_36
.LBB37_82:                              ;   in Loop: Header=BB37_12 Depth=1
	v_bfe_u32 v0, v38, 16, 1
	s_delay_alu instid0(VALU_DEP_3) | instskip(NEXT) | instid1(VALU_DEP_3)
	v_bfe_u32 v2, v37, 16, 1
	v_bfe_u32 v3, v39, 16, 1
	v_cmp_o_f32_e32 vcc_lo, v38, v38
	v_bfe_u32 v1, v40, 16, 1
	v_add3_u32 v0, v38, v0, 0x7fff
	v_add3_u32 v2, v37, v2, 0x7fff
	v_add3_u32 v3, v39, v3, 0x7fff
	s_waitcnt_vscnt null, 0x0
	v_add3_u32 v1, v40, v1, 0x7fff
	v_lshrrev_b32_e32 v0, 16, v0
	v_lshrrev_b32_e32 v2, 16, v2
	;; [unrolled: 1-line block ×3, first 2 shown]
	s_barrier
	v_lshrrev_b32_e32 v1, 16, v1
	v_cndmask_b32_e32 v0, 0x7fc0, v0, vcc_lo
	v_cmp_o_f32_e32 vcc_lo, v37, v37
	buffer_gl0_inv
	s_mov_b32 s25, s29
	s_delay_alu instid0(SALU_CYCLE_1)
	s_lshl_b64 s[20:21], s[24:25], 1
	v_cndmask_b32_e32 v2, 0x7fc0, v2, vcc_lo
	v_cmp_o_f32_e32 vcc_lo, v39, v39
	v_cndmask_b32_e32 v3, 0x7fc0, v3, vcc_lo
	v_cmp_o_f32_e32 vcc_lo, v40, v40
	v_cndmask_b32_e32 v4, 0x7fc0, v1, vcc_lo
	s_delay_alu instid0(VALU_DEP_3) | instskip(NEXT) | instid1(VALU_DEP_2)
	v_perm_b32 v1, v3, v2, 0x5040100
	v_perm_b32 v0, v4, v0, 0x5040100
	ds_store_b64 v17, v[0:1]
	; wave barrier
	ds_load_u16 v4, v14 offset:64
	ds_load_u16 v3, v15 offset:128
	;; [unrolled: 1-line block ×3, first 2 shown]
	v_add_co_u32 v0, vcc_lo, v24, s20
	v_add_co_ci_u32_e32 v1, vcc_lo, s21, v25, vcc_lo
	s_and_saveexec_b32 s16, s12
	s_cbranch_execnz .LBB37_101
; %bb.83:                               ;   in Loop: Header=BB37_12 Depth=1
	s_or_b32 exec_lo, exec_lo, s16
	s_and_saveexec_b32 s16, s13
	s_cbranch_execnz .LBB37_102
.LBB37_84:                              ;   in Loop: Header=BB37_12 Depth=1
	s_or_b32 exec_lo, exec_lo, s16
	s_and_saveexec_b32 s16, s14
	s_cbranch_execnz .LBB37_103
.LBB37_85:                              ;   in Loop: Header=BB37_12 Depth=1
	s_or_b32 exec_lo, exec_lo, s16
	s_and_saveexec_b32 s16, s15
	s_cbranch_execz .LBB37_87
.LBB37_86:                              ;   in Loop: Header=BB37_12 Depth=1
	s_waitcnt lgkmcnt(0)
	global_store_b16 v[0:1], v2, off offset:192
.LBB37_87:                              ;   in Loop: Header=BB37_12 Depth=1
	s_or_b32 exec_lo, exec_lo, s16
	v_add_co_u32 v0, vcc_lo, v26, s20
	v_add_co_ci_u32_e32 v1, vcc_lo, s21, v27, vcc_lo
	s_waitcnt lgkmcnt(0)
	v_dual_mov_b32 v2, 0 :: v_dual_mov_b32 v3, 0
	s_waitcnt_vscnt null, 0x0
	s_barrier
	buffer_gl0_inv
	s_and_saveexec_b32 s16, s12
	s_cbranch_execz .LBB37_89
; %bb.88:                               ;   in Loop: Header=BB37_12 Depth=1
	global_load_u16 v3, v[0:1], off
.LBB37_89:                              ;   in Loop: Header=BB37_12 Depth=1
	s_or_b32 exec_lo, exec_lo, s16
	s_and_saveexec_b32 s16, s13
	s_cbranch_execz .LBB37_91
; %bb.90:                               ;   in Loop: Header=BB37_12 Depth=1
	global_load_u16 v2, v[0:1], off offset:64
.LBB37_91:                              ;   in Loop: Header=BB37_12 Depth=1
	s_or_b32 exec_lo, exec_lo, s16
	v_dual_mov_b32 v4, 0 :: v_dual_mov_b32 v5, 0
	s_and_saveexec_b32 s16, s14
	s_cbranch_execz .LBB37_93
; %bb.92:                               ;   in Loop: Header=BB37_12 Depth=1
	global_load_u16 v5, v[0:1], off offset:128
.LBB37_93:                              ;   in Loop: Header=BB37_12 Depth=1
	s_or_b32 exec_lo, exec_lo, s16
	s_and_saveexec_b32 s16, s15
	s_cbranch_execz .LBB37_95
; %bb.94:                               ;   in Loop: Header=BB37_12 Depth=1
	global_load_u16 v4, v[0:1], off offset:192
.LBB37_95:                              ;   in Loop: Header=BB37_12 Depth=1
	s_or_b32 exec_lo, exec_lo, s16
	s_waitcnt vmcnt(0)
	ds_store_b16 v14, v3
	ds_store_b16 v14, v2 offset:64
	ds_store_b16 v15, v5 offset:128
	;; [unrolled: 1-line block ×3, first 2 shown]
	; wave barrier
	ds_load_b64 v[0:1], v17
	s_waitcnt lgkmcnt(0)
	s_barrier
	buffer_gl0_inv
	v_and_b32_e32 v2, 0xffff0000, v0
	v_and_b32_e32 v3, 0xffff0000, v1
	v_lshlrev_b32_e32 v1, 16, v1
	s_delay_alu instid0(VALU_DEP_1) | instskip(NEXT) | instid1(VALU_DEP_1)
	v_dual_mul_f32 v7, 0xbfb8aa3b, v1 :: v_dual_lshlrev_b32 v0, 16, v0
	v_mul_f32_e32 v5, 0xbfb8aa3b, v0
	s_delay_alu instid0(VALU_DEP_2) | instskip(NEXT) | instid1(VALU_DEP_2)
	v_rndne_f32_e32 v45, v7
	v_rndne_f32_e32 v41, v5
	v_fma_f32 v42, 0xbfb8aa3b, v0, -v5
	s_delay_alu instid0(VALU_DEP_2) | instskip(SKIP_2) | instid1(VALU_DEP_4)
	v_dual_sub_f32 v5, v5, v41 :: v_dual_mul_f32 v4, 0xbfb8aa3b, v2
	v_fma_f32 v46, 0xbfb8aa3b, v1, -v7
	v_cmp_nlt_f32_e32 vcc_lo, 0x42ce8ed0, v2
	v_fmac_f32_e32 v42, 0xb2a5705f, v0
	s_delay_alu instid0(VALU_DEP_4) | instskip(SKIP_1) | instid1(VALU_DEP_3)
	v_fma_f32 v35, 0xbfb8aa3b, v2, -v4
	v_rndne_f32_e32 v36, v4
	v_dual_fmac_f32 v46, 0xb2a5705f, v1 :: v_dual_add_f32 v5, v5, v42
	v_cvt_i32_f32_e32 v42, v45
	s_delay_alu instid0(VALU_DEP_3) | instskip(SKIP_1) | instid1(VALU_DEP_4)
	v_dual_fmac_f32 v35, 0xb2a5705f, v2 :: v_dual_sub_f32 v4, v4, v36
	v_dual_mul_f32 v6, 0xbfb8aa3b, v3 :: v_dual_sub_f32 v7, v7, v45
	v_exp_f32_e32 v5, v5
	s_delay_alu instid0(VALU_DEP_2) | instskip(NEXT) | instid1(VALU_DEP_2)
	v_add_f32_e32 v4, v4, v35
	v_fma_f32 v43, 0xbfb8aa3b, v3, -v6
	v_rndne_f32_e32 v44, v6
	v_cvt_i32_f32_e32 v35, v36
	v_add_f32_e32 v7, v7, v46
	v_exp_f32_e32 v4, v4
	s_delay_alu instid0(VALU_DEP_3) | instskip(SKIP_1) | instid1(VALU_DEP_3)
	v_dual_fmac_f32 v43, 0xb2a5705f, v3 :: v_dual_sub_f32 v6, v6, v44
	v_cvt_i32_f32_e32 v36, v41
	v_exp_f32_e32 v7, v7
	v_cvt_i32_f32_e32 v41, v44
	s_delay_alu instid0(VALU_DEP_3) | instskip(NEXT) | instid1(VALU_DEP_3)
	v_add_f32_e32 v6, v6, v43
	v_ldexp_f32 v5, v5, v36
	s_delay_alu instid0(TRANS32_DEP_2) | instskip(NEXT) | instid1(VALU_DEP_3)
	v_ldexp_f32 v4, v4, v35
	v_exp_f32_e32 v6, v6
	s_waitcnt_depctr 0xfff
	v_ldexp_f32 v7, v7, v42
	v_cndmask_b32_e32 v4, 0, v4, vcc_lo
	v_cmp_nlt_f32_e32 vcc_lo, 0x42ce8ed0, v0
	v_cndmask_b32_e32 v5, 0, v5, vcc_lo
	v_ldexp_f32 v6, v6, v41
	v_cmp_nlt_f32_e32 vcc_lo, 0x42ce8ed0, v3
	s_delay_alu instid0(VALU_DEP_2)
	v_cndmask_b32_e32 v6, 0, v6, vcc_lo
	v_cmp_nlt_f32_e32 vcc_lo, 0x42ce8ed0, v1
	v_cndmask_b32_e32 v7, 0, v7, vcc_lo
	v_cmp_ngt_f32_e32 vcc_lo, 0xc2b17218, v2
	v_cndmask_b32_e32 v4, 0x7f800000, v4, vcc_lo
	v_cmp_ngt_f32_e32 vcc_lo, 0xc2b17218, v0
	;; [unrolled: 2-line block ×3, first 2 shown]
	s_delay_alu instid0(VALU_DEP_2) | instskip(SKIP_2) | instid1(VALU_DEP_3)
	v_dual_add_f32 v5, 1.0, v5 :: v_dual_add_f32 v4, 1.0, v4
	v_cndmask_b32_e32 v6, 0x7f800000, v6, vcc_lo
	v_cmp_ngt_f32_e32 vcc_lo, 0xc2b17218, v1
	v_div_scale_f32 v36, null, v5, v5, v0
	s_delay_alu instid0(VALU_DEP_4) | instskip(SKIP_1) | instid1(VALU_DEP_3)
	v_div_scale_f32 v35, null, v4, v4, v2
	v_cndmask_b32_e32 v7, 0x7f800000, v7, vcc_lo
	v_rcp_f32_e32 v44, v36
	v_div_scale_f32 v47, vcc_lo, v2, v4, v2
	s_delay_alu instid0(VALU_DEP_3) | instskip(NEXT) | instid1(VALU_DEP_2)
	v_rcp_f32_e32 v43, v35
	v_dual_add_f32 v7, 1.0, v7 :: v_dual_add_f32 v6, 1.0, v6
	v_div_scale_f32 v48, s16, v0, v5, v0
	s_delay_alu instid0(VALU_DEP_2) | instskip(NEXT) | instid1(VALU_DEP_3)
	v_div_scale_f32 v42, null, v7, v7, v1
	v_div_scale_f32 v41, null, v6, v6, v3
	s_waitcnt_depctr 0xfff
	v_fma_f32 v50, -v35, v43, 1.0
	v_rcp_f32_e32 v46, v42
	v_fma_f32 v51, -v36, v44, 1.0
	v_rcp_f32_e32 v45, v41
	v_div_scale_f32 v49, s17, v3, v6, v3
	s_delay_alu instid0(VALU_DEP_2)
	v_dual_fmac_f32 v43, v50, v43 :: v_dual_fmac_f32 v44, v51, v44
	v_div_scale_f32 v54, s18, v1, v7, v1
	s_waitcnt_depctr 0xfff
	v_fma_f32 v53, -v42, v46, 1.0
	v_dual_mul_f32 v50, v47, v43 :: v_dual_mul_f32 v51, v48, v44
	v_fma_f32 v52, -v41, v45, 1.0
	s_delay_alu instid0(VALU_DEP_3) | instskip(NEXT) | instid1(VALU_DEP_3)
	v_fmac_f32_e32 v46, v53, v46
	v_fma_f32 v55, -v35, v50, v47
	s_delay_alu instid0(VALU_DEP_4) | instskip(NEXT) | instid1(VALU_DEP_4)
	v_fma_f32 v56, -v36, v51, v48
	v_fmac_f32_e32 v45, v52, v45
	s_delay_alu instid0(VALU_DEP_3) | instskip(NEXT) | instid1(VALU_DEP_2)
	v_dual_mul_f32 v53, v54, v46 :: v_dual_fmac_f32 v50, v55, v43
	v_dual_fmac_f32 v51, v56, v44 :: v_dual_mul_f32 v52, v49, v45
	s_delay_alu instid0(VALU_DEP_2) | instskip(NEXT) | instid1(VALU_DEP_3)
	v_fma_f32 v58, -v42, v53, v54
	v_fma_f32 v35, -v35, v50, v47
	s_delay_alu instid0(VALU_DEP_3) | instskip(NEXT) | instid1(VALU_DEP_4)
	v_fma_f32 v36, -v36, v51, v48
	v_fma_f32 v57, -v41, v52, v49
	s_delay_alu instid0(VALU_DEP_4) | instskip(NEXT) | instid1(VALU_DEP_4)
	v_fmac_f32_e32 v53, v58, v46
	v_div_fmas_f32 v35, v35, v43, v50
	s_mov_b32 vcc_lo, s16
	s_delay_alu instid0(VALU_DEP_3)
	v_fmac_f32_e32 v52, v57, v45
	v_div_fmas_f32 v36, v36, v44, v51
	s_mov_b32 vcc_lo, s17
	v_fma_f32 v42, -v42, v53, v54
	v_div_fixup_f32 v2, v35, v4, v2
	v_fma_f32 v41, -v41, v52, v49
	v_div_fixup_f32 v0, v36, v5, v0
	s_delay_alu instid0(VALU_DEP_2) | instskip(SKIP_2) | instid1(VALU_DEP_2)
	v_div_fmas_f32 v41, v41, v45, v52
	s_mov_b32 vcc_lo, s18
	v_div_fmas_f32 v4, v42, v46, v53
	v_div_fixup_f32 v3, v41, v6, v3
	v_mul_f32_e32 v2, v40, v2
	s_delay_alu instid0(VALU_DEP_3) | instskip(NEXT) | instid1(VALU_DEP_3)
	v_div_fixup_f32 v1, v4, v7, v1
	v_dual_mul_f32 v0, v38, v0 :: v_dual_mul_f32 v3, v39, v3
	s_delay_alu instid0(VALU_DEP_3) | instskip(SKIP_1) | instid1(VALU_DEP_4)
	v_bfe_u32 v4, v2, 16, 1
	v_cmp_o_f32_e32 vcc_lo, v2, v2
	v_mul_f32_e32 v1, v37, v1
	s_delay_alu instid0(VALU_DEP_4) | instskip(SKIP_2) | instid1(VALU_DEP_4)
	v_bfe_u32 v5, v0, 16, 1
	v_bfe_u32 v6, v3, 16, 1
	v_add3_u32 v4, v2, v4, 0x7fff
	v_bfe_u32 v7, v1, 16, 1
	s_delay_alu instid0(VALU_DEP_4) | instskip(NEXT) | instid1(VALU_DEP_4)
	v_add3_u32 v5, v0, v5, 0x7fff
	v_add3_u32 v6, v3, v6, 0x7fff
	s_delay_alu instid0(VALU_DEP_4) | instskip(NEXT) | instid1(VALU_DEP_4)
	v_lshrrev_b32_e32 v4, 16, v4
	v_add3_u32 v7, v1, v7, 0x7fff
	s_delay_alu instid0(VALU_DEP_4) | instskip(NEXT) | instid1(VALU_DEP_4)
	v_lshrrev_b32_e32 v5, 16, v5
	v_lshrrev_b32_e32 v6, 16, v6
	s_delay_alu instid0(VALU_DEP_4) | instskip(SKIP_4) | instid1(VALU_DEP_2)
	v_cndmask_b32_e32 v2, 0x7fc0, v4, vcc_lo
	v_cmp_o_f32_e32 vcc_lo, v0, v0
	v_lshrrev_b32_e32 v4, 16, v7
	v_cndmask_b32_e32 v0, 0x7fc0, v5, vcc_lo
	v_cmp_o_f32_e32 vcc_lo, v3, v3
	v_perm_b32 v0, v2, v0, 0x5040100
	v_cndmask_b32_e32 v3, 0x7fc0, v6, vcc_lo
	v_cmp_o_f32_e32 vcc_lo, v1, v1
	v_cndmask_b32_e32 v1, 0x7fc0, v4, vcc_lo
	s_delay_alu instid0(VALU_DEP_1)
	v_perm_b32 v1, v3, v1, 0x5040100
	ds_store_b64 v17, v[0:1]
	; wave barrier
	ds_load_u16 v4, v14 offset:64
	ds_load_u16 v3, v15 offset:128
	ds_load_u16 v2, v16 offset:192
	v_add_co_u32 v0, vcc_lo, v28, s20
	v_add_co_ci_u32_e32 v1, vcc_lo, s21, v29, vcc_lo
	s_and_saveexec_b32 s16, s12
	s_cbranch_execnz .LBB37_104
; %bb.96:                               ;   in Loop: Header=BB37_12 Depth=1
	s_or_b32 exec_lo, exec_lo, s16
	s_and_saveexec_b32 s12, s13
	s_cbranch_execnz .LBB37_105
.LBB37_97:                              ;   in Loop: Header=BB37_12 Depth=1
	s_or_b32 exec_lo, exec_lo, s12
	s_and_saveexec_b32 s12, s14
	s_cbranch_execnz .LBB37_106
.LBB37_98:                              ;   in Loop: Header=BB37_12 Depth=1
	s_or_b32 exec_lo, exec_lo, s12
	s_and_saveexec_b32 s12, s15
	s_cbranch_execz .LBB37_11
	s_branch .LBB37_107
.LBB37_99:                              ;   in Loop: Header=BB37_12 Depth=1
	global_load_u16 v6, v[2:3], off offset:64
	s_or_b32 exec_lo, exec_lo, s16
	s_and_saveexec_b32 s16, s14
	s_cbranch_execz .LBB37_24
.LBB37_100:                             ;   in Loop: Header=BB37_12 Depth=1
	global_load_u16 v5, v[2:3], off offset:128
	s_or_b32 exec_lo, exec_lo, s16
	v_mov_b32_e32 v7, 0
	s_and_saveexec_b32 s16, s15
	s_cbranch_execnz .LBB37_25
	s_branch .LBB37_26
.LBB37_101:                             ;   in Loop: Header=BB37_12 Depth=1
	ds_load_u16 v5, v14
	s_waitcnt lgkmcnt(0)
	global_store_b16 v[0:1], v5, off
	s_or_b32 exec_lo, exec_lo, s16
	s_and_saveexec_b32 s16, s13
	s_cbranch_execz .LBB37_84
.LBB37_102:                             ;   in Loop: Header=BB37_12 Depth=1
	s_waitcnt lgkmcnt(2)
	global_store_b16 v[0:1], v4, off offset:64
	s_or_b32 exec_lo, exec_lo, s16
	s_and_saveexec_b32 s16, s14
	s_cbranch_execz .LBB37_85
.LBB37_103:                             ;   in Loop: Header=BB37_12 Depth=1
	s_waitcnt lgkmcnt(1)
	global_store_b16 v[0:1], v3, off offset:128
	s_or_b32 exec_lo, exec_lo, s16
	s_and_saveexec_b32 s16, s15
	s_cbranch_execnz .LBB37_86
	s_branch .LBB37_87
.LBB37_104:                             ;   in Loop: Header=BB37_12 Depth=1
	ds_load_u16 v5, v14
	s_waitcnt lgkmcnt(0)
	global_store_b16 v[0:1], v5, off
	s_or_b32 exec_lo, exec_lo, s16
	s_and_saveexec_b32 s12, s13
	s_cbranch_execz .LBB37_97
.LBB37_105:                             ;   in Loop: Header=BB37_12 Depth=1
	s_waitcnt lgkmcnt(2)
	global_store_b16 v[0:1], v4, off offset:64
	s_or_b32 exec_lo, exec_lo, s12
	s_and_saveexec_b32 s12, s14
	s_cbranch_execz .LBB37_98
.LBB37_106:                             ;   in Loop: Header=BB37_12 Depth=1
	s_waitcnt lgkmcnt(1)
	global_store_b16 v[0:1], v3, off offset:128
	s_or_b32 exec_lo, exec_lo, s12
	s_and_saveexec_b32 s12, s15
	s_cbranch_execz .LBB37_11
.LBB37_107:                             ;   in Loop: Header=BB37_12 Depth=1
	s_waitcnt lgkmcnt(0)
	global_store_b16 v[0:1], v2, off offset:192
	s_branch .LBB37_11
.LBB37_108:
	s_nop 0
	s_sendmsg sendmsg(MSG_DEALLOC_VGPRS)
	s_endpgm
	.section	.rodata,"a",@progbits
	.p2align	6, 0x0
	.amdhsa_kernel _Z25selective_scan_fwd_kernelI32Selective_Scan_fwd_kernel_traitsILi64ELi4ELi1ELb0ELb1ELb1ELb1ELb0EN3c108BFloat16EffEEv13SSMParamsBase
		.amdhsa_group_segment_fixed_size 0
		.amdhsa_private_segment_fixed_size 0
		.amdhsa_kernarg_size 248
		.amdhsa_user_sgpr_count 14
		.amdhsa_user_sgpr_dispatch_ptr 0
		.amdhsa_user_sgpr_queue_ptr 0
		.amdhsa_user_sgpr_kernarg_segment_ptr 1
		.amdhsa_user_sgpr_dispatch_id 0
		.amdhsa_user_sgpr_private_segment_size 0
		.amdhsa_wavefront_size32 1
		.amdhsa_uses_dynamic_stack 0
		.amdhsa_enable_private_segment 0
		.amdhsa_system_sgpr_workgroup_id_x 1
		.amdhsa_system_sgpr_workgroup_id_y 1
		.amdhsa_system_sgpr_workgroup_id_z 0
		.amdhsa_system_sgpr_workgroup_info 0
		.amdhsa_system_vgpr_workitem_id 0
		.amdhsa_next_free_vgpr 61
		.amdhsa_next_free_sgpr 68
		.amdhsa_reserve_vcc 1
		.amdhsa_float_round_mode_32 0
		.amdhsa_float_round_mode_16_64 0
		.amdhsa_float_denorm_mode_32 3
		.amdhsa_float_denorm_mode_16_64 3
		.amdhsa_dx10_clamp 1
		.amdhsa_ieee_mode 1
		.amdhsa_fp16_overflow 0
		.amdhsa_workgroup_processor_mode 1
		.amdhsa_memory_ordered 1
		.amdhsa_forward_progress 0
		.amdhsa_shared_vgpr_count 0
		.amdhsa_exception_fp_ieee_invalid_op 0
		.amdhsa_exception_fp_denorm_src 0
		.amdhsa_exception_fp_ieee_div_zero 0
		.amdhsa_exception_fp_ieee_overflow 0
		.amdhsa_exception_fp_ieee_underflow 0
		.amdhsa_exception_fp_ieee_inexact 0
		.amdhsa_exception_int_div_zero 0
	.end_amdhsa_kernel
	.section	.text._Z25selective_scan_fwd_kernelI32Selective_Scan_fwd_kernel_traitsILi64ELi4ELi1ELb0ELb1ELb1ELb1ELb0EN3c108BFloat16EffEEv13SSMParamsBase,"axG",@progbits,_Z25selective_scan_fwd_kernelI32Selective_Scan_fwd_kernel_traitsILi64ELi4ELi1ELb0ELb1ELb1ELb1ELb0EN3c108BFloat16EffEEv13SSMParamsBase,comdat
.Lfunc_end37:
	.size	_Z25selective_scan_fwd_kernelI32Selective_Scan_fwd_kernel_traitsILi64ELi4ELi1ELb0ELb1ELb1ELb1ELb0EN3c108BFloat16EffEEv13SSMParamsBase, .Lfunc_end37-_Z25selective_scan_fwd_kernelI32Selective_Scan_fwd_kernel_traitsILi64ELi4ELi1ELb0ELb1ELb1ELb1ELb0EN3c108BFloat16EffEEv13SSMParamsBase
                                        ; -- End function
	.section	.AMDGPU.csdata,"",@progbits
; Kernel info:
; codeLenInByte = 8544
; NumSgprs: 70
; NumVgprs: 61
; ScratchSize: 0
; MemoryBound: 0
; FloatMode: 240
; IeeeMode: 1
; LDSByteSize: 0 bytes/workgroup (compile time only)
; SGPRBlocks: 8
; VGPRBlocks: 7
; NumSGPRsForWavesPerEU: 70
; NumVGPRsForWavesPerEU: 61
; Occupancy: 16
; WaveLimiterHint : 0
; COMPUTE_PGM_RSRC2:SCRATCH_EN: 0
; COMPUTE_PGM_RSRC2:USER_SGPR: 14
; COMPUTE_PGM_RSRC2:TRAP_HANDLER: 0
; COMPUTE_PGM_RSRC2:TGID_X_EN: 1
; COMPUTE_PGM_RSRC2:TGID_Y_EN: 1
; COMPUTE_PGM_RSRC2:TGID_Z_EN: 0
; COMPUTE_PGM_RSRC2:TIDIG_COMP_CNT: 0
	.section	.text._Z25selective_scan_fwd_kernelI32Selective_Scan_fwd_kernel_traitsILi64ELi4ELi1ELb0ELb1ELb1ELb0ELb1EN3c108BFloat16EffEEv13SSMParamsBase,"axG",@progbits,_Z25selective_scan_fwd_kernelI32Selective_Scan_fwd_kernel_traitsILi64ELi4ELi1ELb0ELb1ELb1ELb0ELb1EN3c108BFloat16EffEEv13SSMParamsBase,comdat
	.protected	_Z25selective_scan_fwd_kernelI32Selective_Scan_fwd_kernel_traitsILi64ELi4ELi1ELb0ELb1ELb1ELb0ELb1EN3c108BFloat16EffEEv13SSMParamsBase ; -- Begin function _Z25selective_scan_fwd_kernelI32Selective_Scan_fwd_kernel_traitsILi64ELi4ELi1ELb0ELb1ELb1ELb0ELb1EN3c108BFloat16EffEEv13SSMParamsBase
	.globl	_Z25selective_scan_fwd_kernelI32Selective_Scan_fwd_kernel_traitsILi64ELi4ELi1ELb0ELb1ELb1ELb0ELb1EN3c108BFloat16EffEEv13SSMParamsBase
	.p2align	8
	.type	_Z25selective_scan_fwd_kernelI32Selective_Scan_fwd_kernel_traitsILi64ELi4ELi1ELb0ELb1ELb1ELb0ELb1EN3c108BFloat16EffEEv13SSMParamsBase,@function
_Z25selective_scan_fwd_kernelI32Selective_Scan_fwd_kernel_traitsILi64ELi4ELi1ELb0ELb1ELb1ELb0ELb1EN3c108BFloat16EffEEv13SSMParamsBase: ; @_Z25selective_scan_fwd_kernelI32Selective_Scan_fwd_kernel_traitsILi64ELi4ELi1ELb0ELb1ELb1ELb0ELb1EN3c108BFloat16EffEEv13SSMParamsBase
; %bb.0:
	s_clause 0x2
	s_load_b32 s35, s[0:1], 0x18
	s_load_b128 s[4:7], s[0:1], 0xe0
	s_load_b64 s[10:11], s[0:1], 0xf0
	s_mov_b32 s12, s15
	s_ashr_i32 s15, s14, 31
	s_mov_b32 s33, 0
	s_lshl_b64 s[8:9], s[14:15], 2
	s_waitcnt lgkmcnt(0)
	s_abs_i32 s34, s35
	s_add_u32 s2, s4, s8
	v_cvt_f32_u32_e32 v1, s34
	s_addc_u32 s3, s5, s9
	s_cmp_eq_u64 s[10:11], 0
	s_delay_alu instid0(VALU_DEP_1) | instskip(SKIP_2) | instid1(VALU_DEP_1)
	v_rcp_iflag_f32_e32 v1, v1
	s_waitcnt_depctr 0xfff
	v_mul_f32_e32 v1, 0x4f7ffffe, v1
	v_cvt_u32_f32_e32 v1, v1
	s_delay_alu instid0(VALU_DEP_1)
	v_readfirstlane_b32 s36, v1
	s_cbranch_scc1 .LBB38_2
; %bb.1:
	v_mov_b32_e32 v1, 0
	s_add_u32 s4, s10, s14
	s_addc_u32 s5, s11, s15
	global_load_u8 v1, v1, s[4:5]
	s_waitcnt vmcnt(0)
	v_and_b32_e32 v1, 1, v1
	s_delay_alu instid0(VALU_DEP_1)
	v_cmp_eq_u32_e64 s33, 1, v1
.LBB38_2:
	s_load_b64 s[4:5], s[0:1], 0x20
	s_cmp_eq_u64 s[6:7], 0
	s_cbranch_scc1 .LBB38_4
; %bb.3:
	s_add_u32 s6, s6, s8
	s_addc_u32 s7, s7, s9
	s_load_b32 s14, s[6:7], 0x0
	s_waitcnt lgkmcnt(0)
	s_ashr_i32 s15, s14, 31
.LBB38_4:
	s_waitcnt lgkmcnt(0)
	s_cmp_eq_u64 s[4:5], s[14:15]
	s_cbranch_scc1 .LBB38_92
; %bb.5:
	s_load_b512 s[16:31], s[0:1], 0x88
	s_load_b64 s[10:11], s[2:3], 0x0
	s_mov_b32 s48, 0
	s_mov_b32 s49, 0
	s_waitcnt lgkmcnt(0)
	s_cmp_eq_u64 s[22:23], 0
	s_cbranch_scc1 .LBB38_7
; %bb.6:
	s_ashr_i32 s13, s12, 31
	s_delay_alu instid0(SALU_CYCLE_1) | instskip(NEXT) | instid1(SALU_CYCLE_1)
	s_lshl_b64 s[2:3], s[12:13], 2
	s_add_u32 s2, s22, s2
	s_addc_u32 s3, s23, s3
	s_load_b32 s49, s[2:3], 0x0
.LBB38_7:
	s_cmp_eq_u64 s[28:29], 0
	s_cbranch_scc1 .LBB38_9
; %bb.8:
	s_ashr_i32 s13, s12, 31
	s_delay_alu instid0(SALU_CYCLE_1) | instskip(NEXT) | instid1(SALU_CYCLE_1)
	s_lshl_b64 s[2:3], s[12:13], 2
	s_add_u32 s2, s28, s2
	s_addc_u32 s3, s29, s3
	s_load_b32 s48, s[2:3], 0x0
.LBB38_9:
	s_sub_i32 s23, s11, s10
	s_delay_alu instid0(SALU_CYCLE_1)
	s_cmp_lt_i32 s23, 1
	s_cbranch_scc1 .LBB38_92
; %bb.10:
	s_sub_i32 s2, 0, s34
	s_abs_i32 s5, s12
	s_mul_i32 s4, s2, s36
	s_clause 0x1
	s_load_b64 s[2:3], s[0:1], 0x5c
	s_load_b128 s[44:47], s[0:1], 0x4c
	s_mul_hi_u32 s4, s36, s4
	s_ashr_i32 s7, s35, 31
	s_add_i32 s36, s36, s4
	s_ashr_i32 s4, s12, 31
	s_mul_hi_u32 s6, s5, s36
	s_xor_b32 s7, s4, s7
	s_mul_i32 s8, s6, s34
	s_load_b256 s[36:43], s[0:1], 0x2c
	s_sub_i32 s4, s5, s8
	s_add_i32 s5, s6, 1
	s_sub_i32 s8, s4, s34
	s_cmp_ge_u32 s4, s34
	s_mov_b32 s29, 0
	s_cselect_b32 s5, s5, s6
	s_cselect_b32 s4, s8, s4
	s_add_i32 s6, s5, 1
	s_cmp_ge_u32 s4, s34
	v_lshlrev_b32_e32 v8, 2, v0
	s_cselect_b32 s4, s6, s5
	s_waitcnt lgkmcnt(0)
	s_mul_i32 s28, s10, s46
	s_xor_b32 s6, s4, s7
	s_lshl_b64 s[4:5], s[28:29], 1
	s_sub_i32 s6, s6, s7
	s_mul_i32 s28, s47, s12
	s_add_u32 s7, s24, s4
	s_addc_u32 s8, s25, s5
	s_lshl_b64 s[4:5], s[28:29], 1
	s_mul_i32 s28, s10, s2
	s_add_u32 s43, s7, s4
	s_addc_u32 s46, s8, s5
	s_lshl_b64 s[4:5], s[28:29], 1
	;; [unrolled: 4-line block ×3, first 2 shown]
	s_mul_i32 s28, s36, s12
	s_add_u32 s47, s4, s2
	s_addc_u32 s36, s5, s3
	s_clause 0x1
	s_load_b128 s[24:27], s[0:1], 0x7c
	s_load_b64 s[4:5], s[0:1], 0xc8
	s_lshl_b64 s[2:3], s[28:29], 2
	s_mul_i32 s28, s10, s38
	s_add_u32 s50, s16, s2
	s_addc_u32 s51, s17, s3
	s_lshl_b64 s[2:3], s[28:29], 1
	s_mul_i32 s28, s6, s41
	s_add_u32 s7, s18, s2
	v_mbcnt_lo_u32_b32 v1, -1, 0
	v_and_b32_e32 v2, 0x80, v8
	v_dual_mov_b32 v12, 0 :: v_dual_and_b32 v3, 32, v0
	s_addc_u32 s8, s19, s3
	s_lshl_b64 s[2:3], s[28:29], 1
	s_mul_i32 s28, s10, s42
	s_waitcnt lgkmcnt(0)
	s_add_u32 s27, s7, s2
	s_addc_u32 s41, s8, s3
	s_clause 0x1
	s_load_b32 s42, s[0:1], 0xc
	s_load_b32 s8, s[0:1], 0x28
	v_or_b32_e32 v9, v1, v2
	v_or_b32_e32 v4, v1, v3
	s_lshl_b64 s[2:3], s[28:29], 1
	s_mul_i32 s28, s6, s45
	s_add_u32 s7, s20, s2
	v_or_b32_e32 v11, 0x60, v9
	v_lshrrev_b32_e32 v14, 3, v4
	s_addc_u32 s6, s21, s3
	s_lshl_b64 s[2:3], s[28:29], 1
	s_mul_i32 s28, s14, s24
	s_load_b64 s[16:17], s[0:1], 0x6c
	s_add_u32 s45, s7, s2
	s_addc_u32 s52, s6, s3
	s_lshl_b64 s[0:1], s[28:29], 2
	v_or_b32_e32 v10, 64, v9
	v_lshrrev_b32_e32 v7, 5, v11
	v_and_b32_e32 v16, 6, v14
	s_mul_i32 s28, s25, s12
	s_add_u32 s2, s4, s0
	s_addc_u32 s3, s5, s1
	s_lshl_b64 s[0:1], s[28:29], 2
	v_lshrrev_b32_e32 v5, 5, v2
	s_add_u32 s53, s2, s0
	v_lshrrev_b32_e32 v6, 5, v10
	v_and_b32_e32 v7, 6, v7
	v_lshl_add_u32 v4, v4, 2, v16
	s_addc_u32 s54, s3, s1
	s_add_i32 s0, s23, 0x7ff
	v_add_lshl_u32 v5, v5, v9, 1
	s_lshr_b32 s55, s0, 11
	s_waitcnt lgkmcnt(0)
	s_bitcmp1_b32 s8, 0
	v_add_lshl_u32 v6, v6, v9, 1
	v_add_lshl_u32 v7, v7, v9, 1
	v_lshl_add_u32 v17, v4, 1, 0
	v_and_b32_e32 v4, 15, v1
	s_cselect_b32 s56, -1, 0
	s_cmp_gt_i32 s42, 0
	v_or_b32_e32 v3, 31, v3
	s_cselect_b32 s57, -1, 0
	s_add_i32 s0, 0, 0x210
	s_and_b32 s1, s23, 0xff
	v_add_nc_u32_e32 v18, s0, v5
	v_add_nc_u32_e32 v19, s0, v6
	s_cmp_eq_u32 s1, 0
	v_add_nc_u32_e32 v20, s0, v7
	v_cmp_ne_u32_e64 s0, 0, v4
	v_cmp_lt_u32_e64 s1, 1, v4
	v_cmp_lt_u32_e64 s2, 3, v4
	;; [unrolled: 1-line block ×3, first 2 shown]
	v_add_nc_u32_e32 v4, -1, v1
	s_mul_i32 s28, s10, s16
	s_cselect_b32 s58, -1, 0
	s_lshl_b64 s[14:15], s[28:29], 1
	s_add_i32 s59, s55, -1
	v_cmp_gt_i32_e32 vcc_lo, 0, v4
	s_mul_i32 s28, s17, s12
	v_add_nc_u32_e32 v14, 0, v5
	v_lshrrev_b32_e32 v5, 2, v0
	v_cmp_eq_u32_e64 s5, v3, v0
	v_cndmask_b32_e32 v4, v4, v1, vcc_lo
	v_and_b32_e32 v3, 1, v1
	v_cmp_gt_u32_e64 s6, 2, v0
	v_lshl_add_u32 v22, v0, 3, 0
	v_cmp_gt_u32_e64 s8, 32, v0
	v_cmp_lt_u32_e64 s9, 31, v0
	v_cmp_eq_u32_e64 s10, 0, v0
	s_add_u32 s11, s30, s14
	v_lshlrev_b32_e32 v0, 1, v1
	s_addc_u32 s14, s31, s15
	s_lshl_b64 s[12:13], s[28:29], 1
	v_cmp_eq_u32_e64 s7, 0, v3
	s_add_u32 s11, s11, s12
	s_addc_u32 s12, s14, s13
	v_lshlrev_b32_e32 v3, 1, v2
	v_add_co_u32 v0, s11, s11, v0
	v_add_nc_u32_e32 v15, 0, v6
	v_and_b32_e32 v6, 16, v1
	v_and_b32_e32 v5, 8, v5
	v_lshlrev_b32_e32 v23, 2, v4
	v_add_co_ci_u32_e64 v4, null, s12, 0, s11
	v_add_co_u32 v24, vcc_lo, v0, v3
	v_or_b32_e32 v13, 32, v9
	v_add_nc_u32_e32 v16, 0, v7
	v_cmp_ne_u32_e64 s4, 0, v6
	v_add_nc_u32_e32 v21, 0, v5
	v_cmp_eq_u32_e64 s11, 0, v1
	v_add_co_ci_u32_e32 v25, vcc_lo, 0, v4, vcc_lo
	v_or_b32_e32 v26, 1, v8
	v_or_b32_e32 v27, 2, v8
	;; [unrolled: 1-line block ×3, first 2 shown]
	v_lshlrev_b32_e32 v29, 1, v1
	v_lshlrev_b32_e32 v30, 1, v2
	s_mov_b32 s60, 0x3e9b6dac
	s_add_i32 s61, 0, 0x430
	s_mov_b32 s62, 0
	s_branch .LBB38_12
.LBB38_11:                              ;   in Loop: Header=BB38_12 Depth=1
	s_or_b32 exec_lo, exec_lo, s12
	s_add_u32 s47, s47, 0x200
	s_addc_u32 s36, s36, 0
	s_add_u32 s43, s43, 0x200
	s_addc_u32 s46, s46, 0
	;; [unrolled: 2-line block ×4, first 2 shown]
	s_add_i32 s62, s62, 1
	s_delay_alu instid0(SALU_CYCLE_1)
	s_cmp_eq_u32 s62, s55
	s_cbranch_scc1 .LBB38_92
.LBB38_12:                              ; =>This Loop Header: Depth=1
                                        ;     Child Loop BB38_37 Depth 2
	v_add_co_u32 v0, s12, s43, v29
	s_delay_alu instid0(VALU_DEP_1) | instskip(SKIP_1) | instid1(VALU_DEP_2)
	v_add_co_ci_u32_e64 v1, null, s46, 0, s12
	s_lshl_b32 s24, s62, 8
	v_add_co_u32 v0, vcc_lo, v0, v30
	s_sub_i32 s19, s23, s24
	s_delay_alu instid0(VALU_DEP_2)
	v_add_co_ci_u32_e32 v1, vcc_lo, 0, v1, vcc_lo
	v_cmp_gt_u32_e64 s12, s19, v9
	s_waitcnt lgkmcnt(0)
	v_mov_b32_e32 v2, 0
	s_waitcnt_vscnt null, 0x0
	s_barrier
	buffer_gl0_inv
	s_and_saveexec_b32 s13, s12
	s_cbranch_execz .LBB38_14
; %bb.13:                               ;   in Loop: Header=BB38_12 Depth=1
	global_load_u16 v2, v[0:1], off
.LBB38_14:                              ;   in Loop: Header=BB38_12 Depth=1
	s_or_b32 exec_lo, exec_lo, s13
	v_cmp_gt_u32_e64 s13, s19, v13
	v_mov_b32_e32 v3, 0
	v_mov_b32_e32 v5, 0
	s_delay_alu instid0(VALU_DEP_3)
	s_and_saveexec_b32 s14, s13
	s_cbranch_execz .LBB38_16
; %bb.15:                               ;   in Loop: Header=BB38_12 Depth=1
	global_load_u16 v5, v[0:1], off offset:64
.LBB38_16:                              ;   in Loop: Header=BB38_12 Depth=1
	s_or_b32 exec_lo, exec_lo, s14
	v_cmp_gt_u32_e64 s14, s19, v10
	s_delay_alu instid0(VALU_DEP_1)
	s_and_saveexec_b32 s15, s14
	s_cbranch_execz .LBB38_18
; %bb.17:                               ;   in Loop: Header=BB38_12 Depth=1
	global_load_u16 v3, v[0:1], off offset:128
.LBB38_18:                              ;   in Loop: Header=BB38_12 Depth=1
	s_or_b32 exec_lo, exec_lo, s15
	v_cmp_gt_u32_e64 s15, s19, v11
	v_mov_b32_e32 v4, 0
	v_mov_b32_e32 v6, 0
	s_delay_alu instid0(VALU_DEP_3)
	s_and_saveexec_b32 s16, s15
	s_cbranch_execz .LBB38_20
; %bb.19:                               ;   in Loop: Header=BB38_12 Depth=1
	global_load_u16 v6, v[0:1], off offset:192
.LBB38_20:                              ;   in Loop: Header=BB38_12 Depth=1
	s_or_b32 exec_lo, exec_lo, s16
	s_waitcnt vmcnt(0)
	ds_store_b16 v14, v2
	ds_store_b16 v14, v5 offset:64
	ds_store_b16 v15, v3 offset:128
	;; [unrolled: 1-line block ×3, first 2 shown]
	; wave barrier
	ds_load_b64 v[0:1], v17
	v_add_co_u32 v2, s16, s47, v29
	s_delay_alu instid0(VALU_DEP_1) | instskip(SKIP_1) | instid1(VALU_DEP_2)
	v_add_co_ci_u32_e64 v3, null, s36, 0, s16
	s_waitcnt lgkmcnt(0)
	v_add_co_u32 v2, vcc_lo, v2, v30
	s_delay_alu instid0(VALU_DEP_2)
	v_add_co_ci_u32_e32 v3, vcc_lo, 0, v3, vcc_lo
	s_barrier
	buffer_gl0_inv
	s_and_saveexec_b32 s16, s12
	s_cbranch_execz .LBB38_22
; %bb.21:                               ;   in Loop: Header=BB38_12 Depth=1
	global_load_u16 v4, v[2:3], off
.LBB38_22:                              ;   in Loop: Header=BB38_12 Depth=1
	s_or_b32 exec_lo, exec_lo, s16
	v_dual_mov_b32 v5, 0 :: v_dual_mov_b32 v6, 0
	s_and_saveexec_b32 s16, s13
	s_cbranch_execnz .LBB38_86
; %bb.23:                               ;   in Loop: Header=BB38_12 Depth=1
	s_or_b32 exec_lo, exec_lo, s16
	s_and_saveexec_b32 s16, s14
	s_cbranch_execnz .LBB38_87
.LBB38_24:                              ;   in Loop: Header=BB38_12 Depth=1
	s_or_b32 exec_lo, exec_lo, s16
	v_mov_b32_e32 v7, 0
	s_and_saveexec_b32 s16, s15
	s_cbranch_execz .LBB38_26
.LBB38_25:                              ;   in Loop: Header=BB38_12 Depth=1
	global_load_u16 v7, v[2:3], off offset:192
.LBB38_26:                              ;   in Loop: Header=BB38_12 Depth=1
	s_or_b32 exec_lo, exec_lo, s16
	s_waitcnt vmcnt(0)
	ds_store_b16 v14, v4
	ds_store_b16 v14, v6 offset:64
	ds_store_b16 v15, v5 offset:128
	ds_store_b16 v16, v7 offset:192
	; wave barrier
	ds_load_b64 v[2:3], v17
	s_waitcnt lgkmcnt(0)
	v_lshlrev_b32_e32 v4, 16, v2
	s_delay_alu instid0(VALU_DEP_1) | instskip(NEXT) | instid1(VALU_DEP_1)
	v_add_f32_e32 v31, s48, v4
	v_cmp_ge_f32_e32 vcc_lo, 0x41a00000, v31
	s_and_b32 s16, s56, vcc_lo
	s_delay_alu instid0(SALU_CYCLE_1)
	s_and_saveexec_b32 s17, s16
	s_cbranch_execz .LBB38_28
; %bb.27:                               ;   in Loop: Header=BB38_12 Depth=1
	v_mul_f32_e32 v4, 0x3fb8aa3b, v31
	v_cmp_ngt_f32_e32 vcc_lo, 0xc2ce8ed0, v31
	s_delay_alu instid0(VALU_DEP_2) | instskip(SKIP_1) | instid1(VALU_DEP_2)
	v_rndne_f32_e32 v5, v4
	v_fma_f32 v6, 0x3fb8aa3b, v31, -v4
	v_sub_f32_e32 v4, v4, v5
	s_delay_alu instid0(VALU_DEP_2) | instskip(SKIP_1) | instid1(VALU_DEP_2)
	v_fmac_f32_e32 v6, 0x32a5705f, v31
	v_cvt_i32_f32_e32 v5, v5
	v_add_f32_e32 v4, v4, v6
	s_delay_alu instid0(VALU_DEP_1) | instskip(SKIP_2) | instid1(VALU_DEP_1)
	v_exp_f32_e32 v4, v4
	s_waitcnt_depctr 0xfff
	v_ldexp_f32 v4, v4, v5
	v_cndmask_b32_e32 v4, 0, v4, vcc_lo
	v_cmp_nlt_f32_e32 vcc_lo, 0x42b17218, v31
	s_delay_alu instid0(VALU_DEP_2) | instskip(NEXT) | instid1(VALU_DEP_1)
	v_cndmask_b32_e32 v6, 0x7f800000, v4, vcc_lo
	v_add_f32_e32 v7, 1.0, v6
	s_delay_alu instid0(VALU_DEP_1) | instskip(NEXT) | instid1(VALU_DEP_1)
	v_cvt_f64_f32_e32 v[4:5], v7
	v_frexp_exp_i32_f64_e32 v4, v[4:5]
	v_frexp_mant_f32_e32 v5, v7
	s_delay_alu instid0(VALU_DEP_1) | instskip(SKIP_1) | instid1(VALU_DEP_1)
	v_cmp_gt_f32_e32 vcc_lo, 0x3f2aaaab, v5
	v_add_f32_e32 v5, -1.0, v7
	v_dual_sub_f32 v32, v5, v7 :: v_dual_sub_f32 v5, v6, v5
	s_delay_alu instid0(VALU_DEP_1) | instskip(NEXT) | instid1(VALU_DEP_1)
	v_add_f32_e32 v32, 1.0, v32
	v_add_f32_e32 v5, v5, v32
	v_subrev_co_ci_u32_e32 v4, vcc_lo, 0, v4, vcc_lo
	s_delay_alu instid0(VALU_DEP_1) | instskip(SKIP_1) | instid1(VALU_DEP_2)
	v_sub_nc_u32_e32 v31, 0, v4
	v_cvt_f32_i32_e32 v4, v4
	v_ldexp_f32 v7, v7, v31
	v_ldexp_f32 v5, v5, v31
	s_delay_alu instid0(VALU_DEP_2) | instskip(SKIP_3) | instid1(VALU_DEP_4)
	v_add_f32_e32 v33, 1.0, v7
	v_add_f32_e32 v31, -1.0, v7
	v_cmp_eq_f32_e32 vcc_lo, 0x7f800000, v6
	v_cmp_gt_f32_e64 s16, 0x33800000, v6
	v_add_f32_e32 v32, -1.0, v33
	s_delay_alu instid0(VALU_DEP_4) | instskip(NEXT) | instid1(VALU_DEP_3)
	v_add_f32_e32 v34, 1.0, v31
	s_or_b32 vcc_lo, s16, vcc_lo
	s_delay_alu instid0(VALU_DEP_2) | instskip(NEXT) | instid1(VALU_DEP_1)
	v_sub_f32_e32 v32, v7, v32
	v_dual_sub_f32 v7, v7, v34 :: v_dual_add_f32 v32, v5, v32
	s_delay_alu instid0(VALU_DEP_1) | instskip(NEXT) | instid1(VALU_DEP_1)
	v_add_f32_e32 v5, v5, v7
	v_dual_add_f32 v35, v31, v5 :: v_dual_add_f32 v34, v33, v32
	s_delay_alu instid0(VALU_DEP_1) | instskip(NEXT) | instid1(VALU_DEP_2)
	v_sub_f32_e32 v31, v31, v35
	v_rcp_f32_e32 v7, v34
	v_sub_f32_e32 v33, v33, v34
	s_delay_alu instid0(VALU_DEP_1) | instskip(SKIP_2) | instid1(VALU_DEP_1)
	v_dual_add_f32 v5, v5, v31 :: v_dual_add_f32 v32, v32, v33
	s_waitcnt_depctr 0xfff
	v_mul_f32_e32 v36, v35, v7
	v_mul_f32_e32 v37, v34, v36
	s_delay_alu instid0(VALU_DEP_1) | instskip(NEXT) | instid1(VALU_DEP_1)
	v_fma_f32 v33, v36, v34, -v37
	v_fmac_f32_e32 v33, v36, v32
	s_delay_alu instid0(VALU_DEP_1) | instskip(NEXT) | instid1(VALU_DEP_1)
	v_add_f32_e32 v38, v37, v33
	v_sub_f32_e32 v39, v35, v38
	s_delay_alu instid0(VALU_DEP_1) | instskip(SKIP_1) | instid1(VALU_DEP_2)
	v_sub_f32_e32 v35, v35, v39
	v_sub_f32_e32 v31, v38, v37
	;; [unrolled: 1-line block ×3, first 2 shown]
	s_delay_alu instid0(VALU_DEP_2) | instskip(NEXT) | instid1(VALU_DEP_2)
	v_sub_f32_e32 v31, v31, v33
	v_add_f32_e32 v5, v5, v35
	s_delay_alu instid0(VALU_DEP_1) | instskip(NEXT) | instid1(VALU_DEP_1)
	v_add_f32_e32 v5, v31, v5
	v_add_f32_e32 v31, v39, v5
	s_delay_alu instid0(VALU_DEP_1) | instskip(NEXT) | instid1(VALU_DEP_1)
	v_mul_f32_e32 v33, v7, v31
	v_dual_sub_f32 v38, v39, v31 :: v_dual_mul_f32 v35, v34, v33
	s_delay_alu instid0(VALU_DEP_1) | instskip(NEXT) | instid1(VALU_DEP_2)
	v_add_f32_e32 v5, v5, v38
	v_fma_f32 v34, v33, v34, -v35
	s_delay_alu instid0(VALU_DEP_1) | instskip(NEXT) | instid1(VALU_DEP_1)
	v_fmac_f32_e32 v34, v33, v32
	v_add_f32_e32 v32, v35, v34
	s_delay_alu instid0(VALU_DEP_1) | instskip(SKIP_1) | instid1(VALU_DEP_2)
	v_sub_f32_e32 v37, v31, v32
	v_sub_f32_e32 v35, v32, v35
	;; [unrolled: 1-line block ×3, first 2 shown]
	s_delay_alu instid0(VALU_DEP_1) | instskip(NEXT) | instid1(VALU_DEP_1)
	v_sub_f32_e32 v31, v31, v32
	v_dual_sub_f32 v32, v35, v34 :: v_dual_add_f32 v5, v5, v31
	v_add_f32_e32 v31, v36, v33
	s_delay_alu instid0(VALU_DEP_1) | instskip(NEXT) | instid1(VALU_DEP_1)
	v_dual_add_f32 v5, v32, v5 :: v_dual_sub_f32 v32, v31, v36
	v_add_f32_e32 v5, v37, v5
	s_delay_alu instid0(VALU_DEP_1) | instskip(NEXT) | instid1(VALU_DEP_1)
	v_dual_sub_f32 v32, v33, v32 :: v_dual_mul_f32 v5, v7, v5
	v_add_f32_e32 v5, v32, v5
	s_delay_alu instid0(VALU_DEP_1) | instskip(NEXT) | instid1(VALU_DEP_1)
	v_add_f32_e32 v7, v31, v5
	v_mul_f32_e32 v32, v7, v7
	s_delay_alu instid0(VALU_DEP_1) | instskip(SKIP_1) | instid1(VALU_DEP_2)
	v_fmaak_f32 v33, s60, v32, 0x3ecc95a3
	v_mul_f32_e32 v34, v7, v32
	v_fmaak_f32 v32, v32, v33, 0x3f2aaada
	v_ldexp_f32 v33, v7, 1
	s_delay_alu instid0(VALU_DEP_2) | instskip(NEXT) | instid1(VALU_DEP_1)
	v_dual_sub_f32 v7, v7, v31 :: v_dual_mul_f32 v32, v34, v32
	v_dual_mul_f32 v34, 0x3f317218, v4 :: v_dual_sub_f32 v5, v5, v7
	s_delay_alu instid0(VALU_DEP_2) | instskip(NEXT) | instid1(VALU_DEP_2)
	v_add_f32_e32 v31, v33, v32
	v_ldexp_f32 v5, v5, 1
	s_delay_alu instid0(VALU_DEP_2) | instskip(NEXT) | instid1(VALU_DEP_4)
	v_sub_f32_e32 v7, v31, v33
	v_fma_f32 v33, 0x3f317218, v4, -v34
	s_delay_alu instid0(VALU_DEP_2) | instskip(NEXT) | instid1(VALU_DEP_1)
	v_sub_f32_e32 v7, v32, v7
	v_dual_fmac_f32 v33, 0xb102e308, v4 :: v_dual_add_f32 v4, v5, v7
	s_delay_alu instid0(VALU_DEP_1) | instskip(NEXT) | instid1(VALU_DEP_1)
	v_add_f32_e32 v5, v34, v33
	v_dual_add_f32 v7, v31, v4 :: v_dual_sub_f32 v34, v5, v34
	s_delay_alu instid0(VALU_DEP_1) | instskip(SKIP_1) | instid1(VALU_DEP_3)
	v_add_f32_e32 v32, v5, v7
	v_sub_f32_e32 v31, v7, v31
	v_sub_f32_e32 v33, v33, v34
	s_delay_alu instid0(VALU_DEP_3) | instskip(NEXT) | instid1(VALU_DEP_3)
	v_sub_f32_e32 v35, v32, v5
	v_sub_f32_e32 v4, v4, v31
	s_delay_alu instid0(VALU_DEP_2) | instskip(SKIP_1) | instid1(VALU_DEP_3)
	v_sub_f32_e32 v36, v32, v35
	v_sub_f32_e32 v7, v7, v35
	v_add_f32_e32 v31, v33, v4
	s_delay_alu instid0(VALU_DEP_3) | instskip(NEXT) | instid1(VALU_DEP_1)
	v_sub_f32_e32 v5, v5, v36
	v_add_f32_e32 v5, v7, v5
	s_delay_alu instid0(VALU_DEP_3) | instskip(NEXT) | instid1(VALU_DEP_1)
	v_sub_f32_e32 v7, v31, v33
	v_dual_add_f32 v5, v31, v5 :: v_dual_sub_f32 v4, v4, v7
	s_delay_alu instid0(VALU_DEP_1) | instskip(NEXT) | instid1(VALU_DEP_1)
	v_dual_sub_f32 v31, v31, v7 :: v_dual_add_f32 v34, v32, v5
	v_sub_f32_e32 v31, v33, v31
	s_delay_alu instid0(VALU_DEP_1) | instskip(NEXT) | instid1(VALU_DEP_1)
	v_dual_sub_f32 v7, v34, v32 :: v_dual_add_f32 v4, v4, v31
	v_sub_f32_e32 v5, v5, v7
	s_delay_alu instid0(VALU_DEP_1) | instskip(NEXT) | instid1(VALU_DEP_1)
	v_add_f32_e32 v4, v4, v5
	v_add_f32_e32 v4, v34, v4
	s_delay_alu instid0(VALU_DEP_1)
	v_cndmask_b32_e32 v31, v4, v6, vcc_lo
.LBB38_28:                              ;   in Loop: Header=BB38_12 Depth=1
	s_or_b32 exec_lo, exec_lo, s17
	v_and_b32_e32 v2, 0xffff0000, v2
	s_delay_alu instid0(VALU_DEP_1) | instskip(NEXT) | instid1(VALU_DEP_1)
	v_add_f32_e32 v32, s48, v2
	v_cmp_ge_f32_e32 vcc_lo, 0x41a00000, v32
	s_and_b32 s16, s56, vcc_lo
	s_delay_alu instid0(SALU_CYCLE_1)
	s_and_saveexec_b32 s17, s16
	s_cbranch_execz .LBB38_30
; %bb.29:                               ;   in Loop: Header=BB38_12 Depth=1
	v_mul_f32_e32 v2, 0x3fb8aa3b, v32
	v_cmp_ngt_f32_e32 vcc_lo, 0xc2ce8ed0, v32
	s_delay_alu instid0(VALU_DEP_2) | instskip(SKIP_1) | instid1(VALU_DEP_2)
	v_rndne_f32_e32 v4, v2
	v_fma_f32 v5, 0x3fb8aa3b, v32, -v2
	v_sub_f32_e32 v2, v2, v4
	s_delay_alu instid0(VALU_DEP_2) | instskip(SKIP_1) | instid1(VALU_DEP_2)
	v_fmac_f32_e32 v5, 0x32a5705f, v32
	v_cvt_i32_f32_e32 v4, v4
	v_add_f32_e32 v2, v2, v5
	s_delay_alu instid0(VALU_DEP_1) | instskip(SKIP_2) | instid1(VALU_DEP_1)
	v_exp_f32_e32 v2, v2
	s_waitcnt_depctr 0xfff
	v_ldexp_f32 v2, v2, v4
	v_cndmask_b32_e32 v2, 0, v2, vcc_lo
	v_cmp_nlt_f32_e32 vcc_lo, 0x42b17218, v32
	s_delay_alu instid0(VALU_DEP_2) | instskip(NEXT) | instid1(VALU_DEP_1)
	v_cndmask_b32_e32 v2, 0x7f800000, v2, vcc_lo
	v_add_f32_e32 v6, 1.0, v2
	s_delay_alu instid0(VALU_DEP_1) | instskip(NEXT) | instid1(VALU_DEP_1)
	v_cvt_f64_f32_e32 v[4:5], v6
	v_frexp_exp_i32_f64_e32 v4, v[4:5]
	v_frexp_mant_f32_e32 v5, v6
	s_delay_alu instid0(VALU_DEP_1) | instskip(SKIP_1) | instid1(VALU_DEP_1)
	v_cmp_gt_f32_e32 vcc_lo, 0x3f2aaaab, v5
	v_add_f32_e32 v5, -1.0, v6
	v_dual_sub_f32 v32, v5, v6 :: v_dual_sub_f32 v5, v2, v5
	v_subrev_co_ci_u32_e32 v4, vcc_lo, 0, v4, vcc_lo
	s_delay_alu instid0(VALU_DEP_1) | instskip(SKIP_1) | instid1(VALU_DEP_2)
	v_sub_nc_u32_e32 v7, 0, v4
	v_cvt_f32_i32_e32 v4, v4
	v_ldexp_f32 v6, v6, v7
	s_delay_alu instid0(VALU_DEP_1) | instskip(NEXT) | instid1(VALU_DEP_1)
	v_dual_add_f32 v32, 1.0, v32 :: v_dual_add_f32 v33, 1.0, v6
	v_add_f32_e32 v5, v5, v32
	s_delay_alu instid0(VALU_DEP_1) | instskip(NEXT) | instid1(VALU_DEP_3)
	v_ldexp_f32 v5, v5, v7
	v_dual_add_f32 v7, -1.0, v6 :: v_dual_add_f32 v32, -1.0, v33
	s_delay_alu instid0(VALU_DEP_1) | instskip(NEXT) | instid1(VALU_DEP_2)
	v_add_f32_e32 v34, 1.0, v7
	v_sub_f32_e32 v32, v6, v32
	s_delay_alu instid0(VALU_DEP_2) | instskip(NEXT) | instid1(VALU_DEP_2)
	v_sub_f32_e32 v6, v6, v34
	v_add_f32_e32 v32, v5, v32
	s_delay_alu instid0(VALU_DEP_2) | instskip(NEXT) | instid1(VALU_DEP_1)
	v_add_f32_e32 v5, v5, v6
	v_dual_add_f32 v35, v7, v5 :: v_dual_add_f32 v34, v33, v32
	v_cmp_eq_f32_e32 vcc_lo, 0x7f800000, v2
	v_cmp_gt_f32_e64 s16, 0x33800000, v2
	s_delay_alu instid0(VALU_DEP_3) | instskip(NEXT) | instid1(VALU_DEP_4)
	v_sub_f32_e32 v7, v7, v35
	v_rcp_f32_e32 v6, v34
	v_sub_f32_e32 v33, v33, v34
	s_delay_alu instid0(VALU_DEP_3) | instskip(NEXT) | instid1(VALU_DEP_1)
	s_or_b32 vcc_lo, s16, vcc_lo
	v_dual_add_f32 v5, v5, v7 :: v_dual_add_f32 v32, v32, v33
	s_waitcnt_depctr 0xfff
	v_mul_f32_e32 v36, v35, v6
	s_delay_alu instid0(VALU_DEP_1) | instskip(NEXT) | instid1(VALU_DEP_1)
	v_mul_f32_e32 v37, v34, v36
	v_fma_f32 v33, v36, v34, -v37
	s_delay_alu instid0(VALU_DEP_1) | instskip(NEXT) | instid1(VALU_DEP_1)
	v_fmac_f32_e32 v33, v36, v32
	v_add_f32_e32 v38, v37, v33
	s_delay_alu instid0(VALU_DEP_1) | instskip(NEXT) | instid1(VALU_DEP_1)
	v_sub_f32_e32 v39, v35, v38
	v_sub_f32_e32 v35, v35, v39
	s_delay_alu instid0(VALU_DEP_1) | instskip(SKIP_1) | instid1(VALU_DEP_2)
	v_sub_f32_e32 v35, v35, v38
	v_sub_f32_e32 v7, v38, v37
	v_add_f32_e32 v5, v5, v35
	s_delay_alu instid0(VALU_DEP_2) | instskip(NEXT) | instid1(VALU_DEP_1)
	v_sub_f32_e32 v7, v7, v33
	v_add_f32_e32 v5, v7, v5
	s_delay_alu instid0(VALU_DEP_1) | instskip(NEXT) | instid1(VALU_DEP_1)
	v_add_f32_e32 v7, v39, v5
	v_mul_f32_e32 v33, v6, v7
	s_delay_alu instid0(VALU_DEP_1) | instskip(NEXT) | instid1(VALU_DEP_1)
	v_dual_sub_f32 v38, v39, v7 :: v_dual_mul_f32 v35, v34, v33
	v_add_f32_e32 v5, v5, v38
	s_delay_alu instid0(VALU_DEP_2) | instskip(NEXT) | instid1(VALU_DEP_1)
	v_fma_f32 v34, v33, v34, -v35
	v_fmac_f32_e32 v34, v33, v32
	s_delay_alu instid0(VALU_DEP_1) | instskip(NEXT) | instid1(VALU_DEP_1)
	v_add_f32_e32 v32, v35, v34
	v_sub_f32_e32 v37, v7, v32
	s_delay_alu instid0(VALU_DEP_1) | instskip(NEXT) | instid1(VALU_DEP_1)
	v_sub_f32_e32 v7, v7, v37
	v_sub_f32_e32 v7, v7, v32
	s_delay_alu instid0(VALU_DEP_1) | instskip(SKIP_2) | instid1(VALU_DEP_1)
	v_add_f32_e32 v5, v5, v7
	v_add_f32_e32 v7, v36, v33
	v_sub_f32_e32 v35, v32, v35
	v_sub_f32_e32 v32, v35, v34
	s_delay_alu instid0(VALU_DEP_1) | instskip(NEXT) | instid1(VALU_DEP_1)
	v_dual_add_f32 v5, v32, v5 :: v_dual_sub_f32 v32, v7, v36
	v_add_f32_e32 v5, v37, v5
	s_delay_alu instid0(VALU_DEP_1) | instskip(NEXT) | instid1(VALU_DEP_1)
	v_dual_sub_f32 v32, v33, v32 :: v_dual_mul_f32 v5, v6, v5
	v_add_f32_e32 v5, v32, v5
	s_delay_alu instid0(VALU_DEP_1) | instskip(NEXT) | instid1(VALU_DEP_1)
	v_add_f32_e32 v6, v7, v5
	v_mul_f32_e32 v32, v6, v6
	s_delay_alu instid0(VALU_DEP_1) | instskip(SKIP_1) | instid1(VALU_DEP_2)
	v_fmaak_f32 v33, s60, v32, 0x3ecc95a3
	v_mul_f32_e32 v34, v6, v32
	v_fmaak_f32 v32, v32, v33, 0x3f2aaada
	v_ldexp_f32 v33, v6, 1
	v_sub_f32_e32 v6, v6, v7
	s_delay_alu instid0(VALU_DEP_3) | instskip(SKIP_1) | instid1(VALU_DEP_2)
	v_mul_f32_e32 v32, v34, v32
	v_mul_f32_e32 v34, 0x3f317218, v4
	v_add_f32_e32 v7, v33, v32
	s_delay_alu instid0(VALU_DEP_1) | instskip(NEXT) | instid1(VALU_DEP_3)
	v_dual_sub_f32 v5, v5, v6 :: v_dual_sub_f32 v6, v7, v33
	v_fma_f32 v33, 0x3f317218, v4, -v34
	s_delay_alu instid0(VALU_DEP_2) | instskip(NEXT) | instid1(VALU_DEP_2)
	v_ldexp_f32 v5, v5, 1
	v_dual_sub_f32 v6, v32, v6 :: v_dual_fmac_f32 v33, 0xb102e308, v4
	s_delay_alu instid0(VALU_DEP_1) | instskip(NEXT) | instid1(VALU_DEP_1)
	v_dual_add_f32 v4, v5, v6 :: v_dual_add_f32 v5, v34, v33
	v_add_f32_e32 v6, v7, v4
	s_delay_alu instid0(VALU_DEP_1) | instskip(NEXT) | instid1(VALU_DEP_1)
	v_add_f32_e32 v32, v5, v6
	v_sub_f32_e32 v35, v32, v5
	s_delay_alu instid0(VALU_DEP_1) | instskip(SKIP_2) | instid1(VALU_DEP_2)
	v_sub_f32_e32 v36, v32, v35
	v_sub_f32_e32 v7, v6, v7
	;; [unrolled: 1-line block ×5, first 2 shown]
	s_delay_alu instid0(VALU_DEP_1) | instskip(NEXT) | instid1(VALU_DEP_1)
	v_sub_f32_e32 v33, v33, v34
	v_add_f32_e32 v7, v33, v4
	v_sub_f32_e32 v5, v5, v36
	s_delay_alu instid0(VALU_DEP_1) | instskip(NEXT) | instid1(VALU_DEP_3)
	v_add_f32_e32 v5, v6, v5
	v_sub_f32_e32 v6, v7, v33
	s_delay_alu instid0(VALU_DEP_1) | instskip(NEXT) | instid1(VALU_DEP_1)
	v_dual_sub_f32 v4, v4, v6 :: v_dual_add_f32 v5, v7, v5
	v_dual_sub_f32 v7, v7, v6 :: v_dual_add_f32 v34, v32, v5
	s_delay_alu instid0(VALU_DEP_1) | instskip(NEXT) | instid1(VALU_DEP_1)
	v_dual_sub_f32 v7, v33, v7 :: v_dual_sub_f32 v6, v34, v32
	v_dual_add_f32 v4, v4, v7 :: v_dual_sub_f32 v5, v5, v6
	s_delay_alu instid0(VALU_DEP_1) | instskip(NEXT) | instid1(VALU_DEP_1)
	v_add_f32_e32 v4, v4, v5
	v_add_f32_e32 v4, v34, v4
	s_delay_alu instid0(VALU_DEP_1)
	v_cndmask_b32_e32 v32, v4, v2, vcc_lo
.LBB38_30:                              ;   in Loop: Header=BB38_12 Depth=1
	s_or_b32 exec_lo, exec_lo, s17
	v_lshlrev_b32_e32 v2, 16, v3
	s_delay_alu instid0(VALU_DEP_1) | instskip(NEXT) | instid1(VALU_DEP_1)
	v_add_f32_e32 v33, s48, v2
	v_cmp_ge_f32_e32 vcc_lo, 0x41a00000, v33
	s_and_b32 s16, s56, vcc_lo
	s_delay_alu instid0(SALU_CYCLE_1)
	s_and_saveexec_b32 s17, s16
	s_cbranch_execz .LBB38_32
; %bb.31:                               ;   in Loop: Header=BB38_12 Depth=1
	v_mul_f32_e32 v2, 0x3fb8aa3b, v33
	v_cmp_ngt_f32_e32 vcc_lo, 0xc2ce8ed0, v33
	s_delay_alu instid0(VALU_DEP_2) | instskip(SKIP_1) | instid1(VALU_DEP_1)
	v_rndne_f32_e32 v4, v2
	v_fma_f32 v5, 0x3fb8aa3b, v33, -v2
	v_dual_sub_f32 v2, v2, v4 :: v_dual_fmac_f32 v5, 0x32a5705f, v33
	v_cvt_i32_f32_e32 v4, v4
	s_delay_alu instid0(VALU_DEP_2) | instskip(NEXT) | instid1(VALU_DEP_1)
	v_add_f32_e32 v2, v2, v5
	v_exp_f32_e32 v2, v2
	s_waitcnt_depctr 0xfff
	v_ldexp_f32 v2, v2, v4
	s_delay_alu instid0(VALU_DEP_1) | instskip(SKIP_1) | instid1(VALU_DEP_2)
	v_cndmask_b32_e32 v2, 0, v2, vcc_lo
	v_cmp_nlt_f32_e32 vcc_lo, 0x42b17218, v33
	v_cndmask_b32_e32 v2, 0x7f800000, v2, vcc_lo
	s_delay_alu instid0(VALU_DEP_1) | instskip(NEXT) | instid1(VALU_DEP_1)
	v_add_f32_e32 v6, 1.0, v2
	v_cvt_f64_f32_e32 v[4:5], v6
	s_delay_alu instid0(VALU_DEP_1) | instskip(SKIP_1) | instid1(VALU_DEP_1)
	v_frexp_exp_i32_f64_e32 v4, v[4:5]
	v_frexp_mant_f32_e32 v5, v6
	v_cmp_gt_f32_e32 vcc_lo, 0x3f2aaaab, v5
	v_add_f32_e32 v5, -1.0, v6
	s_delay_alu instid0(VALU_DEP_1) | instskip(SKIP_1) | instid1(VALU_DEP_2)
	v_sub_f32_e32 v33, v5, v6
	v_sub_f32_e32 v5, v2, v5
	v_add_f32_e32 v33, 1.0, v33
	s_delay_alu instid0(VALU_DEP_1) | instskip(SKIP_3) | instid1(VALU_DEP_2)
	v_add_f32_e32 v5, v5, v33
	v_cmp_gt_f32_e64 s16, 0x33800000, v2
	v_subrev_co_ci_u32_e32 v4, vcc_lo, 0, v4, vcc_lo
	v_cmp_eq_f32_e32 vcc_lo, 0x7f800000, v2
	v_sub_nc_u32_e32 v7, 0, v4
	v_cvt_f32_i32_e32 v4, v4
	s_or_b32 vcc_lo, s16, vcc_lo
	s_delay_alu instid0(VALU_DEP_2) | instskip(SKIP_1) | instid1(VALU_DEP_2)
	v_ldexp_f32 v6, v6, v7
	v_ldexp_f32 v5, v5, v7
	v_add_f32_e32 v34, 1.0, v6
	v_add_f32_e32 v7, -1.0, v6
	s_delay_alu instid0(VALU_DEP_1) | instskip(NEXT) | instid1(VALU_DEP_3)
	v_add_f32_e32 v35, 1.0, v7
	v_add_f32_e32 v33, -1.0, v34
	s_delay_alu instid0(VALU_DEP_1) | instskip(NEXT) | instid1(VALU_DEP_1)
	v_sub_f32_e32 v33, v6, v33
	v_dual_sub_f32 v6, v6, v35 :: v_dual_add_f32 v33, v5, v33
	s_delay_alu instid0(VALU_DEP_1) | instskip(NEXT) | instid1(VALU_DEP_2)
	v_add_f32_e32 v35, v34, v33
	v_add_f32_e32 v5, v5, v6
	s_delay_alu instid0(VALU_DEP_2) | instskip(SKIP_1) | instid1(VALU_DEP_1)
	v_rcp_f32_e32 v6, v35
	v_sub_f32_e32 v34, v34, v35
	v_dual_add_f32 v36, v7, v5 :: v_dual_add_f32 v33, v33, v34
	s_delay_alu instid0(VALU_DEP_1) | instskip(SKIP_2) | instid1(VALU_DEP_1)
	v_sub_f32_e32 v7, v7, v36
	s_waitcnt_depctr 0xfff
	v_mul_f32_e32 v37, v36, v6
	v_mul_f32_e32 v38, v35, v37
	s_delay_alu instid0(VALU_DEP_1) | instskip(NEXT) | instid1(VALU_DEP_1)
	v_fma_f32 v34, v37, v35, -v38
	v_fmac_f32_e32 v34, v37, v33
	s_delay_alu instid0(VALU_DEP_1) | instskip(NEXT) | instid1(VALU_DEP_1)
	v_add_f32_e32 v39, v38, v34
	v_sub_f32_e32 v40, v36, v39
	s_delay_alu instid0(VALU_DEP_1) | instskip(NEXT) | instid1(VALU_DEP_1)
	v_dual_sub_f32 v36, v36, v40 :: v_dual_add_f32 v5, v5, v7
	v_dual_sub_f32 v7, v39, v38 :: v_dual_sub_f32 v36, v36, v39
	s_delay_alu instid0(VALU_DEP_1) | instskip(NEXT) | instid1(VALU_DEP_2)
	v_sub_f32_e32 v7, v7, v34
	v_add_f32_e32 v5, v5, v36
	s_delay_alu instid0(VALU_DEP_1) | instskip(NEXT) | instid1(VALU_DEP_1)
	v_add_f32_e32 v5, v7, v5
	v_add_f32_e32 v7, v40, v5
	s_delay_alu instid0(VALU_DEP_1) | instskip(NEXT) | instid1(VALU_DEP_1)
	v_mul_f32_e32 v34, v6, v7
	v_dual_sub_f32 v39, v40, v7 :: v_dual_mul_f32 v36, v35, v34
	s_delay_alu instid0(VALU_DEP_1) | instskip(NEXT) | instid1(VALU_DEP_2)
	v_add_f32_e32 v5, v5, v39
	v_fma_f32 v35, v34, v35, -v36
	s_delay_alu instid0(VALU_DEP_1) | instskip(NEXT) | instid1(VALU_DEP_1)
	v_fmac_f32_e32 v35, v34, v33
	v_add_f32_e32 v33, v36, v35
	s_delay_alu instid0(VALU_DEP_1) | instskip(NEXT) | instid1(VALU_DEP_1)
	v_sub_f32_e32 v38, v7, v33
	v_dual_sub_f32 v36, v33, v36 :: v_dual_sub_f32 v7, v7, v38
	s_delay_alu instid0(VALU_DEP_1) | instskip(NEXT) | instid1(VALU_DEP_2)
	v_sub_f32_e32 v7, v7, v33
	v_sub_f32_e32 v33, v36, v35
	s_delay_alu instid0(VALU_DEP_2) | instskip(SKIP_1) | instid1(VALU_DEP_2)
	v_add_f32_e32 v5, v5, v7
	v_add_f32_e32 v7, v37, v34
	;; [unrolled: 1-line block ×3, first 2 shown]
	s_delay_alu instid0(VALU_DEP_2) | instskip(NEXT) | instid1(VALU_DEP_2)
	v_sub_f32_e32 v33, v7, v37
	v_add_f32_e32 v5, v38, v5
	s_delay_alu instid0(VALU_DEP_2) | instskip(NEXT) | instid1(VALU_DEP_2)
	v_sub_f32_e32 v33, v34, v33
	v_mul_f32_e32 v5, v6, v5
	s_delay_alu instid0(VALU_DEP_1) | instskip(NEXT) | instid1(VALU_DEP_1)
	v_add_f32_e32 v5, v33, v5
	v_add_f32_e32 v6, v7, v5
	s_delay_alu instid0(VALU_DEP_1) | instskip(NEXT) | instid1(VALU_DEP_1)
	v_mul_f32_e32 v33, v6, v6
	v_fmaak_f32 v34, s60, v33, 0x3ecc95a3
	v_mul_f32_e32 v35, v6, v33
	s_delay_alu instid0(VALU_DEP_2) | instskip(SKIP_1) | instid1(VALU_DEP_2)
	v_fmaak_f32 v33, v33, v34, 0x3f2aaada
	v_ldexp_f32 v34, v6, 1
	v_dual_sub_f32 v6, v6, v7 :: v_dual_mul_f32 v33, v35, v33
	v_mul_f32_e32 v35, 0x3f317218, v4
	s_delay_alu instid0(VALU_DEP_2) | instskip(NEXT) | instid1(VALU_DEP_3)
	v_sub_f32_e32 v5, v5, v6
	v_add_f32_e32 v7, v34, v33
	s_delay_alu instid0(VALU_DEP_2) | instskip(NEXT) | instid1(VALU_DEP_2)
	v_ldexp_f32 v5, v5, 1
	v_sub_f32_e32 v6, v7, v34
	v_fma_f32 v34, 0x3f317218, v4, -v35
	s_delay_alu instid0(VALU_DEP_2) | instskip(NEXT) | instid1(VALU_DEP_2)
	v_sub_f32_e32 v6, v33, v6
	v_fmac_f32_e32 v34, 0xb102e308, v4
	s_delay_alu instid0(VALU_DEP_2) | instskip(NEXT) | instid1(VALU_DEP_2)
	v_add_f32_e32 v4, v5, v6
	v_add_f32_e32 v5, v35, v34
	s_delay_alu instid0(VALU_DEP_1) | instskip(NEXT) | instid1(VALU_DEP_1)
	v_dual_add_f32 v6, v7, v4 :: v_dual_sub_f32 v35, v5, v35
	v_add_f32_e32 v33, v5, v6
	v_sub_f32_e32 v7, v6, v7
	s_delay_alu instid0(VALU_DEP_3) | instskip(NEXT) | instid1(VALU_DEP_3)
	v_sub_f32_e32 v34, v34, v35
	v_sub_f32_e32 v36, v33, v5
	s_delay_alu instid0(VALU_DEP_1) | instskip(SKIP_1) | instid1(VALU_DEP_2)
	v_dual_sub_f32 v4, v4, v7 :: v_dual_sub_f32 v37, v33, v36
	v_sub_f32_e32 v6, v6, v36
	v_add_f32_e32 v7, v34, v4
	s_delay_alu instid0(VALU_DEP_3) | instskip(NEXT) | instid1(VALU_DEP_1)
	v_sub_f32_e32 v5, v5, v37
	v_dual_add_f32 v5, v6, v5 :: v_dual_sub_f32 v6, v7, v34
	s_delay_alu instid0(VALU_DEP_1) | instskip(NEXT) | instid1(VALU_DEP_2)
	v_add_f32_e32 v5, v7, v5
	v_sub_f32_e32 v7, v7, v6
	s_delay_alu instid0(VALU_DEP_2) | instskip(NEXT) | instid1(VALU_DEP_1)
	v_dual_sub_f32 v4, v4, v6 :: v_dual_add_f32 v35, v33, v5
	v_dual_sub_f32 v7, v34, v7 :: v_dual_sub_f32 v6, v35, v33
	s_delay_alu instid0(VALU_DEP_1) | instskip(NEXT) | instid1(VALU_DEP_1)
	v_dual_add_f32 v4, v4, v7 :: v_dual_sub_f32 v5, v5, v6
	v_add_f32_e32 v4, v4, v5
	s_delay_alu instid0(VALU_DEP_1) | instskip(NEXT) | instid1(VALU_DEP_1)
	v_add_f32_e32 v4, v35, v4
	v_cndmask_b32_e32 v33, v4, v2, vcc_lo
.LBB38_32:                              ;   in Loop: Header=BB38_12 Depth=1
	s_or_b32 exec_lo, exec_lo, s17
	v_and_b32_e32 v2, 0xffff0000, v3
	s_delay_alu instid0(VALU_DEP_1) | instskip(NEXT) | instid1(VALU_DEP_1)
	v_add_f32_e32 v38, s48, v2
	v_cmp_ge_f32_e32 vcc_lo, 0x41a00000, v38
	s_and_b32 s16, s56, vcc_lo
	s_delay_alu instid0(SALU_CYCLE_1)
	s_and_saveexec_b32 s17, s16
	s_cbranch_execz .LBB38_34
; %bb.33:                               ;   in Loop: Header=BB38_12 Depth=1
	v_mul_f32_e32 v2, 0x3fb8aa3b, v38
	v_cmp_ngt_f32_e32 vcc_lo, 0xc2ce8ed0, v38
	s_delay_alu instid0(VALU_DEP_2) | instskip(SKIP_1) | instid1(VALU_DEP_2)
	v_rndne_f32_e32 v3, v2
	v_fma_f32 v4, 0x3fb8aa3b, v38, -v2
	v_sub_f32_e32 v2, v2, v3
	s_delay_alu instid0(VALU_DEP_2) | instskip(SKIP_1) | instid1(VALU_DEP_2)
	v_fmac_f32_e32 v4, 0x32a5705f, v38
	v_cvt_i32_f32_e32 v3, v3
	v_add_f32_e32 v2, v2, v4
	s_delay_alu instid0(VALU_DEP_1) | instskip(SKIP_2) | instid1(VALU_DEP_1)
	v_exp_f32_e32 v2, v2
	s_waitcnt_depctr 0xfff
	v_ldexp_f32 v2, v2, v3
	v_cndmask_b32_e32 v2, 0, v2, vcc_lo
	v_cmp_nlt_f32_e32 vcc_lo, 0x42b17218, v38
	s_delay_alu instid0(VALU_DEP_2) | instskip(NEXT) | instid1(VALU_DEP_1)
	v_cndmask_b32_e32 v4, 0x7f800000, v2, vcc_lo
	v_add_f32_e32 v5, 1.0, v4
	s_delay_alu instid0(VALU_DEP_1) | instskip(NEXT) | instid1(VALU_DEP_1)
	v_cvt_f64_f32_e32 v[2:3], v5
	v_frexp_exp_i32_f64_e32 v2, v[2:3]
	v_frexp_mant_f32_e32 v3, v5
	s_delay_alu instid0(VALU_DEP_1) | instskip(SKIP_1) | instid1(VALU_DEP_1)
	v_cmp_gt_f32_e32 vcc_lo, 0x3f2aaaab, v3
	v_add_f32_e32 v3, -1.0, v5
	v_sub_f32_e32 v7, v3, v5
	v_sub_f32_e32 v3, v4, v3
	s_delay_alu instid0(VALU_DEP_2) | instskip(NEXT) | instid1(VALU_DEP_1)
	v_add_f32_e32 v7, 1.0, v7
	v_add_f32_e32 v3, v3, v7
	v_cmp_gt_f32_e64 s16, 0x33800000, v4
	v_subrev_co_ci_u32_e32 v2, vcc_lo, 0, v2, vcc_lo
	v_cmp_eq_f32_e32 vcc_lo, 0x7f800000, v4
	s_delay_alu instid0(VALU_DEP_2) | instskip(SKIP_2) | instid1(VALU_DEP_2)
	v_sub_nc_u32_e32 v6, 0, v2
	v_cvt_f32_i32_e32 v2, v2
	s_or_b32 vcc_lo, s16, vcc_lo
	v_ldexp_f32 v5, v5, v6
	v_ldexp_f32 v3, v3, v6
	s_delay_alu instid0(VALU_DEP_2) | instskip(NEXT) | instid1(VALU_DEP_1)
	v_add_f32_e32 v34, 1.0, v5
	v_dual_add_f32 v6, -1.0, v5 :: v_dual_add_f32 v7, -1.0, v34
	s_delay_alu instid0(VALU_DEP_1) | instskip(NEXT) | instid1(VALU_DEP_2)
	v_add_f32_e32 v35, 1.0, v6
	v_sub_f32_e32 v7, v5, v7
	s_delay_alu instid0(VALU_DEP_2) | instskip(NEXT) | instid1(VALU_DEP_2)
	v_sub_f32_e32 v5, v5, v35
	v_add_f32_e32 v7, v3, v7
	s_delay_alu instid0(VALU_DEP_2) | instskip(NEXT) | instid1(VALU_DEP_1)
	v_add_f32_e32 v3, v3, v5
	v_add_f32_e32 v36, v6, v3
	s_delay_alu instid0(VALU_DEP_1) | instskip(NEXT) | instid1(VALU_DEP_4)
	v_sub_f32_e32 v6, v6, v36
	v_add_f32_e32 v35, v34, v7
	s_delay_alu instid0(VALU_DEP_1) | instskip(NEXT) | instid1(VALU_DEP_2)
	v_rcp_f32_e32 v5, v35
	v_dual_sub_f32 v34, v34, v35 :: v_dual_add_f32 v3, v3, v6
	s_delay_alu instid0(VALU_DEP_1) | instskip(SKIP_2) | instid1(VALU_DEP_1)
	v_add_f32_e32 v7, v7, v34
	s_waitcnt_depctr 0xfff
	v_mul_f32_e32 v37, v36, v5
	v_mul_f32_e32 v38, v35, v37
	s_delay_alu instid0(VALU_DEP_1) | instskip(NEXT) | instid1(VALU_DEP_1)
	v_fma_f32 v34, v37, v35, -v38
	v_fmac_f32_e32 v34, v37, v7
	s_delay_alu instid0(VALU_DEP_1) | instskip(NEXT) | instid1(VALU_DEP_1)
	v_add_f32_e32 v39, v38, v34
	v_sub_f32_e32 v40, v36, v39
	v_sub_f32_e32 v6, v39, v38
	s_delay_alu instid0(VALU_DEP_2) | instskip(NEXT) | instid1(VALU_DEP_1)
	v_sub_f32_e32 v36, v36, v40
	v_sub_f32_e32 v36, v36, v39
	s_delay_alu instid0(VALU_DEP_1) | instskip(NEXT) | instid1(VALU_DEP_1)
	v_dual_sub_f32 v6, v6, v34 :: v_dual_add_f32 v3, v3, v36
	v_add_f32_e32 v3, v6, v3
	s_delay_alu instid0(VALU_DEP_1) | instskip(NEXT) | instid1(VALU_DEP_1)
	v_add_f32_e32 v6, v40, v3
	v_mul_f32_e32 v34, v5, v6
	v_sub_f32_e32 v39, v40, v6
	s_delay_alu instid0(VALU_DEP_2) | instskip(NEXT) | instid1(VALU_DEP_2)
	v_mul_f32_e32 v36, v35, v34
	v_add_f32_e32 v3, v3, v39
	s_delay_alu instid0(VALU_DEP_2) | instskip(NEXT) | instid1(VALU_DEP_1)
	v_fma_f32 v35, v34, v35, -v36
	v_fmac_f32_e32 v35, v34, v7
	s_delay_alu instid0(VALU_DEP_1) | instskip(NEXT) | instid1(VALU_DEP_1)
	v_add_f32_e32 v7, v36, v35
	v_sub_f32_e32 v38, v6, v7
	s_delay_alu instid0(VALU_DEP_1) | instskip(NEXT) | instid1(VALU_DEP_1)
	v_sub_f32_e32 v6, v6, v38
	v_sub_f32_e32 v6, v6, v7
	s_delay_alu instid0(VALU_DEP_1) | instskip(SKIP_2) | instid1(VALU_DEP_1)
	v_add_f32_e32 v3, v3, v6
	v_add_f32_e32 v6, v37, v34
	v_sub_f32_e32 v36, v7, v36
	v_sub_f32_e32 v7, v36, v35
	s_delay_alu instid0(VALU_DEP_1) | instskip(NEXT) | instid1(VALU_DEP_4)
	v_add_f32_e32 v3, v7, v3
	v_sub_f32_e32 v7, v6, v37
	s_delay_alu instid0(VALU_DEP_2) | instskip(NEXT) | instid1(VALU_DEP_2)
	v_add_f32_e32 v3, v38, v3
	v_sub_f32_e32 v7, v34, v7
	s_delay_alu instid0(VALU_DEP_2) | instskip(NEXT) | instid1(VALU_DEP_1)
	v_mul_f32_e32 v3, v5, v3
	v_add_f32_e32 v3, v7, v3
	s_delay_alu instid0(VALU_DEP_1) | instskip(NEXT) | instid1(VALU_DEP_1)
	v_add_f32_e32 v5, v6, v3
	v_mul_f32_e32 v7, v5, v5
	s_delay_alu instid0(VALU_DEP_1) | instskip(SKIP_1) | instid1(VALU_DEP_2)
	v_fmaak_f32 v34, s60, v7, 0x3ecc95a3
	v_mul_f32_e32 v35, v5, v7
	v_fmaak_f32 v7, v7, v34, 0x3f2aaada
	v_ldexp_f32 v34, v5, 1
	v_sub_f32_e32 v5, v5, v6
	s_delay_alu instid0(VALU_DEP_3) | instskip(SKIP_1) | instid1(VALU_DEP_2)
	v_mul_f32_e32 v7, v35, v7
	v_mul_f32_e32 v35, 0x3f317218, v2
	v_dual_sub_f32 v3, v3, v5 :: v_dual_add_f32 v6, v34, v7
	s_delay_alu instid0(VALU_DEP_1) | instskip(NEXT) | instid1(VALU_DEP_2)
	v_ldexp_f32 v3, v3, 1
	v_sub_f32_e32 v5, v6, v34
	s_delay_alu instid0(VALU_DEP_4) | instskip(NEXT) | instid1(VALU_DEP_1)
	v_fma_f32 v34, 0x3f317218, v2, -v35
	v_dual_sub_f32 v5, v7, v5 :: v_dual_fmac_f32 v34, 0xb102e308, v2
	s_delay_alu instid0(VALU_DEP_1) | instskip(NEXT) | instid1(VALU_DEP_1)
	v_add_f32_e32 v2, v3, v5
	v_add_f32_e32 v5, v6, v2
	s_delay_alu instid0(VALU_DEP_1) | instskip(NEXT) | instid1(VALU_DEP_1)
	v_sub_f32_e32 v6, v5, v6
	v_sub_f32_e32 v2, v2, v6
	v_add_f32_e32 v3, v35, v34
	s_delay_alu instid0(VALU_DEP_1) | instskip(SKIP_1) | instid1(VALU_DEP_2)
	v_add_f32_e32 v7, v3, v5
	v_sub_f32_e32 v35, v3, v35
	v_sub_f32_e32 v36, v7, v3
	s_delay_alu instid0(VALU_DEP_1) | instskip(NEXT) | instid1(VALU_DEP_1)
	v_dual_sub_f32 v34, v34, v35 :: v_dual_sub_f32 v37, v7, v36
	v_dual_sub_f32 v5, v5, v36 :: v_dual_add_f32 v6, v34, v2
	s_delay_alu instid0(VALU_DEP_2) | instskip(NEXT) | instid1(VALU_DEP_1)
	v_sub_f32_e32 v3, v3, v37
	v_add_f32_e32 v3, v5, v3
	s_delay_alu instid0(VALU_DEP_3) | instskip(NEXT) | instid1(VALU_DEP_2)
	v_sub_f32_e32 v5, v6, v34
	v_add_f32_e32 v3, v6, v3
	s_delay_alu instid0(VALU_DEP_2) | instskip(NEXT) | instid1(VALU_DEP_2)
	v_sub_f32_e32 v6, v6, v5
	v_dual_sub_f32 v2, v2, v5 :: v_dual_add_f32 v35, v7, v3
	s_delay_alu instid0(VALU_DEP_1) | instskip(NEXT) | instid1(VALU_DEP_1)
	v_dual_sub_f32 v6, v34, v6 :: v_dual_sub_f32 v5, v35, v7
	v_dual_add_f32 v2, v2, v6 :: v_dual_sub_f32 v3, v3, v5
	s_delay_alu instid0(VALU_DEP_1) | instskip(NEXT) | instid1(VALU_DEP_1)
	v_add_f32_e32 v2, v2, v3
	v_add_f32_e32 v2, v35, v2
	s_delay_alu instid0(VALU_DEP_1)
	v_cndmask_b32_e32 v38, v2, v4, vcc_lo
.LBB38_34:                              ;   in Loop: Header=BB38_12 Depth=1
	s_or_b32 exec_lo, exec_lo, s17
	v_and_b32_e32 v3, 0xffff0000, v0
	v_lshlrev_b32_e32 v0, 16, v0
	v_lshlrev_b32_e32 v2, 16, v1
	v_and_b32_e32 v1, 0xffff0000, v1
	s_and_b32 vcc_lo, exec_lo, s57
	s_delay_alu instid0(VALU_DEP_3) | instskip(NEXT) | instid1(VALU_DEP_2)
	v_mul_f32_e32 v37, s49, v0
	v_dual_mul_f32 v35, s49, v2 :: v_dual_mul_f32 v36, s49, v1
	v_mul_f32_e32 v34, s49, v3
	s_barrier
	buffer_gl0_inv
	s_cbranch_vccz .LBB38_82
; %bb.35:                               ;   in Loop: Header=BB38_12 Depth=1
	v_dual_mul_f32 v39, v38, v1 :: v_dual_mul_f32 v44, v33, v2
	v_add_co_u32 v1, s16, s27, v29
	s_delay_alu instid0(VALU_DEP_1) | instskip(SKIP_1) | instid1(VALU_DEP_1)
	v_add_co_ci_u32_e64 v4, null, s41, 0, s16
	v_add_co_u32 v5, s16, s45, v29
	v_add_co_ci_u32_e64 v6, null, s52, 0, s16
	s_delay_alu instid0(VALU_DEP_4) | instskip(NEXT) | instid1(VALU_DEP_4)
	v_add_co_u32 v40, vcc_lo, v1, v30
	v_add_co_ci_u32_e32 v41, vcc_lo, 0, v4, vcc_lo
	s_delay_alu instid0(VALU_DEP_4) | instskip(NEXT) | instid1(VALU_DEP_4)
	v_add_co_u32 v42, vcc_lo, v5, v30
	v_add_co_ci_u32_e32 v43, vcc_lo, 0, v6, vcc_lo
	v_cmp_gt_u32_e32 vcc_lo, s19, v8
	v_cmp_gt_u32_e64 s17, s19, v26
	v_cmp_gt_u32_e64 s18, s19, v27
	;; [unrolled: 1-line block ×3, first 2 shown]
	s_cmp_lg_u32 s62, 0
	v_dual_mul_f32 v45, v32, v3 :: v_dual_mul_f32 v46, v31, v0
	s_mov_b32 s28, 0
	s_cselect_b32 s25, -1, 0
	s_cmp_eq_u32 s62, s59
	s_mov_b32 s30, s28
	s_cselect_b32 s63, -1, 0
	s_or_b32 s16, s58, vcc_lo
	s_or_b32 s17, s58, s17
	s_or_b32 s18, s58, s18
	;; [unrolled: 1-line block ×3, first 2 shown]
	s_mov_b32 s34, s28
	s_mov_b32 s38, s28
	;; [unrolled: 1-line block ×4, first 2 shown]
	s_branch .LBB38_37
.LBB38_36:                              ;   in Loop: Header=BB38_37 Depth=2
	s_or_b32 exec_lo, exec_lo, s20
	v_cndmask_b32_e64 v2, v56, v7, s11
	v_cndmask_b32_e64 v3, v55, v6, s11
	s_add_i32 s64, s64, -1
	s_add_i32 s65, s65, 8
	s_add_i32 s38, s38, s26
	v_fma_f32 v2, v2, v54, v52
	v_mul_f32_e32 v3, v3, v54
	s_add_i32 s34, s34, s44
	s_add_i32 s30, s30, s40
	;; [unrolled: 1-line block ×3, first 2 shown]
	v_cndmask_b32_e64 v2, v2, v52, s10
	v_cndmask_b32_e64 v3, v3, v54, s10
	s_cmp_eq_u32 s64, 0
	s_waitcnt lgkmcnt(0)
	s_delay_alu instid0(VALU_DEP_1) | instskip(SKIP_3) | instid1(VALU_DEP_4)
	v_dual_fmac_f32 v2, v4, v3 :: v_dual_and_b32 v3, 0xffff0000, v0
	v_and_b32_e32 v4, 0xffff0000, v1
	v_lshlrev_b32_e32 v0, 16, v0
	v_lshlrev_b32_e32 v1, 16, v1
	v_fmac_f32_e32 v47, v2, v53
	s_delay_alu instid0(VALU_DEP_1) | instskip(NEXT) | instid1(VALU_DEP_1)
	v_fmac_f32_e32 v48, v47, v51
	v_fmac_f32_e32 v49, v48, v50
	s_delay_alu instid0(VALU_DEP_1)
	v_dual_fmac_f32 v35, v48, v1 :: v_dual_fmac_f32 v36, v49, v4
	v_dual_fmac_f32 v37, v2, v0 :: v_dual_fmac_f32 v34, v47, v3
	s_cbranch_scc1 .LBB38_82
.LBB38_37:                              ;   Parent Loop BB38_12 Depth=1
                                        ; =>  This Inner Loop Header: Depth=2
	s_lshl_b64 s[20:21], s[28:29], 2
	s_mov_b32 s31, s29
	s_add_u32 s20, s50, s20
	s_addc_u32 s21, s51, s21
	v_dual_mov_b32 v2, 0 :: v_dual_mov_b32 v3, 0
	global_load_b32 v6, v12, s[20:21]
	s_lshl_b64 s[20:21], s[30:31], 1
	s_delay_alu instid0(SALU_CYCLE_1)
	v_add_co_u32 v0, vcc_lo, v40, s20
	v_add_co_ci_u32_e32 v1, vcc_lo, s21, v41, vcc_lo
	s_and_saveexec_b32 s20, s12
	s_cbranch_execz .LBB38_39
; %bb.38:                               ;   in Loop: Header=BB38_37 Depth=2
	global_load_u16 v3, v[0:1], off
.LBB38_39:                              ;   in Loop: Header=BB38_37 Depth=2
	s_or_b32 exec_lo, exec_lo, s20
	s_and_saveexec_b32 s20, s13
	s_cbranch_execz .LBB38_41
; %bb.40:                               ;   in Loop: Header=BB38_37 Depth=2
	global_load_u16 v2, v[0:1], off offset:64
.LBB38_41:                              ;   in Loop: Header=BB38_37 Depth=2
	s_or_b32 exec_lo, exec_lo, s20
	v_dual_mov_b32 v4, 0 :: v_dual_mov_b32 v5, 0
	s_and_saveexec_b32 s20, s14
	s_cbranch_execz .LBB38_43
; %bb.42:                               ;   in Loop: Header=BB38_37 Depth=2
	global_load_u16 v5, v[0:1], off offset:128
.LBB38_43:                              ;   in Loop: Header=BB38_37 Depth=2
	s_or_b32 exec_lo, exec_lo, s20
	s_and_saveexec_b32 s20, s15
	s_cbranch_execz .LBB38_45
; %bb.44:                               ;   in Loop: Header=BB38_37 Depth=2
	global_load_u16 v4, v[0:1], off offset:192
.LBB38_45:                              ;   in Loop: Header=BB38_37 Depth=2
	s_or_b32 exec_lo, exec_lo, s20
	s_waitcnt vmcnt(0)
	ds_store_b16 v14, v3
	ds_store_b16 v14, v2 offset:64
	ds_store_b16 v15, v5 offset:128
	;; [unrolled: 1-line block ×3, first 2 shown]
	; wave barrier
	ds_load_b64 v[4:5], v17
	s_mov_b32 s35, s29
	v_dual_mov_b32 v2, 0 :: v_dual_mov_b32 v3, 0
	s_lshl_b64 s[20:21], s[34:35], 1
	s_delay_alu instid0(SALU_CYCLE_1)
	v_add_co_u32 v0, vcc_lo, v42, s20
	v_add_co_ci_u32_e32 v1, vcc_lo, s21, v43, vcc_lo
	s_and_saveexec_b32 s20, s12
	s_cbranch_execz .LBB38_47
; %bb.46:                               ;   in Loop: Header=BB38_37 Depth=2
	global_load_u16 v3, v[0:1], off
.LBB38_47:                              ;   in Loop: Header=BB38_37 Depth=2
	s_or_b32 exec_lo, exec_lo, s20
	s_and_saveexec_b32 s20, s13
	s_cbranch_execz .LBB38_49
; %bb.48:                               ;   in Loop: Header=BB38_37 Depth=2
	global_load_u16 v2, v[0:1], off offset:64
.LBB38_49:                              ;   in Loop: Header=BB38_37 Depth=2
	s_or_b32 exec_lo, exec_lo, s20
	v_mov_b32_e32 v7, 0
	v_mov_b32_e32 v47, 0
	s_and_saveexec_b32 s20, s14
	s_cbranch_execz .LBB38_51
; %bb.50:                               ;   in Loop: Header=BB38_37 Depth=2
	global_load_u16 v47, v[0:1], off offset:128
.LBB38_51:                              ;   in Loop: Header=BB38_37 Depth=2
	s_or_b32 exec_lo, exec_lo, s20
	s_and_saveexec_b32 s20, s15
	s_cbranch_execz .LBB38_53
; %bb.52:                               ;   in Loop: Header=BB38_37 Depth=2
	global_load_u16 v7, v[0:1], off offset:192
.LBB38_53:                              ;   in Loop: Header=BB38_37 Depth=2
	s_or_b32 exec_lo, exec_lo, s20
	s_waitcnt vmcnt(0)
	ds_store_b16 v14, v3 offset:528
	ds_store_b16 v18, v2 offset:64
	;; [unrolled: 1-line block ×4, first 2 shown]
	; wave barrier
	ds_load_b64 v[0:1], v17 offset:528
	s_and_not1_b32 vcc_lo, exec_lo, s25
	s_cbranch_vccnz .LBB38_55
; %bb.54:                               ;   in Loop: Header=BB38_37 Depth=2
	v_mov_b32_e32 v2, s65
	ds_load_b64 v[2:3], v2
	s_cbranch_execz .LBB38_56
	s_branch .LBB38_59
.LBB38_55:                              ;   in Loop: Header=BB38_37 Depth=2
                                        ; implicit-def: $vgpr2
.LBB38_56:                              ;   in Loop: Header=BB38_37 Depth=2
	s_waitcnt lgkmcnt(0)
	v_mov_b32_e32 v3, 0
	s_and_not1_b32 vcc_lo, exec_lo, s33
	s_cbranch_vccnz .LBB38_58
; %bb.57:                               ;   in Loop: Header=BB38_37 Depth=2
	s_mov_b32 s39, s29
	s_delay_alu instid0(SALU_CYCLE_1) | instskip(NEXT) | instid1(SALU_CYCLE_1)
	s_lshl_b64 s[20:21], s[38:39], 2
	s_add_u32 s20, s53, s20
	s_addc_u32 s21, s54, s21
	global_load_b32 v3, v12, s[20:21]
.LBB38_58:                              ;   in Loop: Header=BB38_37 Depth=2
	v_mov_b32_e32 v2, 1.0
.LBB38_59:                              ;   in Loop: Header=BB38_37 Depth=2
	s_waitcnt lgkmcnt(5)
	v_dual_mul_f32 v6, 0x3fb8aa3b, v6 :: v_dual_lshlrev_b32 v7, 16, v4
	v_lshlrev_b32_e32 v47, 16, v5
	v_and_b32_e32 v4, 0xffff0000, v4
	s_delay_alu instid0(VALU_DEP_3) | instskip(NEXT) | instid1(VALU_DEP_4)
	v_mul_f32_e32 v48, v6, v31
	v_mul_f32_e32 v7, v46, v7
	s_delay_alu instid0(VALU_DEP_3) | instskip(SKIP_1) | instid1(VALU_DEP_4)
	v_dual_mul_f32 v51, v6, v38 :: v_dual_mul_f32 v4, v45, v4
	v_dual_mul_f32 v50, v6, v33 :: v_dual_mul_f32 v55, v44, v47
	v_cmp_gt_f32_e32 vcc_lo, 0xc2fc0000, v48
	s_delay_alu instid0(VALU_DEP_3) | instskip(NEXT) | instid1(VALU_DEP_3)
	v_cmp_gt_f32_e64 s22, 0xc2fc0000, v51
	v_cmp_gt_f32_e64 s21, 0xc2fc0000, v50
	v_cndmask_b32_e64 v48, 0, 0x42800000, vcc_lo
	v_and_b32_e32 v5, 0xffff0000, v5
	s_delay_alu instid0(VALU_DEP_4) | instskip(SKIP_4) | instid1(VALU_DEP_3)
	v_cndmask_b32_e64 v51, 0, 0x42800000, s22
	v_cndmask_b32_e64 v52, 1.0, 0x1f800000, vcc_lo
	v_cndmask_b32_e64 v50, 0, 0x42800000, s21
	v_fmac_f32_e32 v48, v6, v31
	v_cndmask_b32_e64 v47, 1.0, 0x1f800000, s21
	v_fmac_f32_e32 v50, v6, v33
	s_delay_alu instid0(VALU_DEP_3) | instskip(SKIP_1) | instid1(VALU_DEP_2)
	v_exp_f32_e32 v48, v48
	v_fmac_f32_e32 v51, v6, v38
	v_exp_f32_e32 v50, v50
	s_waitcnt_depctr 0xfff
	v_mul_f32_e32 v48, v48, v52
	v_cndmask_b32_e64 v52, 0, v7, s16
	v_exp_f32_e32 v7, v51
	s_delay_alu instid0(VALU_DEP_2) | instskip(SKIP_2) | instid1(VALU_DEP_2)
	v_cndmask_b32_e64 v54, 1.0, v48, s16
	v_mul_f32_e32 v49, v6, v32
	v_cndmask_b32_e64 v48, 0, v55, s18
	v_cmp_gt_f32_e64 s20, 0xc2fc0000, v49
	s_delay_alu instid0(VALU_DEP_1) | instskip(NEXT) | instid1(VALU_DEP_1)
	v_cndmask_b32_e64 v49, 0, 0x42800000, s20
	v_fmac_f32_e32 v49, v6, v32
	v_cndmask_b32_e64 v6, 1.0, 0x1f800000, s20
	s_delay_alu instid0(VALU_DEP_2) | instskip(SKIP_4) | instid1(VALU_DEP_3)
	v_exp_f32_e32 v49, v49
	s_waitcnt_depctr 0xfff
	v_dual_mul_f32 v6, v49, v6 :: v_dual_mul_f32 v49, v50, v47
	v_cndmask_b32_e64 v47, 0, v4, s17
	v_cndmask_b32_e64 v4, 1.0, 0x1f800000, s22
	v_cndmask_b32_e64 v53, 1.0, v6, s17
	s_delay_alu instid0(VALU_DEP_4) | instskip(NEXT) | instid1(VALU_DEP_3)
	v_cndmask_b32_e64 v51, 1.0, v49, s18
	v_mul_f32_e32 v4, v7, v4
	s_delay_alu instid0(VALU_DEP_3) | instskip(SKIP_1) | instid1(VALU_DEP_3)
	v_dual_mul_f32 v6, v53, v54 :: v_dual_mul_f32 v5, v39, v5
	v_fma_f32 v7, v53, v52, v47
	v_cndmask_b32_e64 v50, 1.0, v4, s19
	s_delay_alu instid0(VALU_DEP_3) | instskip(NEXT) | instid1(VALU_DEP_4)
	v_mul_f32_e32 v4, v6, v51
	v_cndmask_b32_e64 v49, 0, v5, s19
	s_delay_alu instid0(VALU_DEP_4) | instskip(NEXT) | instid1(VALU_DEP_3)
	v_fma_f32 v5, v7, v51, v48
	v_mul_f32_e32 v4, v4, v50
	s_delay_alu instid0(VALU_DEP_2) | instskip(NEXT) | instid1(VALU_DEP_2)
	v_fma_f32 v5, v5, v50, v49
	v_mov_b32_dpp v7, v4 row_shr:1 row_mask:0xf bank_mask:0xf
	s_delay_alu instid0(VALU_DEP_2)
	v_mov_b32_dpp v6, v5 row_shr:1 row_mask:0xf bank_mask:0xf
	s_and_saveexec_b32 s20, s0
; %bb.60:                               ;   in Loop: Header=BB38_37 Depth=2
	s_delay_alu instid0(VALU_DEP_2) | instskip(NEXT) | instid1(VALU_DEP_1)
	v_mul_f32_e32 v7, v4, v7
	v_dual_fmac_f32 v5, v4, v6 :: v_dual_mov_b32 v4, v7
; %bb.61:                               ;   in Loop: Header=BB38_37 Depth=2
	s_or_b32 exec_lo, exec_lo, s20
	s_delay_alu instid0(VALU_DEP_1) | instskip(NEXT) | instid1(VALU_DEP_2)
	v_mov_b32_dpp v6, v4 row_shr:2 row_mask:0xf bank_mask:0xf
	v_mov_b32_dpp v7, v5 row_shr:2 row_mask:0xf bank_mask:0xf
	s_and_saveexec_b32 s20, s1
; %bb.62:                               ;   in Loop: Header=BB38_37 Depth=2
	s_delay_alu instid0(VALU_DEP_1) | instskip(NEXT) | instid1(VALU_DEP_3)
	v_fmac_f32_e32 v5, v4, v7
	v_mul_f32_e32 v4, v4, v6
; %bb.63:                               ;   in Loop: Header=BB38_37 Depth=2
	s_or_b32 exec_lo, exec_lo, s20
	s_delay_alu instid0(VALU_DEP_1) | instskip(NEXT) | instid1(VALU_DEP_3)
	v_mov_b32_dpp v6, v4 row_shr:4 row_mask:0xf bank_mask:0xf
	v_mov_b32_dpp v7, v5 row_shr:4 row_mask:0xf bank_mask:0xf
	s_and_saveexec_b32 s20, s2
; %bb.64:                               ;   in Loop: Header=BB38_37 Depth=2
	s_delay_alu instid0(VALU_DEP_1) | instskip(NEXT) | instid1(VALU_DEP_3)
	v_fmac_f32_e32 v5, v4, v7
	v_mul_f32_e32 v4, v4, v6
; %bb.65:                               ;   in Loop: Header=BB38_37 Depth=2
	s_or_b32 exec_lo, exec_lo, s20
	s_delay_alu instid0(VALU_DEP_1) | instskip(NEXT) | instid1(VALU_DEP_3)
	v_mov_b32_dpp v6, v4 row_shr:8 row_mask:0xf bank_mask:0xf
	v_mov_b32_dpp v7, v5 row_shr:8 row_mask:0xf bank_mask:0xf
	s_and_saveexec_b32 s20, s3
; %bb.66:                               ;   in Loop: Header=BB38_37 Depth=2
	s_delay_alu instid0(VALU_DEP_1) | instskip(NEXT) | instid1(VALU_DEP_3)
	v_fmac_f32_e32 v5, v4, v7
	v_mul_f32_e32 v4, v4, v6
; %bb.67:                               ;   in Loop: Header=BB38_37 Depth=2
	s_or_b32 exec_lo, exec_lo, s20
	ds_swizzle_b32 v7, v4 offset:swizzle(BROADCAST,32,15)
	ds_swizzle_b32 v6, v5 offset:swizzle(BROADCAST,32,15)
	s_and_saveexec_b32 s20, s4
	s_cbranch_execz .LBB38_69
; %bb.68:                               ;   in Loop: Header=BB38_37 Depth=2
	s_waitcnt lgkmcnt(1)
	v_mul_f32_e32 v7, v4, v7
	s_waitcnt lgkmcnt(0)
	s_delay_alu instid0(VALU_DEP_1)
	v_dual_fmac_f32 v5, v4, v6 :: v_dual_mov_b32 v4, v7
.LBB38_69:                              ;   in Loop: Header=BB38_37 Depth=2
	s_or_b32 exec_lo, exec_lo, s20
	s_and_saveexec_b32 s20, s5
	s_cbranch_execz .LBB38_71
; %bb.70:                               ;   in Loop: Header=BB38_37 Depth=2
	ds_store_b64 v21, v[4:5] offset:1056
.LBB38_71:                              ;   in Loop: Header=BB38_37 Depth=2
	s_or_b32 exec_lo, exec_lo, s20
	s_waitcnt vmcnt(0) lgkmcnt(0)
	s_waitcnt_vscnt null, 0x0
	s_barrier
	buffer_gl0_inv
	s_and_saveexec_b32 s20, s6
	s_cbranch_execz .LBB38_73
; %bb.72:                               ;   in Loop: Header=BB38_37 Depth=2
	ds_load_b64 v[6:7], v22 offset:1056
	s_waitcnt lgkmcnt(0)
	v_mov_b32_dpp v55, v6 row_shr:1 row_mask:0xf bank_mask:0xf
	v_mov_b32_dpp v56, v7 row_shr:1 row_mask:0xf bank_mask:0xf
	s_delay_alu instid0(VALU_DEP_2) | instskip(NEXT) | instid1(VALU_DEP_2)
	v_mul_f32_e32 v55, v6, v55
	v_fma_f32 v56, v6, v56, v7
	s_delay_alu instid0(VALU_DEP_2) | instskip(NEXT) | instid1(VALU_DEP_2)
	v_cndmask_b32_e64 v6, v55, v6, s7
	v_cndmask_b32_e64 v7, v56, v7, s7
	ds_store_b64 v22, v[6:7] offset:1056
.LBB38_73:                              ;   in Loop: Header=BB38_37 Depth=2
	s_or_b32 exec_lo, exec_lo, s20
	s_waitcnt lgkmcnt(0)
	s_barrier
	buffer_gl0_inv
                                        ; implicit-def: $vgpr7
	s_and_saveexec_b32 s20, s9
	s_cbranch_execz .LBB38_75
; %bb.74:                               ;   in Loop: Header=BB38_37 Depth=2
	ds_load_b64 v[6:7], v21 offset:1048
	s_waitcnt lgkmcnt(0)
	v_mul_f32_e32 v55, v4, v6
	s_delay_alu instid0(VALU_DEP_1)
	v_dual_fmac_f32 v5, v4, v7 :: v_dual_mov_b32 v4, v55
.LBB38_75:                              ;   in Loop: Header=BB38_37 Depth=2
	s_or_b32 exec_lo, exec_lo, s20
	ds_bpermute_b32 v55, v23, v4
	ds_bpermute_b32 v56, v23, v5
	s_and_saveexec_b32 s20, s8
	s_cbranch_execz .LBB38_79
; %bb.76:                               ;   in Loop: Header=BB38_37 Depth=2
	ds_load_b64 v[4:5], v12 offset:1064
	s_and_saveexec_b32 s21, s10
	s_cbranch_execz .LBB38_78
; %bb.77:                               ;   in Loop: Header=BB38_37 Depth=2
	ds_store_b64 v12, v[2:3] offset:1064
.LBB38_78:                              ;   in Loop: Header=BB38_37 Depth=2
	s_or_b32 exec_lo, exec_lo, s21
	s_waitcnt lgkmcnt(0)
	v_fmac_f32_e32 v5, v3, v4
	s_delay_alu instid0(VALU_DEP_1)
	v_dual_mul_f32 v2, v2, v4 :: v_dual_mov_b32 v3, v5
.LBB38_79:                              ;   in Loop: Header=BB38_37 Depth=2
	s_or_b32 exec_lo, exec_lo, s20
	s_waitcnt lgkmcnt(0)
	s_barrier
	buffer_gl0_inv
	ds_load_b32 v4, v12 offset:1068
	s_and_saveexec_b32 s20, s10
	s_cbranch_execz .LBB38_36
; %bb.80:                               ;   in Loop: Header=BB38_37 Depth=2
	v_mov_b32_e32 v5, s65
	s_and_not1_b32 vcc_lo, exec_lo, s63
	ds_store_b64 v5, v[2:3]
	s_cbranch_vccnz .LBB38_36
; %bb.81:                               ;   in Loop: Header=BB38_37 Depth=2
	s_mov_b32 s39, s29
	s_delay_alu instid0(SALU_CYCLE_1) | instskip(NEXT) | instid1(SALU_CYCLE_1)
	s_lshl_b64 s[66:67], s[38:39], 2
	s_add_u32 s66, s53, s66
	s_addc_u32 s67, s54, s67
	global_store_b32 v12, v3, s[66:67]
	s_branch .LBB38_36
.LBB38_82:                              ;   in Loop: Header=BB38_12 Depth=1
	s_delay_alu instid0(VALU_DEP_1) | instskip(NEXT) | instid1(VALU_DEP_3)
	v_bfe_u32 v0, v37, 16, 1
	v_bfe_u32 v2, v35, 16, 1
	;; [unrolled: 1-line block ×3, first 2 shown]
	v_cmp_o_f32_e32 vcc_lo, v37, v37
	v_bfe_u32 v1, v34, 16, 1
	v_add3_u32 v0, v37, v0, 0x7fff
	v_add3_u32 v2, v35, v2, 0x7fff
	;; [unrolled: 1-line block ×3, first 2 shown]
	s_waitcnt_vscnt null, 0x0
	v_add3_u32 v1, v34, v1, 0x7fff
	v_lshrrev_b32_e32 v0, 16, v0
	v_lshrrev_b32_e32 v2, 16, v2
	;; [unrolled: 1-line block ×3, first 2 shown]
	s_barrier
	v_lshrrev_b32_e32 v1, 16, v1
	v_cndmask_b32_e32 v0, 0x7fc0, v0, vcc_lo
	v_cmp_o_f32_e32 vcc_lo, v35, v35
	buffer_gl0_inv
	s_mov_b32 s25, s29
	s_delay_alu instid0(SALU_CYCLE_1)
	s_lshl_b64 s[16:17], s[24:25], 1
	v_cndmask_b32_e32 v2, 0x7fc0, v2, vcc_lo
	v_cmp_o_f32_e32 vcc_lo, v36, v36
	v_cndmask_b32_e32 v3, 0x7fc0, v3, vcc_lo
	v_cmp_o_f32_e32 vcc_lo, v34, v34
	v_cndmask_b32_e32 v4, 0x7fc0, v1, vcc_lo
	s_delay_alu instid0(VALU_DEP_3) | instskip(NEXT) | instid1(VALU_DEP_2)
	v_perm_b32 v1, v3, v2, 0x5040100
	v_perm_b32 v0, v4, v0, 0x5040100
	ds_store_b64 v17, v[0:1]
	; wave barrier
	ds_load_u16 v4, v14 offset:64
	ds_load_u16 v3, v15 offset:128
	ds_load_u16 v2, v16 offset:192
	v_add_co_u32 v0, vcc_lo, v24, s16
	v_add_co_ci_u32_e32 v1, vcc_lo, s17, v25, vcc_lo
	s_and_saveexec_b32 s16, s12
	s_cbranch_execnz .LBB38_88
; %bb.83:                               ;   in Loop: Header=BB38_12 Depth=1
	s_or_b32 exec_lo, exec_lo, s16
	s_and_saveexec_b32 s12, s13
	s_cbranch_execnz .LBB38_89
.LBB38_84:                              ;   in Loop: Header=BB38_12 Depth=1
	s_or_b32 exec_lo, exec_lo, s12
	s_and_saveexec_b32 s12, s14
	s_cbranch_execnz .LBB38_90
.LBB38_85:                              ;   in Loop: Header=BB38_12 Depth=1
	s_or_b32 exec_lo, exec_lo, s12
	s_and_saveexec_b32 s12, s15
	s_cbranch_execz .LBB38_11
	s_branch .LBB38_91
.LBB38_86:                              ;   in Loop: Header=BB38_12 Depth=1
	global_load_u16 v6, v[2:3], off offset:64
	s_or_b32 exec_lo, exec_lo, s16
	s_and_saveexec_b32 s16, s14
	s_cbranch_execz .LBB38_24
.LBB38_87:                              ;   in Loop: Header=BB38_12 Depth=1
	global_load_u16 v5, v[2:3], off offset:128
	s_or_b32 exec_lo, exec_lo, s16
	v_mov_b32_e32 v7, 0
	s_and_saveexec_b32 s16, s15
	s_cbranch_execnz .LBB38_25
	s_branch .LBB38_26
.LBB38_88:                              ;   in Loop: Header=BB38_12 Depth=1
	ds_load_u16 v5, v14
	s_waitcnt lgkmcnt(0)
	global_store_b16 v[0:1], v5, off
	s_or_b32 exec_lo, exec_lo, s16
	s_and_saveexec_b32 s12, s13
	s_cbranch_execz .LBB38_84
.LBB38_89:                              ;   in Loop: Header=BB38_12 Depth=1
	s_waitcnt lgkmcnt(2)
	global_store_b16 v[0:1], v4, off offset:64
	s_or_b32 exec_lo, exec_lo, s12
	s_and_saveexec_b32 s12, s14
	s_cbranch_execz .LBB38_85
.LBB38_90:                              ;   in Loop: Header=BB38_12 Depth=1
	s_waitcnt lgkmcnt(1)
	global_store_b16 v[0:1], v3, off offset:128
	s_or_b32 exec_lo, exec_lo, s12
	s_and_saveexec_b32 s12, s15
	s_cbranch_execz .LBB38_11
.LBB38_91:                              ;   in Loop: Header=BB38_12 Depth=1
	s_waitcnt lgkmcnt(0)
	global_store_b16 v[0:1], v2, off offset:192
	s_branch .LBB38_11
.LBB38_92:
	s_nop 0
	s_sendmsg sendmsg(MSG_DEALLOC_VGPRS)
	s_endpgm
	.section	.rodata,"a",@progbits
	.p2align	6, 0x0
	.amdhsa_kernel _Z25selective_scan_fwd_kernelI32Selective_Scan_fwd_kernel_traitsILi64ELi4ELi1ELb0ELb1ELb1ELb0ELb1EN3c108BFloat16EffEEv13SSMParamsBase
		.amdhsa_group_segment_fixed_size 0
		.amdhsa_private_segment_fixed_size 0
		.amdhsa_kernarg_size 248
		.amdhsa_user_sgpr_count 14
		.amdhsa_user_sgpr_dispatch_ptr 0
		.amdhsa_user_sgpr_queue_ptr 0
		.amdhsa_user_sgpr_kernarg_segment_ptr 1
		.amdhsa_user_sgpr_dispatch_id 0
		.amdhsa_user_sgpr_private_segment_size 0
		.amdhsa_wavefront_size32 1
		.amdhsa_uses_dynamic_stack 0
		.amdhsa_enable_private_segment 0
		.amdhsa_system_sgpr_workgroup_id_x 1
		.amdhsa_system_sgpr_workgroup_id_y 1
		.amdhsa_system_sgpr_workgroup_id_z 0
		.amdhsa_system_sgpr_workgroup_info 0
		.amdhsa_system_vgpr_workitem_id 0
		.amdhsa_next_free_vgpr 57
		.amdhsa_next_free_sgpr 68
		.amdhsa_reserve_vcc 1
		.amdhsa_float_round_mode_32 0
		.amdhsa_float_round_mode_16_64 0
		.amdhsa_float_denorm_mode_32 3
		.amdhsa_float_denorm_mode_16_64 3
		.amdhsa_dx10_clamp 1
		.amdhsa_ieee_mode 1
		.amdhsa_fp16_overflow 0
		.amdhsa_workgroup_processor_mode 1
		.amdhsa_memory_ordered 1
		.amdhsa_forward_progress 0
		.amdhsa_shared_vgpr_count 0
		.amdhsa_exception_fp_ieee_invalid_op 0
		.amdhsa_exception_fp_denorm_src 0
		.amdhsa_exception_fp_ieee_div_zero 0
		.amdhsa_exception_fp_ieee_overflow 0
		.amdhsa_exception_fp_ieee_underflow 0
		.amdhsa_exception_fp_ieee_inexact 0
		.amdhsa_exception_int_div_zero 0
	.end_amdhsa_kernel
	.section	.text._Z25selective_scan_fwd_kernelI32Selective_Scan_fwd_kernel_traitsILi64ELi4ELi1ELb0ELb1ELb1ELb0ELb1EN3c108BFloat16EffEEv13SSMParamsBase,"axG",@progbits,_Z25selective_scan_fwd_kernelI32Selective_Scan_fwd_kernel_traitsILi64ELi4ELi1ELb0ELb1ELb1ELb0ELb1EN3c108BFloat16EffEEv13SSMParamsBase,comdat
.Lfunc_end38:
	.size	_Z25selective_scan_fwd_kernelI32Selective_Scan_fwd_kernel_traitsILi64ELi4ELi1ELb0ELb1ELb1ELb0ELb1EN3c108BFloat16EffEEv13SSMParamsBase, .Lfunc_end38-_Z25selective_scan_fwd_kernelI32Selective_Scan_fwd_kernel_traitsILi64ELi4ELi1ELb0ELb1ELb1ELb0ELb1EN3c108BFloat16EffEEv13SSMParamsBase
                                        ; -- End function
	.section	.AMDGPU.csdata,"",@progbits
; Kernel info:
; codeLenInByte = 7040
; NumSgprs: 70
; NumVgprs: 57
; ScratchSize: 0
; MemoryBound: 0
; FloatMode: 240
; IeeeMode: 1
; LDSByteSize: 0 bytes/workgroup (compile time only)
; SGPRBlocks: 8
; VGPRBlocks: 7
; NumSGPRsForWavesPerEU: 70
; NumVGPRsForWavesPerEU: 57
; Occupancy: 16
; WaveLimiterHint : 1
; COMPUTE_PGM_RSRC2:SCRATCH_EN: 0
; COMPUTE_PGM_RSRC2:USER_SGPR: 14
; COMPUTE_PGM_RSRC2:TRAP_HANDLER: 0
; COMPUTE_PGM_RSRC2:TGID_X_EN: 1
; COMPUTE_PGM_RSRC2:TGID_Y_EN: 1
; COMPUTE_PGM_RSRC2:TGID_Z_EN: 0
; COMPUTE_PGM_RSRC2:TIDIG_COMP_CNT: 0
	.section	.text._Z25selective_scan_fwd_kernelI32Selective_Scan_fwd_kernel_traitsILi64ELi4ELi1ELb0ELb1ELb1ELb0ELb0EN3c108BFloat16EffEEv13SSMParamsBase,"axG",@progbits,_Z25selective_scan_fwd_kernelI32Selective_Scan_fwd_kernel_traitsILi64ELi4ELi1ELb0ELb1ELb1ELb0ELb0EN3c108BFloat16EffEEv13SSMParamsBase,comdat
	.protected	_Z25selective_scan_fwd_kernelI32Selective_Scan_fwd_kernel_traitsILi64ELi4ELi1ELb0ELb1ELb1ELb0ELb0EN3c108BFloat16EffEEv13SSMParamsBase ; -- Begin function _Z25selective_scan_fwd_kernelI32Selective_Scan_fwd_kernel_traitsILi64ELi4ELi1ELb0ELb1ELb1ELb0ELb0EN3c108BFloat16EffEEv13SSMParamsBase
	.globl	_Z25selective_scan_fwd_kernelI32Selective_Scan_fwd_kernel_traitsILi64ELi4ELi1ELb0ELb1ELb1ELb0ELb0EN3c108BFloat16EffEEv13SSMParamsBase
	.p2align	8
	.type	_Z25selective_scan_fwd_kernelI32Selective_Scan_fwd_kernel_traitsILi64ELi4ELi1ELb0ELb1ELb1ELb0ELb0EN3c108BFloat16EffEEv13SSMParamsBase,@function
_Z25selective_scan_fwd_kernelI32Selective_Scan_fwd_kernel_traitsILi64ELi4ELi1ELb0ELb1ELb1ELb0ELb0EN3c108BFloat16EffEEv13SSMParamsBase: ; @_Z25selective_scan_fwd_kernelI32Selective_Scan_fwd_kernel_traitsILi64ELi4ELi1ELb0ELb1ELb1ELb0ELb0EN3c108BFloat16EffEEv13SSMParamsBase
; %bb.0:
	s_clause 0x1
	s_load_b32 s9, s[0:1], 0x18
	s_load_b128 s[4:7], s[0:1], 0xe8
	s_mov_b32 s12, s15
	s_mov_b32 s33, 0
	s_waitcnt lgkmcnt(0)
	s_abs_i32 s8, s9
	s_cmp_eq_u64 s[6:7], 0
	v_cvt_f32_u32_e32 v1, s8
	s_delay_alu instid0(VALU_DEP_1) | instskip(SKIP_2) | instid1(VALU_DEP_1)
	v_rcp_iflag_f32_e32 v1, v1
	s_waitcnt_depctr 0xfff
	v_mul_f32_e32 v1, 0x4f7ffffe, v1
	v_cvt_u32_f32_e32 v1, v1
	s_delay_alu instid0(VALU_DEP_1)
	v_readfirstlane_b32 s10, v1
	s_cbranch_scc1 .LBB39_2
; %bb.1:
	v_mov_b32_e32 v1, 0
	s_ashr_i32 s3, s14, 31
	s_add_u32 s2, s6, s14
	s_addc_u32 s3, s7, s3
	global_load_u8 v1, v1, s[2:3]
	s_waitcnt vmcnt(0)
	v_and_b32_e32 v1, 1, v1
	s_delay_alu instid0(VALU_DEP_1)
	v_cmp_eq_u32_e64 s33, 1, v1
.LBB39_2:
	s_load_b64 s[6:7], s[0:1], 0x20
	s_cmp_eq_u64 s[4:5], 0
	s_cbranch_scc1 .LBB39_4
; %bb.3:
	s_ashr_i32 s15, s14, 31
	s_delay_alu instid0(SALU_CYCLE_1) | instskip(NEXT) | instid1(SALU_CYCLE_1)
	s_lshl_b64 s[2:3], s[14:15], 2
	s_add_u32 s2, s4, s2
	s_addc_u32 s3, s5, s3
	s_load_b32 s2, s[2:3], 0x0
	s_waitcnt lgkmcnt(0)
	s_ashr_i32 s3, s2, 31
	s_delay_alu instid0(SALU_CYCLE_1)
	s_cmp_eq_u64 s[6:7], s[2:3]
	s_cbranch_scc0 .LBB39_5
	s_branch .LBB39_92
.LBB39_4:
	s_mov_b32 s2, s14
	s_delay_alu instid0(SALU_CYCLE_1)
	s_ashr_i32 s3, s2, 31
	s_waitcnt lgkmcnt(0)
	s_cmp_eq_u64 s[6:7], s[2:3]
	s_cbranch_scc1 .LBB39_92
.LBB39_5:
	s_clause 0x1
	s_load_b512 s[16:31], s[0:1], 0x88
	s_load_b64 s[34:35], s[0:1], 0x8
	s_mov_b32 s48, 0
	s_mov_b32 s49, 0
	s_waitcnt lgkmcnt(0)
	s_cmp_eq_u64 s[22:23], 0
	s_cbranch_scc1 .LBB39_7
; %bb.6:
	s_ashr_i32 s13, s12, 31
	s_delay_alu instid0(SALU_CYCLE_1) | instskip(NEXT) | instid1(SALU_CYCLE_1)
	s_lshl_b64 s[4:5], s[12:13], 2
	s_add_u32 s4, s22, s4
	s_addc_u32 s5, s23, s5
	s_load_b32 s49, s[4:5], 0x0
.LBB39_7:
	s_cmp_eq_u64 s[28:29], 0
	s_cbranch_scc1 .LBB39_9
; %bb.8:
	s_ashr_i32 s13, s12, 31
	s_delay_alu instid0(SALU_CYCLE_1) | instskip(NEXT) | instid1(SALU_CYCLE_1)
	s_lshl_b64 s[4:5], s[12:13], 2
	s_add_u32 s4, s28, s4
	s_addc_u32 s5, s29, s5
	s_load_b32 s48, s[4:5], 0x0
.LBB39_9:
	s_cmp_lt_i32 s34, 1
	s_cbranch_scc1 .LBB39_92
; %bb.10:
	s_sub_i32 s3, 0, s8
	s_clause 0x1
	s_load_b64 s[4:5], s[0:1], 0x5c
	s_load_b128 s[44:47], s[0:1], 0x4c
	s_mul_i32 s3, s3, s10
	s_abs_i32 s6, s12
	s_mul_hi_u32 s3, s10, s3
	s_ashr_i32 s9, s9, 31
	s_add_i32 s10, s10, s3
	s_ashr_i32 s3, s12, 31
	s_mul_hi_u32 s7, s6, s10
	s_xor_b32 s3, s3, s9
	s_mul_i32 s10, s7, s8
	s_add_i32 s9, s7, 1
	s_sub_i32 s6, s6, s10
	s_load_b256 s[36:43], s[0:1], 0x2c
	s_sub_i32 s10, s6, s8
	s_cmp_ge_u32 s6, s8
	s_mov_b32 s29, 0
	s_cselect_b32 s7, s9, s7
	s_cselect_b32 s6, s10, s6
	s_add_i32 s9, s7, 1
	s_cmp_ge_u32 s6, s8
	s_waitcnt lgkmcnt(0)
	s_mul_i32 s28, s46, s14
	s_cselect_b32 s6, s9, s7
	v_lshlrev_b32_e32 v8, 2, v0
	s_xor_b32 s8, s6, s3
	s_lshl_b64 s[6:7], s[28:29], 1
	s_sub_i32 s3, s8, s3
	s_mul_i32 s28, s47, s12
	s_add_u32 s8, s24, s6
	s_addc_u32 s9, s25, s7
	s_lshl_b64 s[6:7], s[28:29], 1
	s_mul_i32 s28, s4, s14
	s_add_u32 s23, s8, s6
	s_addc_u32 s46, s9, s7
	s_lshl_b64 s[6:7], s[28:29], 1
	;; [unrolled: 4-line block ×3, first 2 shown]
	s_mul_i32 s28, s36, s12
	s_load_b128 s[24:27], s[0:1], 0x7c
	s_add_u32 s47, s6, s4
	s_addc_u32 s36, s7, s5
	s_load_b64 s[6:7], s[0:1], 0xc8
	s_lshl_b64 s[4:5], s[28:29], 2
	s_mul_i32 s28, s38, s14
	s_add_u32 s50, s16, s4
	s_addc_u32 s51, s17, s5
	s_lshl_b64 s[4:5], s[28:29], 1
	s_mul_i32 s28, s3, s41
	s_add_u32 s8, s18, s4
	v_mbcnt_lo_u32_b32 v1, -1, 0
	v_and_b32_e32 v2, 0x80, v8
	v_dual_mov_b32 v12, 0 :: v_dual_and_b32 v3, 32, v0
	s_addc_u32 s9, s19, s5
	s_lshl_b64 s[4:5], s[28:29], 1
	s_load_b64 s[10:11], s[0:1], 0x6c
	s_waitcnt lgkmcnt(0)
	s_add_u32 s27, s8, s4
	s_addc_u32 s41, s9, s5
	s_load_b32 s9, s[0:1], 0x28
	v_or_b32_e32 v9, v1, v2
	v_or_b32_e32 v4, v1, v3
	s_mul_i32 s28, s42, s14
	v_lshrrev_b32_e32 v5, 5, v2
	s_lshl_b64 s[4:5], s[28:29], 1
	s_mul_i32 s28, s3, s45
	v_or_b32_e32 v11, 0x60, v9
	v_lshrrev_b32_e32 v14, 3, v4
	s_add_u32 s8, s20, s4
	s_addc_u32 s3, s21, s5
	s_lshl_b64 s[4:5], s[28:29], 1
	s_mul_i32 s28, s2, s24
	s_add_u32 s45, s8, s4
	s_addc_u32 s52, s3, s5
	s_lshl_b64 s[0:1], s[28:29], 2
	v_or_b32_e32 v10, 64, v9
	v_lshrrev_b32_e32 v7, 5, v11
	v_and_b32_e32 v16, 6, v14
	s_mul_i32 s28, s25, s12
	s_add_u32 s2, s6, s0
	s_addc_u32 s3, s7, s1
	s_lshl_b64 s[0:1], s[28:29], 2
	v_lshrrev_b32_e32 v6, 5, v10
	s_add_u32 s53, s2, s0
	v_and_b32_e32 v7, 6, v7
	v_lshl_add_u32 v4, v4, 2, v16
	s_addc_u32 s54, s3, s1
	s_add_i32 s0, s34, 0x7ff
	v_add_lshl_u32 v5, v5, v9, 1
	s_lshr_b32 s55, s0, 11
	s_waitcnt lgkmcnt(0)
	s_bitcmp1_b32 s9, 0
	v_add_lshl_u32 v6, v6, v9, 1
	v_add_lshl_u32 v7, v7, v9, 1
	v_lshl_add_u32 v17, v4, 1, 0
	v_and_b32_e32 v4, 15, v1
	s_cselect_b32 s56, -1, 0
	s_cmp_gt_i32 s35, 0
	v_or_b32_e32 v3, 31, v3
	s_cselect_b32 s57, -1, 0
	s_add_i32 s0, 0, 0x210
	s_and_b32 s1, s34, 0xff
	v_add_nc_u32_e32 v18, s0, v5
	v_add_nc_u32_e32 v19, s0, v6
	s_cmp_eq_u32 s1, 0
	v_add_nc_u32_e32 v20, s0, v7
	v_cmp_ne_u32_e64 s0, 0, v4
	v_cmp_lt_u32_e64 s1, 1, v4
	v_cmp_lt_u32_e64 s2, 3, v4
	;; [unrolled: 1-line block ×3, first 2 shown]
	v_add_nc_u32_e32 v4, -1, v1
	s_mul_i32 s28, s10, s14
	s_cselect_b32 s58, -1, 0
	s_lshl_b64 s[14:15], s[28:29], 1
	s_add_i32 s59, s55, -1
	v_cmp_gt_i32_e32 vcc_lo, 0, v4
	s_mul_i32 s28, s11, s12
	v_add_nc_u32_e32 v14, 0, v5
	v_lshrrev_b32_e32 v5, 2, v0
	v_cmp_eq_u32_e64 s5, v3, v0
	v_cndmask_b32_e32 v4, v4, v1, vcc_lo
	v_and_b32_e32 v3, 1, v1
	v_cmp_gt_u32_e64 s6, 2, v0
	v_lshl_add_u32 v22, v0, 3, 0
	v_cmp_gt_u32_e64 s8, 32, v0
	v_cmp_lt_u32_e64 s9, 31, v0
	v_cmp_eq_u32_e64 s10, 0, v0
	s_add_u32 s14, s30, s14
	v_lshlrev_b32_e32 v0, 1, v1
	s_addc_u32 s11, s31, s15
	s_lshl_b64 s[12:13], s[28:29], 1
	v_cmp_eq_u32_e64 s7, 0, v3
	s_add_u32 s12, s14, s12
	s_addc_u32 s11, s11, s13
	v_lshlrev_b32_e32 v3, 1, v2
	v_add_co_u32 v0, s12, s12, v0
	v_add_nc_u32_e32 v15, 0, v6
	v_and_b32_e32 v6, 16, v1
	v_and_b32_e32 v5, 8, v5
	v_lshlrev_b32_e32 v23, 2, v4
	v_add_co_ci_u32_e64 v4, null, s11, 0, s12
	v_add_co_u32 v24, vcc_lo, v0, v3
	v_or_b32_e32 v13, 32, v9
	v_add_nc_u32_e32 v16, 0, v7
	v_cmp_ne_u32_e64 s4, 0, v6
	v_add_nc_u32_e32 v21, 0, v5
	v_cmp_eq_u32_e64 s11, 0, v1
	v_add_co_ci_u32_e32 v25, vcc_lo, 0, v4, vcc_lo
	v_or_b32_e32 v26, 1, v8
	v_or_b32_e32 v27, 2, v8
	;; [unrolled: 1-line block ×3, first 2 shown]
	v_lshlrev_b32_e32 v29, 1, v1
	v_lshlrev_b32_e32 v30, 1, v2
	s_mov_b32 s60, 0x3e9b6dac
	s_add_i32 s61, 0, 0x430
	s_mov_b32 s62, 0
	s_branch .LBB39_12
.LBB39_11:                              ;   in Loop: Header=BB39_12 Depth=1
	s_or_b32 exec_lo, exec_lo, s12
	s_add_u32 s47, s47, 0x200
	s_addc_u32 s36, s36, 0
	s_add_u32 s23, s23, 0x200
	s_addc_u32 s46, s46, 0
	;; [unrolled: 2-line block ×4, first 2 shown]
	s_add_i32 s62, s62, 1
	s_delay_alu instid0(SALU_CYCLE_1)
	s_cmp_eq_u32 s62, s55
	s_cbranch_scc1 .LBB39_92
.LBB39_12:                              ; =>This Loop Header: Depth=1
                                        ;     Child Loop BB39_37 Depth 2
	v_add_co_u32 v0, s12, s23, v29
	s_delay_alu instid0(VALU_DEP_1) | instskip(SKIP_1) | instid1(VALU_DEP_2)
	v_add_co_ci_u32_e64 v1, null, s46, 0, s12
	s_lshl_b32 s24, s62, 8
	v_add_co_u32 v0, vcc_lo, v0, v30
	s_sub_i32 s19, s34, s24
	s_delay_alu instid0(VALU_DEP_2)
	v_add_co_ci_u32_e32 v1, vcc_lo, 0, v1, vcc_lo
	v_cmp_gt_u32_e64 s12, s19, v9
	s_waitcnt lgkmcnt(0)
	v_mov_b32_e32 v2, 0
	s_waitcnt_vscnt null, 0x0
	s_barrier
	buffer_gl0_inv
	s_and_saveexec_b32 s13, s12
	s_cbranch_execz .LBB39_14
; %bb.13:                               ;   in Loop: Header=BB39_12 Depth=1
	global_load_u16 v2, v[0:1], off
.LBB39_14:                              ;   in Loop: Header=BB39_12 Depth=1
	s_or_b32 exec_lo, exec_lo, s13
	v_cmp_gt_u32_e64 s13, s19, v13
	v_mov_b32_e32 v3, 0
	v_mov_b32_e32 v5, 0
	s_delay_alu instid0(VALU_DEP_3)
	s_and_saveexec_b32 s14, s13
	s_cbranch_execz .LBB39_16
; %bb.15:                               ;   in Loop: Header=BB39_12 Depth=1
	global_load_u16 v5, v[0:1], off offset:64
.LBB39_16:                              ;   in Loop: Header=BB39_12 Depth=1
	s_or_b32 exec_lo, exec_lo, s14
	v_cmp_gt_u32_e64 s14, s19, v10
	s_delay_alu instid0(VALU_DEP_1)
	s_and_saveexec_b32 s15, s14
	s_cbranch_execz .LBB39_18
; %bb.17:                               ;   in Loop: Header=BB39_12 Depth=1
	global_load_u16 v3, v[0:1], off offset:128
.LBB39_18:                              ;   in Loop: Header=BB39_12 Depth=1
	s_or_b32 exec_lo, exec_lo, s15
	v_cmp_gt_u32_e64 s15, s19, v11
	v_mov_b32_e32 v4, 0
	v_mov_b32_e32 v6, 0
	s_delay_alu instid0(VALU_DEP_3)
	s_and_saveexec_b32 s16, s15
	s_cbranch_execz .LBB39_20
; %bb.19:                               ;   in Loop: Header=BB39_12 Depth=1
	global_load_u16 v6, v[0:1], off offset:192
.LBB39_20:                              ;   in Loop: Header=BB39_12 Depth=1
	s_or_b32 exec_lo, exec_lo, s16
	s_waitcnt vmcnt(0)
	ds_store_b16 v14, v2
	ds_store_b16 v14, v5 offset:64
	ds_store_b16 v15, v3 offset:128
	;; [unrolled: 1-line block ×3, first 2 shown]
	; wave barrier
	ds_load_b64 v[0:1], v17
	v_add_co_u32 v2, s16, s47, v29
	s_delay_alu instid0(VALU_DEP_1) | instskip(SKIP_1) | instid1(VALU_DEP_2)
	v_add_co_ci_u32_e64 v3, null, s36, 0, s16
	s_waitcnt lgkmcnt(0)
	v_add_co_u32 v2, vcc_lo, v2, v30
	s_delay_alu instid0(VALU_DEP_2)
	v_add_co_ci_u32_e32 v3, vcc_lo, 0, v3, vcc_lo
	s_barrier
	buffer_gl0_inv
	s_and_saveexec_b32 s16, s12
	s_cbranch_execz .LBB39_22
; %bb.21:                               ;   in Loop: Header=BB39_12 Depth=1
	global_load_u16 v4, v[2:3], off
.LBB39_22:                              ;   in Loop: Header=BB39_12 Depth=1
	s_or_b32 exec_lo, exec_lo, s16
	v_dual_mov_b32 v5, 0 :: v_dual_mov_b32 v6, 0
	s_and_saveexec_b32 s16, s13
	s_cbranch_execnz .LBB39_86
; %bb.23:                               ;   in Loop: Header=BB39_12 Depth=1
	s_or_b32 exec_lo, exec_lo, s16
	s_and_saveexec_b32 s16, s14
	s_cbranch_execnz .LBB39_87
.LBB39_24:                              ;   in Loop: Header=BB39_12 Depth=1
	s_or_b32 exec_lo, exec_lo, s16
	v_mov_b32_e32 v7, 0
	s_and_saveexec_b32 s16, s15
	s_cbranch_execz .LBB39_26
.LBB39_25:                              ;   in Loop: Header=BB39_12 Depth=1
	global_load_u16 v7, v[2:3], off offset:192
.LBB39_26:                              ;   in Loop: Header=BB39_12 Depth=1
	s_or_b32 exec_lo, exec_lo, s16
	s_waitcnt vmcnt(0)
	ds_store_b16 v14, v4
	ds_store_b16 v14, v6 offset:64
	ds_store_b16 v15, v5 offset:128
	;; [unrolled: 1-line block ×3, first 2 shown]
	; wave barrier
	ds_load_b64 v[2:3], v17
	s_waitcnt lgkmcnt(0)
	v_lshlrev_b32_e32 v4, 16, v2
	s_delay_alu instid0(VALU_DEP_1) | instskip(NEXT) | instid1(VALU_DEP_1)
	v_add_f32_e32 v31, s48, v4
	v_cmp_ge_f32_e32 vcc_lo, 0x41a00000, v31
	s_and_b32 s16, s56, vcc_lo
	s_delay_alu instid0(SALU_CYCLE_1)
	s_and_saveexec_b32 s17, s16
	s_cbranch_execz .LBB39_28
; %bb.27:                               ;   in Loop: Header=BB39_12 Depth=1
	v_mul_f32_e32 v4, 0x3fb8aa3b, v31
	v_cmp_ngt_f32_e32 vcc_lo, 0xc2ce8ed0, v31
	s_delay_alu instid0(VALU_DEP_2) | instskip(SKIP_1) | instid1(VALU_DEP_2)
	v_rndne_f32_e32 v5, v4
	v_fma_f32 v6, 0x3fb8aa3b, v31, -v4
	v_sub_f32_e32 v4, v4, v5
	s_delay_alu instid0(VALU_DEP_2) | instskip(SKIP_1) | instid1(VALU_DEP_2)
	v_fmac_f32_e32 v6, 0x32a5705f, v31
	v_cvt_i32_f32_e32 v5, v5
	v_add_f32_e32 v4, v4, v6
	s_delay_alu instid0(VALU_DEP_1) | instskip(SKIP_2) | instid1(VALU_DEP_1)
	v_exp_f32_e32 v4, v4
	s_waitcnt_depctr 0xfff
	v_ldexp_f32 v4, v4, v5
	v_cndmask_b32_e32 v4, 0, v4, vcc_lo
	v_cmp_nlt_f32_e32 vcc_lo, 0x42b17218, v31
	s_delay_alu instid0(VALU_DEP_2) | instskip(NEXT) | instid1(VALU_DEP_1)
	v_cndmask_b32_e32 v6, 0x7f800000, v4, vcc_lo
	v_add_f32_e32 v7, 1.0, v6
	s_delay_alu instid0(VALU_DEP_1) | instskip(NEXT) | instid1(VALU_DEP_1)
	v_cvt_f64_f32_e32 v[4:5], v7
	v_frexp_exp_i32_f64_e32 v4, v[4:5]
	v_frexp_mant_f32_e32 v5, v7
	s_delay_alu instid0(VALU_DEP_1) | instskip(SKIP_1) | instid1(VALU_DEP_1)
	v_cmp_gt_f32_e32 vcc_lo, 0x3f2aaaab, v5
	v_add_f32_e32 v5, -1.0, v7
	v_dual_sub_f32 v32, v5, v7 :: v_dual_sub_f32 v5, v6, v5
	s_delay_alu instid0(VALU_DEP_1) | instskip(NEXT) | instid1(VALU_DEP_1)
	v_add_f32_e32 v32, 1.0, v32
	v_add_f32_e32 v5, v5, v32
	v_subrev_co_ci_u32_e32 v4, vcc_lo, 0, v4, vcc_lo
	s_delay_alu instid0(VALU_DEP_1) | instskip(SKIP_1) | instid1(VALU_DEP_2)
	v_sub_nc_u32_e32 v31, 0, v4
	v_cvt_f32_i32_e32 v4, v4
	v_ldexp_f32 v7, v7, v31
	v_ldexp_f32 v5, v5, v31
	s_delay_alu instid0(VALU_DEP_2) | instskip(SKIP_3) | instid1(VALU_DEP_4)
	v_add_f32_e32 v33, 1.0, v7
	v_add_f32_e32 v31, -1.0, v7
	v_cmp_eq_f32_e32 vcc_lo, 0x7f800000, v6
	v_cmp_gt_f32_e64 s16, 0x33800000, v6
	v_add_f32_e32 v32, -1.0, v33
	s_delay_alu instid0(VALU_DEP_4) | instskip(NEXT) | instid1(VALU_DEP_3)
	v_add_f32_e32 v34, 1.0, v31
	s_or_b32 vcc_lo, s16, vcc_lo
	s_delay_alu instid0(VALU_DEP_2) | instskip(NEXT) | instid1(VALU_DEP_1)
	v_sub_f32_e32 v32, v7, v32
	v_dual_sub_f32 v7, v7, v34 :: v_dual_add_f32 v32, v5, v32
	s_delay_alu instid0(VALU_DEP_1) | instskip(NEXT) | instid1(VALU_DEP_1)
	v_add_f32_e32 v5, v5, v7
	v_dual_add_f32 v35, v31, v5 :: v_dual_add_f32 v34, v33, v32
	s_delay_alu instid0(VALU_DEP_1) | instskip(NEXT) | instid1(VALU_DEP_2)
	v_sub_f32_e32 v31, v31, v35
	v_rcp_f32_e32 v7, v34
	v_sub_f32_e32 v33, v33, v34
	s_delay_alu instid0(VALU_DEP_1) | instskip(SKIP_2) | instid1(VALU_DEP_1)
	v_dual_add_f32 v5, v5, v31 :: v_dual_add_f32 v32, v32, v33
	s_waitcnt_depctr 0xfff
	v_mul_f32_e32 v36, v35, v7
	v_mul_f32_e32 v37, v34, v36
	s_delay_alu instid0(VALU_DEP_1) | instskip(NEXT) | instid1(VALU_DEP_1)
	v_fma_f32 v33, v36, v34, -v37
	v_fmac_f32_e32 v33, v36, v32
	s_delay_alu instid0(VALU_DEP_1) | instskip(NEXT) | instid1(VALU_DEP_1)
	v_add_f32_e32 v38, v37, v33
	v_sub_f32_e32 v39, v35, v38
	s_delay_alu instid0(VALU_DEP_1) | instskip(SKIP_1) | instid1(VALU_DEP_2)
	v_sub_f32_e32 v35, v35, v39
	v_sub_f32_e32 v31, v38, v37
	v_sub_f32_e32 v35, v35, v38
	s_delay_alu instid0(VALU_DEP_2) | instskip(NEXT) | instid1(VALU_DEP_2)
	v_sub_f32_e32 v31, v31, v33
	v_add_f32_e32 v5, v5, v35
	s_delay_alu instid0(VALU_DEP_1) | instskip(NEXT) | instid1(VALU_DEP_1)
	v_add_f32_e32 v5, v31, v5
	v_add_f32_e32 v31, v39, v5
	s_delay_alu instid0(VALU_DEP_1) | instskip(NEXT) | instid1(VALU_DEP_1)
	v_mul_f32_e32 v33, v7, v31
	v_dual_sub_f32 v38, v39, v31 :: v_dual_mul_f32 v35, v34, v33
	s_delay_alu instid0(VALU_DEP_1) | instskip(NEXT) | instid1(VALU_DEP_2)
	v_add_f32_e32 v5, v5, v38
	v_fma_f32 v34, v33, v34, -v35
	s_delay_alu instid0(VALU_DEP_1) | instskip(NEXT) | instid1(VALU_DEP_1)
	v_fmac_f32_e32 v34, v33, v32
	v_add_f32_e32 v32, v35, v34
	s_delay_alu instid0(VALU_DEP_1) | instskip(SKIP_1) | instid1(VALU_DEP_2)
	v_sub_f32_e32 v37, v31, v32
	v_sub_f32_e32 v35, v32, v35
	;; [unrolled: 1-line block ×3, first 2 shown]
	s_delay_alu instid0(VALU_DEP_1) | instskip(NEXT) | instid1(VALU_DEP_1)
	v_sub_f32_e32 v31, v31, v32
	v_dual_sub_f32 v32, v35, v34 :: v_dual_add_f32 v5, v5, v31
	v_add_f32_e32 v31, v36, v33
	s_delay_alu instid0(VALU_DEP_1) | instskip(NEXT) | instid1(VALU_DEP_1)
	v_dual_add_f32 v5, v32, v5 :: v_dual_sub_f32 v32, v31, v36
	v_add_f32_e32 v5, v37, v5
	s_delay_alu instid0(VALU_DEP_1) | instskip(NEXT) | instid1(VALU_DEP_1)
	v_dual_sub_f32 v32, v33, v32 :: v_dual_mul_f32 v5, v7, v5
	v_add_f32_e32 v5, v32, v5
	s_delay_alu instid0(VALU_DEP_1) | instskip(NEXT) | instid1(VALU_DEP_1)
	v_add_f32_e32 v7, v31, v5
	v_mul_f32_e32 v32, v7, v7
	s_delay_alu instid0(VALU_DEP_1) | instskip(SKIP_1) | instid1(VALU_DEP_2)
	v_fmaak_f32 v33, s60, v32, 0x3ecc95a3
	v_mul_f32_e32 v34, v7, v32
	v_fmaak_f32 v32, v32, v33, 0x3f2aaada
	v_ldexp_f32 v33, v7, 1
	s_delay_alu instid0(VALU_DEP_2) | instskip(NEXT) | instid1(VALU_DEP_1)
	v_dual_sub_f32 v7, v7, v31 :: v_dual_mul_f32 v32, v34, v32
	v_dual_mul_f32 v34, 0x3f317218, v4 :: v_dual_sub_f32 v5, v5, v7
	s_delay_alu instid0(VALU_DEP_2) | instskip(NEXT) | instid1(VALU_DEP_2)
	v_add_f32_e32 v31, v33, v32
	v_ldexp_f32 v5, v5, 1
	s_delay_alu instid0(VALU_DEP_2) | instskip(NEXT) | instid1(VALU_DEP_4)
	v_sub_f32_e32 v7, v31, v33
	v_fma_f32 v33, 0x3f317218, v4, -v34
	s_delay_alu instid0(VALU_DEP_2) | instskip(NEXT) | instid1(VALU_DEP_1)
	v_sub_f32_e32 v7, v32, v7
	v_dual_fmac_f32 v33, 0xb102e308, v4 :: v_dual_add_f32 v4, v5, v7
	s_delay_alu instid0(VALU_DEP_1) | instskip(NEXT) | instid1(VALU_DEP_1)
	v_add_f32_e32 v5, v34, v33
	v_dual_add_f32 v7, v31, v4 :: v_dual_sub_f32 v34, v5, v34
	s_delay_alu instid0(VALU_DEP_1) | instskip(SKIP_1) | instid1(VALU_DEP_3)
	v_add_f32_e32 v32, v5, v7
	v_sub_f32_e32 v31, v7, v31
	v_sub_f32_e32 v33, v33, v34
	s_delay_alu instid0(VALU_DEP_3) | instskip(NEXT) | instid1(VALU_DEP_3)
	v_sub_f32_e32 v35, v32, v5
	v_sub_f32_e32 v4, v4, v31
	s_delay_alu instid0(VALU_DEP_2) | instskip(SKIP_1) | instid1(VALU_DEP_3)
	v_sub_f32_e32 v36, v32, v35
	v_sub_f32_e32 v7, v7, v35
	v_add_f32_e32 v31, v33, v4
	s_delay_alu instid0(VALU_DEP_3) | instskip(NEXT) | instid1(VALU_DEP_1)
	v_sub_f32_e32 v5, v5, v36
	v_add_f32_e32 v5, v7, v5
	s_delay_alu instid0(VALU_DEP_3) | instskip(NEXT) | instid1(VALU_DEP_1)
	v_sub_f32_e32 v7, v31, v33
	v_dual_add_f32 v5, v31, v5 :: v_dual_sub_f32 v4, v4, v7
	s_delay_alu instid0(VALU_DEP_1) | instskip(NEXT) | instid1(VALU_DEP_1)
	v_dual_sub_f32 v31, v31, v7 :: v_dual_add_f32 v34, v32, v5
	v_sub_f32_e32 v31, v33, v31
	s_delay_alu instid0(VALU_DEP_1) | instskip(NEXT) | instid1(VALU_DEP_1)
	v_dual_sub_f32 v7, v34, v32 :: v_dual_add_f32 v4, v4, v31
	v_sub_f32_e32 v5, v5, v7
	s_delay_alu instid0(VALU_DEP_1) | instskip(NEXT) | instid1(VALU_DEP_1)
	v_add_f32_e32 v4, v4, v5
	v_add_f32_e32 v4, v34, v4
	s_delay_alu instid0(VALU_DEP_1)
	v_cndmask_b32_e32 v31, v4, v6, vcc_lo
.LBB39_28:                              ;   in Loop: Header=BB39_12 Depth=1
	s_or_b32 exec_lo, exec_lo, s17
	v_and_b32_e32 v2, 0xffff0000, v2
	s_delay_alu instid0(VALU_DEP_1) | instskip(NEXT) | instid1(VALU_DEP_1)
	v_add_f32_e32 v32, s48, v2
	v_cmp_ge_f32_e32 vcc_lo, 0x41a00000, v32
	s_and_b32 s16, s56, vcc_lo
	s_delay_alu instid0(SALU_CYCLE_1)
	s_and_saveexec_b32 s17, s16
	s_cbranch_execz .LBB39_30
; %bb.29:                               ;   in Loop: Header=BB39_12 Depth=1
	v_mul_f32_e32 v2, 0x3fb8aa3b, v32
	v_cmp_ngt_f32_e32 vcc_lo, 0xc2ce8ed0, v32
	s_delay_alu instid0(VALU_DEP_2) | instskip(SKIP_1) | instid1(VALU_DEP_2)
	v_rndne_f32_e32 v4, v2
	v_fma_f32 v5, 0x3fb8aa3b, v32, -v2
	v_sub_f32_e32 v2, v2, v4
	s_delay_alu instid0(VALU_DEP_2) | instskip(SKIP_1) | instid1(VALU_DEP_2)
	v_fmac_f32_e32 v5, 0x32a5705f, v32
	v_cvt_i32_f32_e32 v4, v4
	v_add_f32_e32 v2, v2, v5
	s_delay_alu instid0(VALU_DEP_1) | instskip(SKIP_2) | instid1(VALU_DEP_1)
	v_exp_f32_e32 v2, v2
	s_waitcnt_depctr 0xfff
	v_ldexp_f32 v2, v2, v4
	v_cndmask_b32_e32 v2, 0, v2, vcc_lo
	v_cmp_nlt_f32_e32 vcc_lo, 0x42b17218, v32
	s_delay_alu instid0(VALU_DEP_2) | instskip(NEXT) | instid1(VALU_DEP_1)
	v_cndmask_b32_e32 v2, 0x7f800000, v2, vcc_lo
	v_add_f32_e32 v6, 1.0, v2
	s_delay_alu instid0(VALU_DEP_1) | instskip(NEXT) | instid1(VALU_DEP_1)
	v_cvt_f64_f32_e32 v[4:5], v6
	v_frexp_exp_i32_f64_e32 v4, v[4:5]
	v_frexp_mant_f32_e32 v5, v6
	s_delay_alu instid0(VALU_DEP_1) | instskip(SKIP_1) | instid1(VALU_DEP_1)
	v_cmp_gt_f32_e32 vcc_lo, 0x3f2aaaab, v5
	v_add_f32_e32 v5, -1.0, v6
	v_dual_sub_f32 v32, v5, v6 :: v_dual_sub_f32 v5, v2, v5
	v_subrev_co_ci_u32_e32 v4, vcc_lo, 0, v4, vcc_lo
	s_delay_alu instid0(VALU_DEP_1) | instskip(SKIP_1) | instid1(VALU_DEP_2)
	v_sub_nc_u32_e32 v7, 0, v4
	v_cvt_f32_i32_e32 v4, v4
	v_ldexp_f32 v6, v6, v7
	s_delay_alu instid0(VALU_DEP_1) | instskip(NEXT) | instid1(VALU_DEP_1)
	v_dual_add_f32 v32, 1.0, v32 :: v_dual_add_f32 v33, 1.0, v6
	v_add_f32_e32 v5, v5, v32
	s_delay_alu instid0(VALU_DEP_1) | instskip(NEXT) | instid1(VALU_DEP_3)
	v_ldexp_f32 v5, v5, v7
	v_dual_add_f32 v7, -1.0, v6 :: v_dual_add_f32 v32, -1.0, v33
	s_delay_alu instid0(VALU_DEP_1) | instskip(NEXT) | instid1(VALU_DEP_2)
	v_add_f32_e32 v34, 1.0, v7
	v_sub_f32_e32 v32, v6, v32
	s_delay_alu instid0(VALU_DEP_2) | instskip(NEXT) | instid1(VALU_DEP_2)
	v_sub_f32_e32 v6, v6, v34
	v_add_f32_e32 v32, v5, v32
	s_delay_alu instid0(VALU_DEP_2) | instskip(NEXT) | instid1(VALU_DEP_1)
	v_add_f32_e32 v5, v5, v6
	v_dual_add_f32 v35, v7, v5 :: v_dual_add_f32 v34, v33, v32
	v_cmp_eq_f32_e32 vcc_lo, 0x7f800000, v2
	v_cmp_gt_f32_e64 s16, 0x33800000, v2
	s_delay_alu instid0(VALU_DEP_3) | instskip(NEXT) | instid1(VALU_DEP_4)
	v_sub_f32_e32 v7, v7, v35
	v_rcp_f32_e32 v6, v34
	v_sub_f32_e32 v33, v33, v34
	s_delay_alu instid0(VALU_DEP_3) | instskip(NEXT) | instid1(VALU_DEP_1)
	s_or_b32 vcc_lo, s16, vcc_lo
	v_dual_add_f32 v5, v5, v7 :: v_dual_add_f32 v32, v32, v33
	s_waitcnt_depctr 0xfff
	v_mul_f32_e32 v36, v35, v6
	s_delay_alu instid0(VALU_DEP_1) | instskip(NEXT) | instid1(VALU_DEP_1)
	v_mul_f32_e32 v37, v34, v36
	v_fma_f32 v33, v36, v34, -v37
	s_delay_alu instid0(VALU_DEP_1) | instskip(NEXT) | instid1(VALU_DEP_1)
	v_fmac_f32_e32 v33, v36, v32
	v_add_f32_e32 v38, v37, v33
	s_delay_alu instid0(VALU_DEP_1) | instskip(NEXT) | instid1(VALU_DEP_1)
	v_sub_f32_e32 v39, v35, v38
	v_sub_f32_e32 v35, v35, v39
	s_delay_alu instid0(VALU_DEP_1) | instskip(SKIP_1) | instid1(VALU_DEP_2)
	v_sub_f32_e32 v35, v35, v38
	v_sub_f32_e32 v7, v38, v37
	v_add_f32_e32 v5, v5, v35
	s_delay_alu instid0(VALU_DEP_2) | instskip(NEXT) | instid1(VALU_DEP_1)
	v_sub_f32_e32 v7, v7, v33
	v_add_f32_e32 v5, v7, v5
	s_delay_alu instid0(VALU_DEP_1) | instskip(NEXT) | instid1(VALU_DEP_1)
	v_add_f32_e32 v7, v39, v5
	v_mul_f32_e32 v33, v6, v7
	s_delay_alu instid0(VALU_DEP_1) | instskip(NEXT) | instid1(VALU_DEP_1)
	v_dual_sub_f32 v38, v39, v7 :: v_dual_mul_f32 v35, v34, v33
	v_add_f32_e32 v5, v5, v38
	s_delay_alu instid0(VALU_DEP_2) | instskip(NEXT) | instid1(VALU_DEP_1)
	v_fma_f32 v34, v33, v34, -v35
	v_fmac_f32_e32 v34, v33, v32
	s_delay_alu instid0(VALU_DEP_1) | instskip(NEXT) | instid1(VALU_DEP_1)
	v_add_f32_e32 v32, v35, v34
	v_sub_f32_e32 v37, v7, v32
	s_delay_alu instid0(VALU_DEP_1) | instskip(NEXT) | instid1(VALU_DEP_1)
	v_sub_f32_e32 v7, v7, v37
	v_sub_f32_e32 v7, v7, v32
	s_delay_alu instid0(VALU_DEP_1) | instskip(SKIP_2) | instid1(VALU_DEP_1)
	v_add_f32_e32 v5, v5, v7
	v_add_f32_e32 v7, v36, v33
	v_sub_f32_e32 v35, v32, v35
	v_sub_f32_e32 v32, v35, v34
	s_delay_alu instid0(VALU_DEP_1) | instskip(NEXT) | instid1(VALU_DEP_1)
	v_dual_add_f32 v5, v32, v5 :: v_dual_sub_f32 v32, v7, v36
	v_add_f32_e32 v5, v37, v5
	s_delay_alu instid0(VALU_DEP_1) | instskip(NEXT) | instid1(VALU_DEP_1)
	v_dual_sub_f32 v32, v33, v32 :: v_dual_mul_f32 v5, v6, v5
	v_add_f32_e32 v5, v32, v5
	s_delay_alu instid0(VALU_DEP_1) | instskip(NEXT) | instid1(VALU_DEP_1)
	v_add_f32_e32 v6, v7, v5
	v_mul_f32_e32 v32, v6, v6
	s_delay_alu instid0(VALU_DEP_1) | instskip(SKIP_1) | instid1(VALU_DEP_2)
	v_fmaak_f32 v33, s60, v32, 0x3ecc95a3
	v_mul_f32_e32 v34, v6, v32
	v_fmaak_f32 v32, v32, v33, 0x3f2aaada
	v_ldexp_f32 v33, v6, 1
	v_sub_f32_e32 v6, v6, v7
	s_delay_alu instid0(VALU_DEP_3) | instskip(SKIP_1) | instid1(VALU_DEP_2)
	v_mul_f32_e32 v32, v34, v32
	v_mul_f32_e32 v34, 0x3f317218, v4
	v_add_f32_e32 v7, v33, v32
	s_delay_alu instid0(VALU_DEP_1) | instskip(NEXT) | instid1(VALU_DEP_3)
	v_dual_sub_f32 v5, v5, v6 :: v_dual_sub_f32 v6, v7, v33
	v_fma_f32 v33, 0x3f317218, v4, -v34
	s_delay_alu instid0(VALU_DEP_2) | instskip(NEXT) | instid1(VALU_DEP_2)
	v_ldexp_f32 v5, v5, 1
	v_dual_sub_f32 v6, v32, v6 :: v_dual_fmac_f32 v33, 0xb102e308, v4
	s_delay_alu instid0(VALU_DEP_1) | instskip(NEXT) | instid1(VALU_DEP_1)
	v_dual_add_f32 v4, v5, v6 :: v_dual_add_f32 v5, v34, v33
	v_add_f32_e32 v6, v7, v4
	s_delay_alu instid0(VALU_DEP_1) | instskip(NEXT) | instid1(VALU_DEP_1)
	v_add_f32_e32 v32, v5, v6
	v_sub_f32_e32 v35, v32, v5
	s_delay_alu instid0(VALU_DEP_1) | instskip(SKIP_2) | instid1(VALU_DEP_2)
	v_sub_f32_e32 v36, v32, v35
	v_sub_f32_e32 v7, v6, v7
	;; [unrolled: 1-line block ×5, first 2 shown]
	s_delay_alu instid0(VALU_DEP_1) | instskip(NEXT) | instid1(VALU_DEP_1)
	v_sub_f32_e32 v33, v33, v34
	v_add_f32_e32 v7, v33, v4
	v_sub_f32_e32 v5, v5, v36
	s_delay_alu instid0(VALU_DEP_1) | instskip(NEXT) | instid1(VALU_DEP_3)
	v_add_f32_e32 v5, v6, v5
	v_sub_f32_e32 v6, v7, v33
	s_delay_alu instid0(VALU_DEP_1) | instskip(NEXT) | instid1(VALU_DEP_1)
	v_dual_sub_f32 v4, v4, v6 :: v_dual_add_f32 v5, v7, v5
	v_dual_sub_f32 v7, v7, v6 :: v_dual_add_f32 v34, v32, v5
	s_delay_alu instid0(VALU_DEP_1) | instskip(NEXT) | instid1(VALU_DEP_1)
	v_dual_sub_f32 v7, v33, v7 :: v_dual_sub_f32 v6, v34, v32
	v_dual_add_f32 v4, v4, v7 :: v_dual_sub_f32 v5, v5, v6
	s_delay_alu instid0(VALU_DEP_1) | instskip(NEXT) | instid1(VALU_DEP_1)
	v_add_f32_e32 v4, v4, v5
	v_add_f32_e32 v4, v34, v4
	s_delay_alu instid0(VALU_DEP_1)
	v_cndmask_b32_e32 v32, v4, v2, vcc_lo
.LBB39_30:                              ;   in Loop: Header=BB39_12 Depth=1
	s_or_b32 exec_lo, exec_lo, s17
	v_lshlrev_b32_e32 v2, 16, v3
	s_delay_alu instid0(VALU_DEP_1) | instskip(NEXT) | instid1(VALU_DEP_1)
	v_add_f32_e32 v33, s48, v2
	v_cmp_ge_f32_e32 vcc_lo, 0x41a00000, v33
	s_and_b32 s16, s56, vcc_lo
	s_delay_alu instid0(SALU_CYCLE_1)
	s_and_saveexec_b32 s17, s16
	s_cbranch_execz .LBB39_32
; %bb.31:                               ;   in Loop: Header=BB39_12 Depth=1
	v_mul_f32_e32 v2, 0x3fb8aa3b, v33
	v_cmp_ngt_f32_e32 vcc_lo, 0xc2ce8ed0, v33
	s_delay_alu instid0(VALU_DEP_2) | instskip(SKIP_1) | instid1(VALU_DEP_1)
	v_rndne_f32_e32 v4, v2
	v_fma_f32 v5, 0x3fb8aa3b, v33, -v2
	v_dual_sub_f32 v2, v2, v4 :: v_dual_fmac_f32 v5, 0x32a5705f, v33
	v_cvt_i32_f32_e32 v4, v4
	s_delay_alu instid0(VALU_DEP_2) | instskip(NEXT) | instid1(VALU_DEP_1)
	v_add_f32_e32 v2, v2, v5
	v_exp_f32_e32 v2, v2
	s_waitcnt_depctr 0xfff
	v_ldexp_f32 v2, v2, v4
	s_delay_alu instid0(VALU_DEP_1) | instskip(SKIP_1) | instid1(VALU_DEP_2)
	v_cndmask_b32_e32 v2, 0, v2, vcc_lo
	v_cmp_nlt_f32_e32 vcc_lo, 0x42b17218, v33
	v_cndmask_b32_e32 v2, 0x7f800000, v2, vcc_lo
	s_delay_alu instid0(VALU_DEP_1) | instskip(NEXT) | instid1(VALU_DEP_1)
	v_add_f32_e32 v6, 1.0, v2
	v_cvt_f64_f32_e32 v[4:5], v6
	s_delay_alu instid0(VALU_DEP_1) | instskip(SKIP_1) | instid1(VALU_DEP_1)
	v_frexp_exp_i32_f64_e32 v4, v[4:5]
	v_frexp_mant_f32_e32 v5, v6
	v_cmp_gt_f32_e32 vcc_lo, 0x3f2aaaab, v5
	v_add_f32_e32 v5, -1.0, v6
	s_delay_alu instid0(VALU_DEP_1) | instskip(SKIP_1) | instid1(VALU_DEP_2)
	v_sub_f32_e32 v33, v5, v6
	v_sub_f32_e32 v5, v2, v5
	v_add_f32_e32 v33, 1.0, v33
	s_delay_alu instid0(VALU_DEP_1) | instskip(SKIP_3) | instid1(VALU_DEP_2)
	v_add_f32_e32 v5, v5, v33
	v_cmp_gt_f32_e64 s16, 0x33800000, v2
	v_subrev_co_ci_u32_e32 v4, vcc_lo, 0, v4, vcc_lo
	v_cmp_eq_f32_e32 vcc_lo, 0x7f800000, v2
	v_sub_nc_u32_e32 v7, 0, v4
	v_cvt_f32_i32_e32 v4, v4
	s_or_b32 vcc_lo, s16, vcc_lo
	s_delay_alu instid0(VALU_DEP_2) | instskip(SKIP_1) | instid1(VALU_DEP_2)
	v_ldexp_f32 v6, v6, v7
	v_ldexp_f32 v5, v5, v7
	v_add_f32_e32 v34, 1.0, v6
	v_add_f32_e32 v7, -1.0, v6
	s_delay_alu instid0(VALU_DEP_1) | instskip(NEXT) | instid1(VALU_DEP_3)
	v_add_f32_e32 v35, 1.0, v7
	v_add_f32_e32 v33, -1.0, v34
	s_delay_alu instid0(VALU_DEP_1) | instskip(NEXT) | instid1(VALU_DEP_1)
	v_sub_f32_e32 v33, v6, v33
	v_dual_sub_f32 v6, v6, v35 :: v_dual_add_f32 v33, v5, v33
	s_delay_alu instid0(VALU_DEP_1) | instskip(NEXT) | instid1(VALU_DEP_2)
	v_add_f32_e32 v35, v34, v33
	v_add_f32_e32 v5, v5, v6
	s_delay_alu instid0(VALU_DEP_2) | instskip(SKIP_1) | instid1(VALU_DEP_1)
	v_rcp_f32_e32 v6, v35
	v_sub_f32_e32 v34, v34, v35
	v_dual_add_f32 v36, v7, v5 :: v_dual_add_f32 v33, v33, v34
	s_delay_alu instid0(VALU_DEP_1) | instskip(SKIP_2) | instid1(VALU_DEP_1)
	v_sub_f32_e32 v7, v7, v36
	s_waitcnt_depctr 0xfff
	v_mul_f32_e32 v37, v36, v6
	v_mul_f32_e32 v38, v35, v37
	s_delay_alu instid0(VALU_DEP_1) | instskip(NEXT) | instid1(VALU_DEP_1)
	v_fma_f32 v34, v37, v35, -v38
	v_fmac_f32_e32 v34, v37, v33
	s_delay_alu instid0(VALU_DEP_1) | instskip(NEXT) | instid1(VALU_DEP_1)
	v_add_f32_e32 v39, v38, v34
	v_sub_f32_e32 v40, v36, v39
	s_delay_alu instid0(VALU_DEP_1) | instskip(NEXT) | instid1(VALU_DEP_1)
	v_dual_sub_f32 v36, v36, v40 :: v_dual_add_f32 v5, v5, v7
	v_dual_sub_f32 v7, v39, v38 :: v_dual_sub_f32 v36, v36, v39
	s_delay_alu instid0(VALU_DEP_1) | instskip(NEXT) | instid1(VALU_DEP_2)
	v_sub_f32_e32 v7, v7, v34
	v_add_f32_e32 v5, v5, v36
	s_delay_alu instid0(VALU_DEP_1) | instskip(NEXT) | instid1(VALU_DEP_1)
	v_add_f32_e32 v5, v7, v5
	v_add_f32_e32 v7, v40, v5
	s_delay_alu instid0(VALU_DEP_1) | instskip(NEXT) | instid1(VALU_DEP_1)
	v_mul_f32_e32 v34, v6, v7
	v_dual_sub_f32 v39, v40, v7 :: v_dual_mul_f32 v36, v35, v34
	s_delay_alu instid0(VALU_DEP_1) | instskip(NEXT) | instid1(VALU_DEP_2)
	v_add_f32_e32 v5, v5, v39
	v_fma_f32 v35, v34, v35, -v36
	s_delay_alu instid0(VALU_DEP_1) | instskip(NEXT) | instid1(VALU_DEP_1)
	v_fmac_f32_e32 v35, v34, v33
	v_add_f32_e32 v33, v36, v35
	s_delay_alu instid0(VALU_DEP_1) | instskip(NEXT) | instid1(VALU_DEP_1)
	v_sub_f32_e32 v38, v7, v33
	v_dual_sub_f32 v36, v33, v36 :: v_dual_sub_f32 v7, v7, v38
	s_delay_alu instid0(VALU_DEP_1) | instskip(NEXT) | instid1(VALU_DEP_2)
	v_sub_f32_e32 v7, v7, v33
	v_sub_f32_e32 v33, v36, v35
	s_delay_alu instid0(VALU_DEP_2) | instskip(SKIP_1) | instid1(VALU_DEP_2)
	v_add_f32_e32 v5, v5, v7
	v_add_f32_e32 v7, v37, v34
	;; [unrolled: 1-line block ×3, first 2 shown]
	s_delay_alu instid0(VALU_DEP_2) | instskip(NEXT) | instid1(VALU_DEP_2)
	v_sub_f32_e32 v33, v7, v37
	v_add_f32_e32 v5, v38, v5
	s_delay_alu instid0(VALU_DEP_2) | instskip(NEXT) | instid1(VALU_DEP_2)
	v_sub_f32_e32 v33, v34, v33
	v_mul_f32_e32 v5, v6, v5
	s_delay_alu instid0(VALU_DEP_1) | instskip(NEXT) | instid1(VALU_DEP_1)
	v_add_f32_e32 v5, v33, v5
	v_add_f32_e32 v6, v7, v5
	s_delay_alu instid0(VALU_DEP_1) | instskip(NEXT) | instid1(VALU_DEP_1)
	v_mul_f32_e32 v33, v6, v6
	v_fmaak_f32 v34, s60, v33, 0x3ecc95a3
	v_mul_f32_e32 v35, v6, v33
	s_delay_alu instid0(VALU_DEP_2) | instskip(SKIP_1) | instid1(VALU_DEP_2)
	v_fmaak_f32 v33, v33, v34, 0x3f2aaada
	v_ldexp_f32 v34, v6, 1
	v_dual_sub_f32 v6, v6, v7 :: v_dual_mul_f32 v33, v35, v33
	v_mul_f32_e32 v35, 0x3f317218, v4
	s_delay_alu instid0(VALU_DEP_2) | instskip(NEXT) | instid1(VALU_DEP_3)
	v_sub_f32_e32 v5, v5, v6
	v_add_f32_e32 v7, v34, v33
	s_delay_alu instid0(VALU_DEP_2) | instskip(NEXT) | instid1(VALU_DEP_2)
	v_ldexp_f32 v5, v5, 1
	v_sub_f32_e32 v6, v7, v34
	v_fma_f32 v34, 0x3f317218, v4, -v35
	s_delay_alu instid0(VALU_DEP_2) | instskip(NEXT) | instid1(VALU_DEP_2)
	v_sub_f32_e32 v6, v33, v6
	v_fmac_f32_e32 v34, 0xb102e308, v4
	s_delay_alu instid0(VALU_DEP_2) | instskip(NEXT) | instid1(VALU_DEP_2)
	v_add_f32_e32 v4, v5, v6
	v_add_f32_e32 v5, v35, v34
	s_delay_alu instid0(VALU_DEP_1) | instskip(NEXT) | instid1(VALU_DEP_1)
	v_dual_add_f32 v6, v7, v4 :: v_dual_sub_f32 v35, v5, v35
	v_add_f32_e32 v33, v5, v6
	v_sub_f32_e32 v7, v6, v7
	s_delay_alu instid0(VALU_DEP_3) | instskip(NEXT) | instid1(VALU_DEP_3)
	v_sub_f32_e32 v34, v34, v35
	v_sub_f32_e32 v36, v33, v5
	s_delay_alu instid0(VALU_DEP_1) | instskip(SKIP_1) | instid1(VALU_DEP_2)
	v_dual_sub_f32 v4, v4, v7 :: v_dual_sub_f32 v37, v33, v36
	v_sub_f32_e32 v6, v6, v36
	v_add_f32_e32 v7, v34, v4
	s_delay_alu instid0(VALU_DEP_3) | instskip(NEXT) | instid1(VALU_DEP_1)
	v_sub_f32_e32 v5, v5, v37
	v_dual_add_f32 v5, v6, v5 :: v_dual_sub_f32 v6, v7, v34
	s_delay_alu instid0(VALU_DEP_1) | instskip(NEXT) | instid1(VALU_DEP_2)
	v_add_f32_e32 v5, v7, v5
	v_sub_f32_e32 v7, v7, v6
	s_delay_alu instid0(VALU_DEP_2) | instskip(NEXT) | instid1(VALU_DEP_1)
	v_dual_sub_f32 v4, v4, v6 :: v_dual_add_f32 v35, v33, v5
	v_dual_sub_f32 v7, v34, v7 :: v_dual_sub_f32 v6, v35, v33
	s_delay_alu instid0(VALU_DEP_1) | instskip(NEXT) | instid1(VALU_DEP_1)
	v_dual_add_f32 v4, v4, v7 :: v_dual_sub_f32 v5, v5, v6
	v_add_f32_e32 v4, v4, v5
	s_delay_alu instid0(VALU_DEP_1) | instskip(NEXT) | instid1(VALU_DEP_1)
	v_add_f32_e32 v4, v35, v4
	v_cndmask_b32_e32 v33, v4, v2, vcc_lo
.LBB39_32:                              ;   in Loop: Header=BB39_12 Depth=1
	s_or_b32 exec_lo, exec_lo, s17
	v_and_b32_e32 v2, 0xffff0000, v3
	s_delay_alu instid0(VALU_DEP_1) | instskip(NEXT) | instid1(VALU_DEP_1)
	v_add_f32_e32 v38, s48, v2
	v_cmp_ge_f32_e32 vcc_lo, 0x41a00000, v38
	s_and_b32 s16, s56, vcc_lo
	s_delay_alu instid0(SALU_CYCLE_1)
	s_and_saveexec_b32 s17, s16
	s_cbranch_execz .LBB39_34
; %bb.33:                               ;   in Loop: Header=BB39_12 Depth=1
	v_mul_f32_e32 v2, 0x3fb8aa3b, v38
	v_cmp_ngt_f32_e32 vcc_lo, 0xc2ce8ed0, v38
	s_delay_alu instid0(VALU_DEP_2) | instskip(SKIP_1) | instid1(VALU_DEP_2)
	v_rndne_f32_e32 v3, v2
	v_fma_f32 v4, 0x3fb8aa3b, v38, -v2
	v_sub_f32_e32 v2, v2, v3
	s_delay_alu instid0(VALU_DEP_2) | instskip(SKIP_1) | instid1(VALU_DEP_2)
	v_fmac_f32_e32 v4, 0x32a5705f, v38
	v_cvt_i32_f32_e32 v3, v3
	v_add_f32_e32 v2, v2, v4
	s_delay_alu instid0(VALU_DEP_1) | instskip(SKIP_2) | instid1(VALU_DEP_1)
	v_exp_f32_e32 v2, v2
	s_waitcnt_depctr 0xfff
	v_ldexp_f32 v2, v2, v3
	v_cndmask_b32_e32 v2, 0, v2, vcc_lo
	v_cmp_nlt_f32_e32 vcc_lo, 0x42b17218, v38
	s_delay_alu instid0(VALU_DEP_2) | instskip(NEXT) | instid1(VALU_DEP_1)
	v_cndmask_b32_e32 v4, 0x7f800000, v2, vcc_lo
	v_add_f32_e32 v5, 1.0, v4
	s_delay_alu instid0(VALU_DEP_1) | instskip(NEXT) | instid1(VALU_DEP_1)
	v_cvt_f64_f32_e32 v[2:3], v5
	v_frexp_exp_i32_f64_e32 v2, v[2:3]
	v_frexp_mant_f32_e32 v3, v5
	s_delay_alu instid0(VALU_DEP_1) | instskip(SKIP_1) | instid1(VALU_DEP_1)
	v_cmp_gt_f32_e32 vcc_lo, 0x3f2aaaab, v3
	v_add_f32_e32 v3, -1.0, v5
	v_sub_f32_e32 v7, v3, v5
	v_sub_f32_e32 v3, v4, v3
	s_delay_alu instid0(VALU_DEP_2) | instskip(NEXT) | instid1(VALU_DEP_1)
	v_add_f32_e32 v7, 1.0, v7
	v_add_f32_e32 v3, v3, v7
	v_cmp_gt_f32_e64 s16, 0x33800000, v4
	v_subrev_co_ci_u32_e32 v2, vcc_lo, 0, v2, vcc_lo
	v_cmp_eq_f32_e32 vcc_lo, 0x7f800000, v4
	s_delay_alu instid0(VALU_DEP_2) | instskip(SKIP_2) | instid1(VALU_DEP_2)
	v_sub_nc_u32_e32 v6, 0, v2
	v_cvt_f32_i32_e32 v2, v2
	s_or_b32 vcc_lo, s16, vcc_lo
	v_ldexp_f32 v5, v5, v6
	v_ldexp_f32 v3, v3, v6
	s_delay_alu instid0(VALU_DEP_2) | instskip(NEXT) | instid1(VALU_DEP_1)
	v_add_f32_e32 v34, 1.0, v5
	v_dual_add_f32 v6, -1.0, v5 :: v_dual_add_f32 v7, -1.0, v34
	s_delay_alu instid0(VALU_DEP_1) | instskip(NEXT) | instid1(VALU_DEP_2)
	v_add_f32_e32 v35, 1.0, v6
	v_sub_f32_e32 v7, v5, v7
	s_delay_alu instid0(VALU_DEP_2) | instskip(NEXT) | instid1(VALU_DEP_2)
	v_sub_f32_e32 v5, v5, v35
	v_add_f32_e32 v7, v3, v7
	s_delay_alu instid0(VALU_DEP_2) | instskip(NEXT) | instid1(VALU_DEP_1)
	v_add_f32_e32 v3, v3, v5
	v_add_f32_e32 v36, v6, v3
	s_delay_alu instid0(VALU_DEP_1) | instskip(NEXT) | instid1(VALU_DEP_4)
	v_sub_f32_e32 v6, v6, v36
	v_add_f32_e32 v35, v34, v7
	s_delay_alu instid0(VALU_DEP_1) | instskip(NEXT) | instid1(VALU_DEP_2)
	v_rcp_f32_e32 v5, v35
	v_dual_sub_f32 v34, v34, v35 :: v_dual_add_f32 v3, v3, v6
	s_delay_alu instid0(VALU_DEP_1) | instskip(SKIP_2) | instid1(VALU_DEP_1)
	v_add_f32_e32 v7, v7, v34
	s_waitcnt_depctr 0xfff
	v_mul_f32_e32 v37, v36, v5
	v_mul_f32_e32 v38, v35, v37
	s_delay_alu instid0(VALU_DEP_1) | instskip(NEXT) | instid1(VALU_DEP_1)
	v_fma_f32 v34, v37, v35, -v38
	v_fmac_f32_e32 v34, v37, v7
	s_delay_alu instid0(VALU_DEP_1) | instskip(NEXT) | instid1(VALU_DEP_1)
	v_add_f32_e32 v39, v38, v34
	v_sub_f32_e32 v40, v36, v39
	v_sub_f32_e32 v6, v39, v38
	s_delay_alu instid0(VALU_DEP_2) | instskip(NEXT) | instid1(VALU_DEP_1)
	v_sub_f32_e32 v36, v36, v40
	v_sub_f32_e32 v36, v36, v39
	s_delay_alu instid0(VALU_DEP_1) | instskip(NEXT) | instid1(VALU_DEP_1)
	v_dual_sub_f32 v6, v6, v34 :: v_dual_add_f32 v3, v3, v36
	v_add_f32_e32 v3, v6, v3
	s_delay_alu instid0(VALU_DEP_1) | instskip(NEXT) | instid1(VALU_DEP_1)
	v_add_f32_e32 v6, v40, v3
	v_mul_f32_e32 v34, v5, v6
	v_sub_f32_e32 v39, v40, v6
	s_delay_alu instid0(VALU_DEP_2) | instskip(NEXT) | instid1(VALU_DEP_2)
	v_mul_f32_e32 v36, v35, v34
	v_add_f32_e32 v3, v3, v39
	s_delay_alu instid0(VALU_DEP_2) | instskip(NEXT) | instid1(VALU_DEP_1)
	v_fma_f32 v35, v34, v35, -v36
	v_fmac_f32_e32 v35, v34, v7
	s_delay_alu instid0(VALU_DEP_1) | instskip(NEXT) | instid1(VALU_DEP_1)
	v_add_f32_e32 v7, v36, v35
	v_sub_f32_e32 v38, v6, v7
	s_delay_alu instid0(VALU_DEP_1) | instskip(NEXT) | instid1(VALU_DEP_1)
	v_sub_f32_e32 v6, v6, v38
	v_sub_f32_e32 v6, v6, v7
	s_delay_alu instid0(VALU_DEP_1) | instskip(SKIP_2) | instid1(VALU_DEP_1)
	v_add_f32_e32 v3, v3, v6
	v_add_f32_e32 v6, v37, v34
	v_sub_f32_e32 v36, v7, v36
	v_sub_f32_e32 v7, v36, v35
	s_delay_alu instid0(VALU_DEP_1) | instskip(NEXT) | instid1(VALU_DEP_4)
	v_add_f32_e32 v3, v7, v3
	v_sub_f32_e32 v7, v6, v37
	s_delay_alu instid0(VALU_DEP_2) | instskip(NEXT) | instid1(VALU_DEP_2)
	v_add_f32_e32 v3, v38, v3
	v_sub_f32_e32 v7, v34, v7
	s_delay_alu instid0(VALU_DEP_2) | instskip(NEXT) | instid1(VALU_DEP_1)
	v_mul_f32_e32 v3, v5, v3
	v_add_f32_e32 v3, v7, v3
	s_delay_alu instid0(VALU_DEP_1) | instskip(NEXT) | instid1(VALU_DEP_1)
	v_add_f32_e32 v5, v6, v3
	v_mul_f32_e32 v7, v5, v5
	s_delay_alu instid0(VALU_DEP_1) | instskip(SKIP_1) | instid1(VALU_DEP_2)
	v_fmaak_f32 v34, s60, v7, 0x3ecc95a3
	v_mul_f32_e32 v35, v5, v7
	v_fmaak_f32 v7, v7, v34, 0x3f2aaada
	v_ldexp_f32 v34, v5, 1
	v_sub_f32_e32 v5, v5, v6
	s_delay_alu instid0(VALU_DEP_3) | instskip(SKIP_1) | instid1(VALU_DEP_2)
	v_mul_f32_e32 v7, v35, v7
	v_mul_f32_e32 v35, 0x3f317218, v2
	v_dual_sub_f32 v3, v3, v5 :: v_dual_add_f32 v6, v34, v7
	s_delay_alu instid0(VALU_DEP_1) | instskip(NEXT) | instid1(VALU_DEP_2)
	v_ldexp_f32 v3, v3, 1
	v_sub_f32_e32 v5, v6, v34
	s_delay_alu instid0(VALU_DEP_4) | instskip(NEXT) | instid1(VALU_DEP_1)
	v_fma_f32 v34, 0x3f317218, v2, -v35
	v_dual_sub_f32 v5, v7, v5 :: v_dual_fmac_f32 v34, 0xb102e308, v2
	s_delay_alu instid0(VALU_DEP_1) | instskip(NEXT) | instid1(VALU_DEP_1)
	v_add_f32_e32 v2, v3, v5
	v_add_f32_e32 v5, v6, v2
	s_delay_alu instid0(VALU_DEP_1) | instskip(NEXT) | instid1(VALU_DEP_1)
	v_sub_f32_e32 v6, v5, v6
	v_sub_f32_e32 v2, v2, v6
	v_add_f32_e32 v3, v35, v34
	s_delay_alu instid0(VALU_DEP_1) | instskip(SKIP_1) | instid1(VALU_DEP_2)
	v_add_f32_e32 v7, v3, v5
	v_sub_f32_e32 v35, v3, v35
	v_sub_f32_e32 v36, v7, v3
	s_delay_alu instid0(VALU_DEP_1) | instskip(NEXT) | instid1(VALU_DEP_1)
	v_dual_sub_f32 v34, v34, v35 :: v_dual_sub_f32 v37, v7, v36
	v_dual_sub_f32 v5, v5, v36 :: v_dual_add_f32 v6, v34, v2
	s_delay_alu instid0(VALU_DEP_2) | instskip(NEXT) | instid1(VALU_DEP_1)
	v_sub_f32_e32 v3, v3, v37
	v_add_f32_e32 v3, v5, v3
	s_delay_alu instid0(VALU_DEP_3) | instskip(NEXT) | instid1(VALU_DEP_2)
	v_sub_f32_e32 v5, v6, v34
	v_add_f32_e32 v3, v6, v3
	s_delay_alu instid0(VALU_DEP_2) | instskip(NEXT) | instid1(VALU_DEP_2)
	v_sub_f32_e32 v6, v6, v5
	v_dual_sub_f32 v2, v2, v5 :: v_dual_add_f32 v35, v7, v3
	s_delay_alu instid0(VALU_DEP_1) | instskip(NEXT) | instid1(VALU_DEP_1)
	v_dual_sub_f32 v6, v34, v6 :: v_dual_sub_f32 v5, v35, v7
	v_dual_add_f32 v2, v2, v6 :: v_dual_sub_f32 v3, v3, v5
	s_delay_alu instid0(VALU_DEP_1) | instskip(NEXT) | instid1(VALU_DEP_1)
	v_add_f32_e32 v2, v2, v3
	v_add_f32_e32 v2, v35, v2
	s_delay_alu instid0(VALU_DEP_1)
	v_cndmask_b32_e32 v38, v2, v4, vcc_lo
.LBB39_34:                              ;   in Loop: Header=BB39_12 Depth=1
	s_or_b32 exec_lo, exec_lo, s17
	v_and_b32_e32 v3, 0xffff0000, v0
	v_lshlrev_b32_e32 v0, 16, v0
	v_lshlrev_b32_e32 v2, 16, v1
	v_and_b32_e32 v1, 0xffff0000, v1
	s_and_b32 vcc_lo, exec_lo, s57
	s_delay_alu instid0(VALU_DEP_3) | instskip(NEXT) | instid1(VALU_DEP_2)
	v_mul_f32_e32 v37, s49, v0
	v_dual_mul_f32 v35, s49, v2 :: v_dual_mul_f32 v36, s49, v1
	v_mul_f32_e32 v34, s49, v3
	s_barrier
	buffer_gl0_inv
	s_cbranch_vccz .LBB39_82
; %bb.35:                               ;   in Loop: Header=BB39_12 Depth=1
	v_dual_mul_f32 v39, v38, v1 :: v_dual_mul_f32 v44, v33, v2
	v_add_co_u32 v1, s16, s27, v29
	s_delay_alu instid0(VALU_DEP_1) | instskip(SKIP_1) | instid1(VALU_DEP_1)
	v_add_co_ci_u32_e64 v4, null, s41, 0, s16
	v_add_co_u32 v5, s16, s45, v29
	v_add_co_ci_u32_e64 v6, null, s52, 0, s16
	s_delay_alu instid0(VALU_DEP_4) | instskip(NEXT) | instid1(VALU_DEP_4)
	v_add_co_u32 v40, vcc_lo, v1, v30
	v_add_co_ci_u32_e32 v41, vcc_lo, 0, v4, vcc_lo
	s_delay_alu instid0(VALU_DEP_4) | instskip(NEXT) | instid1(VALU_DEP_4)
	v_add_co_u32 v42, vcc_lo, v5, v30
	v_add_co_ci_u32_e32 v43, vcc_lo, 0, v6, vcc_lo
	v_cmp_gt_u32_e32 vcc_lo, s19, v8
	v_cmp_gt_u32_e64 s17, s19, v26
	v_cmp_gt_u32_e64 s18, s19, v27
	;; [unrolled: 1-line block ×3, first 2 shown]
	s_cmp_lg_u32 s62, 0
	v_dual_mul_f32 v45, v32, v3 :: v_dual_mul_f32 v46, v31, v0
	s_mov_b32 s28, 0
	s_cselect_b32 s25, -1, 0
	s_cmp_eq_u32 s62, s59
	s_mov_b32 s30, s28
	s_cselect_b32 s63, -1, 0
	s_or_b32 s16, s58, vcc_lo
	s_or_b32 s17, s58, s17
	s_or_b32 s18, s58, s18
	;; [unrolled: 1-line block ×3, first 2 shown]
	s_mov_b32 s38, s28
	s_mov_b32 s42, s28
	;; [unrolled: 1-line block ×4, first 2 shown]
	s_branch .LBB39_37
.LBB39_36:                              ;   in Loop: Header=BB39_37 Depth=2
	s_or_b32 exec_lo, exec_lo, s20
	v_cndmask_b32_e64 v2, v56, v7, s11
	v_cndmask_b32_e64 v3, v55, v6, s11
	s_add_i32 s64, s64, -1
	s_add_i32 s65, s65, 8
	s_add_i32 s42, s42, s26
	v_fma_f32 v2, v2, v54, v52
	v_mul_f32_e32 v3, v3, v54
	s_add_i32 s38, s38, s44
	s_add_i32 s30, s30, s40
	s_add_i32 s28, s28, s37
	v_cndmask_b32_e64 v2, v2, v52, s10
	v_cndmask_b32_e64 v3, v3, v54, s10
	s_cmp_eq_u32 s64, 0
	s_waitcnt lgkmcnt(0)
	s_delay_alu instid0(VALU_DEP_1) | instskip(SKIP_3) | instid1(VALU_DEP_4)
	v_dual_fmac_f32 v2, v4, v3 :: v_dual_and_b32 v3, 0xffff0000, v0
	v_and_b32_e32 v4, 0xffff0000, v1
	v_lshlrev_b32_e32 v0, 16, v0
	v_lshlrev_b32_e32 v1, 16, v1
	v_fmac_f32_e32 v47, v2, v53
	s_delay_alu instid0(VALU_DEP_1) | instskip(NEXT) | instid1(VALU_DEP_1)
	v_fmac_f32_e32 v48, v47, v51
	v_fmac_f32_e32 v49, v48, v50
	s_delay_alu instid0(VALU_DEP_1)
	v_dual_fmac_f32 v35, v48, v1 :: v_dual_fmac_f32 v36, v49, v4
	v_dual_fmac_f32 v37, v2, v0 :: v_dual_fmac_f32 v34, v47, v3
	s_cbranch_scc1 .LBB39_82
.LBB39_37:                              ;   Parent Loop BB39_12 Depth=1
                                        ; =>  This Inner Loop Header: Depth=2
	s_lshl_b64 s[20:21], s[28:29], 2
	s_mov_b32 s31, s29
	s_add_u32 s20, s50, s20
	s_addc_u32 s21, s51, s21
	v_dual_mov_b32 v2, 0 :: v_dual_mov_b32 v3, 0
	global_load_b32 v6, v12, s[20:21]
	s_lshl_b64 s[20:21], s[30:31], 1
	s_delay_alu instid0(SALU_CYCLE_1)
	v_add_co_u32 v0, vcc_lo, v40, s20
	v_add_co_ci_u32_e32 v1, vcc_lo, s21, v41, vcc_lo
	s_and_saveexec_b32 s20, s12
	s_cbranch_execz .LBB39_39
; %bb.38:                               ;   in Loop: Header=BB39_37 Depth=2
	global_load_u16 v3, v[0:1], off
.LBB39_39:                              ;   in Loop: Header=BB39_37 Depth=2
	s_or_b32 exec_lo, exec_lo, s20
	s_and_saveexec_b32 s20, s13
	s_cbranch_execz .LBB39_41
; %bb.40:                               ;   in Loop: Header=BB39_37 Depth=2
	global_load_u16 v2, v[0:1], off offset:64
.LBB39_41:                              ;   in Loop: Header=BB39_37 Depth=2
	s_or_b32 exec_lo, exec_lo, s20
	v_dual_mov_b32 v4, 0 :: v_dual_mov_b32 v5, 0
	s_and_saveexec_b32 s20, s14
	s_cbranch_execz .LBB39_43
; %bb.42:                               ;   in Loop: Header=BB39_37 Depth=2
	global_load_u16 v5, v[0:1], off offset:128
.LBB39_43:                              ;   in Loop: Header=BB39_37 Depth=2
	s_or_b32 exec_lo, exec_lo, s20
	s_and_saveexec_b32 s20, s15
	s_cbranch_execz .LBB39_45
; %bb.44:                               ;   in Loop: Header=BB39_37 Depth=2
	global_load_u16 v4, v[0:1], off offset:192
.LBB39_45:                              ;   in Loop: Header=BB39_37 Depth=2
	s_or_b32 exec_lo, exec_lo, s20
	s_waitcnt vmcnt(0)
	ds_store_b16 v14, v3
	ds_store_b16 v14, v2 offset:64
	ds_store_b16 v15, v5 offset:128
	;; [unrolled: 1-line block ×3, first 2 shown]
	; wave barrier
	ds_load_b64 v[4:5], v17
	s_mov_b32 s39, s29
	v_dual_mov_b32 v2, 0 :: v_dual_mov_b32 v3, 0
	s_lshl_b64 s[20:21], s[38:39], 1
	s_delay_alu instid0(SALU_CYCLE_1)
	v_add_co_u32 v0, vcc_lo, v42, s20
	v_add_co_ci_u32_e32 v1, vcc_lo, s21, v43, vcc_lo
	s_and_saveexec_b32 s20, s12
	s_cbranch_execz .LBB39_47
; %bb.46:                               ;   in Loop: Header=BB39_37 Depth=2
	global_load_u16 v3, v[0:1], off
.LBB39_47:                              ;   in Loop: Header=BB39_37 Depth=2
	s_or_b32 exec_lo, exec_lo, s20
	s_and_saveexec_b32 s20, s13
	s_cbranch_execz .LBB39_49
; %bb.48:                               ;   in Loop: Header=BB39_37 Depth=2
	global_load_u16 v2, v[0:1], off offset:64
.LBB39_49:                              ;   in Loop: Header=BB39_37 Depth=2
	s_or_b32 exec_lo, exec_lo, s20
	v_mov_b32_e32 v7, 0
	v_mov_b32_e32 v47, 0
	s_and_saveexec_b32 s20, s14
	s_cbranch_execz .LBB39_51
; %bb.50:                               ;   in Loop: Header=BB39_37 Depth=2
	global_load_u16 v47, v[0:1], off offset:128
.LBB39_51:                              ;   in Loop: Header=BB39_37 Depth=2
	s_or_b32 exec_lo, exec_lo, s20
	s_and_saveexec_b32 s20, s15
	s_cbranch_execz .LBB39_53
; %bb.52:                               ;   in Loop: Header=BB39_37 Depth=2
	global_load_u16 v7, v[0:1], off offset:192
.LBB39_53:                              ;   in Loop: Header=BB39_37 Depth=2
	s_or_b32 exec_lo, exec_lo, s20
	s_waitcnt vmcnt(0)
	ds_store_b16 v14, v3 offset:528
	ds_store_b16 v18, v2 offset:64
	;; [unrolled: 1-line block ×4, first 2 shown]
	; wave barrier
	ds_load_b64 v[0:1], v17 offset:528
	s_and_not1_b32 vcc_lo, exec_lo, s25
	s_cbranch_vccnz .LBB39_55
; %bb.54:                               ;   in Loop: Header=BB39_37 Depth=2
	v_mov_b32_e32 v2, s65
	ds_load_b64 v[2:3], v2
	s_cbranch_execz .LBB39_56
	s_branch .LBB39_59
.LBB39_55:                              ;   in Loop: Header=BB39_37 Depth=2
                                        ; implicit-def: $vgpr2
.LBB39_56:                              ;   in Loop: Header=BB39_37 Depth=2
	s_waitcnt lgkmcnt(0)
	v_mov_b32_e32 v3, 0
	s_and_not1_b32 vcc_lo, exec_lo, s33
	s_cbranch_vccnz .LBB39_58
; %bb.57:                               ;   in Loop: Header=BB39_37 Depth=2
	s_mov_b32 s43, s29
	s_delay_alu instid0(SALU_CYCLE_1) | instskip(NEXT) | instid1(SALU_CYCLE_1)
	s_lshl_b64 s[20:21], s[42:43], 2
	s_add_u32 s20, s53, s20
	s_addc_u32 s21, s54, s21
	global_load_b32 v3, v12, s[20:21]
.LBB39_58:                              ;   in Loop: Header=BB39_37 Depth=2
	v_mov_b32_e32 v2, 1.0
.LBB39_59:                              ;   in Loop: Header=BB39_37 Depth=2
	s_waitcnt lgkmcnt(5)
	v_dual_mul_f32 v6, 0x3fb8aa3b, v6 :: v_dual_lshlrev_b32 v7, 16, v4
	v_lshlrev_b32_e32 v47, 16, v5
	v_and_b32_e32 v4, 0xffff0000, v4
	s_delay_alu instid0(VALU_DEP_3) | instskip(NEXT) | instid1(VALU_DEP_4)
	v_mul_f32_e32 v48, v6, v31
	v_mul_f32_e32 v7, v46, v7
	s_delay_alu instid0(VALU_DEP_3) | instskip(SKIP_1) | instid1(VALU_DEP_4)
	v_dual_mul_f32 v51, v6, v38 :: v_dual_mul_f32 v4, v45, v4
	v_dual_mul_f32 v50, v6, v33 :: v_dual_mul_f32 v55, v44, v47
	v_cmp_gt_f32_e32 vcc_lo, 0xc2fc0000, v48
	s_delay_alu instid0(VALU_DEP_3) | instskip(NEXT) | instid1(VALU_DEP_3)
	v_cmp_gt_f32_e64 s22, 0xc2fc0000, v51
	v_cmp_gt_f32_e64 s21, 0xc2fc0000, v50
	v_cndmask_b32_e64 v48, 0, 0x42800000, vcc_lo
	v_and_b32_e32 v5, 0xffff0000, v5
	s_delay_alu instid0(VALU_DEP_4) | instskip(SKIP_4) | instid1(VALU_DEP_3)
	v_cndmask_b32_e64 v51, 0, 0x42800000, s22
	v_cndmask_b32_e64 v52, 1.0, 0x1f800000, vcc_lo
	v_cndmask_b32_e64 v50, 0, 0x42800000, s21
	v_fmac_f32_e32 v48, v6, v31
	v_cndmask_b32_e64 v47, 1.0, 0x1f800000, s21
	v_fmac_f32_e32 v50, v6, v33
	s_delay_alu instid0(VALU_DEP_3) | instskip(SKIP_1) | instid1(VALU_DEP_2)
	v_exp_f32_e32 v48, v48
	v_fmac_f32_e32 v51, v6, v38
	v_exp_f32_e32 v50, v50
	s_waitcnt_depctr 0xfff
	v_mul_f32_e32 v48, v48, v52
	v_cndmask_b32_e64 v52, 0, v7, s16
	v_exp_f32_e32 v7, v51
	s_delay_alu instid0(VALU_DEP_2) | instskip(SKIP_2) | instid1(VALU_DEP_2)
	v_cndmask_b32_e64 v54, 1.0, v48, s16
	v_mul_f32_e32 v49, v6, v32
	v_cndmask_b32_e64 v48, 0, v55, s18
	v_cmp_gt_f32_e64 s20, 0xc2fc0000, v49
	s_delay_alu instid0(VALU_DEP_1) | instskip(NEXT) | instid1(VALU_DEP_1)
	v_cndmask_b32_e64 v49, 0, 0x42800000, s20
	v_fmac_f32_e32 v49, v6, v32
	v_cndmask_b32_e64 v6, 1.0, 0x1f800000, s20
	s_delay_alu instid0(VALU_DEP_2) | instskip(SKIP_4) | instid1(VALU_DEP_3)
	v_exp_f32_e32 v49, v49
	s_waitcnt_depctr 0xfff
	v_dual_mul_f32 v6, v49, v6 :: v_dual_mul_f32 v49, v50, v47
	v_cndmask_b32_e64 v47, 0, v4, s17
	v_cndmask_b32_e64 v4, 1.0, 0x1f800000, s22
	v_cndmask_b32_e64 v53, 1.0, v6, s17
	s_delay_alu instid0(VALU_DEP_4) | instskip(NEXT) | instid1(VALU_DEP_3)
	v_cndmask_b32_e64 v51, 1.0, v49, s18
	v_mul_f32_e32 v4, v7, v4
	s_delay_alu instid0(VALU_DEP_3) | instskip(SKIP_1) | instid1(VALU_DEP_3)
	v_dual_mul_f32 v6, v53, v54 :: v_dual_mul_f32 v5, v39, v5
	v_fma_f32 v7, v53, v52, v47
	v_cndmask_b32_e64 v50, 1.0, v4, s19
	s_delay_alu instid0(VALU_DEP_3) | instskip(NEXT) | instid1(VALU_DEP_4)
	v_mul_f32_e32 v4, v6, v51
	v_cndmask_b32_e64 v49, 0, v5, s19
	s_delay_alu instid0(VALU_DEP_4) | instskip(NEXT) | instid1(VALU_DEP_3)
	v_fma_f32 v5, v7, v51, v48
	v_mul_f32_e32 v4, v4, v50
	s_delay_alu instid0(VALU_DEP_2) | instskip(NEXT) | instid1(VALU_DEP_2)
	v_fma_f32 v5, v5, v50, v49
	v_mov_b32_dpp v7, v4 row_shr:1 row_mask:0xf bank_mask:0xf
	s_delay_alu instid0(VALU_DEP_2)
	v_mov_b32_dpp v6, v5 row_shr:1 row_mask:0xf bank_mask:0xf
	s_and_saveexec_b32 s20, s0
; %bb.60:                               ;   in Loop: Header=BB39_37 Depth=2
	s_delay_alu instid0(VALU_DEP_2) | instskip(NEXT) | instid1(VALU_DEP_1)
	v_mul_f32_e32 v7, v4, v7
	v_dual_fmac_f32 v5, v4, v6 :: v_dual_mov_b32 v4, v7
; %bb.61:                               ;   in Loop: Header=BB39_37 Depth=2
	s_or_b32 exec_lo, exec_lo, s20
	s_delay_alu instid0(VALU_DEP_1) | instskip(NEXT) | instid1(VALU_DEP_2)
	v_mov_b32_dpp v6, v4 row_shr:2 row_mask:0xf bank_mask:0xf
	v_mov_b32_dpp v7, v5 row_shr:2 row_mask:0xf bank_mask:0xf
	s_and_saveexec_b32 s20, s1
; %bb.62:                               ;   in Loop: Header=BB39_37 Depth=2
	s_delay_alu instid0(VALU_DEP_1) | instskip(NEXT) | instid1(VALU_DEP_3)
	v_fmac_f32_e32 v5, v4, v7
	v_mul_f32_e32 v4, v4, v6
; %bb.63:                               ;   in Loop: Header=BB39_37 Depth=2
	s_or_b32 exec_lo, exec_lo, s20
	s_delay_alu instid0(VALU_DEP_1) | instskip(NEXT) | instid1(VALU_DEP_3)
	v_mov_b32_dpp v6, v4 row_shr:4 row_mask:0xf bank_mask:0xf
	v_mov_b32_dpp v7, v5 row_shr:4 row_mask:0xf bank_mask:0xf
	s_and_saveexec_b32 s20, s2
; %bb.64:                               ;   in Loop: Header=BB39_37 Depth=2
	s_delay_alu instid0(VALU_DEP_1) | instskip(NEXT) | instid1(VALU_DEP_3)
	v_fmac_f32_e32 v5, v4, v7
	v_mul_f32_e32 v4, v4, v6
; %bb.65:                               ;   in Loop: Header=BB39_37 Depth=2
	s_or_b32 exec_lo, exec_lo, s20
	s_delay_alu instid0(VALU_DEP_1) | instskip(NEXT) | instid1(VALU_DEP_3)
	v_mov_b32_dpp v6, v4 row_shr:8 row_mask:0xf bank_mask:0xf
	v_mov_b32_dpp v7, v5 row_shr:8 row_mask:0xf bank_mask:0xf
	s_and_saveexec_b32 s20, s3
; %bb.66:                               ;   in Loop: Header=BB39_37 Depth=2
	s_delay_alu instid0(VALU_DEP_1) | instskip(NEXT) | instid1(VALU_DEP_3)
	v_fmac_f32_e32 v5, v4, v7
	v_mul_f32_e32 v4, v4, v6
; %bb.67:                               ;   in Loop: Header=BB39_37 Depth=2
	s_or_b32 exec_lo, exec_lo, s20
	ds_swizzle_b32 v7, v4 offset:swizzle(BROADCAST,32,15)
	ds_swizzle_b32 v6, v5 offset:swizzle(BROADCAST,32,15)
	s_and_saveexec_b32 s20, s4
	s_cbranch_execz .LBB39_69
; %bb.68:                               ;   in Loop: Header=BB39_37 Depth=2
	s_waitcnt lgkmcnt(1)
	v_mul_f32_e32 v7, v4, v7
	s_waitcnt lgkmcnt(0)
	s_delay_alu instid0(VALU_DEP_1)
	v_dual_fmac_f32 v5, v4, v6 :: v_dual_mov_b32 v4, v7
.LBB39_69:                              ;   in Loop: Header=BB39_37 Depth=2
	s_or_b32 exec_lo, exec_lo, s20
	s_and_saveexec_b32 s20, s5
	s_cbranch_execz .LBB39_71
; %bb.70:                               ;   in Loop: Header=BB39_37 Depth=2
	ds_store_b64 v21, v[4:5] offset:1056
.LBB39_71:                              ;   in Loop: Header=BB39_37 Depth=2
	s_or_b32 exec_lo, exec_lo, s20
	s_waitcnt vmcnt(0) lgkmcnt(0)
	s_waitcnt_vscnt null, 0x0
	s_barrier
	buffer_gl0_inv
	s_and_saveexec_b32 s20, s6
	s_cbranch_execz .LBB39_73
; %bb.72:                               ;   in Loop: Header=BB39_37 Depth=2
	ds_load_b64 v[6:7], v22 offset:1056
	s_waitcnt lgkmcnt(0)
	v_mov_b32_dpp v55, v6 row_shr:1 row_mask:0xf bank_mask:0xf
	v_mov_b32_dpp v56, v7 row_shr:1 row_mask:0xf bank_mask:0xf
	s_delay_alu instid0(VALU_DEP_2) | instskip(NEXT) | instid1(VALU_DEP_2)
	v_mul_f32_e32 v55, v6, v55
	v_fma_f32 v56, v6, v56, v7
	s_delay_alu instid0(VALU_DEP_2) | instskip(NEXT) | instid1(VALU_DEP_2)
	v_cndmask_b32_e64 v6, v55, v6, s7
	v_cndmask_b32_e64 v7, v56, v7, s7
	ds_store_b64 v22, v[6:7] offset:1056
.LBB39_73:                              ;   in Loop: Header=BB39_37 Depth=2
	s_or_b32 exec_lo, exec_lo, s20
	s_waitcnt lgkmcnt(0)
	s_barrier
	buffer_gl0_inv
                                        ; implicit-def: $vgpr7
	s_and_saveexec_b32 s20, s9
	s_cbranch_execz .LBB39_75
; %bb.74:                               ;   in Loop: Header=BB39_37 Depth=2
	ds_load_b64 v[6:7], v21 offset:1048
	s_waitcnt lgkmcnt(0)
	v_mul_f32_e32 v55, v4, v6
	s_delay_alu instid0(VALU_DEP_1)
	v_dual_fmac_f32 v5, v4, v7 :: v_dual_mov_b32 v4, v55
.LBB39_75:                              ;   in Loop: Header=BB39_37 Depth=2
	s_or_b32 exec_lo, exec_lo, s20
	ds_bpermute_b32 v55, v23, v4
	ds_bpermute_b32 v56, v23, v5
	s_and_saveexec_b32 s20, s8
	s_cbranch_execz .LBB39_79
; %bb.76:                               ;   in Loop: Header=BB39_37 Depth=2
	ds_load_b64 v[4:5], v12 offset:1064
	s_and_saveexec_b32 s21, s10
	s_cbranch_execz .LBB39_78
; %bb.77:                               ;   in Loop: Header=BB39_37 Depth=2
	ds_store_b64 v12, v[2:3] offset:1064
.LBB39_78:                              ;   in Loop: Header=BB39_37 Depth=2
	s_or_b32 exec_lo, exec_lo, s21
	s_waitcnt lgkmcnt(0)
	v_fmac_f32_e32 v5, v3, v4
	s_delay_alu instid0(VALU_DEP_1)
	v_dual_mul_f32 v2, v2, v4 :: v_dual_mov_b32 v3, v5
.LBB39_79:                              ;   in Loop: Header=BB39_37 Depth=2
	s_or_b32 exec_lo, exec_lo, s20
	s_waitcnt lgkmcnt(0)
	s_barrier
	buffer_gl0_inv
	ds_load_b32 v4, v12 offset:1068
	s_and_saveexec_b32 s20, s10
	s_cbranch_execz .LBB39_36
; %bb.80:                               ;   in Loop: Header=BB39_37 Depth=2
	v_mov_b32_e32 v5, s65
	s_and_not1_b32 vcc_lo, exec_lo, s63
	ds_store_b64 v5, v[2:3]
	s_cbranch_vccnz .LBB39_36
; %bb.81:                               ;   in Loop: Header=BB39_37 Depth=2
	s_mov_b32 s43, s29
	s_delay_alu instid0(SALU_CYCLE_1) | instskip(NEXT) | instid1(SALU_CYCLE_1)
	s_lshl_b64 s[66:67], s[42:43], 2
	s_add_u32 s66, s53, s66
	s_addc_u32 s67, s54, s67
	global_store_b32 v12, v3, s[66:67]
	s_branch .LBB39_36
.LBB39_82:                              ;   in Loop: Header=BB39_12 Depth=1
	s_delay_alu instid0(VALU_DEP_1) | instskip(NEXT) | instid1(VALU_DEP_3)
	v_bfe_u32 v0, v37, 16, 1
	v_bfe_u32 v2, v35, 16, 1
	;; [unrolled: 1-line block ×3, first 2 shown]
	v_cmp_o_f32_e32 vcc_lo, v37, v37
	v_bfe_u32 v1, v34, 16, 1
	v_add3_u32 v0, v37, v0, 0x7fff
	v_add3_u32 v2, v35, v2, 0x7fff
	;; [unrolled: 1-line block ×3, first 2 shown]
	s_waitcnt_vscnt null, 0x0
	v_add3_u32 v1, v34, v1, 0x7fff
	v_lshrrev_b32_e32 v0, 16, v0
	v_lshrrev_b32_e32 v2, 16, v2
	;; [unrolled: 1-line block ×3, first 2 shown]
	s_barrier
	v_lshrrev_b32_e32 v1, 16, v1
	v_cndmask_b32_e32 v0, 0x7fc0, v0, vcc_lo
	v_cmp_o_f32_e32 vcc_lo, v35, v35
	buffer_gl0_inv
	s_mov_b32 s25, s29
	s_delay_alu instid0(SALU_CYCLE_1)
	s_lshl_b64 s[16:17], s[24:25], 1
	v_cndmask_b32_e32 v2, 0x7fc0, v2, vcc_lo
	v_cmp_o_f32_e32 vcc_lo, v36, v36
	v_cndmask_b32_e32 v3, 0x7fc0, v3, vcc_lo
	v_cmp_o_f32_e32 vcc_lo, v34, v34
	v_cndmask_b32_e32 v4, 0x7fc0, v1, vcc_lo
	s_delay_alu instid0(VALU_DEP_3) | instskip(NEXT) | instid1(VALU_DEP_2)
	v_perm_b32 v1, v3, v2, 0x5040100
	v_perm_b32 v0, v4, v0, 0x5040100
	ds_store_b64 v17, v[0:1]
	; wave barrier
	ds_load_u16 v4, v14 offset:64
	ds_load_u16 v3, v15 offset:128
	;; [unrolled: 1-line block ×3, first 2 shown]
	v_add_co_u32 v0, vcc_lo, v24, s16
	v_add_co_ci_u32_e32 v1, vcc_lo, s17, v25, vcc_lo
	s_and_saveexec_b32 s16, s12
	s_cbranch_execnz .LBB39_88
; %bb.83:                               ;   in Loop: Header=BB39_12 Depth=1
	s_or_b32 exec_lo, exec_lo, s16
	s_and_saveexec_b32 s12, s13
	s_cbranch_execnz .LBB39_89
.LBB39_84:                              ;   in Loop: Header=BB39_12 Depth=1
	s_or_b32 exec_lo, exec_lo, s12
	s_and_saveexec_b32 s12, s14
	s_cbranch_execnz .LBB39_90
.LBB39_85:                              ;   in Loop: Header=BB39_12 Depth=1
	s_or_b32 exec_lo, exec_lo, s12
	s_and_saveexec_b32 s12, s15
	s_cbranch_execz .LBB39_11
	s_branch .LBB39_91
.LBB39_86:                              ;   in Loop: Header=BB39_12 Depth=1
	global_load_u16 v6, v[2:3], off offset:64
	s_or_b32 exec_lo, exec_lo, s16
	s_and_saveexec_b32 s16, s14
	s_cbranch_execz .LBB39_24
.LBB39_87:                              ;   in Loop: Header=BB39_12 Depth=1
	global_load_u16 v5, v[2:3], off offset:128
	s_or_b32 exec_lo, exec_lo, s16
	v_mov_b32_e32 v7, 0
	s_and_saveexec_b32 s16, s15
	s_cbranch_execnz .LBB39_25
	s_branch .LBB39_26
.LBB39_88:                              ;   in Loop: Header=BB39_12 Depth=1
	ds_load_u16 v5, v14
	s_waitcnt lgkmcnt(0)
	global_store_b16 v[0:1], v5, off
	s_or_b32 exec_lo, exec_lo, s16
	s_and_saveexec_b32 s12, s13
	s_cbranch_execz .LBB39_84
.LBB39_89:                              ;   in Loop: Header=BB39_12 Depth=1
	s_waitcnt lgkmcnt(2)
	global_store_b16 v[0:1], v4, off offset:64
	s_or_b32 exec_lo, exec_lo, s12
	s_and_saveexec_b32 s12, s14
	s_cbranch_execz .LBB39_85
.LBB39_90:                              ;   in Loop: Header=BB39_12 Depth=1
	s_waitcnt lgkmcnt(1)
	global_store_b16 v[0:1], v3, off offset:128
	s_or_b32 exec_lo, exec_lo, s12
	s_and_saveexec_b32 s12, s15
	s_cbranch_execz .LBB39_11
.LBB39_91:                              ;   in Loop: Header=BB39_12 Depth=1
	s_waitcnt lgkmcnt(0)
	global_store_b16 v[0:1], v2, off offset:192
	s_branch .LBB39_11
.LBB39_92:
	s_nop 0
	s_sendmsg sendmsg(MSG_DEALLOC_VGPRS)
	s_endpgm
	.section	.rodata,"a",@progbits
	.p2align	6, 0x0
	.amdhsa_kernel _Z25selective_scan_fwd_kernelI32Selective_Scan_fwd_kernel_traitsILi64ELi4ELi1ELb0ELb1ELb1ELb0ELb0EN3c108BFloat16EffEEv13SSMParamsBase
		.amdhsa_group_segment_fixed_size 0
		.amdhsa_private_segment_fixed_size 0
		.amdhsa_kernarg_size 248
		.amdhsa_user_sgpr_count 14
		.amdhsa_user_sgpr_dispatch_ptr 0
		.amdhsa_user_sgpr_queue_ptr 0
		.amdhsa_user_sgpr_kernarg_segment_ptr 1
		.amdhsa_user_sgpr_dispatch_id 0
		.amdhsa_user_sgpr_private_segment_size 0
		.amdhsa_wavefront_size32 1
		.amdhsa_uses_dynamic_stack 0
		.amdhsa_enable_private_segment 0
		.amdhsa_system_sgpr_workgroup_id_x 1
		.amdhsa_system_sgpr_workgroup_id_y 1
		.amdhsa_system_sgpr_workgroup_id_z 0
		.amdhsa_system_sgpr_workgroup_info 0
		.amdhsa_system_vgpr_workitem_id 0
		.amdhsa_next_free_vgpr 57
		.amdhsa_next_free_sgpr 68
		.amdhsa_reserve_vcc 1
		.amdhsa_float_round_mode_32 0
		.amdhsa_float_round_mode_16_64 0
		.amdhsa_float_denorm_mode_32 3
		.amdhsa_float_denorm_mode_16_64 3
		.amdhsa_dx10_clamp 1
		.amdhsa_ieee_mode 1
		.amdhsa_fp16_overflow 0
		.amdhsa_workgroup_processor_mode 1
		.amdhsa_memory_ordered 1
		.amdhsa_forward_progress 0
		.amdhsa_shared_vgpr_count 0
		.amdhsa_exception_fp_ieee_invalid_op 0
		.amdhsa_exception_fp_denorm_src 0
		.amdhsa_exception_fp_ieee_div_zero 0
		.amdhsa_exception_fp_ieee_overflow 0
		.amdhsa_exception_fp_ieee_underflow 0
		.amdhsa_exception_fp_ieee_inexact 0
		.amdhsa_exception_int_div_zero 0
	.end_amdhsa_kernel
	.section	.text._Z25selective_scan_fwd_kernelI32Selective_Scan_fwd_kernel_traitsILi64ELi4ELi1ELb0ELb1ELb1ELb0ELb0EN3c108BFloat16EffEEv13SSMParamsBase,"axG",@progbits,_Z25selective_scan_fwd_kernelI32Selective_Scan_fwd_kernel_traitsILi64ELi4ELi1ELb0ELb1ELb1ELb0ELb0EN3c108BFloat16EffEEv13SSMParamsBase,comdat
.Lfunc_end39:
	.size	_Z25selective_scan_fwd_kernelI32Selective_Scan_fwd_kernel_traitsILi64ELi4ELi1ELb0ELb1ELb1ELb0ELb0EN3c108BFloat16EffEEv13SSMParamsBase, .Lfunc_end39-_Z25selective_scan_fwd_kernelI32Selective_Scan_fwd_kernel_traitsILi64ELi4ELi1ELb0ELb1ELb1ELb0ELb0EN3c108BFloat16EffEEv13SSMParamsBase
                                        ; -- End function
	.section	.AMDGPU.csdata,"",@progbits
; Kernel info:
; codeLenInByte = 7040
; NumSgprs: 70
; NumVgprs: 57
; ScratchSize: 0
; MemoryBound: 0
; FloatMode: 240
; IeeeMode: 1
; LDSByteSize: 0 bytes/workgroup (compile time only)
; SGPRBlocks: 8
; VGPRBlocks: 7
; NumSGPRsForWavesPerEU: 70
; NumVGPRsForWavesPerEU: 57
; Occupancy: 16
; WaveLimiterHint : 0
; COMPUTE_PGM_RSRC2:SCRATCH_EN: 0
; COMPUTE_PGM_RSRC2:USER_SGPR: 14
; COMPUTE_PGM_RSRC2:TRAP_HANDLER: 0
; COMPUTE_PGM_RSRC2:TGID_X_EN: 1
; COMPUTE_PGM_RSRC2:TGID_Y_EN: 1
; COMPUTE_PGM_RSRC2:TGID_Z_EN: 0
; COMPUTE_PGM_RSRC2:TIDIG_COMP_CNT: 0
	.section	.text._Z25selective_scan_fwd_kernelI32Selective_Scan_fwd_kernel_traitsILi64ELi8ELi1ELb1ELb1ELb1ELb1ELb1EN3c108BFloat16EffEEv13SSMParamsBase,"axG",@progbits,_Z25selective_scan_fwd_kernelI32Selective_Scan_fwd_kernel_traitsILi64ELi8ELi1ELb1ELb1ELb1ELb1ELb1EN3c108BFloat16EffEEv13SSMParamsBase,comdat
	.protected	_Z25selective_scan_fwd_kernelI32Selective_Scan_fwd_kernel_traitsILi64ELi8ELi1ELb1ELb1ELb1ELb1ELb1EN3c108BFloat16EffEEv13SSMParamsBase ; -- Begin function _Z25selective_scan_fwd_kernelI32Selective_Scan_fwd_kernel_traitsILi64ELi8ELi1ELb1ELb1ELb1ELb1ELb1EN3c108BFloat16EffEEv13SSMParamsBase
	.globl	_Z25selective_scan_fwd_kernelI32Selective_Scan_fwd_kernel_traitsILi64ELi8ELi1ELb1ELb1ELb1ELb1ELb1EN3c108BFloat16EffEEv13SSMParamsBase
	.p2align	8
	.type	_Z25selective_scan_fwd_kernelI32Selective_Scan_fwd_kernel_traitsILi64ELi8ELi1ELb1ELb1ELb1ELb1ELb1EN3c108BFloat16EffEEv13SSMParamsBase,@function
_Z25selective_scan_fwd_kernelI32Selective_Scan_fwd_kernel_traitsILi64ELi8ELi1ELb1ELb1ELb1ELb1ELb1EN3c108BFloat16EffEEv13SSMParamsBase: ; @_Z25selective_scan_fwd_kernelI32Selective_Scan_fwd_kernel_traitsILi64ELi8ELi1ELb1ELb1ELb1ELb1ELb1EN3c108BFloat16EffEEv13SSMParamsBase
; %bb.0:
	s_clause 0x2
	s_load_b32 s11, s[0:1], 0x18
	s_load_b256 s[52:59], s[0:1], 0xc8
	s_load_b128 s[4:7], s[0:1], 0xe8
	s_mov_b32 s12, s15
	s_ashr_i32 s15, s14, 31
	s_mov_b32 s33, 0
	s_lshl_b64 s[8:9], s[14:15], 2
	s_waitcnt lgkmcnt(0)
	s_abs_i32 s10, s11
	s_add_u32 s2, s58, s8
	v_cvt_f32_u32_e32 v1, s10
	s_addc_u32 s3, s59, s9
	s_cmp_eq_u64 s[6:7], 0
	s_delay_alu instid0(VALU_DEP_1) | instskip(SKIP_2) | instid1(VALU_DEP_1)
	v_rcp_iflag_f32_e32 v1, v1
	s_waitcnt_depctr 0xfff
	v_mul_f32_e32 v1, 0x4f7ffffe, v1
	v_cvt_u32_f32_e32 v1, v1
	s_delay_alu instid0(VALU_DEP_1)
	v_readfirstlane_b32 s34, v1
	s_cbranch_scc1 .LBB40_2
; %bb.1:
	v_mov_b32_e32 v1, 0
	s_add_u32 s6, s6, s14
	s_addc_u32 s7, s7, s15
	global_load_u8 v1, v1, s[6:7]
	s_waitcnt vmcnt(0)
	v_and_b32_e32 v1, 1, v1
	s_delay_alu instid0(VALU_DEP_1)
	v_cmp_eq_u32_e64 s33, 1, v1
.LBB40_2:
	s_load_b64 s[6:7], s[0:1], 0x20
	s_cmp_eq_u64 s[4:5], 0
	s_cbranch_scc1 .LBB40_4
; %bb.3:
	s_add_u32 s4, s4, s8
	s_addc_u32 s5, s5, s9
	s_load_b32 s14, s[4:5], 0x0
	s_waitcnt lgkmcnt(0)
	s_ashr_i32 s15, s14, 31
.LBB40_4:
	s_waitcnt lgkmcnt(0)
	s_cmp_eq_u64 s[6:7], s[14:15]
	s_cbranch_scc1 .LBB40_172
; %bb.5:
	s_load_b512 s[16:31], s[0:1], 0x88
	s_load_b64 s[58:59], s[2:3], 0x0
	s_mov_b32 s60, 0
	s_mov_b32 s61, 0
	s_waitcnt lgkmcnt(0)
	s_cmp_eq_u64 s[22:23], 0
	s_cbranch_scc1 .LBB40_7
; %bb.6:
	s_ashr_i32 s13, s12, 31
	s_delay_alu instid0(SALU_CYCLE_1) | instskip(NEXT) | instid1(SALU_CYCLE_1)
	s_lshl_b64 s[2:3], s[12:13], 2
	s_add_u32 s2, s22, s2
	s_addc_u32 s3, s23, s3
	s_load_b32 s61, s[2:3], 0x0
.LBB40_7:
	s_cmp_eq_u64 s[28:29], 0
	s_cbranch_scc1 .LBB40_9
; %bb.8:
	s_ashr_i32 s13, s12, 31
	s_delay_alu instid0(SALU_CYCLE_1) | instskip(NEXT) | instid1(SALU_CYCLE_1)
	s_lshl_b64 s[2:3], s[12:13], 2
	s_add_u32 s2, s28, s2
	s_addc_u32 s3, s29, s3
	s_load_b32 s60, s[2:3], 0x0
.LBB40_9:
	s_sub_i32 s59, s59, s58
	s_delay_alu instid0(SALU_CYCLE_1)
	s_cmp_lt_i32 s59, 1
	s_cbranch_scc1 .LBB40_172
; %bb.10:
	s_sub_i32 s2, 0, s10
	s_load_b256 s[36:43], s[0:1], 0x4c
	s_mul_i32 s2, s2, s34
	s_abs_i32 s3, s12
	s_mul_hi_u32 s2, s34, s2
	s_ashr_i32 s5, s11, 31
	s_add_i32 s34, s34, s2
	s_ashr_i32 s2, s12, 31
	s_mul_hi_u32 s4, s3, s34
	s_xor_b32 s5, s2, s5
	s_mul_i32 s6, s4, s10
	s_load_b256 s[44:51], s[0:1], 0x2c
	s_sub_i32 s2, s3, s6
	s_add_i32 s3, s4, 1
	s_sub_i32 s6, s2, s10
	s_cmp_ge_u32 s2, s10
	s_mov_b32 s35, 0
	s_cselect_b32 s3, s3, s4
	s_cselect_b32 s2, s6, s2
	s_add_i32 s4, s3, 1
	s_cmp_ge_u32 s2, s10
	s_waitcnt lgkmcnt(0)
	s_mul_i32 s34, s58, s38
	s_cselect_b32 s4, s4, s3
	s_lshl_b64 s[2:3], s[34:35], 1
	s_xor_b32 s4, s4, s5
	s_mul_i32 s34, s39, s12
	s_sub_i32 s6, s4, s5
	s_add_u32 s4, s24, s2
	s_addc_u32 s5, s25, s3
	s_lshl_b64 s[2:3], s[34:35], 1
	s_mul_i32 s34, s58, s40
	s_add_u32 s47, s4, s2
	s_addc_u32 s51, s5, s3
	s_lshl_b64 s[2:3], s[34:35], 1
	s_mul_i32 s34, s41, s12
	;; [unrolled: 4-line block ×4, first 2 shown]
	s_add_u32 s63, s16, s2
	s_addc_u32 s64, s17, s3
	s_load_b64 s[2:3], s[0:1], 0x7c
	s_lshl_b64 s[4:5], s[34:35], 1
	s_mul_i32 s34, s6, s49
	s_add_u32 s7, s18, s4
	s_addc_u32 s8, s19, s5
	s_load_b128 s[16:19], s[0:1], 0x6c
	s_lshl_b64 s[4:5], s[34:35], 1
	s_mul_i32 s34, s58, s50
	s_add_u32 s46, s7, s4
	v_dual_mov_b32 v13, 0 :: v_dual_lshlrev_b32 v10, 3, v0
	s_addc_u32 s49, s8, s5
	s_lshl_b64 s[4:5], s[34:35], 1
	s_mul_i32 s34, s6, s37
	s_add_u32 s7, s20, s4
	s_addc_u32 s6, s21, s5
	s_lshl_b64 s[4:5], s[34:35], 1
	v_mbcnt_lo_u32_b32 v1, -1, 0
	v_and_b32_e32 v2, 0x100, v10
	s_add_u32 s50, s7, s4
	s_waitcnt lgkmcnt(0)
	s_mul_i32 s34, s14, s2
	s_addc_u32 s65, s6, s5
	s_lshl_b64 s[4:5], s[34:35], 2
	s_load_b32 s37, s[0:1], 0x84
	s_add_u32 s4, s52, s4
	s_clause 0x1
	s_load_b32 s52, s[0:1], 0xc
	s_load_b32 s0, s[0:1], 0x28
	v_or_b32_e32 v11, v1, v2
	s_mul_i32 s34, s3, s12
	s_addc_u32 s5, s53, s5
	s_lshl_b64 s[2:3], s[34:35], 2
	v_and_b32_e32 v6, 32, v0
	v_or_b32_e32 v12, 0x60, v11
	v_or_b32_e32 v17, 0xa0, v11
	;; [unrolled: 1-line block ×3, first 2 shown]
	s_add_u32 s53, s4, s2
	v_or_b32_e32 v15, 64, v11
	v_lshrrev_b32_e32 v3, 5, v12
	v_or_b32_e32 v16, 0x80, v11
	v_or_b32_e32 v18, 0xc0, v11
	v_lshrrev_b32_e32 v7, 5, v17
	v_lshrrev_b32_e32 v24, 5, v19
	v_and_b32_e32 v3, 10, v3
	s_addc_u32 s66, s5, s3
	s_add_i32 s1, s59, 0x7ff
	v_lshrrev_b32_e32 v4, 5, v2
	s_lshr_b32 s67, s1, 11
	s_waitcnt lgkmcnt(0)
	s_bitcmp1_b32 s0, 0
	v_lshrrev_b32_e32 v5, 5, v15
	v_add_lshl_u32 v3, v3, v11, 1
	v_lshrrev_b32_e32 v8, 5, v16
	v_or_b32_e32 v9, v1, v6
	v_and_b32_e32 v7, 12, v7
	v_lshrrev_b32_e32 v23, 5, v18
	v_and_b32_e32 v26, 14, v24
	s_cselect_b32 s68, -1, 0
	s_cmp_gt_i32 s52, 0
	v_add_lshl_u32 v4, v4, v11, 1
	s_cselect_b32 s69, -1, 0
	s_add_i32 s0, 0, 0x420
	v_add_lshl_u32 v5, v5, v11, 1
	v_add_nc_u32_e32 v22, 0, v3
	v_add_lshl_u32 v8, v8, v11, 1
	v_lshrrev_b32_e32 v25, 2, v9
	v_add_lshl_u32 v7, v7, v11, 1
	v_add_lshl_u32 v33, v23, v11, 1
	;; [unrolled: 1-line block ×3, first 2 shown]
	v_add_nc_u32_e32 v30, s0, v3
	v_and_b32_e32 v3, 15, v1
	s_and_b32 s1, s59, 0x1ff
	v_and_b32_e32 v27, 14, v25
	v_add_nc_u32_e32 v25, 0, v33
	v_add_nc_u32_e32 v26, 0, v34
	;; [unrolled: 1-line block ×7, first 2 shown]
	s_cmp_eq_u32 s1, 0
	v_add_nc_u32_e32 v34, s0, v34
	v_cmp_ne_u32_e64 s0, 0, v3
	v_cmp_lt_u32_e64 s1, 1, v3
	v_cmp_lt_u32_e64 s2, 3, v3
	;; [unrolled: 1-line block ×3, first 2 shown]
	v_add_nc_u32_e32 v3, -1, v1
	v_add_nc_u32_e32 v20, 0, v4
	v_lshrrev_b32_e32 v4, 2, v0
	s_mul_i32 s34, s58, s16
	v_or_b32_e32 v6, 31, v6
	v_cmp_gt_i32_e32 vcc_lo, 0, v3
	s_cselect_b32 s70, -1, 0
	s_lshl_b64 s[14:15], s[34:35], 1
	v_and_b32_e32 v4, 8, v4
	s_add_i32 s71, s67, -1
	v_cndmask_b32_e32 v3, v3, v1, vcc_lo
	s_mul_i32 s34, s17, s12
	s_add_u32 s13, s30, s14
	s_addc_u32 s16, s31, s15
	s_lshl_b64 s[14:15], s[34:35], 1
	v_cmp_eq_u32_e64 s5, v6, v0
	v_cmp_gt_u32_e64 s6, 2, v0
	v_cmp_gt_u32_e64 s8, 32, v0
	v_cmp_lt_u32_e64 s9, 31, v0
	v_cmp_eq_u32_e64 s10, 0, v0
	s_mul_i32 s34, s58, s42
	v_lshlrev_b32_e32 v0, 1, v1
	s_add_u32 s13, s13, s14
	v_add_nc_u32_e32 v35, 0, v4
	v_and_b32_e32 v4, 1, v1
	s_addc_u32 s16, s16, s15
	s_lshl_b64 s[14:15], s[34:35], 1
	v_add_nc_u32_e32 v21, 0, v5
	v_and_b32_e32 v5, 16, v1
	s_mul_i32 s34, s43, s12
	s_add_u32 s17, s54, s14
	v_lshlrev_b32_e32 v37, 2, v3
	s_addc_u32 s20, s55, s15
	s_lshl_b64 s[14:15], s[34:35], 1
	v_add_co_u32 v3, s13, s13, v0
	s_mul_i32 s34, s58, s18
	v_cmp_eq_u32_e64 s7, 0, v4
	v_add_co_ci_u32_e64 v4, null, s16, 0, s13
	s_add_u32 s16, s17, s14
	v_cmp_ne_u32_e64 s4, 0, v5
	s_addc_u32 s17, s20, s15
	s_lshl_b64 s[14:15], s[34:35], 1
	v_lshlrev_b32_e32 v5, 1, v2
	s_mul_i32 s34, s19, s12
	s_add_u32 s14, s56, s14
	s_addc_u32 s15, s57, s15
	s_lshl_b64 s[12:13], s[34:35], 1
	v_add_co_u32 v38, vcc_lo, v3, v5
	s_add_u32 s12, s14, s12
	v_add_co_u32 v3, s14, s16, v0
	v_add_co_ci_u32_e32 v39, vcc_lo, 0, v4, vcc_lo
	v_add_co_ci_u32_e64 v4, null, s17, 0, s14
	s_addc_u32 s13, s15, s13
	v_add_co_u32 v0, s12, s12, v0
	v_lshl_add_u32 v9, v9, 3, v27
	v_add_co_ci_u32_e64 v6, null, s13, 0, s12
	v_add_co_u32 v40, vcc_lo, v3, v5
	v_add_co_ci_u32_e32 v41, vcc_lo, 0, v4, vcc_lo
	v_add_co_u32 v42, vcc_lo, v0, v5
	v_or_b32_e32 v14, 32, v11
	v_add_nc_u32_e32 v23, 0, v8
	v_add_nc_u32_e32 v24, 0, v7
	v_lshl_add_u32 v27, v9, 1, 0
	v_add_nc_u32_e32 v36, 0, v10
	v_cmp_eq_u32_e64 s11, 0, v1
	v_add_co_ci_u32_e32 v43, vcc_lo, 0, v6, vcc_lo
	v_or_b32_e32 v44, 1, v10
	v_or_b32_e32 v45, 2, v10
	;; [unrolled: 1-line block ×7, first 2 shown]
	v_lshlrev_b32_e32 v51, 1, v1
	v_lshlrev_b32_e32 v52, 1, v2
	s_mov_b32 s54, 0x3e9b6dac
	s_add_i32 s55, 0, 0x850
	s_mov_b32 s56, 0
	s_branch .LBB40_12
.LBB40_11:                              ;   in Loop: Header=BB40_12 Depth=1
	s_or_b32 exec_lo, exec_lo, s12
	s_add_u32 s62, s62, 0x400
	s_addc_u32 s44, s44, 0
	s_add_u32 s47, s47, 0x400
	s_addc_u32 s51, s51, 0
	;; [unrolled: 2-line block ×4, first 2 shown]
	s_add_i32 s56, s56, 1
	s_delay_alu instid0(SALU_CYCLE_1)
	s_cmp_lg_u32 s56, s67
	s_cbranch_scc0 .LBB40_172
.LBB40_12:                              ; =>This Loop Header: Depth=1
                                        ;     Child Loop BB40_61 Depth 2
	v_add_co_u32 v0, s12, s47, v51
	s_delay_alu instid0(VALU_DEP_1) | instskip(SKIP_1) | instid1(VALU_DEP_2)
	v_add_co_ci_u32_e64 v1, null, s51, 0, s12
	s_lshl_b32 s30, s56, 9
	v_add_co_u32 v0, vcc_lo, v0, v52
	s_sub_i32 s23, s59, s30
	s_delay_alu instid0(VALU_DEP_2)
	v_add_co_ci_u32_e32 v1, vcc_lo, 0, v1, vcc_lo
	v_cmp_gt_u32_e64 s12, s23, v11
	s_waitcnt lgkmcnt(0)
	v_mov_b32_e32 v2, 0
	s_waitcnt_vscnt null, 0x0
	s_barrier
	buffer_gl0_inv
	s_and_saveexec_b32 s13, s12
	s_cbranch_execz .LBB40_14
; %bb.13:                               ;   in Loop: Header=BB40_12 Depth=1
	global_load_u16 v2, v[0:1], off
.LBB40_14:                              ;   in Loop: Header=BB40_12 Depth=1
	s_or_b32 exec_lo, exec_lo, s13
	v_cmp_gt_u32_e64 s13, s23, v14
	v_dual_mov_b32 v3, 0 :: v_dual_mov_b32 v4, 0
	s_delay_alu instid0(VALU_DEP_2)
	s_and_saveexec_b32 s14, s13
	s_cbranch_execz .LBB40_16
; %bb.15:                               ;   in Loop: Header=BB40_12 Depth=1
	global_load_u16 v4, v[0:1], off offset:64
.LBB40_16:                              ;   in Loop: Header=BB40_12 Depth=1
	s_or_b32 exec_lo, exec_lo, s14
	v_cmp_gt_u32_e64 s14, s23, v15
	s_delay_alu instid0(VALU_DEP_1)
	s_and_saveexec_b32 s15, s14
	s_cbranch_execz .LBB40_18
; %bb.17:                               ;   in Loop: Header=BB40_12 Depth=1
	global_load_u16 v3, v[0:1], off offset:128
.LBB40_18:                              ;   in Loop: Header=BB40_12 Depth=1
	s_or_b32 exec_lo, exec_lo, s15
	v_cmp_gt_u32_e64 s15, s23, v12
	v_mov_b32_e32 v5, 0
	v_mov_b32_e32 v7, 0
	s_delay_alu instid0(VALU_DEP_3)
	s_and_saveexec_b32 s16, s15
	s_cbranch_execz .LBB40_20
; %bb.19:                               ;   in Loop: Header=BB40_12 Depth=1
	global_load_u16 v7, v[0:1], off offset:192
.LBB40_20:                              ;   in Loop: Header=BB40_12 Depth=1
	s_or_b32 exec_lo, exec_lo, s16
	v_cmp_gt_u32_e64 s16, s23, v16
	s_delay_alu instid0(VALU_DEP_1)
	s_and_saveexec_b32 s17, s16
	s_cbranch_execz .LBB40_22
; %bb.21:                               ;   in Loop: Header=BB40_12 Depth=1
	global_load_u16 v5, v[0:1], off offset:256
.LBB40_22:                              ;   in Loop: Header=BB40_12 Depth=1
	s_or_b32 exec_lo, exec_lo, s17
	v_cmp_gt_u32_e64 s17, s23, v17
	v_dual_mov_b32 v8, 0 :: v_dual_mov_b32 v9, 0
	s_delay_alu instid0(VALU_DEP_2)
	s_and_saveexec_b32 s18, s17
	s_cbranch_execz .LBB40_24
; %bb.23:                               ;   in Loop: Header=BB40_12 Depth=1
	global_load_u16 v9, v[0:1], off offset:320
.LBB40_24:                              ;   in Loop: Header=BB40_12 Depth=1
	s_or_b32 exec_lo, exec_lo, s18
	v_cmp_gt_u32_e64 s18, s23, v18
	s_delay_alu instid0(VALU_DEP_1)
	s_and_saveexec_b32 s19, s18
	s_cbranch_execz .LBB40_26
; %bb.25:                               ;   in Loop: Header=BB40_12 Depth=1
	global_load_u16 v8, v[0:1], off offset:384
.LBB40_26:                              ;   in Loop: Header=BB40_12 Depth=1
	s_or_b32 exec_lo, exec_lo, s19
	v_cmp_gt_u32_e64 s19, s23, v19
	v_dual_mov_b32 v6, 0 :: v_dual_mov_b32 v53, 0
	s_delay_alu instid0(VALU_DEP_2)
	s_and_saveexec_b32 s20, s19
	s_cbranch_execz .LBB40_28
; %bb.27:                               ;   in Loop: Header=BB40_12 Depth=1
	global_load_u16 v53, v[0:1], off offset:448
.LBB40_28:                              ;   in Loop: Header=BB40_12 Depth=1
	s_or_b32 exec_lo, exec_lo, s20
	s_waitcnt vmcnt(0)
	ds_store_b16 v20, v2
	ds_store_b16 v20, v4 offset:64
	ds_store_b16 v21, v3 offset:128
	;; [unrolled: 1-line block ×7, first 2 shown]
	; wave barrier
	ds_load_b128 v[0:3], v27
	v_add_co_u32 v4, s20, s62, v51
	s_delay_alu instid0(VALU_DEP_1) | instskip(SKIP_1) | instid1(VALU_DEP_2)
	v_add_co_ci_u32_e64 v5, null, s44, 0, s20
	s_waitcnt lgkmcnt(0)
	v_add_co_u32 v4, vcc_lo, v4, v52
	s_delay_alu instid0(VALU_DEP_2)
	v_add_co_ci_u32_e32 v5, vcc_lo, 0, v5, vcc_lo
	s_barrier
	buffer_gl0_inv
	s_and_saveexec_b32 s20, s12
	s_cbranch_execz .LBB40_30
; %bb.29:                               ;   in Loop: Header=BB40_12 Depth=1
	global_load_u16 v6, v[4:5], off
.LBB40_30:                              ;   in Loop: Header=BB40_12 Depth=1
	s_or_b32 exec_lo, exec_lo, s20
	v_dual_mov_b32 v7, 0 :: v_dual_mov_b32 v8, 0
	s_and_saveexec_b32 s20, s13
	s_cbranch_execz .LBB40_32
; %bb.31:                               ;   in Loop: Header=BB40_12 Depth=1
	global_load_u16 v8, v[4:5], off offset:64
.LBB40_32:                              ;   in Loop: Header=BB40_12 Depth=1
	s_or_b32 exec_lo, exec_lo, s20
	s_and_saveexec_b32 s20, s14
	s_cbranch_execz .LBB40_34
; %bb.33:                               ;   in Loop: Header=BB40_12 Depth=1
	global_load_u16 v7, v[4:5], off offset:128
.LBB40_34:                              ;   in Loop: Header=BB40_12 Depth=1
	s_or_b32 exec_lo, exec_lo, s20
	v_mov_b32_e32 v9, 0
	v_mov_b32_e32 v53, 0
	s_and_saveexec_b32 s20, s15
	s_cbranch_execz .LBB40_36
; %bb.35:                               ;   in Loop: Header=BB40_12 Depth=1
	global_load_u16 v53, v[4:5], off offset:192
.LBB40_36:                              ;   in Loop: Header=BB40_12 Depth=1
	s_or_b32 exec_lo, exec_lo, s20
	s_and_saveexec_b32 s20, s16
	s_cbranch_execz .LBB40_38
; %bb.37:                               ;   in Loop: Header=BB40_12 Depth=1
	global_load_u16 v9, v[4:5], off offset:256
.LBB40_38:                              ;   in Loop: Header=BB40_12 Depth=1
	s_or_b32 exec_lo, exec_lo, s20
	v_dual_mov_b32 v54, 0 :: v_dual_mov_b32 v55, 0
	s_and_saveexec_b32 s20, s17
	s_cbranch_execnz .LBB40_155
; %bb.39:                               ;   in Loop: Header=BB40_12 Depth=1
	s_or_b32 exec_lo, exec_lo, s20
	s_and_saveexec_b32 s20, s18
	s_cbranch_execnz .LBB40_156
.LBB40_40:                              ;   in Loop: Header=BB40_12 Depth=1
	s_or_b32 exec_lo, exec_lo, s20
	v_mov_b32_e32 v56, 0
	s_and_saveexec_b32 s20, s19
	s_cbranch_execz .LBB40_42
.LBB40_41:                              ;   in Loop: Header=BB40_12 Depth=1
	global_load_u16 v56, v[4:5], off offset:448
.LBB40_42:                              ;   in Loop: Header=BB40_12 Depth=1
	s_or_b32 exec_lo, exec_lo, s20
	s_waitcnt vmcnt(0)
	ds_store_b16 v20, v6
	ds_store_b16 v20, v8 offset:64
	ds_store_b16 v21, v7 offset:128
	;; [unrolled: 1-line block ×7, first 2 shown]
	; wave barrier
	ds_load_b128 v[4:7], v27
	s_waitcnt lgkmcnt(0)
	v_lshlrev_b32_e32 v8, 16, v4
	s_delay_alu instid0(VALU_DEP_1) | instskip(NEXT) | instid1(VALU_DEP_1)
	v_add_f32_e32 v53, s60, v8
	v_cmp_ge_f32_e32 vcc_lo, 0x41a00000, v53
	s_and_b32 s20, s68, vcc_lo
	s_delay_alu instid0(SALU_CYCLE_1)
	s_and_saveexec_b32 s21, s20
	s_cbranch_execz .LBB40_44
; %bb.43:                               ;   in Loop: Header=BB40_12 Depth=1
	v_mul_f32_e32 v8, 0x3fb8aa3b, v53
	v_cmp_ngt_f32_e32 vcc_lo, 0xc2ce8ed0, v53
	s_delay_alu instid0(VALU_DEP_2) | instskip(SKIP_1) | instid1(VALU_DEP_2)
	v_rndne_f32_e32 v9, v8
	v_fma_f32 v54, 0x3fb8aa3b, v53, -v8
	v_sub_f32_e32 v8, v8, v9
	s_delay_alu instid0(VALU_DEP_2) | instskip(SKIP_1) | instid1(VALU_DEP_2)
	v_fmac_f32_e32 v54, 0x32a5705f, v53
	v_cvt_i32_f32_e32 v9, v9
	v_add_f32_e32 v8, v8, v54
	s_delay_alu instid0(VALU_DEP_1) | instskip(SKIP_2) | instid1(VALU_DEP_1)
	v_exp_f32_e32 v8, v8
	s_waitcnt_depctr 0xfff
	v_ldexp_f32 v8, v8, v9
	v_cndmask_b32_e32 v8, 0, v8, vcc_lo
	v_cmp_nlt_f32_e32 vcc_lo, 0x42b17218, v53
	s_delay_alu instid0(VALU_DEP_2) | instskip(NEXT) | instid1(VALU_DEP_1)
	v_cndmask_b32_e32 v53, 0x7f800000, v8, vcc_lo
	v_add_f32_e32 v54, 1.0, v53
	s_delay_alu instid0(VALU_DEP_1) | instskip(NEXT) | instid1(VALU_DEP_1)
	v_cvt_f64_f32_e32 v[8:9], v54
	v_frexp_exp_i32_f64_e32 v8, v[8:9]
	v_frexp_mant_f32_e32 v9, v54
	s_delay_alu instid0(VALU_DEP_1) | instskip(SKIP_1) | instid1(VALU_DEP_1)
	v_cmp_gt_f32_e32 vcc_lo, 0x3f2aaaab, v9
	v_add_f32_e32 v9, -1.0, v54
	v_sub_f32_e32 v56, v9, v54
	v_sub_f32_e32 v9, v53, v9
	v_cmp_gt_f32_e64 s20, 0x33800000, v53
	s_delay_alu instid0(VALU_DEP_3) | instskip(NEXT) | instid1(VALU_DEP_1)
	v_add_f32_e32 v56, 1.0, v56
	v_add_f32_e32 v9, v9, v56
	v_subrev_co_ci_u32_e32 v8, vcc_lo, 0, v8, vcc_lo
	v_cmp_eq_f32_e32 vcc_lo, 0x7f800000, v53
	s_delay_alu instid0(VALU_DEP_2) | instskip(SKIP_2) | instid1(VALU_DEP_2)
	v_sub_nc_u32_e32 v55, 0, v8
	v_cvt_f32_i32_e32 v8, v8
	s_or_b32 vcc_lo, s20, vcc_lo
	v_ldexp_f32 v54, v54, v55
	v_ldexp_f32 v9, v9, v55
	s_delay_alu instid0(VALU_DEP_2) | instskip(NEXT) | instid1(VALU_DEP_1)
	v_add_f32_e32 v57, 1.0, v54
	v_dual_add_f32 v55, -1.0, v54 :: v_dual_add_f32 v56, -1.0, v57
	s_delay_alu instid0(VALU_DEP_1) | instskip(NEXT) | instid1(VALU_DEP_2)
	v_add_f32_e32 v58, 1.0, v55
	v_sub_f32_e32 v56, v54, v56
	s_delay_alu instid0(VALU_DEP_2) | instskip(NEXT) | instid1(VALU_DEP_2)
	v_sub_f32_e32 v54, v54, v58
	v_add_f32_e32 v56, v9, v56
	s_delay_alu instid0(VALU_DEP_2) | instskip(NEXT) | instid1(VALU_DEP_1)
	v_add_f32_e32 v9, v9, v54
	v_dual_add_f32 v59, v55, v9 :: v_dual_add_f32 v58, v57, v56
	s_delay_alu instid0(VALU_DEP_1) | instskip(NEXT) | instid1(VALU_DEP_2)
	v_sub_f32_e32 v55, v55, v59
	v_rcp_f32_e32 v54, v58
	v_sub_f32_e32 v57, v57, v58
	s_delay_alu instid0(VALU_DEP_1) | instskip(SKIP_2) | instid1(VALU_DEP_1)
	v_dual_add_f32 v9, v9, v55 :: v_dual_add_f32 v56, v56, v57
	s_waitcnt_depctr 0xfff
	v_mul_f32_e32 v60, v59, v54
	v_mul_f32_e32 v61, v58, v60
	s_delay_alu instid0(VALU_DEP_1) | instskip(NEXT) | instid1(VALU_DEP_1)
	v_fma_f32 v57, v60, v58, -v61
	v_fmac_f32_e32 v57, v60, v56
	s_delay_alu instid0(VALU_DEP_1) | instskip(NEXT) | instid1(VALU_DEP_1)
	v_add_f32_e32 v62, v61, v57
	v_sub_f32_e32 v63, v59, v62
	s_delay_alu instid0(VALU_DEP_1) | instskip(NEXT) | instid1(VALU_DEP_1)
	v_sub_f32_e32 v59, v59, v63
	v_sub_f32_e32 v59, v59, v62
	;; [unrolled: 1-line block ×3, first 2 shown]
	s_delay_alu instid0(VALU_DEP_2) | instskip(NEXT) | instid1(VALU_DEP_2)
	v_add_f32_e32 v9, v9, v59
	v_sub_f32_e32 v55, v55, v57
	s_delay_alu instid0(VALU_DEP_1) | instskip(NEXT) | instid1(VALU_DEP_1)
	v_add_f32_e32 v9, v55, v9
	v_add_f32_e32 v55, v63, v9
	s_delay_alu instid0(VALU_DEP_1) | instskip(NEXT) | instid1(VALU_DEP_1)
	v_mul_f32_e32 v57, v54, v55
	v_dual_sub_f32 v62, v63, v55 :: v_dual_mul_f32 v59, v58, v57
	s_delay_alu instid0(VALU_DEP_1) | instskip(NEXT) | instid1(VALU_DEP_2)
	v_add_f32_e32 v9, v9, v62
	v_fma_f32 v58, v57, v58, -v59
	s_delay_alu instid0(VALU_DEP_1) | instskip(NEXT) | instid1(VALU_DEP_1)
	v_fmac_f32_e32 v58, v57, v56
	v_add_f32_e32 v56, v59, v58
	s_delay_alu instid0(VALU_DEP_1) | instskip(NEXT) | instid1(VALU_DEP_1)
	v_sub_f32_e32 v61, v55, v56
	v_sub_f32_e32 v55, v55, v61
	s_delay_alu instid0(VALU_DEP_1) | instskip(NEXT) | instid1(VALU_DEP_1)
	v_sub_f32_e32 v55, v55, v56
	v_add_f32_e32 v9, v9, v55
	v_add_f32_e32 v55, v60, v57
	v_sub_f32_e32 v59, v56, v59
	s_delay_alu instid0(VALU_DEP_1) | instskip(NEXT) | instid1(VALU_DEP_1)
	v_sub_f32_e32 v56, v59, v58
	v_dual_add_f32 v9, v56, v9 :: v_dual_sub_f32 v56, v55, v60
	s_delay_alu instid0(VALU_DEP_1) | instskip(NEXT) | instid1(VALU_DEP_1)
	v_add_f32_e32 v9, v61, v9
	v_dual_sub_f32 v56, v57, v56 :: v_dual_mul_f32 v9, v54, v9
	s_delay_alu instid0(VALU_DEP_1) | instskip(NEXT) | instid1(VALU_DEP_1)
	v_add_f32_e32 v9, v56, v9
	v_add_f32_e32 v54, v55, v9
	s_delay_alu instid0(VALU_DEP_1) | instskip(NEXT) | instid1(VALU_DEP_1)
	v_mul_f32_e32 v56, v54, v54
	v_fmaak_f32 v57, s54, v56, 0x3ecc95a3
	v_mul_f32_e32 v58, v54, v56
	s_delay_alu instid0(VALU_DEP_2) | instskip(SKIP_2) | instid1(VALU_DEP_3)
	v_fmaak_f32 v56, v56, v57, 0x3f2aaada
	v_ldexp_f32 v57, v54, 1
	v_sub_f32_e32 v54, v54, v55
	v_mul_f32_e32 v56, v58, v56
	v_mul_f32_e32 v58, 0x3f317218, v8
	s_delay_alu instid0(VALU_DEP_2) | instskip(NEXT) | instid1(VALU_DEP_1)
	v_add_f32_e32 v55, v57, v56
	v_dual_sub_f32 v9, v9, v54 :: v_dual_sub_f32 v54, v55, v57
	s_delay_alu instid0(VALU_DEP_3) | instskip(NEXT) | instid1(VALU_DEP_2)
	v_fma_f32 v57, 0x3f317218, v8, -v58
	v_ldexp_f32 v9, v9, 1
	s_delay_alu instid0(VALU_DEP_2) | instskip(NEXT) | instid1(VALU_DEP_1)
	v_dual_sub_f32 v54, v56, v54 :: v_dual_fmac_f32 v57, 0xb102e308, v8
	v_dual_add_f32 v8, v9, v54 :: v_dual_add_f32 v9, v58, v57
	s_delay_alu instid0(VALU_DEP_1) | instskip(NEXT) | instid1(VALU_DEP_1)
	v_add_f32_e32 v54, v55, v8
	v_add_f32_e32 v56, v9, v54
	s_delay_alu instid0(VALU_DEP_1) | instskip(NEXT) | instid1(VALU_DEP_1)
	v_sub_f32_e32 v59, v56, v9
	v_sub_f32_e32 v60, v56, v59
	;; [unrolled: 1-line block ×4, first 2 shown]
	s_delay_alu instid0(VALU_DEP_2) | instskip(SKIP_1) | instid1(VALU_DEP_1)
	v_sub_f32_e32 v8, v8, v55
	v_sub_f32_e32 v58, v9, v58
	;; [unrolled: 1-line block ×3, first 2 shown]
	s_delay_alu instid0(VALU_DEP_1) | instskip(SKIP_1) | instid1(VALU_DEP_1)
	v_add_f32_e32 v55, v57, v8
	v_sub_f32_e32 v9, v9, v60
	v_add_f32_e32 v9, v54, v9
	s_delay_alu instid0(VALU_DEP_3) | instskip(NEXT) | instid1(VALU_DEP_1)
	v_sub_f32_e32 v54, v55, v57
	v_dual_sub_f32 v8, v8, v54 :: v_dual_add_f32 v9, v55, v9
	s_delay_alu instid0(VALU_DEP_1) | instskip(NEXT) | instid1(VALU_DEP_1)
	v_dual_sub_f32 v55, v55, v54 :: v_dual_add_f32 v58, v56, v9
	v_dual_sub_f32 v55, v57, v55 :: v_dual_sub_f32 v54, v58, v56
	s_delay_alu instid0(VALU_DEP_1) | instskip(NEXT) | instid1(VALU_DEP_1)
	v_dual_add_f32 v8, v8, v55 :: v_dual_sub_f32 v9, v9, v54
	v_add_f32_e32 v8, v8, v9
	s_delay_alu instid0(VALU_DEP_1) | instskip(NEXT) | instid1(VALU_DEP_1)
	v_add_f32_e32 v8, v58, v8
	v_cndmask_b32_e32 v53, v8, v53, vcc_lo
.LBB40_44:                              ;   in Loop: Header=BB40_12 Depth=1
	s_or_b32 exec_lo, exec_lo, s21
	v_and_b32_e32 v4, 0xffff0000, v4
	s_delay_alu instid0(VALU_DEP_1) | instskip(NEXT) | instid1(VALU_DEP_1)
	v_add_f32_e32 v54, s60, v4
	v_cmp_ge_f32_e32 vcc_lo, 0x41a00000, v54
	s_and_b32 s20, s68, vcc_lo
	s_delay_alu instid0(SALU_CYCLE_1)
	s_and_saveexec_b32 s21, s20
	s_cbranch_execz .LBB40_46
; %bb.45:                               ;   in Loop: Header=BB40_12 Depth=1
	v_mul_f32_e32 v4, 0x3fb8aa3b, v54
	v_cmp_ngt_f32_e32 vcc_lo, 0xc2ce8ed0, v54
	s_delay_alu instid0(VALU_DEP_2) | instskip(SKIP_1) | instid1(VALU_DEP_1)
	v_rndne_f32_e32 v8, v4
	v_fma_f32 v9, 0x3fb8aa3b, v54, -v4
	v_dual_sub_f32 v4, v4, v8 :: v_dual_fmac_f32 v9, 0x32a5705f, v54
	v_cvt_i32_f32_e32 v8, v8
	s_delay_alu instid0(VALU_DEP_2) | instskip(NEXT) | instid1(VALU_DEP_1)
	v_add_f32_e32 v4, v4, v9
	v_exp_f32_e32 v4, v4
	s_waitcnt_depctr 0xfff
	v_ldexp_f32 v4, v4, v8
	s_delay_alu instid0(VALU_DEP_1) | instskip(SKIP_1) | instid1(VALU_DEP_2)
	v_cndmask_b32_e32 v4, 0, v4, vcc_lo
	v_cmp_nlt_f32_e32 vcc_lo, 0x42b17218, v54
	v_cndmask_b32_e32 v4, 0x7f800000, v4, vcc_lo
	s_delay_alu instid0(VALU_DEP_1) | instskip(NEXT) | instid1(VALU_DEP_1)
	v_add_f32_e32 v54, 1.0, v4
	v_cvt_f64_f32_e32 v[8:9], v54
	s_delay_alu instid0(VALU_DEP_1) | instskip(SKIP_1) | instid1(VALU_DEP_1)
	v_frexp_exp_i32_f64_e32 v8, v[8:9]
	v_frexp_mant_f32_e32 v9, v54
	v_cmp_gt_f32_e32 vcc_lo, 0x3f2aaaab, v9
	v_add_f32_e32 v9, -1.0, v54
	s_delay_alu instid0(VALU_DEP_1) | instskip(NEXT) | instid1(VALU_DEP_1)
	v_dual_sub_f32 v56, v9, v54 :: v_dual_sub_f32 v9, v4, v9
	v_add_f32_e32 v56, 1.0, v56
	s_delay_alu instid0(VALU_DEP_1) | instskip(SKIP_1) | instid1(VALU_DEP_1)
	v_add_f32_e32 v9, v9, v56
	v_subrev_co_ci_u32_e32 v8, vcc_lo, 0, v8, vcc_lo
	v_sub_nc_u32_e32 v55, 0, v8
	v_cvt_f32_i32_e32 v8, v8
	s_delay_alu instid0(VALU_DEP_2) | instskip(SKIP_1) | instid1(VALU_DEP_2)
	v_ldexp_f32 v54, v54, v55
	v_ldexp_f32 v9, v9, v55
	v_add_f32_e32 v57, 1.0, v54
	v_add_f32_e32 v55, -1.0, v54
	v_cmp_eq_f32_e32 vcc_lo, 0x7f800000, v4
	v_cmp_gt_f32_e64 s20, 0x33800000, v4
	s_delay_alu instid0(VALU_DEP_4) | instskip(NEXT) | instid1(VALU_DEP_4)
	v_add_f32_e32 v56, -1.0, v57
	v_add_f32_e32 v58, 1.0, v55
	s_delay_alu instid0(VALU_DEP_3) | instskip(NEXT) | instid1(VALU_DEP_2)
	s_or_b32 vcc_lo, s20, vcc_lo
	v_sub_f32_e32 v56, v54, v56
	s_delay_alu instid0(VALU_DEP_2) | instskip(NEXT) | instid1(VALU_DEP_2)
	v_sub_f32_e32 v54, v54, v58
	v_add_f32_e32 v56, v9, v56
	s_delay_alu instid0(VALU_DEP_2) | instskip(NEXT) | instid1(VALU_DEP_1)
	v_add_f32_e32 v9, v9, v54
	v_add_f32_e32 v59, v55, v9
	s_delay_alu instid0(VALU_DEP_1) | instskip(NEXT) | instid1(VALU_DEP_1)
	v_dual_sub_f32 v55, v55, v59 :: v_dual_add_f32 v58, v57, v56
	v_add_f32_e32 v9, v9, v55
	s_delay_alu instid0(VALU_DEP_2) | instskip(SKIP_1) | instid1(VALU_DEP_1)
	v_rcp_f32_e32 v54, v58
	v_sub_f32_e32 v57, v57, v58
	v_add_f32_e32 v56, v56, v57
	s_waitcnt_depctr 0xfff
	v_mul_f32_e32 v60, v59, v54
	s_delay_alu instid0(VALU_DEP_1) | instskip(NEXT) | instid1(VALU_DEP_1)
	v_mul_f32_e32 v61, v58, v60
	v_fma_f32 v57, v60, v58, -v61
	s_delay_alu instid0(VALU_DEP_1) | instskip(NEXT) | instid1(VALU_DEP_1)
	v_fmac_f32_e32 v57, v60, v56
	v_add_f32_e32 v62, v61, v57
	s_delay_alu instid0(VALU_DEP_1) | instskip(SKIP_1) | instid1(VALU_DEP_2)
	v_sub_f32_e32 v63, v59, v62
	v_sub_f32_e32 v55, v62, v61
	v_sub_f32_e32 v59, v59, v63
	s_delay_alu instid0(VALU_DEP_2) | instskip(NEXT) | instid1(VALU_DEP_2)
	v_sub_f32_e32 v55, v55, v57
	v_sub_f32_e32 v59, v59, v62
	s_delay_alu instid0(VALU_DEP_1) | instskip(NEXT) | instid1(VALU_DEP_1)
	v_add_f32_e32 v9, v9, v59
	v_add_f32_e32 v9, v55, v9
	s_delay_alu instid0(VALU_DEP_1) | instskip(NEXT) | instid1(VALU_DEP_1)
	v_add_f32_e32 v55, v63, v9
	v_mul_f32_e32 v57, v54, v55
	s_delay_alu instid0(VALU_DEP_1) | instskip(NEXT) | instid1(VALU_DEP_1)
	v_dual_sub_f32 v62, v63, v55 :: v_dual_mul_f32 v59, v58, v57
	v_add_f32_e32 v9, v9, v62
	s_delay_alu instid0(VALU_DEP_2) | instskip(NEXT) | instid1(VALU_DEP_1)
	v_fma_f32 v58, v57, v58, -v59
	v_fmac_f32_e32 v58, v57, v56
	s_delay_alu instid0(VALU_DEP_1) | instskip(NEXT) | instid1(VALU_DEP_1)
	v_add_f32_e32 v56, v59, v58
	v_sub_f32_e32 v61, v55, v56
	s_delay_alu instid0(VALU_DEP_1) | instskip(NEXT) | instid1(VALU_DEP_1)
	v_sub_f32_e32 v55, v55, v61
	v_sub_f32_e32 v55, v55, v56
	s_delay_alu instid0(VALU_DEP_1) | instskip(SKIP_2) | instid1(VALU_DEP_1)
	v_add_f32_e32 v9, v9, v55
	v_add_f32_e32 v55, v60, v57
	v_sub_f32_e32 v59, v56, v59
	v_sub_f32_e32 v56, v59, v58
	s_delay_alu instid0(VALU_DEP_1) | instskip(NEXT) | instid1(VALU_DEP_1)
	v_dual_add_f32 v9, v56, v9 :: v_dual_sub_f32 v56, v55, v60
	v_add_f32_e32 v9, v61, v9
	s_delay_alu instid0(VALU_DEP_1) | instskip(NEXT) | instid1(VALU_DEP_1)
	v_dual_sub_f32 v56, v57, v56 :: v_dual_mul_f32 v9, v54, v9
	v_add_f32_e32 v9, v56, v9
	s_delay_alu instid0(VALU_DEP_1) | instskip(NEXT) | instid1(VALU_DEP_1)
	v_add_f32_e32 v54, v55, v9
	v_mul_f32_e32 v56, v54, v54
	s_delay_alu instid0(VALU_DEP_1) | instskip(SKIP_1) | instid1(VALU_DEP_2)
	v_fmaak_f32 v57, s54, v56, 0x3ecc95a3
	v_mul_f32_e32 v58, v54, v56
	v_fmaak_f32 v56, v56, v57, 0x3f2aaada
	v_ldexp_f32 v57, v54, 1
	v_sub_f32_e32 v54, v54, v55
	s_delay_alu instid0(VALU_DEP_3) | instskip(SKIP_1) | instid1(VALU_DEP_2)
	v_mul_f32_e32 v56, v58, v56
	v_mul_f32_e32 v58, 0x3f317218, v8
	v_add_f32_e32 v55, v57, v56
	s_delay_alu instid0(VALU_DEP_1) | instskip(NEXT) | instid1(VALU_DEP_3)
	v_dual_sub_f32 v9, v9, v54 :: v_dual_sub_f32 v54, v55, v57
	v_fma_f32 v57, 0x3f317218, v8, -v58
	s_delay_alu instid0(VALU_DEP_2) | instskip(NEXT) | instid1(VALU_DEP_2)
	v_ldexp_f32 v9, v9, 1
	v_dual_sub_f32 v54, v56, v54 :: v_dual_fmac_f32 v57, 0xb102e308, v8
	s_delay_alu instid0(VALU_DEP_1) | instskip(NEXT) | instid1(VALU_DEP_1)
	v_dual_add_f32 v8, v9, v54 :: v_dual_add_f32 v9, v58, v57
	v_add_f32_e32 v54, v55, v8
	s_delay_alu instid0(VALU_DEP_1) | instskip(NEXT) | instid1(VALU_DEP_1)
	v_add_f32_e32 v56, v9, v54
	v_sub_f32_e32 v59, v56, v9
	s_delay_alu instid0(VALU_DEP_1) | instskip(SKIP_2) | instid1(VALU_DEP_2)
	v_sub_f32_e32 v60, v56, v59
	v_sub_f32_e32 v55, v54, v55
	;; [unrolled: 1-line block ×5, first 2 shown]
	s_delay_alu instid0(VALU_DEP_1) | instskip(NEXT) | instid1(VALU_DEP_1)
	v_sub_f32_e32 v57, v57, v58
	v_add_f32_e32 v55, v57, v8
	v_sub_f32_e32 v9, v9, v60
	s_delay_alu instid0(VALU_DEP_1) | instskip(NEXT) | instid1(VALU_DEP_3)
	v_add_f32_e32 v9, v54, v9
	v_sub_f32_e32 v54, v55, v57
	s_delay_alu instid0(VALU_DEP_1) | instskip(NEXT) | instid1(VALU_DEP_1)
	v_dual_sub_f32 v8, v8, v54 :: v_dual_add_f32 v9, v55, v9
	v_dual_sub_f32 v55, v55, v54 :: v_dual_add_f32 v58, v56, v9
	s_delay_alu instid0(VALU_DEP_1) | instskip(NEXT) | instid1(VALU_DEP_1)
	v_dual_sub_f32 v55, v57, v55 :: v_dual_sub_f32 v54, v58, v56
	v_dual_add_f32 v8, v8, v55 :: v_dual_sub_f32 v9, v9, v54
	s_delay_alu instid0(VALU_DEP_1) | instskip(NEXT) | instid1(VALU_DEP_1)
	v_add_f32_e32 v8, v8, v9
	v_add_f32_e32 v8, v58, v8
	s_delay_alu instid0(VALU_DEP_1)
	v_cndmask_b32_e32 v54, v8, v4, vcc_lo
.LBB40_46:                              ;   in Loop: Header=BB40_12 Depth=1
	s_or_b32 exec_lo, exec_lo, s21
	v_lshlrev_b32_e32 v4, 16, v5
	s_delay_alu instid0(VALU_DEP_1) | instskip(NEXT) | instid1(VALU_DEP_1)
	v_add_f32_e32 v55, s60, v4
	v_cmp_ge_f32_e32 vcc_lo, 0x41a00000, v55
	s_and_b32 s20, s68, vcc_lo
	s_delay_alu instid0(SALU_CYCLE_1)
	s_and_saveexec_b32 s21, s20
	s_cbranch_execz .LBB40_48
; %bb.47:                               ;   in Loop: Header=BB40_12 Depth=1
	v_mul_f32_e32 v4, 0x3fb8aa3b, v55
	v_cmp_ngt_f32_e32 vcc_lo, 0xc2ce8ed0, v55
	s_delay_alu instid0(VALU_DEP_2) | instskip(SKIP_1) | instid1(VALU_DEP_1)
	v_rndne_f32_e32 v8, v4
	v_fma_f32 v9, 0x3fb8aa3b, v55, -v4
	v_dual_sub_f32 v4, v4, v8 :: v_dual_fmac_f32 v9, 0x32a5705f, v55
	v_cvt_i32_f32_e32 v8, v8
	s_delay_alu instid0(VALU_DEP_2) | instskip(NEXT) | instid1(VALU_DEP_1)
	v_add_f32_e32 v4, v4, v9
	v_exp_f32_e32 v4, v4
	s_waitcnt_depctr 0xfff
	v_ldexp_f32 v4, v4, v8
	s_delay_alu instid0(VALU_DEP_1) | instskip(SKIP_1) | instid1(VALU_DEP_2)
	v_cndmask_b32_e32 v4, 0, v4, vcc_lo
	v_cmp_nlt_f32_e32 vcc_lo, 0x42b17218, v55
	v_cndmask_b32_e32 v4, 0x7f800000, v4, vcc_lo
	s_delay_alu instid0(VALU_DEP_1) | instskip(NEXT) | instid1(VALU_DEP_1)
	v_add_f32_e32 v55, 1.0, v4
	v_cvt_f64_f32_e32 v[8:9], v55
	s_delay_alu instid0(VALU_DEP_1) | instskip(SKIP_1) | instid1(VALU_DEP_1)
	v_frexp_exp_i32_f64_e32 v8, v[8:9]
	v_frexp_mant_f32_e32 v9, v55
	v_cmp_gt_f32_e32 vcc_lo, 0x3f2aaaab, v9
	v_add_f32_e32 v9, -1.0, v55
	s_delay_alu instid0(VALU_DEP_1) | instskip(NEXT) | instid1(VALU_DEP_1)
	v_sub_f32_e32 v57, v9, v55
	v_add_f32_e32 v57, 1.0, v57
	v_subrev_co_ci_u32_e32 v8, vcc_lo, 0, v8, vcc_lo
	s_delay_alu instid0(VALU_DEP_1) | instskip(SKIP_1) | instid1(VALU_DEP_2)
	v_sub_nc_u32_e32 v56, 0, v8
	v_cvt_f32_i32_e32 v8, v8
	v_ldexp_f32 v55, v55, v56
	s_delay_alu instid0(VALU_DEP_1) | instskip(NEXT) | instid1(VALU_DEP_1)
	v_dual_sub_f32 v9, v4, v9 :: v_dual_add_f32 v58, 1.0, v55
	v_add_f32_e32 v9, v9, v57
	v_cmp_eq_f32_e32 vcc_lo, 0x7f800000, v4
	v_cmp_gt_f32_e64 s20, 0x33800000, v4
	s_delay_alu instid0(VALU_DEP_4) | instskip(NEXT) | instid1(VALU_DEP_4)
	v_add_f32_e32 v57, -1.0, v58
	v_ldexp_f32 v9, v9, v56
	v_add_f32_e32 v56, -1.0, v55
	s_delay_alu instid0(VALU_DEP_4) | instskip(NEXT) | instid1(VALU_DEP_3)
	s_or_b32 vcc_lo, s20, vcc_lo
	v_sub_f32_e32 v57, v55, v57
	s_delay_alu instid0(VALU_DEP_2) | instskip(NEXT) | instid1(VALU_DEP_2)
	v_add_f32_e32 v59, 1.0, v56
	v_add_f32_e32 v57, v9, v57
	s_delay_alu instid0(VALU_DEP_2) | instskip(NEXT) | instid1(VALU_DEP_1)
	v_sub_f32_e32 v55, v55, v59
	v_add_f32_e32 v9, v9, v55
	s_delay_alu instid0(VALU_DEP_1) | instskip(NEXT) | instid1(VALU_DEP_1)
	v_add_f32_e32 v60, v56, v9
	v_dual_add_f32 v59, v58, v57 :: v_dual_sub_f32 v56, v56, v60
	s_delay_alu instid0(VALU_DEP_1) | instskip(SKIP_1) | instid1(VALU_DEP_1)
	v_rcp_f32_e32 v55, v59
	v_sub_f32_e32 v58, v58, v59
	v_add_f32_e32 v57, v57, v58
	s_waitcnt_depctr 0xfff
	v_mul_f32_e32 v61, v60, v55
	s_delay_alu instid0(VALU_DEP_1) | instskip(NEXT) | instid1(VALU_DEP_1)
	v_mul_f32_e32 v62, v59, v61
	v_fma_f32 v58, v61, v59, -v62
	s_delay_alu instid0(VALU_DEP_1) | instskip(SKIP_1) | instid1(VALU_DEP_2)
	v_fmac_f32_e32 v58, v61, v57
	v_add_f32_e32 v9, v9, v56
	v_add_f32_e32 v63, v62, v58
	s_delay_alu instid0(VALU_DEP_1) | instskip(SKIP_1) | instid1(VALU_DEP_2)
	v_sub_f32_e32 v64, v60, v63
	v_sub_f32_e32 v56, v63, v62
	;; [unrolled: 1-line block ×3, first 2 shown]
	s_delay_alu instid0(VALU_DEP_2) | instskip(NEXT) | instid1(VALU_DEP_2)
	v_sub_f32_e32 v56, v56, v58
	v_sub_f32_e32 v60, v60, v63
	s_delay_alu instid0(VALU_DEP_1) | instskip(NEXT) | instid1(VALU_DEP_1)
	v_add_f32_e32 v9, v9, v60
	v_add_f32_e32 v9, v56, v9
	s_delay_alu instid0(VALU_DEP_1) | instskip(NEXT) | instid1(VALU_DEP_1)
	v_add_f32_e32 v56, v64, v9
	v_mul_f32_e32 v58, v55, v56
	s_delay_alu instid0(VALU_DEP_1) | instskip(NEXT) | instid1(VALU_DEP_1)
	v_dual_sub_f32 v63, v64, v56 :: v_dual_mul_f32 v60, v59, v58
	v_add_f32_e32 v9, v9, v63
	s_delay_alu instid0(VALU_DEP_2) | instskip(NEXT) | instid1(VALU_DEP_1)
	v_fma_f32 v59, v58, v59, -v60
	v_fmac_f32_e32 v59, v58, v57
	s_delay_alu instid0(VALU_DEP_1) | instskip(NEXT) | instid1(VALU_DEP_1)
	v_add_f32_e32 v57, v60, v59
	v_sub_f32_e32 v62, v56, v57
	s_delay_alu instid0(VALU_DEP_1) | instskip(NEXT) | instid1(VALU_DEP_1)
	v_sub_f32_e32 v56, v56, v62
	v_sub_f32_e32 v56, v56, v57
	s_delay_alu instid0(VALU_DEP_1) | instskip(SKIP_2) | instid1(VALU_DEP_1)
	v_add_f32_e32 v9, v9, v56
	v_add_f32_e32 v56, v61, v58
	v_sub_f32_e32 v60, v57, v60
	v_sub_f32_e32 v57, v60, v59
	s_delay_alu instid0(VALU_DEP_1) | instskip(NEXT) | instid1(VALU_DEP_4)
	v_add_f32_e32 v9, v57, v9
	v_sub_f32_e32 v57, v56, v61
	s_delay_alu instid0(VALU_DEP_2) | instskip(NEXT) | instid1(VALU_DEP_2)
	v_add_f32_e32 v9, v62, v9
	v_sub_f32_e32 v57, v58, v57
	s_delay_alu instid0(VALU_DEP_2) | instskip(NEXT) | instid1(VALU_DEP_1)
	v_mul_f32_e32 v9, v55, v9
	v_add_f32_e32 v9, v57, v9
	s_delay_alu instid0(VALU_DEP_1) | instskip(NEXT) | instid1(VALU_DEP_1)
	v_add_f32_e32 v55, v56, v9
	v_mul_f32_e32 v57, v55, v55
	s_delay_alu instid0(VALU_DEP_1) | instskip(SKIP_1) | instid1(VALU_DEP_2)
	v_fmaak_f32 v58, s54, v57, 0x3ecc95a3
	v_mul_f32_e32 v59, v55, v57
	v_fmaak_f32 v57, v57, v58, 0x3f2aaada
	v_ldexp_f32 v58, v55, 1
	v_sub_f32_e32 v55, v55, v56
	s_delay_alu instid0(VALU_DEP_3) | instskip(SKIP_1) | instid1(VALU_DEP_2)
	v_mul_f32_e32 v57, v59, v57
	v_mul_f32_e32 v59, 0x3f317218, v8
	v_dual_sub_f32 v9, v9, v55 :: v_dual_add_f32 v56, v58, v57
	s_delay_alu instid0(VALU_DEP_1) | instskip(NEXT) | instid1(VALU_DEP_2)
	v_ldexp_f32 v9, v9, 1
	v_sub_f32_e32 v55, v56, v58
	s_delay_alu instid0(VALU_DEP_4) | instskip(NEXT) | instid1(VALU_DEP_1)
	v_fma_f32 v58, 0x3f317218, v8, -v59
	v_dual_sub_f32 v55, v57, v55 :: v_dual_fmac_f32 v58, 0xb102e308, v8
	s_delay_alu instid0(VALU_DEP_1) | instskip(NEXT) | instid1(VALU_DEP_1)
	v_dual_add_f32 v8, v9, v55 :: v_dual_add_f32 v9, v59, v58
	v_add_f32_e32 v55, v56, v8
	s_delay_alu instid0(VALU_DEP_2) | instskip(NEXT) | instid1(VALU_DEP_2)
	v_sub_f32_e32 v59, v9, v59
	v_dual_add_f32 v57, v9, v55 :: v_dual_sub_f32 v56, v55, v56
	s_delay_alu instid0(VALU_DEP_2) | instskip(NEXT) | instid1(VALU_DEP_2)
	v_sub_f32_e32 v58, v58, v59
	v_sub_f32_e32 v60, v57, v9
	s_delay_alu instid0(VALU_DEP_3) | instskip(NEXT) | instid1(VALU_DEP_2)
	v_sub_f32_e32 v8, v8, v56
	v_sub_f32_e32 v61, v57, v60
	;; [unrolled: 1-line block ×3, first 2 shown]
	s_delay_alu instid0(VALU_DEP_2) | instskip(NEXT) | instid1(VALU_DEP_1)
	v_dual_add_f32 v56, v58, v8 :: v_dual_sub_f32 v9, v9, v61
	v_add_f32_e32 v9, v55, v9
	s_delay_alu instid0(VALU_DEP_2) | instskip(NEXT) | instid1(VALU_DEP_2)
	v_sub_f32_e32 v55, v56, v58
	v_add_f32_e32 v9, v56, v9
	s_delay_alu instid0(VALU_DEP_2) | instskip(NEXT) | instid1(VALU_DEP_2)
	v_sub_f32_e32 v56, v56, v55
	v_dual_sub_f32 v8, v8, v55 :: v_dual_add_f32 v59, v57, v9
	s_delay_alu instid0(VALU_DEP_1) | instskip(NEXT) | instid1(VALU_DEP_1)
	v_dual_sub_f32 v56, v58, v56 :: v_dual_sub_f32 v55, v59, v57
	v_dual_add_f32 v8, v8, v56 :: v_dual_sub_f32 v9, v9, v55
	s_delay_alu instid0(VALU_DEP_1) | instskip(NEXT) | instid1(VALU_DEP_1)
	v_add_f32_e32 v8, v8, v9
	v_add_f32_e32 v8, v59, v8
	s_delay_alu instid0(VALU_DEP_1)
	v_cndmask_b32_e32 v55, v8, v4, vcc_lo
.LBB40_48:                              ;   in Loop: Header=BB40_12 Depth=1
	s_or_b32 exec_lo, exec_lo, s21
	v_and_b32_e32 v4, 0xffff0000, v5
	s_delay_alu instid0(VALU_DEP_1) | instskip(NEXT) | instid1(VALU_DEP_1)
	v_add_f32_e32 v58, s60, v4
	v_cmp_ge_f32_e32 vcc_lo, 0x41a00000, v58
	s_and_b32 s20, s68, vcc_lo
	s_delay_alu instid0(SALU_CYCLE_1)
	s_and_saveexec_b32 s21, s20
	s_cbranch_execz .LBB40_50
; %bb.49:                               ;   in Loop: Header=BB40_12 Depth=1
	v_mul_f32_e32 v4, 0x3fb8aa3b, v58
	v_cmp_ngt_f32_e32 vcc_lo, 0xc2ce8ed0, v58
	s_delay_alu instid0(VALU_DEP_2) | instskip(SKIP_1) | instid1(VALU_DEP_2)
	v_rndne_f32_e32 v5, v4
	v_fma_f32 v8, 0x3fb8aa3b, v58, -v4
	v_sub_f32_e32 v4, v4, v5
	s_delay_alu instid0(VALU_DEP_2) | instskip(SKIP_1) | instid1(VALU_DEP_2)
	v_fmac_f32_e32 v8, 0x32a5705f, v58
	v_cvt_i32_f32_e32 v5, v5
	v_add_f32_e32 v4, v4, v8
	s_delay_alu instid0(VALU_DEP_1) | instskip(SKIP_2) | instid1(VALU_DEP_1)
	v_exp_f32_e32 v4, v4
	s_waitcnt_depctr 0xfff
	v_ldexp_f32 v4, v4, v5
	v_cndmask_b32_e32 v4, 0, v4, vcc_lo
	v_cmp_nlt_f32_e32 vcc_lo, 0x42b17218, v58
	s_delay_alu instid0(VALU_DEP_2) | instskip(NEXT) | instid1(VALU_DEP_1)
	v_cndmask_b32_e32 v8, 0x7f800000, v4, vcc_lo
	v_add_f32_e32 v9, 1.0, v8
	s_delay_alu instid0(VALU_DEP_1) | instskip(NEXT) | instid1(VALU_DEP_1)
	v_cvt_f64_f32_e32 v[4:5], v9
	v_frexp_exp_i32_f64_e32 v4, v[4:5]
	v_frexp_mant_f32_e32 v5, v9
	s_delay_alu instid0(VALU_DEP_1) | instskip(SKIP_1) | instid1(VALU_DEP_1)
	v_cmp_gt_f32_e32 vcc_lo, 0x3f2aaaab, v5
	v_add_f32_e32 v5, -1.0, v9
	v_sub_f32_e32 v57, v5, v9
	s_delay_alu instid0(VALU_DEP_1) | instskip(SKIP_2) | instid1(VALU_DEP_2)
	v_add_f32_e32 v57, 1.0, v57
	v_sub_f32_e32 v5, v8, v5
	v_cmp_gt_f32_e64 s20, 0x33800000, v8
	v_add_f32_e32 v5, v5, v57
	v_subrev_co_ci_u32_e32 v4, vcc_lo, 0, v4, vcc_lo
	v_cmp_eq_f32_e32 vcc_lo, 0x7f800000, v8
	s_delay_alu instid0(VALU_DEP_2) | instskip(SKIP_2) | instid1(VALU_DEP_2)
	v_sub_nc_u32_e32 v56, 0, v4
	v_cvt_f32_i32_e32 v4, v4
	s_or_b32 vcc_lo, s20, vcc_lo
	v_ldexp_f32 v9, v9, v56
	v_ldexp_f32 v5, v5, v56
	s_delay_alu instid0(VALU_DEP_2) | instskip(NEXT) | instid1(VALU_DEP_1)
	v_add_f32_e32 v56, -1.0, v9
	v_dual_add_f32 v58, 1.0, v9 :: v_dual_add_f32 v59, 1.0, v56
	s_delay_alu instid0(VALU_DEP_1) | instskip(NEXT) | instid1(VALU_DEP_1)
	v_add_f32_e32 v57, -1.0, v58
	v_sub_f32_e32 v57, v9, v57
	s_delay_alu instid0(VALU_DEP_3) | instskip(NEXT) | instid1(VALU_DEP_2)
	v_sub_f32_e32 v9, v9, v59
	v_add_f32_e32 v57, v5, v57
	s_delay_alu instid0(VALU_DEP_2) | instskip(NEXT) | instid1(VALU_DEP_1)
	v_add_f32_e32 v5, v5, v9
	v_add_f32_e32 v60, v56, v5
	s_delay_alu instid0(VALU_DEP_1) | instskip(NEXT) | instid1(VALU_DEP_1)
	v_dual_sub_f32 v56, v56, v60 :: v_dual_add_f32 v59, v58, v57
	v_add_f32_e32 v5, v5, v56
	s_delay_alu instid0(VALU_DEP_2) | instskip(SKIP_1) | instid1(VALU_DEP_1)
	v_rcp_f32_e32 v9, v59
	v_sub_f32_e32 v58, v58, v59
	v_add_f32_e32 v57, v57, v58
	s_waitcnt_depctr 0xfff
	v_mul_f32_e32 v61, v60, v9
	s_delay_alu instid0(VALU_DEP_1) | instskip(NEXT) | instid1(VALU_DEP_1)
	v_mul_f32_e32 v62, v59, v61
	v_fma_f32 v58, v61, v59, -v62
	s_delay_alu instid0(VALU_DEP_1) | instskip(NEXT) | instid1(VALU_DEP_1)
	v_fmac_f32_e32 v58, v61, v57
	v_add_f32_e32 v63, v62, v58
	s_delay_alu instid0(VALU_DEP_1) | instskip(SKIP_1) | instid1(VALU_DEP_2)
	v_sub_f32_e32 v64, v60, v63
	v_sub_f32_e32 v56, v63, v62
	;; [unrolled: 1-line block ×3, first 2 shown]
	s_delay_alu instid0(VALU_DEP_1) | instskip(NEXT) | instid1(VALU_DEP_1)
	v_sub_f32_e32 v60, v60, v63
	v_dual_sub_f32 v56, v56, v58 :: v_dual_add_f32 v5, v5, v60
	s_delay_alu instid0(VALU_DEP_1) | instskip(NEXT) | instid1(VALU_DEP_1)
	v_add_f32_e32 v5, v56, v5
	v_add_f32_e32 v56, v64, v5
	s_delay_alu instid0(VALU_DEP_1) | instskip(NEXT) | instid1(VALU_DEP_1)
	v_mul_f32_e32 v58, v9, v56
	v_dual_sub_f32 v63, v64, v56 :: v_dual_mul_f32 v60, v59, v58
	s_delay_alu instid0(VALU_DEP_1) | instskip(NEXT) | instid1(VALU_DEP_2)
	v_add_f32_e32 v5, v5, v63
	v_fma_f32 v59, v58, v59, -v60
	s_delay_alu instid0(VALU_DEP_1) | instskip(NEXT) | instid1(VALU_DEP_1)
	v_fmac_f32_e32 v59, v58, v57
	v_add_f32_e32 v57, v60, v59
	s_delay_alu instid0(VALU_DEP_1) | instskip(NEXT) | instid1(VALU_DEP_1)
	v_sub_f32_e32 v62, v56, v57
	v_sub_f32_e32 v56, v56, v62
	s_delay_alu instid0(VALU_DEP_1) | instskip(NEXT) | instid1(VALU_DEP_1)
	v_sub_f32_e32 v56, v56, v57
	v_add_f32_e32 v5, v5, v56
	v_add_f32_e32 v56, v61, v58
	v_sub_f32_e32 v60, v57, v60
	s_delay_alu instid0(VALU_DEP_1) | instskip(NEXT) | instid1(VALU_DEP_1)
	v_sub_f32_e32 v57, v60, v59
	v_add_f32_e32 v5, v57, v5
	s_delay_alu instid0(VALU_DEP_4) | instskip(NEXT) | instid1(VALU_DEP_2)
	v_sub_f32_e32 v57, v56, v61
	v_add_f32_e32 v5, v62, v5
	s_delay_alu instid0(VALU_DEP_2) | instskip(NEXT) | instid1(VALU_DEP_2)
	v_sub_f32_e32 v57, v58, v57
	v_mul_f32_e32 v5, v9, v5
	s_delay_alu instid0(VALU_DEP_1) | instskip(NEXT) | instid1(VALU_DEP_1)
	v_add_f32_e32 v5, v57, v5
	v_add_f32_e32 v9, v56, v5
	s_delay_alu instid0(VALU_DEP_1) | instskip(NEXT) | instid1(VALU_DEP_1)
	v_mul_f32_e32 v57, v9, v9
	v_fmaak_f32 v58, s54, v57, 0x3ecc95a3
	v_mul_f32_e32 v59, v9, v57
	s_delay_alu instid0(VALU_DEP_2) | instskip(SKIP_1) | instid1(VALU_DEP_2)
	v_fmaak_f32 v57, v57, v58, 0x3f2aaada
	v_ldexp_f32 v58, v9, 1
	v_mul_f32_e32 v57, v59, v57
	s_delay_alu instid0(VALU_DEP_1) | instskip(NEXT) | instid1(VALU_DEP_1)
	v_dual_sub_f32 v9, v9, v56 :: v_dual_add_f32 v56, v58, v57
	v_sub_f32_e32 v5, v5, v9
	s_delay_alu instid0(VALU_DEP_2) | instskip(NEXT) | instid1(VALU_DEP_2)
	v_sub_f32_e32 v9, v56, v58
	v_ldexp_f32 v5, v5, 1
	s_delay_alu instid0(VALU_DEP_2) | instskip(SKIP_1) | instid1(VALU_DEP_1)
	v_sub_f32_e32 v9, v57, v9
	v_mul_f32_e32 v59, 0x3f317218, v4
	v_fma_f32 v58, 0x3f317218, v4, -v59
	s_delay_alu instid0(VALU_DEP_1) | instskip(NEXT) | instid1(VALU_DEP_1)
	v_fmac_f32_e32 v58, 0xb102e308, v4
	v_dual_add_f32 v4, v5, v9 :: v_dual_add_f32 v5, v59, v58
	s_delay_alu instid0(VALU_DEP_1) | instskip(NEXT) | instid1(VALU_DEP_1)
	v_add_f32_e32 v9, v56, v4
	v_add_f32_e32 v57, v5, v9
	v_sub_f32_e32 v56, v9, v56
	s_delay_alu instid0(VALU_DEP_2) | instskip(NEXT) | instid1(VALU_DEP_2)
	v_sub_f32_e32 v60, v57, v5
	v_dual_sub_f32 v4, v4, v56 :: v_dual_sub_f32 v59, v5, v59
	s_delay_alu instid0(VALU_DEP_2) | instskip(NEXT) | instid1(VALU_DEP_2)
	v_sub_f32_e32 v61, v57, v60
	v_dual_sub_f32 v9, v9, v60 :: v_dual_sub_f32 v58, v58, v59
	s_delay_alu instid0(VALU_DEP_1) | instskip(NEXT) | instid1(VALU_DEP_1)
	v_dual_sub_f32 v5, v5, v61 :: v_dual_add_f32 v56, v58, v4
	v_add_f32_e32 v5, v9, v5
	s_delay_alu instid0(VALU_DEP_2) | instskip(NEXT) | instid1(VALU_DEP_2)
	v_sub_f32_e32 v9, v56, v58
	v_add_f32_e32 v5, v56, v5
	s_delay_alu instid0(VALU_DEP_2) | instskip(SKIP_1) | instid1(VALU_DEP_2)
	v_sub_f32_e32 v56, v56, v9
	v_sub_f32_e32 v4, v4, v9
	v_dual_add_f32 v59, v57, v5 :: v_dual_sub_f32 v56, v58, v56
	s_delay_alu instid0(VALU_DEP_1) | instskip(NEXT) | instid1(VALU_DEP_1)
	v_dual_sub_f32 v9, v59, v57 :: v_dual_add_f32 v4, v4, v56
	v_sub_f32_e32 v5, v5, v9
	s_delay_alu instid0(VALU_DEP_1) | instskip(NEXT) | instid1(VALU_DEP_1)
	v_add_f32_e32 v4, v4, v5
	v_add_f32_e32 v4, v59, v4
	s_delay_alu instid0(VALU_DEP_1)
	v_cndmask_b32_e32 v58, v4, v8, vcc_lo
.LBB40_50:                              ;   in Loop: Header=BB40_12 Depth=1
	s_or_b32 exec_lo, exec_lo, s21
	v_lshlrev_b32_e32 v4, 16, v6
	s_delay_alu instid0(VALU_DEP_1) | instskip(NEXT) | instid1(VALU_DEP_1)
	v_add_f32_e32 v65, s60, v4
	v_cmp_ge_f32_e32 vcc_lo, 0x41a00000, v65
	s_and_b32 s20, s68, vcc_lo
	s_delay_alu instid0(SALU_CYCLE_1)
	s_and_saveexec_b32 s21, s20
	s_cbranch_execz .LBB40_52
; %bb.51:                               ;   in Loop: Header=BB40_12 Depth=1
	v_mul_f32_e32 v4, 0x3fb8aa3b, v65
	v_cmp_ngt_f32_e32 vcc_lo, 0xc2ce8ed0, v65
	s_delay_alu instid0(VALU_DEP_2) | instskip(SKIP_1) | instid1(VALU_DEP_2)
	v_rndne_f32_e32 v5, v4
	v_fma_f32 v8, 0x3fb8aa3b, v65, -v4
	v_sub_f32_e32 v4, v4, v5
	s_delay_alu instid0(VALU_DEP_2) | instskip(SKIP_1) | instid1(VALU_DEP_2)
	v_fmac_f32_e32 v8, 0x32a5705f, v65
	v_cvt_i32_f32_e32 v5, v5
	v_add_f32_e32 v4, v4, v8
	s_delay_alu instid0(VALU_DEP_1) | instskip(SKIP_2) | instid1(VALU_DEP_1)
	v_exp_f32_e32 v4, v4
	s_waitcnt_depctr 0xfff
	v_ldexp_f32 v4, v4, v5
	v_cndmask_b32_e32 v4, 0, v4, vcc_lo
	v_cmp_nlt_f32_e32 vcc_lo, 0x42b17218, v65
	s_delay_alu instid0(VALU_DEP_2) | instskip(NEXT) | instid1(VALU_DEP_1)
	v_cndmask_b32_e32 v8, 0x7f800000, v4, vcc_lo
	v_add_f32_e32 v9, 1.0, v8
	s_delay_alu instid0(VALU_DEP_1) | instskip(NEXT) | instid1(VALU_DEP_1)
	v_cvt_f64_f32_e32 v[4:5], v9
	v_frexp_exp_i32_f64_e32 v4, v[4:5]
	v_frexp_mant_f32_e32 v5, v9
	s_delay_alu instid0(VALU_DEP_1) | instskip(SKIP_1) | instid1(VALU_DEP_1)
	v_cmp_gt_f32_e32 vcc_lo, 0x3f2aaaab, v5
	v_add_f32_e32 v5, -1.0, v9
	v_sub_f32_e32 v57, v5, v9
	s_delay_alu instid0(VALU_DEP_1) | instskip(SKIP_2) | instid1(VALU_DEP_2)
	v_add_f32_e32 v57, 1.0, v57
	v_sub_f32_e32 v5, v8, v5
	v_cmp_gt_f32_e64 s20, 0x33800000, v8
	v_add_f32_e32 v5, v5, v57
	v_subrev_co_ci_u32_e32 v4, vcc_lo, 0, v4, vcc_lo
	v_cmp_eq_f32_e32 vcc_lo, 0x7f800000, v8
	s_delay_alu instid0(VALU_DEP_2) | instskip(SKIP_2) | instid1(VALU_DEP_2)
	v_sub_nc_u32_e32 v56, 0, v4
	v_cvt_f32_i32_e32 v4, v4
	s_or_b32 vcc_lo, s20, vcc_lo
	v_ldexp_f32 v9, v9, v56
	v_ldexp_f32 v5, v5, v56
	s_delay_alu instid0(VALU_DEP_2) | instskip(NEXT) | instid1(VALU_DEP_1)
	v_add_f32_e32 v59, 1.0, v9
	v_dual_add_f32 v56, -1.0, v9 :: v_dual_add_f32 v57, -1.0, v59
	s_delay_alu instid0(VALU_DEP_1) | instskip(NEXT) | instid1(VALU_DEP_1)
	v_dual_add_f32 v60, 1.0, v56 :: v_dual_sub_f32 v57, v9, v57
	v_sub_f32_e32 v9, v9, v60
	s_delay_alu instid0(VALU_DEP_2) | instskip(NEXT) | instid1(VALU_DEP_2)
	v_add_f32_e32 v57, v5, v57
	v_add_f32_e32 v5, v5, v9
	s_delay_alu instid0(VALU_DEP_2) | instskip(NEXT) | instid1(VALU_DEP_1)
	v_add_f32_e32 v60, v59, v57
	v_sub_f32_e32 v59, v59, v60
	s_delay_alu instid0(VALU_DEP_3) | instskip(NEXT) | instid1(VALU_DEP_2)
	v_add_f32_e32 v61, v56, v5
	v_add_f32_e32 v57, v57, v59
	v_rcp_f32_e32 v9, v60
	s_delay_alu instid0(VALU_DEP_2) | instskip(NEXT) | instid1(VALU_DEP_1)
	v_sub_f32_e32 v56, v56, v61
	v_add_f32_e32 v5, v5, v56
	s_waitcnt_depctr 0xfff
	v_mul_f32_e32 v62, v61, v9
	s_delay_alu instid0(VALU_DEP_1) | instskip(NEXT) | instid1(VALU_DEP_1)
	v_mul_f32_e32 v63, v60, v62
	v_fma_f32 v59, v62, v60, -v63
	s_delay_alu instid0(VALU_DEP_1) | instskip(NEXT) | instid1(VALU_DEP_1)
	v_fmac_f32_e32 v59, v62, v57
	v_add_f32_e32 v64, v63, v59
	s_delay_alu instid0(VALU_DEP_1) | instskip(NEXT) | instid1(VALU_DEP_1)
	v_dual_sub_f32 v65, v61, v64 :: v_dual_sub_f32 v56, v64, v63
	v_dual_sub_f32 v61, v61, v65 :: v_dual_sub_f32 v56, v56, v59
	s_delay_alu instid0(VALU_DEP_1) | instskip(NEXT) | instid1(VALU_DEP_1)
	v_sub_f32_e32 v61, v61, v64
	v_add_f32_e32 v5, v5, v61
	s_delay_alu instid0(VALU_DEP_1) | instskip(NEXT) | instid1(VALU_DEP_1)
	v_add_f32_e32 v5, v56, v5
	v_add_f32_e32 v56, v65, v5
	s_delay_alu instid0(VALU_DEP_1) | instskip(NEXT) | instid1(VALU_DEP_1)
	v_mul_f32_e32 v59, v9, v56
	v_dual_sub_f32 v64, v65, v56 :: v_dual_mul_f32 v61, v60, v59
	s_delay_alu instid0(VALU_DEP_1) | instskip(NEXT) | instid1(VALU_DEP_2)
	v_add_f32_e32 v5, v5, v64
	v_fma_f32 v60, v59, v60, -v61
	s_delay_alu instid0(VALU_DEP_1) | instskip(NEXT) | instid1(VALU_DEP_1)
	v_fmac_f32_e32 v60, v59, v57
	v_add_f32_e32 v57, v61, v60
	s_delay_alu instid0(VALU_DEP_1) | instskip(NEXT) | instid1(VALU_DEP_1)
	v_sub_f32_e32 v63, v56, v57
	v_dual_sub_f32 v61, v57, v61 :: v_dual_sub_f32 v56, v56, v63
	s_delay_alu instid0(VALU_DEP_1) | instskip(NEXT) | instid1(VALU_DEP_1)
	v_dual_sub_f32 v56, v56, v57 :: v_dual_sub_f32 v57, v61, v60
	v_dual_add_f32 v5, v5, v56 :: v_dual_add_f32 v56, v62, v59
	s_delay_alu instid0(VALU_DEP_1) | instskip(NEXT) | instid1(VALU_DEP_2)
	v_add_f32_e32 v5, v57, v5
	v_sub_f32_e32 v57, v56, v62
	s_delay_alu instid0(VALU_DEP_2) | instskip(NEXT) | instid1(VALU_DEP_2)
	v_add_f32_e32 v5, v63, v5
	v_sub_f32_e32 v57, v59, v57
	s_delay_alu instid0(VALU_DEP_2) | instskip(NEXT) | instid1(VALU_DEP_1)
	v_mul_f32_e32 v5, v9, v5
	v_add_f32_e32 v5, v57, v5
	s_delay_alu instid0(VALU_DEP_1) | instskip(NEXT) | instid1(VALU_DEP_1)
	v_add_f32_e32 v9, v56, v5
	v_mul_f32_e32 v57, v9, v9
	s_delay_alu instid0(VALU_DEP_1) | instskip(SKIP_1) | instid1(VALU_DEP_2)
	v_fmaak_f32 v59, s54, v57, 0x3ecc95a3
	v_mul_f32_e32 v60, v9, v57
	v_fmaak_f32 v57, v57, v59, 0x3f2aaada
	v_ldexp_f32 v59, v9, 1
	v_sub_f32_e32 v9, v9, v56
	s_delay_alu instid0(VALU_DEP_3) | instskip(NEXT) | instid1(VALU_DEP_2)
	v_dual_mul_f32 v57, v60, v57 :: v_dual_mul_f32 v60, 0x3f317218, v4
	v_sub_f32_e32 v5, v5, v9
	s_delay_alu instid0(VALU_DEP_2) | instskip(NEXT) | instid1(VALU_DEP_2)
	v_add_f32_e32 v56, v59, v57
	v_ldexp_f32 v5, v5, 1
	s_delay_alu instid0(VALU_DEP_2) | instskip(SKIP_1) | instid1(VALU_DEP_2)
	v_sub_f32_e32 v9, v56, v59
	v_fma_f32 v59, 0x3f317218, v4, -v60
	v_sub_f32_e32 v9, v57, v9
	s_delay_alu instid0(VALU_DEP_1) | instskip(NEXT) | instid1(VALU_DEP_1)
	v_dual_fmac_f32 v59, 0xb102e308, v4 :: v_dual_add_f32 v4, v5, v9
	v_add_f32_e32 v5, v60, v59
	s_delay_alu instid0(VALU_DEP_2) | instskip(NEXT) | instid1(VALU_DEP_2)
	v_add_f32_e32 v9, v56, v4
	v_sub_f32_e32 v60, v5, v60
	s_delay_alu instid0(VALU_DEP_2) | instskip(SKIP_1) | instid1(VALU_DEP_1)
	v_add_f32_e32 v57, v5, v9
	v_sub_f32_e32 v56, v9, v56
	v_dual_sub_f32 v61, v57, v5 :: v_dual_sub_f32 v4, v4, v56
	s_delay_alu instid0(VALU_DEP_1) | instskip(SKIP_1) | instid1(VALU_DEP_2)
	v_dual_sub_f32 v62, v57, v61 :: v_dual_sub_f32 v59, v59, v60
	v_sub_f32_e32 v9, v9, v61
	v_dual_sub_f32 v5, v5, v62 :: v_dual_add_f32 v56, v59, v4
	s_delay_alu instid0(VALU_DEP_1) | instskip(NEXT) | instid1(VALU_DEP_2)
	v_add_f32_e32 v5, v9, v5
	v_sub_f32_e32 v9, v56, v59
	s_delay_alu instid0(VALU_DEP_2) | instskip(NEXT) | instid1(VALU_DEP_2)
	v_add_f32_e32 v5, v56, v5
	v_sub_f32_e32 v56, v56, v9
	v_sub_f32_e32 v4, v4, v9
	s_delay_alu instid0(VALU_DEP_3) | instskip(NEXT) | instid1(VALU_DEP_1)
	v_add_f32_e32 v60, v57, v5
	v_dual_sub_f32 v56, v59, v56 :: v_dual_sub_f32 v9, v60, v57
	s_delay_alu instid0(VALU_DEP_1) | instskip(NEXT) | instid1(VALU_DEP_1)
	v_dual_add_f32 v4, v4, v56 :: v_dual_sub_f32 v5, v5, v9
	v_add_f32_e32 v4, v4, v5
	s_delay_alu instid0(VALU_DEP_1) | instskip(NEXT) | instid1(VALU_DEP_1)
	v_add_f32_e32 v4, v60, v4
	v_cndmask_b32_e32 v65, v4, v8, vcc_lo
.LBB40_52:                              ;   in Loop: Header=BB40_12 Depth=1
	s_or_b32 exec_lo, exec_lo, s21
	v_and_b32_e32 v4, 0xffff0000, v6
	s_delay_alu instid0(VALU_DEP_1) | instskip(NEXT) | instid1(VALU_DEP_1)
	v_add_f32_e32 v66, s60, v4
	v_cmp_ge_f32_e32 vcc_lo, 0x41a00000, v66
	s_and_b32 s20, s68, vcc_lo
	s_delay_alu instid0(SALU_CYCLE_1)
	s_and_saveexec_b32 s21, s20
	s_cbranch_execz .LBB40_54
; %bb.53:                               ;   in Loop: Header=BB40_12 Depth=1
	v_mul_f32_e32 v4, 0x3fb8aa3b, v66
	v_cmp_ngt_f32_e32 vcc_lo, 0xc2ce8ed0, v66
	s_delay_alu instid0(VALU_DEP_2) | instskip(SKIP_1) | instid1(VALU_DEP_2)
	v_rndne_f32_e32 v5, v4
	v_fma_f32 v6, 0x3fb8aa3b, v66, -v4
	v_sub_f32_e32 v4, v4, v5
	s_delay_alu instid0(VALU_DEP_2) | instskip(SKIP_1) | instid1(VALU_DEP_2)
	v_fmac_f32_e32 v6, 0x32a5705f, v66
	v_cvt_i32_f32_e32 v5, v5
	v_add_f32_e32 v4, v4, v6
	s_delay_alu instid0(VALU_DEP_1) | instskip(SKIP_2) | instid1(VALU_DEP_1)
	v_exp_f32_e32 v4, v4
	s_waitcnt_depctr 0xfff
	v_ldexp_f32 v4, v4, v5
	v_cndmask_b32_e32 v4, 0, v4, vcc_lo
	v_cmp_nlt_f32_e32 vcc_lo, 0x42b17218, v66
	s_delay_alu instid0(VALU_DEP_2) | instskip(NEXT) | instid1(VALU_DEP_1)
	v_cndmask_b32_e32 v6, 0x7f800000, v4, vcc_lo
	v_add_f32_e32 v8, 1.0, v6
	s_delay_alu instid0(VALU_DEP_1) | instskip(NEXT) | instid1(VALU_DEP_1)
	v_cvt_f64_f32_e32 v[4:5], v8
	v_frexp_exp_i32_f64_e32 v4, v[4:5]
	v_frexp_mant_f32_e32 v5, v8
	s_delay_alu instid0(VALU_DEP_1) | instskip(SKIP_1) | instid1(VALU_DEP_1)
	v_cmp_gt_f32_e32 vcc_lo, 0x3f2aaaab, v5
	v_add_f32_e32 v5, -1.0, v8
	v_dual_sub_f32 v56, v5, v8 :: v_dual_sub_f32 v5, v6, v5
	s_delay_alu instid0(VALU_DEP_1) | instskip(NEXT) | instid1(VALU_DEP_1)
	v_add_f32_e32 v56, 1.0, v56
	v_add_f32_e32 v5, v5, v56
	v_subrev_co_ci_u32_e32 v4, vcc_lo, 0, v4, vcc_lo
	s_delay_alu instid0(VALU_DEP_1) | instskip(SKIP_1) | instid1(VALU_DEP_2)
	v_sub_nc_u32_e32 v9, 0, v4
	v_cvt_f32_i32_e32 v4, v4
	v_ldexp_f32 v8, v8, v9
	v_ldexp_f32 v5, v5, v9
	s_delay_alu instid0(VALU_DEP_2) | instskip(NEXT) | instid1(VALU_DEP_1)
	v_add_f32_e32 v57, 1.0, v8
	v_dual_add_f32 v9, -1.0, v8 :: v_dual_add_f32 v56, -1.0, v57
	s_delay_alu instid0(VALU_DEP_1) | instskip(NEXT) | instid1(VALU_DEP_1)
	v_dual_add_f32 v59, 1.0, v9 :: v_dual_sub_f32 v56, v8, v56
	v_sub_f32_e32 v8, v8, v59
	s_delay_alu instid0(VALU_DEP_2) | instskip(NEXT) | instid1(VALU_DEP_1)
	v_add_f32_e32 v56, v5, v56
	v_add_f32_e32 v59, v57, v56
	s_delay_alu instid0(VALU_DEP_3) | instskip(NEXT) | instid1(VALU_DEP_2)
	v_add_f32_e32 v5, v5, v8
	v_rcp_f32_e32 v8, v59
	s_delay_alu instid0(VALU_DEP_1) | instskip(SKIP_3) | instid1(VALU_DEP_3)
	v_add_f32_e32 v60, v9, v5
	v_sub_f32_e32 v57, v57, v59
	v_cmp_eq_f32_e32 vcc_lo, 0x7f800000, v6
	v_cmp_gt_f32_e64 s20, 0x33800000, v6
	v_dual_sub_f32 v9, v9, v60 :: v_dual_add_f32 v56, v56, v57
	s_delay_alu instid0(VALU_DEP_2) | instskip(SKIP_2) | instid1(VALU_DEP_1)
	s_or_b32 vcc_lo, s20, vcc_lo
	s_waitcnt_depctr 0xfff
	v_mul_f32_e32 v61, v60, v8
	v_mul_f32_e32 v62, v59, v61
	v_add_f32_e32 v5, v5, v9
	s_delay_alu instid0(VALU_DEP_2) | instskip(NEXT) | instid1(VALU_DEP_1)
	v_fma_f32 v57, v61, v59, -v62
	v_fmac_f32_e32 v57, v61, v56
	s_delay_alu instid0(VALU_DEP_1) | instskip(NEXT) | instid1(VALU_DEP_1)
	v_add_f32_e32 v63, v62, v57
	v_dual_sub_f32 v9, v63, v62 :: v_dual_sub_f32 v64, v60, v63
	s_delay_alu instid0(VALU_DEP_1) | instskip(NEXT) | instid1(VALU_DEP_1)
	v_dual_sub_f32 v9, v9, v57 :: v_dual_sub_f32 v60, v60, v64
	v_sub_f32_e32 v60, v60, v63
	s_delay_alu instid0(VALU_DEP_1) | instskip(NEXT) | instid1(VALU_DEP_1)
	v_add_f32_e32 v5, v5, v60
	v_add_f32_e32 v5, v9, v5
	s_delay_alu instid0(VALU_DEP_1) | instskip(NEXT) | instid1(VALU_DEP_1)
	v_add_f32_e32 v9, v64, v5
	v_mul_f32_e32 v57, v8, v9
	s_delay_alu instid0(VALU_DEP_1) | instskip(NEXT) | instid1(VALU_DEP_1)
	v_mul_f32_e32 v60, v59, v57
	v_fma_f32 v59, v57, v59, -v60
	s_delay_alu instid0(VALU_DEP_1) | instskip(NEXT) | instid1(VALU_DEP_1)
	v_fmac_f32_e32 v59, v57, v56
	v_add_f32_e32 v56, v60, v59
	s_delay_alu instid0(VALU_DEP_1) | instskip(NEXT) | instid1(VALU_DEP_1)
	v_dual_sub_f32 v62, v9, v56 :: v_dual_sub_f32 v63, v64, v9
	v_dual_sub_f32 v60, v56, v60 :: v_dual_sub_f32 v9, v9, v62
	s_delay_alu instid0(VALU_DEP_2) | instskip(NEXT) | instid1(VALU_DEP_2)
	v_add_f32_e32 v5, v5, v63
	v_dual_sub_f32 v9, v9, v56 :: v_dual_sub_f32 v56, v60, v59
	s_delay_alu instid0(VALU_DEP_1) | instskip(SKIP_1) | instid1(VALU_DEP_2)
	v_add_f32_e32 v5, v5, v9
	v_add_f32_e32 v9, v61, v57
	;; [unrolled: 1-line block ×3, first 2 shown]
	s_delay_alu instid0(VALU_DEP_2) | instskip(NEXT) | instid1(VALU_DEP_1)
	v_sub_f32_e32 v56, v9, v61
	v_dual_add_f32 v5, v62, v5 :: v_dual_sub_f32 v56, v57, v56
	s_delay_alu instid0(VALU_DEP_1) | instskip(NEXT) | instid1(VALU_DEP_1)
	v_mul_f32_e32 v5, v8, v5
	v_add_f32_e32 v5, v56, v5
	s_delay_alu instid0(VALU_DEP_1) | instskip(NEXT) | instid1(VALU_DEP_1)
	v_add_f32_e32 v8, v9, v5
	v_mul_f32_e32 v56, v8, v8
	s_delay_alu instid0(VALU_DEP_1) | instskip(SKIP_1) | instid1(VALU_DEP_2)
	v_fmaak_f32 v57, s54, v56, 0x3ecc95a3
	v_mul_f32_e32 v59, v8, v56
	v_fmaak_f32 v56, v56, v57, 0x3f2aaada
	v_ldexp_f32 v57, v8, 1
	v_sub_f32_e32 v8, v8, v9
	s_delay_alu instid0(VALU_DEP_1) | instskip(NEXT) | instid1(VALU_DEP_4)
	v_sub_f32_e32 v5, v5, v8
	v_mul_f32_e32 v56, v59, v56
	v_mul_f32_e32 v59, 0x3f317218, v4
	s_delay_alu instid0(VALU_DEP_3) | instskip(NEXT) | instid1(VALU_DEP_3)
	v_ldexp_f32 v5, v5, 1
	v_add_f32_e32 v9, v57, v56
	s_delay_alu instid0(VALU_DEP_1) | instskip(NEXT) | instid1(VALU_DEP_4)
	v_sub_f32_e32 v8, v9, v57
	v_fma_f32 v57, 0x3f317218, v4, -v59
	s_delay_alu instid0(VALU_DEP_2) | instskip(NEXT) | instid1(VALU_DEP_2)
	v_sub_f32_e32 v8, v56, v8
	v_fmac_f32_e32 v57, 0xb102e308, v4
	s_delay_alu instid0(VALU_DEP_1) | instskip(NEXT) | instid1(VALU_DEP_1)
	v_dual_add_f32 v4, v5, v8 :: v_dual_add_f32 v5, v59, v57
	v_add_f32_e32 v8, v9, v4
	s_delay_alu instid0(VALU_DEP_2) | instskip(NEXT) | instid1(VALU_DEP_2)
	v_sub_f32_e32 v59, v5, v59
	v_dual_add_f32 v56, v5, v8 :: v_dual_sub_f32 v9, v8, v9
	s_delay_alu instid0(VALU_DEP_1) | instskip(NEXT) | instid1(VALU_DEP_2)
	v_dual_sub_f32 v57, v57, v59 :: v_dual_sub_f32 v60, v56, v5
	v_sub_f32_e32 v4, v4, v9
	s_delay_alu instid0(VALU_DEP_2) | instskip(NEXT) | instid1(VALU_DEP_2)
	v_sub_f32_e32 v8, v8, v60
	v_add_f32_e32 v9, v57, v4
	v_sub_f32_e32 v61, v56, v60
	s_delay_alu instid0(VALU_DEP_1) | instskip(NEXT) | instid1(VALU_DEP_1)
	v_sub_f32_e32 v5, v5, v61
	v_add_f32_e32 v5, v8, v5
	s_delay_alu instid0(VALU_DEP_4) | instskip(NEXT) | instid1(VALU_DEP_2)
	v_sub_f32_e32 v8, v9, v57
	v_add_f32_e32 v5, v9, v5
	s_delay_alu instid0(VALU_DEP_2) | instskip(SKIP_1) | instid1(VALU_DEP_3)
	v_sub_f32_e32 v9, v9, v8
	v_sub_f32_e32 v4, v4, v8
	v_add_f32_e32 v59, v56, v5
	s_delay_alu instid0(VALU_DEP_1) | instskip(NEXT) | instid1(VALU_DEP_1)
	v_dual_sub_f32 v9, v57, v9 :: v_dual_sub_f32 v8, v59, v56
	v_dual_add_f32 v4, v4, v9 :: v_dual_sub_f32 v5, v5, v8
	s_delay_alu instid0(VALU_DEP_1) | instskip(NEXT) | instid1(VALU_DEP_1)
	v_add_f32_e32 v4, v4, v5
	v_add_f32_e32 v4, v59, v4
	s_delay_alu instid0(VALU_DEP_1)
	v_cndmask_b32_e32 v66, v4, v6, vcc_lo
.LBB40_54:                              ;   in Loop: Header=BB40_12 Depth=1
	s_or_b32 exec_lo, exec_lo, s21
	v_lshlrev_b32_e32 v4, 16, v7
	s_delay_alu instid0(VALU_DEP_1) | instskip(NEXT) | instid1(VALU_DEP_1)
	v_add_f32_e32 v67, s60, v4
	v_cmp_ge_f32_e32 vcc_lo, 0x41a00000, v67
	s_and_b32 s20, s68, vcc_lo
	s_delay_alu instid0(SALU_CYCLE_1)
	s_and_saveexec_b32 s21, s20
	s_cbranch_execz .LBB40_56
; %bb.55:                               ;   in Loop: Header=BB40_12 Depth=1
	v_mul_f32_e32 v4, 0x3fb8aa3b, v67
	v_cmp_ngt_f32_e32 vcc_lo, 0xc2ce8ed0, v67
	s_delay_alu instid0(VALU_DEP_2) | instskip(SKIP_1) | instid1(VALU_DEP_2)
	v_rndne_f32_e32 v5, v4
	v_fma_f32 v6, 0x3fb8aa3b, v67, -v4
	v_sub_f32_e32 v4, v4, v5
	s_delay_alu instid0(VALU_DEP_2) | instskip(SKIP_1) | instid1(VALU_DEP_2)
	v_fmac_f32_e32 v6, 0x32a5705f, v67
	v_cvt_i32_f32_e32 v5, v5
	v_add_f32_e32 v4, v4, v6
	s_delay_alu instid0(VALU_DEP_1) | instskip(SKIP_2) | instid1(VALU_DEP_1)
	v_exp_f32_e32 v4, v4
	s_waitcnt_depctr 0xfff
	v_ldexp_f32 v4, v4, v5
	v_cndmask_b32_e32 v4, 0, v4, vcc_lo
	v_cmp_nlt_f32_e32 vcc_lo, 0x42b17218, v67
	s_delay_alu instid0(VALU_DEP_2) | instskip(NEXT) | instid1(VALU_DEP_1)
	v_cndmask_b32_e32 v6, 0x7f800000, v4, vcc_lo
	v_add_f32_e32 v8, 1.0, v6
	s_delay_alu instid0(VALU_DEP_1) | instskip(NEXT) | instid1(VALU_DEP_1)
	v_cvt_f64_f32_e32 v[4:5], v8
	v_frexp_exp_i32_f64_e32 v4, v[4:5]
	v_frexp_mant_f32_e32 v5, v8
	s_delay_alu instid0(VALU_DEP_1) | instskip(SKIP_1) | instid1(VALU_DEP_1)
	v_cmp_gt_f32_e32 vcc_lo, 0x3f2aaaab, v5
	v_add_f32_e32 v5, -1.0, v8
	v_dual_sub_f32 v56, v5, v8 :: v_dual_sub_f32 v5, v6, v5
	s_delay_alu instid0(VALU_DEP_1) | instskip(NEXT) | instid1(VALU_DEP_1)
	v_add_f32_e32 v56, 1.0, v56
	v_add_f32_e32 v5, v5, v56
	v_subrev_co_ci_u32_e32 v4, vcc_lo, 0, v4, vcc_lo
	s_delay_alu instid0(VALU_DEP_1) | instskip(SKIP_1) | instid1(VALU_DEP_2)
	v_sub_nc_u32_e32 v9, 0, v4
	v_cvt_f32_i32_e32 v4, v4
	v_ldexp_f32 v8, v8, v9
	v_ldexp_f32 v5, v5, v9
	s_delay_alu instid0(VALU_DEP_2) | instskip(NEXT) | instid1(VALU_DEP_1)
	v_add_f32_e32 v57, 1.0, v8
	v_dual_add_f32 v9, -1.0, v8 :: v_dual_add_f32 v56, -1.0, v57
	s_delay_alu instid0(VALU_DEP_1) | instskip(NEXT) | instid1(VALU_DEP_1)
	v_dual_add_f32 v59, 1.0, v9 :: v_dual_sub_f32 v56, v8, v56
	v_sub_f32_e32 v8, v8, v59
	s_delay_alu instid0(VALU_DEP_2) | instskip(NEXT) | instid1(VALU_DEP_1)
	v_add_f32_e32 v56, v5, v56
	v_add_f32_e32 v59, v57, v56
	s_delay_alu instid0(VALU_DEP_3) | instskip(NEXT) | instid1(VALU_DEP_2)
	v_add_f32_e32 v5, v5, v8
	v_rcp_f32_e32 v8, v59
	s_delay_alu instid0(VALU_DEP_1) | instskip(SKIP_3) | instid1(VALU_DEP_3)
	v_add_f32_e32 v60, v9, v5
	v_sub_f32_e32 v57, v57, v59
	v_cmp_eq_f32_e32 vcc_lo, 0x7f800000, v6
	v_cmp_gt_f32_e64 s20, 0x33800000, v6
	v_dual_sub_f32 v9, v9, v60 :: v_dual_add_f32 v56, v56, v57
	s_delay_alu instid0(VALU_DEP_2) | instskip(SKIP_2) | instid1(VALU_DEP_1)
	s_or_b32 vcc_lo, s20, vcc_lo
	s_waitcnt_depctr 0xfff
	v_mul_f32_e32 v61, v60, v8
	v_mul_f32_e32 v62, v59, v61
	v_add_f32_e32 v5, v5, v9
	s_delay_alu instid0(VALU_DEP_2) | instskip(NEXT) | instid1(VALU_DEP_1)
	v_fma_f32 v57, v61, v59, -v62
	v_fmac_f32_e32 v57, v61, v56
	s_delay_alu instid0(VALU_DEP_1) | instskip(NEXT) | instid1(VALU_DEP_1)
	v_add_f32_e32 v63, v62, v57
	v_dual_sub_f32 v9, v63, v62 :: v_dual_sub_f32 v64, v60, v63
	s_delay_alu instid0(VALU_DEP_1) | instskip(NEXT) | instid1(VALU_DEP_1)
	v_dual_sub_f32 v9, v9, v57 :: v_dual_sub_f32 v60, v60, v64
	v_sub_f32_e32 v60, v60, v63
	s_delay_alu instid0(VALU_DEP_1) | instskip(NEXT) | instid1(VALU_DEP_1)
	v_add_f32_e32 v5, v5, v60
	v_add_f32_e32 v5, v9, v5
	s_delay_alu instid0(VALU_DEP_1) | instskip(NEXT) | instid1(VALU_DEP_1)
	v_add_f32_e32 v9, v64, v5
	v_mul_f32_e32 v57, v8, v9
	s_delay_alu instid0(VALU_DEP_1) | instskip(NEXT) | instid1(VALU_DEP_1)
	v_mul_f32_e32 v60, v59, v57
	v_fma_f32 v59, v57, v59, -v60
	s_delay_alu instid0(VALU_DEP_1) | instskip(NEXT) | instid1(VALU_DEP_1)
	v_fmac_f32_e32 v59, v57, v56
	v_add_f32_e32 v56, v60, v59
	s_delay_alu instid0(VALU_DEP_1) | instskip(NEXT) | instid1(VALU_DEP_1)
	v_dual_sub_f32 v62, v9, v56 :: v_dual_sub_f32 v63, v64, v9
	v_dual_sub_f32 v60, v56, v60 :: v_dual_sub_f32 v9, v9, v62
	s_delay_alu instid0(VALU_DEP_2) | instskip(NEXT) | instid1(VALU_DEP_2)
	v_add_f32_e32 v5, v5, v63
	v_dual_sub_f32 v9, v9, v56 :: v_dual_sub_f32 v56, v60, v59
	s_delay_alu instid0(VALU_DEP_1) | instskip(SKIP_1) | instid1(VALU_DEP_2)
	v_add_f32_e32 v5, v5, v9
	v_add_f32_e32 v9, v61, v57
	;; [unrolled: 1-line block ×3, first 2 shown]
	s_delay_alu instid0(VALU_DEP_2) | instskip(NEXT) | instid1(VALU_DEP_1)
	v_sub_f32_e32 v56, v9, v61
	v_dual_add_f32 v5, v62, v5 :: v_dual_sub_f32 v56, v57, v56
	s_delay_alu instid0(VALU_DEP_1) | instskip(NEXT) | instid1(VALU_DEP_1)
	v_mul_f32_e32 v5, v8, v5
	v_add_f32_e32 v5, v56, v5
	s_delay_alu instid0(VALU_DEP_1) | instskip(NEXT) | instid1(VALU_DEP_1)
	v_add_f32_e32 v8, v9, v5
	v_mul_f32_e32 v56, v8, v8
	s_delay_alu instid0(VALU_DEP_1) | instskip(SKIP_1) | instid1(VALU_DEP_2)
	v_fmaak_f32 v57, s54, v56, 0x3ecc95a3
	v_mul_f32_e32 v59, v8, v56
	v_fmaak_f32 v56, v56, v57, 0x3f2aaada
	v_ldexp_f32 v57, v8, 1
	v_sub_f32_e32 v8, v8, v9
	s_delay_alu instid0(VALU_DEP_1) | instskip(NEXT) | instid1(VALU_DEP_4)
	v_sub_f32_e32 v5, v5, v8
	v_mul_f32_e32 v56, v59, v56
	v_mul_f32_e32 v59, 0x3f317218, v4
	s_delay_alu instid0(VALU_DEP_3) | instskip(NEXT) | instid1(VALU_DEP_3)
	v_ldexp_f32 v5, v5, 1
	v_add_f32_e32 v9, v57, v56
	s_delay_alu instid0(VALU_DEP_1) | instskip(NEXT) | instid1(VALU_DEP_4)
	v_sub_f32_e32 v8, v9, v57
	v_fma_f32 v57, 0x3f317218, v4, -v59
	s_delay_alu instid0(VALU_DEP_2) | instskip(NEXT) | instid1(VALU_DEP_2)
	v_sub_f32_e32 v8, v56, v8
	v_fmac_f32_e32 v57, 0xb102e308, v4
	s_delay_alu instid0(VALU_DEP_1) | instskip(NEXT) | instid1(VALU_DEP_1)
	v_dual_add_f32 v4, v5, v8 :: v_dual_add_f32 v5, v59, v57
	v_add_f32_e32 v8, v9, v4
	s_delay_alu instid0(VALU_DEP_2) | instskip(NEXT) | instid1(VALU_DEP_2)
	v_sub_f32_e32 v59, v5, v59
	v_dual_add_f32 v56, v5, v8 :: v_dual_sub_f32 v9, v8, v9
	s_delay_alu instid0(VALU_DEP_1) | instskip(NEXT) | instid1(VALU_DEP_2)
	v_dual_sub_f32 v57, v57, v59 :: v_dual_sub_f32 v60, v56, v5
	v_sub_f32_e32 v4, v4, v9
	s_delay_alu instid0(VALU_DEP_2) | instskip(NEXT) | instid1(VALU_DEP_2)
	v_sub_f32_e32 v8, v8, v60
	v_add_f32_e32 v9, v57, v4
	v_sub_f32_e32 v61, v56, v60
	s_delay_alu instid0(VALU_DEP_1) | instskip(NEXT) | instid1(VALU_DEP_1)
	v_sub_f32_e32 v5, v5, v61
	v_add_f32_e32 v5, v8, v5
	s_delay_alu instid0(VALU_DEP_4) | instskip(NEXT) | instid1(VALU_DEP_1)
	v_sub_f32_e32 v8, v9, v57
	v_dual_add_f32 v5, v9, v5 :: v_dual_sub_f32 v4, v4, v8
	v_sub_f32_e32 v9, v9, v8
	s_delay_alu instid0(VALU_DEP_2) | instskip(NEXT) | instid1(VALU_DEP_1)
	v_add_f32_e32 v59, v56, v5
	v_dual_sub_f32 v9, v57, v9 :: v_dual_sub_f32 v8, v59, v56
	s_delay_alu instid0(VALU_DEP_1) | instskip(NEXT) | instid1(VALU_DEP_1)
	v_dual_add_f32 v4, v4, v9 :: v_dual_sub_f32 v5, v5, v8
	v_add_f32_e32 v4, v4, v5
	s_delay_alu instid0(VALU_DEP_1) | instskip(NEXT) | instid1(VALU_DEP_1)
	v_add_f32_e32 v4, v59, v4
	v_cndmask_b32_e32 v67, v4, v6, vcc_lo
.LBB40_56:                              ;   in Loop: Header=BB40_12 Depth=1
	s_or_b32 exec_lo, exec_lo, s21
	v_and_b32_e32 v4, 0xffff0000, v7
	s_delay_alu instid0(VALU_DEP_1) | instskip(NEXT) | instid1(VALU_DEP_1)
	v_add_f32_e32 v68, s60, v4
	v_cmp_ge_f32_e32 vcc_lo, 0x41a00000, v68
	s_and_b32 s20, s68, vcc_lo
	s_delay_alu instid0(SALU_CYCLE_1)
	s_and_saveexec_b32 s21, s20
	s_cbranch_execz .LBB40_58
; %bb.57:                               ;   in Loop: Header=BB40_12 Depth=1
	v_mul_f32_e32 v4, 0x3fb8aa3b, v68
	v_cmp_ngt_f32_e32 vcc_lo, 0xc2ce8ed0, v68
	s_delay_alu instid0(VALU_DEP_2) | instskip(SKIP_1) | instid1(VALU_DEP_2)
	v_rndne_f32_e32 v5, v4
	v_fma_f32 v6, 0x3fb8aa3b, v68, -v4
	v_sub_f32_e32 v4, v4, v5
	s_delay_alu instid0(VALU_DEP_2) | instskip(SKIP_1) | instid1(VALU_DEP_2)
	v_fmac_f32_e32 v6, 0x32a5705f, v68
	v_cvt_i32_f32_e32 v5, v5
	v_add_f32_e32 v4, v4, v6
	s_delay_alu instid0(VALU_DEP_1) | instskip(SKIP_2) | instid1(VALU_DEP_1)
	v_exp_f32_e32 v4, v4
	s_waitcnt_depctr 0xfff
	v_ldexp_f32 v4, v4, v5
	v_cndmask_b32_e32 v4, 0, v4, vcc_lo
	v_cmp_nlt_f32_e32 vcc_lo, 0x42b17218, v68
	s_delay_alu instid0(VALU_DEP_2) | instskip(NEXT) | instid1(VALU_DEP_1)
	v_cndmask_b32_e32 v6, 0x7f800000, v4, vcc_lo
	v_add_f32_e32 v7, 1.0, v6
	s_delay_alu instid0(VALU_DEP_1) | instskip(NEXT) | instid1(VALU_DEP_1)
	v_cvt_f64_f32_e32 v[4:5], v7
	v_frexp_exp_i32_f64_e32 v4, v[4:5]
	v_frexp_mant_f32_e32 v5, v7
	s_delay_alu instid0(VALU_DEP_1) | instskip(SKIP_1) | instid1(VALU_DEP_1)
	v_cmp_gt_f32_e32 vcc_lo, 0x3f2aaaab, v5
	v_add_f32_e32 v5, -1.0, v7
	v_sub_f32_e32 v9, v5, v7
	v_sub_f32_e32 v5, v6, v5
	s_delay_alu instid0(VALU_DEP_2) | instskip(NEXT) | instid1(VALU_DEP_1)
	v_add_f32_e32 v9, 1.0, v9
	v_add_f32_e32 v5, v5, v9
	v_cmp_gt_f32_e64 s20, 0x33800000, v6
	v_subrev_co_ci_u32_e32 v4, vcc_lo, 0, v4, vcc_lo
	v_cmp_eq_f32_e32 vcc_lo, 0x7f800000, v6
	s_delay_alu instid0(VALU_DEP_2) | instskip(SKIP_2) | instid1(VALU_DEP_2)
	v_sub_nc_u32_e32 v8, 0, v4
	v_cvt_f32_i32_e32 v4, v4
	s_or_b32 vcc_lo, s20, vcc_lo
	v_ldexp_f32 v7, v7, v8
	v_ldexp_f32 v5, v5, v8
	s_delay_alu instid0(VALU_DEP_2) | instskip(NEXT) | instid1(VALU_DEP_1)
	v_add_f32_e32 v56, 1.0, v7
	v_dual_add_f32 v8, -1.0, v7 :: v_dual_add_f32 v9, -1.0, v56
	s_delay_alu instid0(VALU_DEP_1) | instskip(NEXT) | instid1(VALU_DEP_2)
	v_add_f32_e32 v57, 1.0, v8
	v_sub_f32_e32 v9, v7, v9
	s_delay_alu instid0(VALU_DEP_2) | instskip(NEXT) | instid1(VALU_DEP_2)
	v_sub_f32_e32 v7, v7, v57
	v_add_f32_e32 v9, v5, v9
	s_delay_alu instid0(VALU_DEP_2) | instskip(NEXT) | instid1(VALU_DEP_1)
	v_add_f32_e32 v5, v5, v7
	v_add_f32_e32 v59, v8, v5
	s_delay_alu instid0(VALU_DEP_1) | instskip(NEXT) | instid1(VALU_DEP_4)
	v_sub_f32_e32 v8, v8, v59
	v_add_f32_e32 v57, v56, v9
	s_delay_alu instid0(VALU_DEP_1) | instskip(NEXT) | instid1(VALU_DEP_2)
	v_rcp_f32_e32 v7, v57
	v_dual_sub_f32 v56, v56, v57 :: v_dual_add_f32 v5, v5, v8
	s_waitcnt_depctr 0xfff
	v_dual_add_f32 v9, v9, v56 :: v_dual_mul_f32 v60, v59, v7
	s_delay_alu instid0(VALU_DEP_1) | instskip(NEXT) | instid1(VALU_DEP_1)
	v_mul_f32_e32 v61, v57, v60
	v_fma_f32 v56, v60, v57, -v61
	s_delay_alu instid0(VALU_DEP_1) | instskip(NEXT) | instid1(VALU_DEP_1)
	v_fmac_f32_e32 v56, v60, v9
	v_add_f32_e32 v62, v61, v56
	s_delay_alu instid0(VALU_DEP_1) | instskip(NEXT) | instid1(VALU_DEP_1)
	v_dual_sub_f32 v8, v62, v61 :: v_dual_sub_f32 v63, v59, v62
	v_dual_sub_f32 v8, v8, v56 :: v_dual_sub_f32 v59, v59, v63
	s_delay_alu instid0(VALU_DEP_1) | instskip(NEXT) | instid1(VALU_DEP_1)
	v_sub_f32_e32 v59, v59, v62
	v_add_f32_e32 v5, v5, v59
	s_delay_alu instid0(VALU_DEP_1) | instskip(NEXT) | instid1(VALU_DEP_1)
	v_add_f32_e32 v5, v8, v5
	v_add_f32_e32 v8, v63, v5
	s_delay_alu instid0(VALU_DEP_1) | instskip(NEXT) | instid1(VALU_DEP_1)
	v_mul_f32_e32 v56, v7, v8
	v_mul_f32_e32 v59, v57, v56
	v_sub_f32_e32 v62, v63, v8
	s_delay_alu instid0(VALU_DEP_2) | instskip(NEXT) | instid1(VALU_DEP_2)
	v_fma_f32 v57, v56, v57, -v59
	v_add_f32_e32 v5, v5, v62
	s_delay_alu instid0(VALU_DEP_2) | instskip(NEXT) | instid1(VALU_DEP_1)
	v_fmac_f32_e32 v57, v56, v9
	v_add_f32_e32 v9, v59, v57
	s_delay_alu instid0(VALU_DEP_1) | instskip(NEXT) | instid1(VALU_DEP_1)
	v_sub_f32_e32 v61, v8, v9
	v_dual_sub_f32 v59, v9, v59 :: v_dual_sub_f32 v8, v8, v61
	s_delay_alu instid0(VALU_DEP_1) | instskip(NEXT) | instid1(VALU_DEP_2)
	v_sub_f32_e32 v8, v8, v9
	v_sub_f32_e32 v9, v59, v57
	s_delay_alu instid0(VALU_DEP_2) | instskip(NEXT) | instid1(VALU_DEP_1)
	v_add_f32_e32 v5, v5, v8
	v_dual_add_f32 v8, v60, v56 :: v_dual_add_f32 v5, v9, v5
	s_delay_alu instid0(VALU_DEP_1) | instskip(NEXT) | instid1(VALU_DEP_2)
	v_sub_f32_e32 v9, v8, v60
	v_add_f32_e32 v5, v61, v5
	s_delay_alu instid0(VALU_DEP_2) | instskip(NEXT) | instid1(VALU_DEP_2)
	v_sub_f32_e32 v9, v56, v9
	v_mul_f32_e32 v5, v7, v5
	s_delay_alu instid0(VALU_DEP_1) | instskip(NEXT) | instid1(VALU_DEP_1)
	v_add_f32_e32 v5, v9, v5
	v_add_f32_e32 v7, v8, v5
	s_delay_alu instid0(VALU_DEP_1) | instskip(NEXT) | instid1(VALU_DEP_1)
	v_mul_f32_e32 v9, v7, v7
	v_fmaak_f32 v56, s54, v9, 0x3ecc95a3
	v_mul_f32_e32 v57, v7, v9
	s_delay_alu instid0(VALU_DEP_2) | instskip(SKIP_2) | instid1(VALU_DEP_3)
	v_fmaak_f32 v9, v9, v56, 0x3f2aaada
	v_ldexp_f32 v56, v7, 1
	v_sub_f32_e32 v7, v7, v8
	v_mul_f32_e32 v9, v57, v9
	v_mul_f32_e32 v57, 0x3f317218, v4
	s_delay_alu instid0(VALU_DEP_2) | instskip(NEXT) | instid1(VALU_DEP_1)
	v_dual_sub_f32 v5, v5, v7 :: v_dual_add_f32 v8, v56, v9
	v_ldexp_f32 v5, v5, 1
	s_delay_alu instid0(VALU_DEP_2) | instskip(NEXT) | instid1(VALU_DEP_4)
	v_sub_f32_e32 v7, v8, v56
	v_fma_f32 v56, 0x3f317218, v4, -v57
	s_delay_alu instid0(VALU_DEP_1) | instskip(NEXT) | instid1(VALU_DEP_1)
	v_dual_sub_f32 v7, v9, v7 :: v_dual_fmac_f32 v56, 0xb102e308, v4
	v_add_f32_e32 v4, v5, v7
	s_delay_alu instid0(VALU_DEP_2) | instskip(NEXT) | instid1(VALU_DEP_2)
	v_add_f32_e32 v5, v57, v56
	v_add_f32_e32 v7, v8, v4
	s_delay_alu instid0(VALU_DEP_2) | instskip(NEXT) | instid1(VALU_DEP_2)
	v_sub_f32_e32 v57, v5, v57
	v_dual_add_f32 v9, v5, v7 :: v_dual_sub_f32 v8, v7, v8
	s_delay_alu instid0(VALU_DEP_2) | instskip(NEXT) | instid1(VALU_DEP_2)
	v_sub_f32_e32 v56, v56, v57
	v_dual_sub_f32 v59, v9, v5 :: v_dual_sub_f32 v4, v4, v8
	s_delay_alu instid0(VALU_DEP_1) | instskip(NEXT) | instid1(VALU_DEP_2)
	v_sub_f32_e32 v60, v9, v59
	v_dual_sub_f32 v7, v7, v59 :: v_dual_add_f32 v8, v56, v4
	s_delay_alu instid0(VALU_DEP_2) | instskip(NEXT) | instid1(VALU_DEP_1)
	v_sub_f32_e32 v5, v5, v60
	v_add_f32_e32 v5, v7, v5
	s_delay_alu instid0(VALU_DEP_3) | instskip(NEXT) | instid1(VALU_DEP_2)
	v_sub_f32_e32 v7, v8, v56
	v_add_f32_e32 v5, v8, v5
	s_delay_alu instid0(VALU_DEP_2) | instskip(NEXT) | instid1(VALU_DEP_2)
	v_sub_f32_e32 v8, v8, v7
	v_dual_sub_f32 v4, v4, v7 :: v_dual_add_f32 v57, v9, v5
	s_delay_alu instid0(VALU_DEP_1) | instskip(NEXT) | instid1(VALU_DEP_1)
	v_dual_sub_f32 v8, v56, v8 :: v_dual_sub_f32 v7, v57, v9
	v_dual_add_f32 v4, v4, v8 :: v_dual_sub_f32 v5, v5, v7
	s_delay_alu instid0(VALU_DEP_1) | instskip(NEXT) | instid1(VALU_DEP_1)
	v_add_f32_e32 v4, v4, v5
	v_add_f32_e32 v4, v57, v4
	s_delay_alu instid0(VALU_DEP_1)
	v_cndmask_b32_e32 v68, v4, v6, vcc_lo
.LBB40_58:                              ;   in Loop: Header=BB40_12 Depth=1
	s_or_b32 exec_lo, exec_lo, s21
	v_and_b32_e32 v6, 0xffff0000, v0
	v_and_b32_e32 v5, 0xffff0000, v2
	v_lshlrev_b32_e32 v4, 16, v3
	v_and_b32_e32 v7, 0xffff0000, v3
	v_lshlrev_b32_e32 v0, 16, v0
	v_dual_mul_f32 v64, s61, v6 :: v_dual_and_b32 v3, 0xffff0000, v1
	s_delay_alu instid0(VALU_DEP_3) | instskip(SKIP_1) | instid1(VALU_DEP_3)
	v_dual_mul_f32 v57, s61, v5 :: v_dual_mul_f32 v60, s61, v7
	v_dual_mul_f32 v56, s61, v4 :: v_dual_lshlrev_b32 v1, 16, v1
	v_mul_f32_e32 v62, s61, v3
	v_dual_mul_f32 v63, s61, v0 :: v_dual_lshlrev_b32 v2, 16, v2
	s_delay_alu instid0(VALU_DEP_3) | instskip(SKIP_1) | instid1(VALU_DEP_2)
	v_mul_f32_e32 v61, s61, v1
	s_and_b32 vcc_lo, exec_lo, s69
	v_mul_f32_e32 v59, s61, v2
	s_barrier
	buffer_gl0_inv
	s_cbranch_vccz .LBB40_122
; %bb.59:                               ;   in Loop: Header=BB40_12 Depth=1
	v_dual_mul_f32 v69, v68, v7 :: v_dual_mul_f32 v74, v67, v4
	v_add_co_u32 v7, s20, s46, v51
	s_delay_alu instid0(VALU_DEP_1) | instskip(SKIP_1) | instid1(VALU_DEP_1)
	v_add_co_ci_u32_e64 v8, null, s49, 0, s20
	v_add_co_u32 v9, s20, s50, v51
	v_add_co_ci_u32_e64 v73, null, s65, 0, s20
	s_delay_alu instid0(VALU_DEP_4) | instskip(NEXT) | instid1(VALU_DEP_4)
	v_add_co_u32 v70, vcc_lo, v7, v52
	v_add_co_ci_u32_e32 v71, vcc_lo, 0, v8, vcc_lo
	s_delay_alu instid0(VALU_DEP_4) | instskip(NEXT) | instid1(VALU_DEP_4)
	v_add_co_u32 v72, vcc_lo, v9, v52
	v_add_co_ci_u32_e32 v73, vcc_lo, 0, v73, vcc_lo
	v_cmp_gt_u32_e32 vcc_lo, s23, v10
	s_cmp_lg_u32 s56, 0
	v_cmp_gt_u32_e64 s21, s23, v44
	s_cselect_b32 s31, -1, 0
	s_cmp_eq_u32 s56, s71
	v_cmp_gt_u32_e64 s22, s23, v45
	s_cselect_b32 s57, -1, 0
	s_or_b32 s20, s70, vcc_lo
	v_cmp_gt_u32_e32 vcc_lo, s23, v46
	v_cmp_gt_u32_e64 s24, s23, v47
	v_cmp_gt_u32_e64 s25, s23, v48
	;; [unrolled: 1-line block ×4, first 2 shown]
	v_dual_mul_f32 v75, v66, v5 :: v_dual_mul_f32 v76, v65, v2
	v_dual_mul_f32 v77, v58, v3 :: v_dual_mul_f32 v78, v55, v1
	;; [unrolled: 1-line block ×3, first 2 shown]
	s_mov_b32 s34, 0
	s_or_b32 s21, s70, s21
	s_or_b32 s22, s70, s22
	s_or_b32 s23, s70, vcc_lo
	s_or_b32 s24, s70, s24
	s_or_b32 s25, s70, s25
	;; [unrolled: 1-line block ×4, first 2 shown]
	s_mov_b32 s38, s34
	s_mov_b32 s40, s34
	;; [unrolled: 1-line block ×5, first 2 shown]
	s_branch .LBB40_61
.LBB40_60:                              ;   in Loop: Header=BB40_61 Depth=2
	s_or_b32 exec_lo, exec_lo, s28
	v_cndmask_b32_e64 v5, v98, v7, s11
	v_cndmask_b32_e64 v6, v97, v6, s11
	s_add_i32 s58, s58, -1
	s_add_i32 s72, s72, 8
	s_add_i32 s42, s42, s37
	v_fma_f32 v5, v5, v86, v84
	v_mul_f32_e32 v6, v6, v86
	s_add_i32 s40, s40, s36
	s_add_i32 s38, s38, s48
	;; [unrolled: 1-line block ×3, first 2 shown]
	v_cndmask_b32_e64 v5, v5, v84, s10
	v_cndmask_b32_e64 v6, v6, v86, s10
	s_cmp_eq_u32 s58, 0
	s_waitcnt lgkmcnt(0)
	s_delay_alu instid0(VALU_DEP_1) | instskip(NEXT) | instid1(VALU_DEP_1)
	v_dual_fmac_f32 v5, v4, v6 :: v_dual_and_b32 v4, 0xffff0000, v0
	v_fmac_f32_e32 v81, v5, v87
	s_delay_alu instid0(VALU_DEP_1) | instskip(SKIP_1) | instid1(VALU_DEP_1)
	v_dual_fmac_f32 v64, v81, v4 :: v_dual_and_b32 v7, 0xffff0000, v2
	v_fmac_f32_e32 v82, v81, v89
	v_dual_fmac_f32 v83, v82, v90 :: v_dual_and_b32 v6, 0xffff0000, v1
	s_delay_alu instid0(VALU_DEP_1) | instskip(NEXT) | instid1(VALU_DEP_2)
	v_fmac_f32_e32 v85, v83, v92
	v_dual_fmac_f32 v62, v83, v6 :: v_dual_lshlrev_b32 v1, 16, v1
	s_delay_alu instid0(VALU_DEP_2) | instskip(SKIP_1) | instid1(VALU_DEP_3)
	v_fmac_f32_e32 v88, v85, v96
	v_lshlrev_b32_e32 v0, 16, v0
	v_dual_fmac_f32 v61, v82, v1 :: v_dual_and_b32 v8, 0xffff0000, v3
	v_lshlrev_b32_e32 v3, 16, v3
	s_delay_alu instid0(VALU_DEP_4) | instskip(NEXT) | instid1(VALU_DEP_4)
	v_fmac_f32_e32 v91, v88, v94
	v_dual_fmac_f32 v63, v5, v0 :: v_dual_lshlrev_b32 v2, 16, v2
	s_delay_alu instid0(VALU_DEP_2) | instskip(NEXT) | instid1(VALU_DEP_2)
	v_fmac_f32_e32 v93, v91, v95
	v_dual_fmac_f32 v59, v85, v2 :: v_dual_fmac_f32 v56, v91, v3
	s_delay_alu instid0(VALU_DEP_2)
	v_dual_fmac_f32 v57, v88, v7 :: v_dual_fmac_f32 v60, v93, v8
	s_cbranch_scc1 .LBB40_122
.LBB40_61:                              ;   Parent Loop BB40_12 Depth=1
                                        ; =>  This Inner Loop Header: Depth=2
	s_lshl_b64 s[28:29], s[34:35], 2
	s_mov_b32 s39, s35
	s_add_u32 s28, s63, s28
	s_addc_u32 s29, s64, s29
	v_dual_mov_b32 v2, 0 :: v_dual_mov_b32 v3, 0
	global_load_b32 v81, v13, s[28:29]
	s_lshl_b64 s[28:29], s[38:39], 1
	s_delay_alu instid0(SALU_CYCLE_1)
	v_add_co_u32 v0, vcc_lo, v70, s28
	v_add_co_ci_u32_e32 v1, vcc_lo, s29, v71, vcc_lo
	s_and_saveexec_b32 s28, s12
	s_cbranch_execz .LBB40_63
; %bb.62:                               ;   in Loop: Header=BB40_61 Depth=2
	global_load_u16 v3, v[0:1], off
.LBB40_63:                              ;   in Loop: Header=BB40_61 Depth=2
	s_or_b32 exec_lo, exec_lo, s28
	s_and_saveexec_b32 s28, s13
	s_cbranch_execz .LBB40_65
; %bb.64:                               ;   in Loop: Header=BB40_61 Depth=2
	global_load_u16 v2, v[0:1], off offset:64
.LBB40_65:                              ;   in Loop: Header=BB40_61 Depth=2
	s_or_b32 exec_lo, exec_lo, s28
	v_dual_mov_b32 v4, 0 :: v_dual_mov_b32 v5, 0
	s_and_saveexec_b32 s28, s14
	s_cbranch_execz .LBB40_67
; %bb.66:                               ;   in Loop: Header=BB40_61 Depth=2
	global_load_u16 v5, v[0:1], off offset:128
.LBB40_67:                              ;   in Loop: Header=BB40_61 Depth=2
	s_or_b32 exec_lo, exec_lo, s28
	s_and_saveexec_b32 s28, s15
	s_cbranch_execz .LBB40_69
; %bb.68:                               ;   in Loop: Header=BB40_61 Depth=2
	global_load_u16 v4, v[0:1], off offset:192
.LBB40_69:                              ;   in Loop: Header=BB40_61 Depth=2
	s_or_b32 exec_lo, exec_lo, s28
	v_dual_mov_b32 v6, 0 :: v_dual_mov_b32 v7, 0
	s_and_saveexec_b32 s28, s16
	s_cbranch_execz .LBB40_71
; %bb.70:                               ;   in Loop: Header=BB40_61 Depth=2
	global_load_u16 v7, v[0:1], off offset:256
.LBB40_71:                              ;   in Loop: Header=BB40_61 Depth=2
	;; [unrolled: 13-line block ×3, first 2 shown]
	s_or_b32 exec_lo, exec_lo, s28
	s_and_saveexec_b32 s28, s19
	s_cbranch_execz .LBB40_77
; %bb.76:                               ;   in Loop: Header=BB40_61 Depth=2
	global_load_u16 v8, v[0:1], off offset:448
.LBB40_77:                              ;   in Loop: Header=BB40_61 Depth=2
	s_or_b32 exec_lo, exec_lo, s28
	s_waitcnt vmcnt(0)
	ds_store_b16 v20, v3
	ds_store_b16 v20, v2 offset:64
	ds_store_b16 v21, v5 offset:128
	;; [unrolled: 1-line block ×7, first 2 shown]
	; wave barrier
	ds_load_b128 v[4:7], v27
	s_mov_b32 s41, s35
	v_dual_mov_b32 v2, 0 :: v_dual_mov_b32 v3, 0
	s_lshl_b64 s[28:29], s[40:41], 1
	s_delay_alu instid0(SALU_CYCLE_1)
	v_add_co_u32 v0, vcc_lo, v72, s28
	v_add_co_ci_u32_e32 v1, vcc_lo, s29, v73, vcc_lo
	s_and_saveexec_b32 s28, s12
	s_cbranch_execz .LBB40_79
; %bb.78:                               ;   in Loop: Header=BB40_61 Depth=2
	global_load_u16 v3, v[0:1], off
.LBB40_79:                              ;   in Loop: Header=BB40_61 Depth=2
	s_or_b32 exec_lo, exec_lo, s28
	s_and_saveexec_b32 s28, s13
	s_cbranch_execz .LBB40_81
; %bb.80:                               ;   in Loop: Header=BB40_61 Depth=2
	global_load_u16 v2, v[0:1], off offset:64
.LBB40_81:                              ;   in Loop: Header=BB40_61 Depth=2
	s_or_b32 exec_lo, exec_lo, s28
	v_dual_mov_b32 v8, 0 :: v_dual_mov_b32 v9, 0
	s_and_saveexec_b32 s28, s14
	s_cbranch_execz .LBB40_83
; %bb.82:                               ;   in Loop: Header=BB40_61 Depth=2
	global_load_u16 v9, v[0:1], off offset:128
.LBB40_83:                              ;   in Loop: Header=BB40_61 Depth=2
	s_or_b32 exec_lo, exec_lo, s28
	s_and_saveexec_b32 s28, s15
	s_cbranch_execz .LBB40_85
; %bb.84:                               ;   in Loop: Header=BB40_61 Depth=2
	global_load_u16 v8, v[0:1], off offset:192
.LBB40_85:                              ;   in Loop: Header=BB40_61 Depth=2
	s_or_b32 exec_lo, exec_lo, s28
	v_dual_mov_b32 v82, 0 :: v_dual_mov_b32 v83, 0
	s_and_saveexec_b32 s28, s16
	s_cbranch_execz .LBB40_87
; %bb.86:                               ;   in Loop: Header=BB40_61 Depth=2
	global_load_u16 v83, v[0:1], off offset:256
.LBB40_87:                              ;   in Loop: Header=BB40_61 Depth=2
	;; [unrolled: 13-line block ×3, first 2 shown]
	s_or_b32 exec_lo, exec_lo, s28
	s_and_saveexec_b32 s28, s19
	s_cbranch_execz .LBB40_93
; %bb.92:                               ;   in Loop: Header=BB40_61 Depth=2
	global_load_u16 v84, v[0:1], off offset:448
.LBB40_93:                              ;   in Loop: Header=BB40_61 Depth=2
	s_or_b32 exec_lo, exec_lo, s28
	s_waitcnt vmcnt(0)
	ds_store_b16 v20, v3 offset:1056
	ds_store_b16 v28, v2 offset:64
	;; [unrolled: 1-line block ×8, first 2 shown]
	; wave barrier
	ds_load_b128 v[0:3], v27 offset:1056
	s_and_not1_b32 vcc_lo, exec_lo, s31
	s_cbranch_vccnz .LBB40_95
; %bb.94:                               ;   in Loop: Header=BB40_61 Depth=2
	v_mov_b32_e32 v8, s72
	ds_load_b64 v[8:9], v8
	s_cbranch_execz .LBB40_96
	s_branch .LBB40_99
.LBB40_95:                              ;   in Loop: Header=BB40_61 Depth=2
                                        ; implicit-def: $vgpr8
.LBB40_96:                              ;   in Loop: Header=BB40_61 Depth=2
	s_waitcnt lgkmcnt(0)
	v_mov_b32_e32 v9, 0
	s_and_not1_b32 vcc_lo, exec_lo, s33
	s_cbranch_vccnz .LBB40_98
; %bb.97:                               ;   in Loop: Header=BB40_61 Depth=2
	s_mov_b32 s43, s35
	s_delay_alu instid0(SALU_CYCLE_1) | instskip(NEXT) | instid1(SALU_CYCLE_1)
	s_lshl_b64 s[28:29], s[42:43], 2
	s_add_u32 s28, s53, s28
	s_addc_u32 s29, s66, s29
	global_load_b32 v9, v13, s[28:29]
.LBB40_98:                              ;   in Loop: Header=BB40_61 Depth=2
	v_mov_b32_e32 v8, 1.0
.LBB40_99:                              ;   in Loop: Header=BB40_61 Depth=2
	v_mul_f32_e32 v91, 0x3fb8aa3b, v81
	s_waitcnt lgkmcnt(9)
	v_lshlrev_b32_e32 v81, 16, v4
	v_and_b32_e32 v4, 0xffff0000, v4
	s_delay_alu instid0(VALU_DEP_1) | instskip(SKIP_1) | instid1(VALU_DEP_4)
	v_mul_f32_e32 v4, v79, v4
	v_mul_f32_e32 v82, v91, v53
	;; [unrolled: 1-line block ×3, first 2 shown]
	v_dual_mul_f32 v84, v91, v54 :: v_dual_lshlrev_b32 v83, 16, v5
	v_mul_f32_e32 v86, v91, v55
	s_delay_alu instid0(VALU_DEP_4) | instskip(SKIP_1) | instid1(VALU_DEP_4)
	v_cmp_gt_f32_e32 vcc_lo, 0xc2fc0000, v82
	v_dual_mul_f32 v88, v91, v58 :: v_dual_lshlrev_b32 v93, 16, v7
	v_cmp_gt_f32_e64 s28, 0xc2fc0000, v84
	s_delay_alu instid0(VALU_DEP_4)
	v_cmp_gt_f32_e64 s29, 0xc2fc0000, v86
	v_cndmask_b32_e64 v82, 0, 0x42800000, vcc_lo
	v_lshlrev_b32_e32 v85, 16, v6
	v_cndmask_b32_e64 v89, 1.0, 0x1f800000, vcc_lo
	v_cndmask_b32_e64 v84, 0, 0x42800000, s28
	v_and_b32_e32 v5, 0xffff0000, v5
	v_fmac_f32_e32 v82, v91, v53
	v_cndmask_b32_e64 v86, 0, 0x42800000, s29
	v_cndmask_b32_e64 v90, 1.0, 0x1f800000, s28
	v_fmac_f32_e32 v84, v91, v54
	v_cmp_gt_f32_e32 vcc_lo, 0xc2fc0000, v88
	v_exp_f32_e32 v82, v82
	v_and_b32_e32 v7, 0xffff0000, v7
	v_dual_fmac_f32 v86, v91, v55 :: v_dual_mul_f32 v5, v77, v5
	v_exp_f32_e32 v87, v84
	v_cndmask_b32_e64 v84, 0, v81, s20
	v_cndmask_b32_e64 v81, 0, v4, s21
	v_cndmask_b32_e64 v88, 0, 0x42800000, vcc_lo
	v_dual_mul_f32 v83, v78, v83 :: v_dual_and_b32 v6, 0xffff0000, v6
	s_delay_alu instid0(TRANS32_DEP_2) | instskip(SKIP_1) | instid1(VALU_DEP_3)
	v_mul_f32_e32 v4, v82, v89
	v_exp_f32_e32 v89, v86
	v_dual_fmac_f32 v88, v91, v58 :: v_dual_mul_f32 v93, v74, v93
	s_delay_alu instid0(TRANS32_DEP_2) | instskip(NEXT) | instid1(VALU_DEP_3)
	v_dual_mul_f32 v82, v87, v90 :: v_dual_mul_f32 v85, v76, v85
	v_cndmask_b32_e64 v86, 1.0, v4, s20
	v_dual_mul_f32 v4, v91, v65 :: v_dual_mul_f32 v7, v69, v7
	s_delay_alu instid0(VALU_DEP_3) | instskip(SKIP_2) | instid1(VALU_DEP_4)
	v_cndmask_b32_e64 v87, 1.0, v82, s21
	v_cndmask_b32_e64 v82, 1.0, 0x1f800000, s29
	v_mul_f32_e32 v90, v91, v66
	v_cmp_gt_f32_e64 s28, 0xc2fc0000, v4
	v_exp_f32_e32 v88, v88
	v_mul_f32_e32 v95, v91, v68
	v_mul_f32_e32 v89, v89, v82
	v_cndmask_b32_e64 v82, 0, v83, s22
	v_cndmask_b32_e64 v4, 0, 0x42800000, s28
	v_cndmask_b32_e64 v83, 1.0, 0x1f800000, vcc_lo
	v_cmp_gt_f32_e32 vcc_lo, 0xc2fc0000, v90
	v_mul_f32_e32 v6, v75, v6
	v_cndmask_b32_e64 v89, 1.0, v89, s22
	v_fmac_f32_e32 v4, v91, v65
	v_mul_f32_e32 v88, v88, v83
	v_cndmask_b32_e64 v92, 0, 0x42800000, vcc_lo
	v_cndmask_b32_e64 v83, 0, v5, s23
	v_cndmask_b32_e64 v5, 1.0, 0x1f800000, s28
	v_exp_f32_e32 v4, v4
	v_cndmask_b32_e64 v90, 1.0, v88, s23
	v_fmac_f32_e32 v92, v91, v66
	v_cmp_gt_f32_e64 s28, 0xc2fc0000, v95
	v_fma_f32 v95, v87, v84, v81
	v_cndmask_b32_e64 v85, 0, v85, s24
	s_delay_alu instid0(VALU_DEP_4) | instskip(SKIP_1) | instid1(TRANS32_DEP_2)
	v_exp_f32_e32 v88, v92
	v_mul_f32_e32 v92, v91, v67
	v_mul_f32_e32 v4, v4, v5
	v_cndmask_b32_e64 v5, 1.0, 0x1f800000, vcc_lo
	s_delay_alu instid0(VALU_DEP_3) | instskip(NEXT) | instid1(VALU_DEP_3)
	v_cmp_gt_f32_e32 vcc_lo, 0xc2fc0000, v92
	v_cndmask_b32_e64 v92, 1.0, v4, s24
	s_waitcnt_depctr 0xfff
	v_mul_f32_e32 v4, v88, v5
	v_cndmask_b32_e64 v94, 0, 0x42800000, vcc_lo
	v_cndmask_b32_e64 v88, 0, v6, s25
	v_cndmask_b32_e64 v5, 0, 0x42800000, s28
	v_mul_f32_e32 v6, v87, v86
	v_cndmask_b32_e64 v96, 1.0, v4, s25
	v_fmac_f32_e32 v94, v91, v67
	s_delay_alu instid0(VALU_DEP_3) | instskip(SKIP_1) | instid1(VALU_DEP_3)
	v_dual_fmac_f32 v5, v91, v68 :: v_dual_mul_f32 v4, v6, v89
	v_fma_f32 v6, v95, v89, v82
	v_exp_f32_e32 v94, v94
	v_cndmask_b32_e64 v91, 1.0, 0x1f800000, vcc_lo
	s_delay_alu instid0(VALU_DEP_3) | instskip(SKIP_2) | instid1(VALU_DEP_2)
	v_exp_f32_e32 v5, v5
	v_mul_f32_e32 v4, v4, v90
	v_fma_f32 v6, v6, v90, v83
	v_mul_f32_e32 v4, v4, v92
	s_delay_alu instid0(VALU_DEP_2) | instskip(NEXT) | instid1(TRANS32_DEP_2)
	v_fma_f32 v6, v6, v92, v85
	v_mul_f32_e32 v94, v94, v91
	v_cndmask_b32_e64 v91, 0, v93, s26
	v_cndmask_b32_e64 v93, 1.0, 0x1f800000, s28
	v_mul_f32_e32 v4, v4, v96
	v_fma_f32 v6, v6, v96, v88
	v_cndmask_b32_e64 v94, 1.0, v94, s26
	s_delay_alu instid0(VALU_DEP_4) | instskip(SKIP_1) | instid1(VALU_DEP_3)
	v_mul_f32_e32 v5, v5, v93
	v_cndmask_b32_e64 v93, 0, v7, s27
	v_mul_f32_e32 v4, v4, v94
	s_delay_alu instid0(VALU_DEP_3) | instskip(SKIP_1) | instid1(VALU_DEP_2)
	v_cndmask_b32_e64 v95, 1.0, v5, s27
	v_fma_f32 v5, v6, v94, v91
	v_mul_f32_e32 v4, v4, v95
	s_delay_alu instid0(VALU_DEP_2) | instskip(NEXT) | instid1(VALU_DEP_2)
	v_fma_f32 v5, v5, v95, v93
	v_mov_b32_dpp v7, v4 row_shr:1 row_mask:0xf bank_mask:0xf
	s_delay_alu instid0(VALU_DEP_2)
	v_mov_b32_dpp v6, v5 row_shr:1 row_mask:0xf bank_mask:0xf
	s_and_saveexec_b32 s28, s0
; %bb.100:                              ;   in Loop: Header=BB40_61 Depth=2
	s_delay_alu instid0(VALU_DEP_2) | instskip(NEXT) | instid1(VALU_DEP_1)
	v_mul_f32_e32 v7, v4, v7
	v_dual_fmac_f32 v5, v4, v6 :: v_dual_mov_b32 v4, v7
; %bb.101:                              ;   in Loop: Header=BB40_61 Depth=2
	s_or_b32 exec_lo, exec_lo, s28
	s_delay_alu instid0(VALU_DEP_1) | instskip(NEXT) | instid1(VALU_DEP_2)
	v_mov_b32_dpp v6, v4 row_shr:2 row_mask:0xf bank_mask:0xf
	v_mov_b32_dpp v7, v5 row_shr:2 row_mask:0xf bank_mask:0xf
	s_and_saveexec_b32 s28, s1
; %bb.102:                              ;   in Loop: Header=BB40_61 Depth=2
	s_delay_alu instid0(VALU_DEP_1) | instskip(NEXT) | instid1(VALU_DEP_3)
	v_fmac_f32_e32 v5, v4, v7
	v_mul_f32_e32 v4, v4, v6
; %bb.103:                              ;   in Loop: Header=BB40_61 Depth=2
	s_or_b32 exec_lo, exec_lo, s28
	s_delay_alu instid0(VALU_DEP_1) | instskip(NEXT) | instid1(VALU_DEP_3)
	v_mov_b32_dpp v6, v4 row_shr:4 row_mask:0xf bank_mask:0xf
	v_mov_b32_dpp v7, v5 row_shr:4 row_mask:0xf bank_mask:0xf
	s_and_saveexec_b32 s28, s2
; %bb.104:                              ;   in Loop: Header=BB40_61 Depth=2
	s_delay_alu instid0(VALU_DEP_1) | instskip(NEXT) | instid1(VALU_DEP_3)
	v_fmac_f32_e32 v5, v4, v7
	v_mul_f32_e32 v4, v4, v6
; %bb.105:                              ;   in Loop: Header=BB40_61 Depth=2
	s_or_b32 exec_lo, exec_lo, s28
	s_delay_alu instid0(VALU_DEP_1) | instskip(NEXT) | instid1(VALU_DEP_3)
	v_mov_b32_dpp v6, v4 row_shr:8 row_mask:0xf bank_mask:0xf
	v_mov_b32_dpp v7, v5 row_shr:8 row_mask:0xf bank_mask:0xf
	s_and_saveexec_b32 s28, s3
; %bb.106:                              ;   in Loop: Header=BB40_61 Depth=2
	s_delay_alu instid0(VALU_DEP_1) | instskip(NEXT) | instid1(VALU_DEP_3)
	v_fmac_f32_e32 v5, v4, v7
	v_mul_f32_e32 v4, v4, v6
; %bb.107:                              ;   in Loop: Header=BB40_61 Depth=2
	s_or_b32 exec_lo, exec_lo, s28
	ds_swizzle_b32 v7, v4 offset:swizzle(BROADCAST,32,15)
	ds_swizzle_b32 v6, v5 offset:swizzle(BROADCAST,32,15)
	s_and_saveexec_b32 s28, s4
	s_cbranch_execz .LBB40_109
; %bb.108:                              ;   in Loop: Header=BB40_61 Depth=2
	s_waitcnt lgkmcnt(1)
	v_mul_f32_e32 v7, v4, v7
	s_waitcnt lgkmcnt(0)
	s_delay_alu instid0(VALU_DEP_1)
	v_dual_fmac_f32 v5, v4, v6 :: v_dual_mov_b32 v4, v7
.LBB40_109:                             ;   in Loop: Header=BB40_61 Depth=2
	s_or_b32 exec_lo, exec_lo, s28
	s_and_saveexec_b32 s28, s5
	s_cbranch_execz .LBB40_111
; %bb.110:                              ;   in Loop: Header=BB40_61 Depth=2
	ds_store_b64 v35, v[4:5] offset:2112
.LBB40_111:                             ;   in Loop: Header=BB40_61 Depth=2
	s_or_b32 exec_lo, exec_lo, s28
	s_waitcnt vmcnt(0) lgkmcnt(0)
	s_waitcnt_vscnt null, 0x0
	s_barrier
	buffer_gl0_inv
	s_and_saveexec_b32 s28, s6
	s_cbranch_execz .LBB40_113
; %bb.112:                              ;   in Loop: Header=BB40_61 Depth=2
	ds_load_b64 v[6:7], v36 offset:2112
	s_waitcnt lgkmcnt(0)
	v_mov_b32_dpp v97, v6 row_shr:1 row_mask:0xf bank_mask:0xf
	v_mov_b32_dpp v98, v7 row_shr:1 row_mask:0xf bank_mask:0xf
	s_delay_alu instid0(VALU_DEP_2) | instskip(NEXT) | instid1(VALU_DEP_2)
	v_mul_f32_e32 v97, v6, v97
	v_fma_f32 v98, v6, v98, v7
	s_delay_alu instid0(VALU_DEP_2) | instskip(NEXT) | instid1(VALU_DEP_2)
	v_cndmask_b32_e64 v6, v97, v6, s7
	v_cndmask_b32_e64 v7, v98, v7, s7
	ds_store_b64 v36, v[6:7] offset:2112
.LBB40_113:                             ;   in Loop: Header=BB40_61 Depth=2
	s_or_b32 exec_lo, exec_lo, s28
	s_waitcnt lgkmcnt(0)
	s_barrier
	buffer_gl0_inv
                                        ; implicit-def: $vgpr7
	s_and_saveexec_b32 s28, s9
	s_cbranch_execz .LBB40_115
; %bb.114:                              ;   in Loop: Header=BB40_61 Depth=2
	ds_load_b64 v[6:7], v35 offset:2104
	s_waitcnt lgkmcnt(0)
	v_mul_f32_e32 v97, v4, v6
	s_delay_alu instid0(VALU_DEP_1)
	v_dual_fmac_f32 v5, v4, v7 :: v_dual_mov_b32 v4, v97
.LBB40_115:                             ;   in Loop: Header=BB40_61 Depth=2
	s_or_b32 exec_lo, exec_lo, s28
	ds_bpermute_b32 v97, v37, v4
	ds_bpermute_b32 v98, v37, v5
	s_and_saveexec_b32 s28, s8
	s_cbranch_execz .LBB40_119
; %bb.116:                              ;   in Loop: Header=BB40_61 Depth=2
	ds_load_b64 v[4:5], v13 offset:2120
	s_and_saveexec_b32 s29, s10
	s_cbranch_execz .LBB40_118
; %bb.117:                              ;   in Loop: Header=BB40_61 Depth=2
	ds_store_b64 v13, v[8:9] offset:2120
.LBB40_118:                             ;   in Loop: Header=BB40_61 Depth=2
	s_or_b32 exec_lo, exec_lo, s29
	s_waitcnt lgkmcnt(0)
	v_fmac_f32_e32 v5, v9, v4
	s_delay_alu instid0(VALU_DEP_1)
	v_dual_mul_f32 v8, v8, v4 :: v_dual_mov_b32 v9, v5
.LBB40_119:                             ;   in Loop: Header=BB40_61 Depth=2
	s_or_b32 exec_lo, exec_lo, s28
	s_waitcnt lgkmcnt(0)
	s_barrier
	buffer_gl0_inv
	ds_load_b32 v4, v13 offset:2124
	s_and_saveexec_b32 s28, s10
	s_cbranch_execz .LBB40_60
; %bb.120:                              ;   in Loop: Header=BB40_61 Depth=2
	v_mov_b32_e32 v5, s72
	s_and_not1_b32 vcc_lo, exec_lo, s57
	ds_store_b64 v5, v[8:9]
	s_cbranch_vccnz .LBB40_60
; %bb.121:                              ;   in Loop: Header=BB40_61 Depth=2
	s_mov_b32 s43, s35
	s_delay_alu instid0(SALU_CYCLE_1) | instskip(NEXT) | instid1(SALU_CYCLE_1)
	s_lshl_b64 s[74:75], s[42:43], 2
	s_add_u32 s74, s53, s74
	s_addc_u32 s75, s66, s75
	global_store_b32 v13, v9, s[74:75]
	s_branch .LBB40_60
.LBB40_122:                             ;   in Loop: Header=BB40_12 Depth=1
	v_bfe_u32 v0, v63, 16, 1
	v_bfe_u32 v2, v61, 16, 1
	;; [unrolled: 1-line block ×3, first 2 shown]
	v_cmp_o_f32_e32 vcc_lo, v63, v63
	v_bfe_u32 v4, v59, 16, 1
	v_add3_u32 v0, v63, v0, 0x7fff
	v_add3_u32 v2, v61, v2, 0x7fff
	;; [unrolled: 1-line block ×3, first 2 shown]
	v_bfe_u32 v5, v57, 16, 1
	v_bfe_u32 v6, v56, 16, 1
	v_lshrrev_b32_e32 v0, 16, v0
	v_lshrrev_b32_e32 v2, 16, v2
	;; [unrolled: 1-line block ×3, first 2 shown]
	v_bfe_u32 v7, v60, 16, 1
	v_add3_u32 v4, v59, v4, 0x7fff
	v_cndmask_b32_e32 v0, 0x7fc0, v0, vcc_lo
	v_cmp_o_f32_e32 vcc_lo, v61, v61
	v_add3_u32 v6, v56, v6, 0x7fff
	v_bfe_u32 v1, v64, 16, 1
	s_waitcnt_vscnt null, 0x0
	s_barrier
	v_cndmask_b32_e32 v8, 0x7fc0, v2, vcc_lo
	v_cmp_o_f32_e32 vcc_lo, v62, v62
	v_add3_u32 v2, v57, v5, 0x7fff
	v_add3_u32 v5, v60, v7, 0x7fff
	v_add3_u32 v1, v64, v1, 0x7fff
	buffer_gl0_inv
	v_cndmask_b32_e32 v7, 0x7fc0, v3, vcc_lo
	v_lshrrev_b32_e32 v3, 16, v4
	v_cmp_o_f32_e32 vcc_lo, v59, v59
	v_lshrrev_b32_e32 v4, 16, v6
	v_lshrrev_b32_e32 v5, 16, v5
	;; [unrolled: 1-line block ×4, first 2 shown]
	v_cndmask_b32_e32 v6, 0x7fc0, v3, vcc_lo
	v_cmp_o_f32_e32 vcc_lo, v56, v56
	s_mov_b32 s31, s35
	s_delay_alu instid0(SALU_CYCLE_1) | instskip(SKIP_4) | instid1(VALU_DEP_2)
	s_lshl_b64 s[24:25], s[30:31], 1
	v_cndmask_b32_e32 v3, 0x7fc0, v4, vcc_lo
	v_cmp_o_f32_e32 vcc_lo, v60, v60
	v_cndmask_b32_e32 v4, 0x7fc0, v5, vcc_lo
	v_cmp_o_f32_e32 vcc_lo, v57, v57
	v_perm_b32 v3, v4, v3, 0x5040100
	v_cndmask_b32_e32 v2, 0x7fc0, v2, vcc_lo
	v_cmp_o_f32_e32 vcc_lo, v64, v64
	s_delay_alu instid0(VALU_DEP_2) | instskip(SKIP_2) | instid1(VALU_DEP_2)
	v_perm_b32 v2, v2, v6, 0x5040100
	v_cndmask_b32_e32 v5, 0x7fc0, v1, vcc_lo
	v_perm_b32 v1, v7, v8, 0x5040100
	v_perm_b32 v0, v5, v0, 0x5040100
	ds_store_b128 v27, v[0:3]
	; wave barrier
	ds_load_u16 v8, v20 offset:64
	ds_load_u16 v7, v21 offset:128
	;; [unrolled: 1-line block ×7, first 2 shown]
	v_add_co_u32 v0, vcc_lo, v38, s24
	v_add_co_ci_u32_e32 v1, vcc_lo, s25, v39, vcc_lo
	s_and_saveexec_b32 s20, s12
	s_cbranch_execnz .LBB40_157
; %bb.123:                              ;   in Loop: Header=BB40_12 Depth=1
	s_or_b32 exec_lo, exec_lo, s20
	s_and_saveexec_b32 s20, s13
	s_cbranch_execnz .LBB40_158
.LBB40_124:                             ;   in Loop: Header=BB40_12 Depth=1
	s_or_b32 exec_lo, exec_lo, s20
	s_and_saveexec_b32 s20, s14
	s_cbranch_execnz .LBB40_159
.LBB40_125:                             ;   in Loop: Header=BB40_12 Depth=1
	s_or_b32 exec_lo, exec_lo, s20
	s_and_saveexec_b32 s20, s15
	s_cbranch_execnz .LBB40_160
.LBB40_126:                             ;   in Loop: Header=BB40_12 Depth=1
	s_or_b32 exec_lo, exec_lo, s20
	s_and_saveexec_b32 s20, s16
	s_cbranch_execnz .LBB40_161
.LBB40_127:                             ;   in Loop: Header=BB40_12 Depth=1
	s_or_b32 exec_lo, exec_lo, s20
	s_and_saveexec_b32 s20, s17
	s_cbranch_execnz .LBB40_162
.LBB40_128:                             ;   in Loop: Header=BB40_12 Depth=1
	s_or_b32 exec_lo, exec_lo, s20
	s_and_saveexec_b32 s20, s18
	s_cbranch_execnz .LBB40_163
.LBB40_129:                             ;   in Loop: Header=BB40_12 Depth=1
	s_or_b32 exec_lo, exec_lo, s20
	s_and_saveexec_b32 s20, s19
	s_cbranch_execz .LBB40_131
.LBB40_130:                             ;   in Loop: Header=BB40_12 Depth=1
	s_waitcnt lgkmcnt(0)
	global_store_b16 v[0:1], v2, off offset:448
.LBB40_131:                             ;   in Loop: Header=BB40_12 Depth=1
	s_or_b32 exec_lo, exec_lo, s20
	v_add_co_u32 v0, vcc_lo, v40, s24
	v_add_co_ci_u32_e32 v1, vcc_lo, s25, v41, vcc_lo
	s_waitcnt lgkmcnt(0)
	v_dual_mov_b32 v2, 0 :: v_dual_mov_b32 v3, 0
	s_waitcnt_vscnt null, 0x0
	s_barrier
	buffer_gl0_inv
	s_and_saveexec_b32 s20, s12
	s_cbranch_execz .LBB40_133
; %bb.132:                              ;   in Loop: Header=BB40_12 Depth=1
	global_load_u16 v3, v[0:1], off
.LBB40_133:                             ;   in Loop: Header=BB40_12 Depth=1
	s_or_b32 exec_lo, exec_lo, s20
	s_and_saveexec_b32 s20, s13
	s_cbranch_execz .LBB40_135
; %bb.134:                              ;   in Loop: Header=BB40_12 Depth=1
	global_load_u16 v2, v[0:1], off offset:64
.LBB40_135:                             ;   in Loop: Header=BB40_12 Depth=1
	s_or_b32 exec_lo, exec_lo, s20
	v_dual_mov_b32 v4, 0 :: v_dual_mov_b32 v5, 0
	s_and_saveexec_b32 s20, s14
	s_cbranch_execz .LBB40_137
; %bb.136:                              ;   in Loop: Header=BB40_12 Depth=1
	global_load_u16 v5, v[0:1], off offset:128
.LBB40_137:                             ;   in Loop: Header=BB40_12 Depth=1
	s_or_b32 exec_lo, exec_lo, s20
	s_and_saveexec_b32 s20, s15
	s_cbranch_execz .LBB40_139
; %bb.138:                              ;   in Loop: Header=BB40_12 Depth=1
	global_load_u16 v4, v[0:1], off offset:192
.LBB40_139:                             ;   in Loop: Header=BB40_12 Depth=1
	s_or_b32 exec_lo, exec_lo, s20
	v_dual_mov_b32 v6, 0 :: v_dual_mov_b32 v7, 0
	s_and_saveexec_b32 s20, s16
	s_cbranch_execz .LBB40_141
; %bb.140:                              ;   in Loop: Header=BB40_12 Depth=1
	global_load_u16 v7, v[0:1], off offset:256
.LBB40_141:                             ;   in Loop: Header=BB40_12 Depth=1
	;; [unrolled: 13-line block ×3, first 2 shown]
	s_or_b32 exec_lo, exec_lo, s20
	s_and_saveexec_b32 s20, s19
	s_cbranch_execz .LBB40_147
; %bb.146:                              ;   in Loop: Header=BB40_12 Depth=1
	global_load_u16 v8, v[0:1], off offset:448
.LBB40_147:                             ;   in Loop: Header=BB40_12 Depth=1
	s_or_b32 exec_lo, exec_lo, s20
	s_waitcnt vmcnt(0)
	ds_store_b16 v20, v3
	ds_store_b16 v20, v2 offset:64
	ds_store_b16 v21, v5 offset:128
	;; [unrolled: 1-line block ×7, first 2 shown]
	; wave barrier
	ds_load_b128 v[0:3], v27
	s_waitcnt lgkmcnt(0)
	s_barrier
	buffer_gl0_inv
	v_and_b32_e32 v4, 0xffff0000, v0
	v_and_b32_e32 v5, 0xffff0000, v1
	v_lshlrev_b32_e32 v1, 16, v1
	s_delay_alu instid0(VALU_DEP_1) | instskip(NEXT) | instid1(VALU_DEP_1)
	v_dual_mul_f32 v9, 0xbfb8aa3b, v1 :: v_dual_lshlrev_b32 v0, 16, v0
	v_mul_f32_e32 v7, 0xbfb8aa3b, v0
	s_delay_alu instid0(VALU_DEP_2) | instskip(NEXT) | instid1(VALU_DEP_2)
	v_rndne_f32_e32 v67, v9
	v_rndne_f32_e32 v55, v7
	v_fma_f32 v58, 0xbfb8aa3b, v0, -v7
	s_delay_alu instid0(VALU_DEP_2) | instskip(SKIP_3) | instid1(VALU_DEP_4)
	v_dual_sub_f32 v7, v7, v55 :: v_dual_mul_f32 v6, 0xbfb8aa3b, v4
	v_fma_f32 v68, 0xbfb8aa3b, v1, -v9
	v_cvt_i32_f32_e32 v55, v55
	v_cmp_nlt_f32_e32 vcc_lo, 0x42ce8ed0, v4
	v_rndne_f32_e32 v54, v6
	v_fma_f32 v53, 0xbfb8aa3b, v4, -v6
	s_delay_alu instid0(VALU_DEP_2) | instskip(SKIP_2) | instid1(VALU_DEP_2)
	v_sub_f32_e32 v6, v6, v54
	v_mul_f32_e32 v8, 0xbfb8aa3b, v5
	v_cvt_i32_f32_e32 v54, v54
	v_rndne_f32_e32 v66, v8
	v_fmac_f32_e32 v53, 0xb2a5705f, v4
	v_fma_f32 v65, 0xbfb8aa3b, v5, -v8
	v_fmac_f32_e32 v58, 0xb2a5705f, v0
	s_delay_alu instid0(VALU_DEP_4) | instskip(NEXT) | instid1(VALU_DEP_4)
	v_dual_sub_f32 v8, v8, v66 :: v_dual_sub_f32 v9, v9, v67
	v_add_f32_e32 v6, v6, v53
	s_delay_alu instid0(VALU_DEP_4) | instskip(NEXT) | instid1(VALU_DEP_4)
	v_fmac_f32_e32 v65, 0xb2a5705f, v5
	v_dual_fmac_f32 v68, 0xb2a5705f, v1 :: v_dual_add_f32 v7, v7, v58
	v_cvt_i32_f32_e32 v58, v66
	s_delay_alu instid0(VALU_DEP_4) | instskip(NEXT) | instid1(VALU_DEP_2)
	v_exp_f32_e32 v6, v6
	v_dual_add_f32 v8, v8, v65 :: v_dual_add_f32 v9, v9, v68
	s_delay_alu instid0(VALU_DEP_3) | instskip(NEXT) | instid1(VALU_DEP_1)
	v_exp_f32_e32 v7, v7
	v_exp_f32_e32 v8, v8
	s_delay_alu instid0(VALU_DEP_1) | instskip(SKIP_2) | instid1(TRANS32_DEP_3)
	v_exp_f32_e32 v9, v9
	v_ldexp_f32 v6, v6, v54
	v_cvt_i32_f32_e32 v54, v67
	v_ldexp_f32 v7, v7, v55
	s_delay_alu instid0(VALU_DEP_3) | instskip(SKIP_1) | instid1(TRANS32_DEP_2)
	v_cndmask_b32_e32 v6, 0, v6, vcc_lo
	v_cmp_nlt_f32_e32 vcc_lo, 0x42ce8ed0, v0
	v_ldexp_f32 v8, v8, v58
	s_delay_alu instid0(TRANS32_DEP_1) | instskip(SKIP_4) | instid1(VALU_DEP_4)
	v_ldexp_f32 v9, v9, v54
	v_cndmask_b32_e32 v7, 0, v7, vcc_lo
	v_cmp_ngt_f32_e32 vcc_lo, 0xc2b17218, v4
	v_cndmask_b32_e32 v6, 0x7f800000, v6, vcc_lo
	v_cmp_ngt_f32_e32 vcc_lo, 0xc2b17218, v0
	v_cndmask_b32_e32 v7, 0x7f800000, v7, vcc_lo
	v_cmp_nlt_f32_e32 vcc_lo, 0x42ce8ed0, v5
	v_and_b32_e32 v53, 0xffff0000, v2
	s_delay_alu instid0(VALU_DEP_3) | instskip(SKIP_3) | instid1(VALU_DEP_4)
	v_dual_add_f32 v7, 1.0, v7 :: v_dual_cndmask_b32 v8, 0, v8
	v_add_f32_e32 v6, 1.0, v6
	v_cmp_nlt_f32_e32 vcc_lo, 0x42ce8ed0, v1
	v_lshlrev_b32_e32 v2, 16, v2
	v_div_scale_f32 v55, null, v7, v7, v0
	s_delay_alu instid0(VALU_DEP_4) | instskip(SKIP_2) | instid1(VALU_DEP_4)
	v_div_scale_f32 v54, null, v6, v6, v4
	v_cndmask_b32_e32 v9, 0, v9, vcc_lo
	v_cmp_ngt_f32_e32 vcc_lo, 0xc2b17218, v5
	v_rcp_f32_e32 v66, v55
	s_delay_alu instid0(VALU_DEP_3)
	v_rcp_f32_e32 v65, v54
	v_div_scale_f32 v72, s20, v0, v7, v0
	v_cndmask_b32_e32 v8, 0x7f800000, v8, vcc_lo
	v_cmp_ngt_f32_e32 vcc_lo, 0xc2b17218, v1
	v_cndmask_b32_e32 v9, 0x7f800000, v9, vcc_lo
	s_waitcnt_depctr 0xfff
	v_fma_f32 v70, -v54, v65, 1.0
	v_fma_f32 v71, -v55, v66, 1.0
	v_div_scale_f32 v67, vcc_lo, v4, v6, v4
	v_dual_add_f32 v9, 1.0, v9 :: v_dual_add_f32 v8, 1.0, v8
	s_delay_alu instid0(VALU_DEP_3) | instskip(SKIP_1) | instid1(VALU_DEP_3)
	v_dual_fmac_f32 v65, v70, v65 :: v_dual_fmac_f32 v66, v71, v66
	v_mul_f32_e32 v58, 0xbfb8aa3b, v53
	v_div_scale_f32 v69, null, v9, v9, v1
	s_delay_alu instid0(VALU_DEP_4) | instskip(NEXT) | instid1(VALU_DEP_4)
	v_div_scale_f32 v68, null, v8, v8, v5
	v_mul_f32_e32 v77, v72, v66
	s_delay_alu instid0(VALU_DEP_3) | instskip(SKIP_1) | instid1(VALU_DEP_3)
	v_rcp_f32_e32 v74, v69
	v_fma_f32 v71, 0xbfb8aa3b, v53, -v58
	v_rcp_f32_e32 v73, v68
	v_div_scale_f32 v78, s21, v5, v8, v5
	v_fma_f32 v82, -v55, v77, v72
	v_mul_f32_e32 v76, v67, v65
	v_div_scale_f32 v83, s22, v1, v9, v1
	v_fmac_f32_e32 v71, 0xb2a5705f, v53
	s_delay_alu instid0(VALU_DEP_4) | instskip(NEXT) | instid1(VALU_DEP_4)
	v_fmac_f32_e32 v77, v82, v66
	v_fma_f32 v81, -v54, v76, v67
	s_delay_alu instid0(TRANS32_DEP_1)
	v_fma_f32 v79, -v68, v73, 1.0
	v_mul_f32_e32 v70, 0xbfb8aa3b, v2
	v_fma_f32 v80, -v69, v74, 1.0
	v_fma_f32 v55, -v55, v77, v72
	v_fmac_f32_e32 v76, v81, v65
	v_fmac_f32_e32 v73, v79, v73
	v_rndne_f32_e32 v75, v58
	v_fmac_f32_e32 v74, v80, v74
	s_delay_alu instid0(VALU_DEP_4) | instskip(NEXT) | instid1(VALU_DEP_4)
	v_fma_f32 v54, -v54, v76, v67
	v_mul_f32_e32 v79, v78, v73
	v_rndne_f32_e32 v67, v70
	s_delay_alu instid0(VALU_DEP_4) | instskip(NEXT) | instid1(VALU_DEP_4)
	v_mul_f32_e32 v80, v83, v74
	v_div_fmas_f32 v54, v54, v65, v76
	s_mov_b32 vcc_lo, s20
	v_fma_f32 v65, 0xbfb8aa3b, v2, -v70
	v_div_fmas_f32 v55, v55, v66, v77
	s_mov_b32 vcc_lo, s21
	v_div_fixup_f32 v4, v54, v6, v4
	v_fma_f32 v54, -v68, v79, v78
	v_and_b32_e32 v72, 0xffff0000, v3
	v_div_fixup_f32 v0, v55, v7, v0
	v_fma_f32 v66, -v69, v80, v83
	v_lshlrev_b32_e32 v3, 16, v3
	s_delay_alu instid0(VALU_DEP_4) | instskip(NEXT) | instid1(VALU_DEP_4)
	v_dual_fmac_f32 v79, v54, v73 :: v_dual_mul_f32 v76, 0xbfb8aa3b, v72
	v_mul_f32_e32 v0, v63, v0
	v_mul_f32_e32 v4, v64, v4
	v_sub_f32_e32 v58, v58, v75
	s_delay_alu instid0(VALU_DEP_4) | instskip(SKIP_2) | instid1(VALU_DEP_4)
	v_fma_f32 v55, -v68, v79, v78
	v_fmac_f32_e32 v65, 0xb2a5705f, v2
	v_bfe_u32 v63, v0, 16, 1
	v_add_f32_e32 v54, v58, v71
	s_delay_alu instid0(VALU_DEP_4) | instskip(SKIP_1) | instid1(VALU_DEP_3)
	v_div_fmas_f32 v55, v55, v73, v79
	s_mov_b32 vcc_lo, s22
	v_add3_u32 v63, v0, v63, 0x7fff
	s_delay_alu instid0(VALU_DEP_2) | instskip(SKIP_1) | instid1(VALU_DEP_3)
	v_div_fixup_f32 v5, v55, v8, v5
	v_rndne_f32_e32 v55, v76
	v_lshrrev_b32_e32 v8, 16, v63
	v_mul_f32_e32 v63, 0xbfb8aa3b, v3
	v_bfe_u32 v7, v4, 16, 1
	s_delay_alu instid0(VALU_DEP_4) | instskip(SKIP_1) | instid1(VALU_DEP_4)
	v_dual_mul_f32 v5, v62, v5 :: v_dual_sub_f32 v64, v76, v55
	v_fmac_f32_e32 v80, v66, v74
	v_fma_f32 v68, 0xbfb8aa3b, v3, -v63
	s_delay_alu instid0(VALU_DEP_4)
	v_add3_u32 v7, v4, v7, 0x7fff
	v_cvt_i32_f32_e32 v66, v67
	v_cvt_i32_f32_e32 v55, v55
	v_fma_f32 v58, -v69, v80, v83
	v_fmac_f32_e32 v68, 0xb2a5705f, v3
	v_lshrrev_b32_e32 v7, 16, v7
	v_sub_f32_e32 v6, v70, v67
	v_rndne_f32_e32 v67, v63
	v_div_fmas_f32 v58, v58, v74, v80
	v_cmp_o_f32_e32 vcc_lo, v4, v4
	v_bfe_u32 v73, v5, 16, 1
	s_delay_alu instid0(VALU_DEP_3)
	v_div_fixup_f32 v1, v58, v9, v1
	v_cndmask_b32_e32 v4, 0x7fc0, v7, vcc_lo
	v_fma_f32 v7, 0xbfb8aa3b, v72, -v76
	v_cmp_nlt_f32_e32 vcc_lo, 0x42ce8ed0, v53
	v_sub_f32_e32 v63, v63, v67
	v_mul_f32_e32 v1, v61, v1
	v_exp_f32_e32 v54, v54
	v_fmac_f32_e32 v7, 0xb2a5705f, v72
	v_add3_u32 v73, v5, v73, 0x7fff
	v_dual_add_f32 v63, v63, v68 :: v_dual_add_f32 v6, v6, v65
	v_cvt_i32_f32_e32 v65, v75
	s_delay_alu instid0(VALU_DEP_4) | instskip(SKIP_1) | instid1(VALU_DEP_4)
	v_add_f32_e32 v7, v64, v7
	v_bfe_u32 v77, v1, 16, 1
	v_exp_f32_e32 v63, v63
	v_exp_f32_e32 v6, v6
	s_delay_alu instid0(TRANS32_DEP_3) | instskip(SKIP_1) | instid1(VALU_DEP_1)
	v_ldexp_f32 v54, v54, v65
	v_exp_f32_e32 v7, v7
	v_cndmask_b32_e32 v54, 0, v54, vcc_lo
	v_cmp_nlt_f32_e32 vcc_lo, 0x42ce8ed0, v2
	s_waitcnt_depctr 0xfff
	v_ldexp_f32 v6, v6, v66
	v_ldexp_f32 v7, v7, v55
	v_cvt_i32_f32_e32 v55, v67
	s_delay_alu instid0(VALU_DEP_1) | instskip(NEXT) | instid1(VALU_DEP_4)
	v_ldexp_f32 v55, v63, v55
	v_cndmask_b32_e32 v6, 0, v6, vcc_lo
	v_cmp_ngt_f32_e32 vcc_lo, 0xc2b17218, v53
	v_cndmask_b32_e32 v54, 0x7f800000, v54, vcc_lo
	v_cmp_ngt_f32_e32 vcc_lo, 0xc2b17218, v2
	s_delay_alu instid0(VALU_DEP_4) | instskip(SKIP_3) | instid1(VALU_DEP_2)
	v_cndmask_b32_e32 v6, 0x7f800000, v6, vcc_lo
	v_cmp_nlt_f32_e32 vcc_lo, 0x42ce8ed0, v72
	v_cndmask_b32_e32 v7, 0, v7, vcc_lo
	v_cmp_ngt_f32_e32 vcc_lo, 0xc2b17218, v72
	v_cndmask_b32_e32 v7, 0x7f800000, v7, vcc_lo
	v_cmp_nlt_f32_e32 vcc_lo, 0x42ce8ed0, v3
	s_delay_alu instid0(VALU_DEP_2) | instskip(SKIP_3) | instid1(VALU_DEP_4)
	v_add_f32_e32 v7, 1.0, v7
	v_cndmask_b32_e32 v55, 0, v55, vcc_lo
	v_cmp_ngt_f32_e32 vcc_lo, 0xc2b17218, v3
	v_add_f32_e32 v54, 1.0, v54
	v_div_scale_f32 v66, null, v7, v7, v72
	s_delay_alu instid0(VALU_DEP_4) | instskip(NEXT) | instid1(VALU_DEP_3)
	v_cndmask_b32_e32 v55, 0x7f800000, v55, vcc_lo
	v_div_scale_f32 v64, null, v54, v54, v53
	s_delay_alu instid0(VALU_DEP_3) | instskip(NEXT) | instid1(VALU_DEP_2)
	v_rcp_f32_e32 v67, v66
	v_add_f32_e32 v55, 1.0, v55
	s_delay_alu instid0(VALU_DEP_2) | instskip(NEXT) | instid1(VALU_DEP_1)
	v_rcp_f32_e32 v63, v64
	v_div_scale_f32 v62, null, v55, v55, v3
	s_waitcnt_depctr 0xfff
	v_fma_f32 v61, -v66, v67, 1.0
	v_rcp_f32_e32 v69, v62
	v_fma_f32 v58, -v64, v63, 1.0
	s_delay_alu instid0(VALU_DEP_1) | instskip(NEXT) | instid1(VALU_DEP_1)
	v_dual_add_f32 v6, 1.0, v6 :: v_dual_fmac_f32 v63, v58, v63
	v_div_scale_f32 v65, null, v6, v6, v2
	v_div_scale_f32 v58, vcc_lo, v53, v54, v53
	s_waitcnt_depctr 0xfff
	v_fma_f32 v71, -v62, v69, 1.0
	v_rcp_f32_e32 v9, v65
	s_delay_alu instid0(VALU_DEP_1) | instskip(SKIP_4) | instid1(VALU_DEP_2)
	v_fmac_f32_e32 v69, v71, v69
	v_div_scale_f32 v71, s22, v3, v55, v3
	s_waitcnt_depctr 0xfff
	v_fma_f32 v68, -v65, v9, 1.0
	v_dual_mul_f32 v70, v58, v63 :: v_dual_mul_f32 v79, v71, v69
	v_fmac_f32_e32 v9, v68, v9
	v_div_scale_f32 v68, s20, v2, v6, v2
	s_delay_alu instid0(VALU_DEP_3) | instskip(NEXT) | instid1(VALU_DEP_1)
	v_fma_f32 v74, -v64, v70, v58
	v_dual_mul_f32 v75, v68, v9 :: v_dual_fmac_f32 v70, v74, v63
	s_delay_alu instid0(VALU_DEP_1) | instskip(NEXT) | instid1(VALU_DEP_2)
	v_fma_f32 v74, -v65, v75, v68
	v_fma_f32 v58, -v64, v70, v58
	;; [unrolled: 1-line block ×3, first 2 shown]
	s_delay_alu instid0(VALU_DEP_3) | instskip(NEXT) | instid1(VALU_DEP_2)
	v_fmac_f32_e32 v75, v74, v9
	v_fmac_f32_e32 v79, v64, v69
	s_delay_alu instid0(VALU_DEP_4) | instskip(NEXT) | instid1(VALU_DEP_3)
	v_div_fmas_f32 v58, v58, v63, v70
	v_fma_f32 v63, -v65, v75, v68
	s_mov_b32 vcc_lo, s20
	s_delay_alu instid0(VALU_DEP_3) | instskip(NEXT) | instid1(VALU_DEP_3)
	v_fma_f32 v62, -v62, v79, v71
	v_div_fixup_f32 v53, v58, v54, v53
	s_delay_alu instid0(VALU_DEP_3) | instskip(SKIP_1) | instid1(VALU_DEP_2)
	v_div_fmas_f32 v9, v63, v9, v75
	v_add3_u32 v63, v1, v77, 0x7fff
	v_div_fixup_f32 v2, v9, v6, v2
	v_fmac_f32_e32 v67, v61, v67
	v_div_scale_f32 v61, s21, v72, v7, v72
	s_delay_alu instid0(VALU_DEP_3) | instskip(SKIP_1) | instid1(VALU_DEP_2)
	v_dual_mul_f32 v9, v57, v53 :: v_dual_mul_f32 v2, v59, v2
	s_mov_b32 vcc_lo, s21
	v_mul_f32_e32 v76, v61, v67
	v_lshrrev_b32_e32 v53, 16, v63
	s_delay_alu instid0(VALU_DEP_3) | instskip(NEXT) | instid1(VALU_DEP_3)
	v_bfe_u32 v54, v9, 16, 1
	v_fma_f32 v78, -v66, v76, v61
	s_delay_alu instid0(VALU_DEP_1) | instskip(NEXT) | instid1(VALU_DEP_1)
	v_fmac_f32_e32 v76, v78, v67
	v_fma_f32 v61, -v66, v76, v61
	s_delay_alu instid0(VALU_DEP_1) | instskip(SKIP_3) | instid1(VALU_DEP_3)
	v_div_fmas_f32 v61, v61, v67, v76
	s_mov_b32 vcc_lo, s22
	v_div_fmas_f32 v62, v62, v69, v79
	v_cmp_o_f32_e32 vcc_lo, v5, v5
	v_div_fixup_f32 v6, v61, v7, v72
	v_lshrrev_b32_e32 v7, 16, v73
	s_delay_alu instid0(VALU_DEP_4) | instskip(SKIP_1) | instid1(VALU_DEP_3)
	v_div_fixup_f32 v3, v62, v55, v3
	v_bfe_u32 v55, v2, 16, 1
	v_dual_mul_f32 v6, v60, v6 :: v_dual_cndmask_b32 v5, 0x7fc0, v7
	v_add3_u32 v7, v9, v54, 0x7fff
	v_cmp_o_f32_e32 vcc_lo, v1, v1
	s_delay_alu instid0(VALU_DEP_4) | instskip(NEXT) | instid1(VALU_DEP_3)
	v_add3_u32 v54, v2, v55, 0x7fff
	v_lshrrev_b32_e32 v7, 16, v7
	v_cndmask_b32_e32 v1, 0x7fc0, v53, vcc_lo
	v_cmp_o_f32_e32 vcc_lo, v9, v9
	s_delay_alu instid0(VALU_DEP_4) | instskip(NEXT) | instid1(VALU_DEP_3)
	v_lshrrev_b32_e32 v53, 16, v54
	v_perm_b32 v1, v5, v1, 0x5040100
	v_cndmask_b32_e32 v7, 0x7fc0, v7, vcc_lo
	v_cmp_o_f32_e32 vcc_lo, v6, v6
	v_mul_f32_e32 v3, v56, v3
	v_bfe_u32 v56, v6, 16, 1
	s_delay_alu instid0(VALU_DEP_1) | instskip(NEXT) | instid1(VALU_DEP_1)
	v_add3_u32 v55, v6, v56, 0x7fff
	v_lshrrev_b32_e32 v54, 16, v55
	s_delay_alu instid0(VALU_DEP_1) | instskip(SKIP_2) | instid1(VALU_DEP_2)
	v_cndmask_b32_e32 v6, 0x7fc0, v54, vcc_lo
	v_bfe_u32 v57, v3, 16, 1
	v_cmp_o_f32_e32 vcc_lo, v3, v3
	v_add3_u32 v56, v3, v57, 0x7fff
	s_delay_alu instid0(VALU_DEP_1) | instskip(NEXT) | instid1(VALU_DEP_1)
	v_lshrrev_b32_e32 v55, 16, v56
	v_cndmask_b32_e32 v3, 0x7fc0, v55, vcc_lo
	v_cmp_o_f32_e32 vcc_lo, v2, v2
	s_delay_alu instid0(VALU_DEP_2) | instskip(SKIP_2) | instid1(VALU_DEP_2)
	v_perm_b32 v3, v6, v3, 0x5040100
	v_cndmask_b32_e32 v2, 0x7fc0, v53, vcc_lo
	v_cmp_o_f32_e32 vcc_lo, v0, v0
	v_perm_b32 v2, v7, v2, 0x5040100
	v_cndmask_b32_e32 v0, 0x7fc0, v8, vcc_lo
	s_delay_alu instid0(VALU_DEP_1)
	v_perm_b32 v0, v4, v0, 0x5040100
	ds_store_b128 v27, v[0:3]
	; wave barrier
	ds_load_u16 v8, v20 offset:64
	ds_load_u16 v7, v21 offset:128
	;; [unrolled: 1-line block ×7, first 2 shown]
	v_add_co_u32 v0, vcc_lo, v42, s24
	v_add_co_ci_u32_e32 v1, vcc_lo, s25, v43, vcc_lo
	s_and_saveexec_b32 s20, s12
	s_cbranch_execnz .LBB40_164
; %bb.148:                              ;   in Loop: Header=BB40_12 Depth=1
	s_or_b32 exec_lo, exec_lo, s20
	s_and_saveexec_b32 s12, s13
	s_cbranch_execnz .LBB40_165
.LBB40_149:                             ;   in Loop: Header=BB40_12 Depth=1
	s_or_b32 exec_lo, exec_lo, s12
	s_and_saveexec_b32 s12, s14
	s_cbranch_execnz .LBB40_166
.LBB40_150:                             ;   in Loop: Header=BB40_12 Depth=1
	s_or_b32 exec_lo, exec_lo, s12
	s_and_saveexec_b32 s12, s15
	s_cbranch_execnz .LBB40_167
.LBB40_151:                             ;   in Loop: Header=BB40_12 Depth=1
	s_or_b32 exec_lo, exec_lo, s12
	s_and_saveexec_b32 s12, s16
	s_cbranch_execnz .LBB40_168
.LBB40_152:                             ;   in Loop: Header=BB40_12 Depth=1
	s_or_b32 exec_lo, exec_lo, s12
	s_and_saveexec_b32 s12, s17
	s_cbranch_execnz .LBB40_169
.LBB40_153:                             ;   in Loop: Header=BB40_12 Depth=1
	s_or_b32 exec_lo, exec_lo, s12
	s_and_saveexec_b32 s12, s18
	s_cbranch_execnz .LBB40_170
.LBB40_154:                             ;   in Loop: Header=BB40_12 Depth=1
	s_or_b32 exec_lo, exec_lo, s12
	s_and_saveexec_b32 s12, s19
	s_cbranch_execz .LBB40_11
	s_branch .LBB40_171
.LBB40_155:                             ;   in Loop: Header=BB40_12 Depth=1
	global_load_u16 v55, v[4:5], off offset:320
	s_or_b32 exec_lo, exec_lo, s20
	s_and_saveexec_b32 s20, s18
	s_cbranch_execz .LBB40_40
.LBB40_156:                             ;   in Loop: Header=BB40_12 Depth=1
	global_load_u16 v54, v[4:5], off offset:384
	s_or_b32 exec_lo, exec_lo, s20
	v_mov_b32_e32 v56, 0
	s_and_saveexec_b32 s20, s19
	s_cbranch_execnz .LBB40_41
	s_branch .LBB40_42
.LBB40_157:                             ;   in Loop: Header=BB40_12 Depth=1
	ds_load_u16 v9, v20
	s_waitcnt lgkmcnt(0)
	global_store_b16 v[0:1], v9, off
	s_or_b32 exec_lo, exec_lo, s20
	s_and_saveexec_b32 s20, s13
	s_cbranch_execz .LBB40_124
.LBB40_158:                             ;   in Loop: Header=BB40_12 Depth=1
	s_waitcnt lgkmcnt(6)
	global_store_b16 v[0:1], v8, off offset:64
	s_or_b32 exec_lo, exec_lo, s20
	s_and_saveexec_b32 s20, s14
	s_cbranch_execz .LBB40_125
.LBB40_159:                             ;   in Loop: Header=BB40_12 Depth=1
	s_waitcnt lgkmcnt(5)
	global_store_b16 v[0:1], v7, off offset:128
	s_or_b32 exec_lo, exec_lo, s20
	s_and_saveexec_b32 s20, s15
	s_cbranch_execz .LBB40_126
.LBB40_160:                             ;   in Loop: Header=BB40_12 Depth=1
	s_waitcnt lgkmcnt(4)
	global_store_b16 v[0:1], v6, off offset:192
	s_or_b32 exec_lo, exec_lo, s20
	s_and_saveexec_b32 s20, s16
	s_cbranch_execz .LBB40_127
.LBB40_161:                             ;   in Loop: Header=BB40_12 Depth=1
	s_waitcnt lgkmcnt(3)
	global_store_b16 v[0:1], v5, off offset:256
	s_or_b32 exec_lo, exec_lo, s20
	s_and_saveexec_b32 s20, s17
	s_cbranch_execz .LBB40_128
.LBB40_162:                             ;   in Loop: Header=BB40_12 Depth=1
	s_waitcnt lgkmcnt(2)
	global_store_b16 v[0:1], v4, off offset:320
	s_or_b32 exec_lo, exec_lo, s20
	s_and_saveexec_b32 s20, s18
	s_cbranch_execz .LBB40_129
.LBB40_163:                             ;   in Loop: Header=BB40_12 Depth=1
	s_waitcnt lgkmcnt(1)
	global_store_b16 v[0:1], v3, off offset:384
	s_or_b32 exec_lo, exec_lo, s20
	s_and_saveexec_b32 s20, s19
	s_cbranch_execnz .LBB40_130
	s_branch .LBB40_131
.LBB40_164:                             ;   in Loop: Header=BB40_12 Depth=1
	ds_load_u16 v9, v20
	s_waitcnt lgkmcnt(0)
	global_store_b16 v[0:1], v9, off
	s_or_b32 exec_lo, exec_lo, s20
	s_and_saveexec_b32 s12, s13
	s_cbranch_execz .LBB40_149
.LBB40_165:                             ;   in Loop: Header=BB40_12 Depth=1
	s_waitcnt lgkmcnt(6)
	global_store_b16 v[0:1], v8, off offset:64
	s_or_b32 exec_lo, exec_lo, s12
	s_and_saveexec_b32 s12, s14
	s_cbranch_execz .LBB40_150
.LBB40_166:                             ;   in Loop: Header=BB40_12 Depth=1
	s_waitcnt lgkmcnt(5)
	global_store_b16 v[0:1], v7, off offset:128
	s_or_b32 exec_lo, exec_lo, s12
	s_and_saveexec_b32 s12, s15
	s_cbranch_execz .LBB40_151
.LBB40_167:                             ;   in Loop: Header=BB40_12 Depth=1
	s_waitcnt lgkmcnt(4)
	global_store_b16 v[0:1], v6, off offset:192
	s_or_b32 exec_lo, exec_lo, s12
	s_and_saveexec_b32 s12, s16
	s_cbranch_execz .LBB40_152
.LBB40_168:                             ;   in Loop: Header=BB40_12 Depth=1
	s_waitcnt lgkmcnt(3)
	global_store_b16 v[0:1], v5, off offset:256
	s_or_b32 exec_lo, exec_lo, s12
	s_and_saveexec_b32 s12, s17
	s_cbranch_execz .LBB40_153
.LBB40_169:                             ;   in Loop: Header=BB40_12 Depth=1
	s_waitcnt lgkmcnt(2)
	global_store_b16 v[0:1], v4, off offset:320
	s_or_b32 exec_lo, exec_lo, s12
	s_and_saveexec_b32 s12, s18
	s_cbranch_execz .LBB40_154
.LBB40_170:                             ;   in Loop: Header=BB40_12 Depth=1
	s_waitcnt lgkmcnt(1)
	global_store_b16 v[0:1], v3, off offset:384
	s_or_b32 exec_lo, exec_lo, s12
	s_and_saveexec_b32 s12, s19
	s_cbranch_execz .LBB40_11
.LBB40_171:                             ;   in Loop: Header=BB40_12 Depth=1
	s_waitcnt lgkmcnt(0)
	global_store_b16 v[0:1], v2, off offset:448
	s_branch .LBB40_11
.LBB40_172:
	s_nop 0
	s_sendmsg sendmsg(MSG_DEALLOC_VGPRS)
	s_endpgm
	.section	.rodata,"a",@progbits
	.p2align	6, 0x0
	.amdhsa_kernel _Z25selective_scan_fwd_kernelI32Selective_Scan_fwd_kernel_traitsILi64ELi8ELi1ELb1ELb1ELb1ELb1ELb1EN3c108BFloat16EffEEv13SSMParamsBase
		.amdhsa_group_segment_fixed_size 0
		.amdhsa_private_segment_fixed_size 0
		.amdhsa_kernarg_size 248
		.amdhsa_user_sgpr_count 14
		.amdhsa_user_sgpr_dispatch_ptr 0
		.amdhsa_user_sgpr_queue_ptr 0
		.amdhsa_user_sgpr_kernarg_segment_ptr 1
		.amdhsa_user_sgpr_dispatch_id 0
		.amdhsa_user_sgpr_private_segment_size 0
		.amdhsa_wavefront_size32 1
		.amdhsa_uses_dynamic_stack 0
		.amdhsa_enable_private_segment 0
		.amdhsa_system_sgpr_workgroup_id_x 1
		.amdhsa_system_sgpr_workgroup_id_y 1
		.amdhsa_system_sgpr_workgroup_id_z 0
		.amdhsa_system_sgpr_workgroup_info 0
		.amdhsa_system_vgpr_workitem_id 0
		.amdhsa_next_free_vgpr 99
		.amdhsa_next_free_sgpr 76
		.amdhsa_reserve_vcc 1
		.amdhsa_float_round_mode_32 0
		.amdhsa_float_round_mode_16_64 0
		.amdhsa_float_denorm_mode_32 3
		.amdhsa_float_denorm_mode_16_64 3
		.amdhsa_dx10_clamp 1
		.amdhsa_ieee_mode 1
		.amdhsa_fp16_overflow 0
		.amdhsa_workgroup_processor_mode 1
		.amdhsa_memory_ordered 1
		.amdhsa_forward_progress 0
		.amdhsa_shared_vgpr_count 0
		.amdhsa_exception_fp_ieee_invalid_op 0
		.amdhsa_exception_fp_denorm_src 0
		.amdhsa_exception_fp_ieee_div_zero 0
		.amdhsa_exception_fp_ieee_overflow 0
		.amdhsa_exception_fp_ieee_underflow 0
		.amdhsa_exception_fp_ieee_inexact 0
		.amdhsa_exception_int_div_zero 0
	.end_amdhsa_kernel
	.section	.text._Z25selective_scan_fwd_kernelI32Selective_Scan_fwd_kernel_traitsILi64ELi8ELi1ELb1ELb1ELb1ELb1ELb1EN3c108BFloat16EffEEv13SSMParamsBase,"axG",@progbits,_Z25selective_scan_fwd_kernelI32Selective_Scan_fwd_kernel_traitsILi64ELi8ELi1ELb1ELb1ELb1ELb1ELb1EN3c108BFloat16EffEEv13SSMParamsBase,comdat
.Lfunc_end40:
	.size	_Z25selective_scan_fwd_kernelI32Selective_Scan_fwd_kernel_traitsILi64ELi8ELi1ELb1ELb1ELb1ELb1ELb1EN3c108BFloat16EffEEv13SSMParamsBase, .Lfunc_end40-_Z25selective_scan_fwd_kernelI32Selective_Scan_fwd_kernel_traitsILi64ELi8ELi1ELb1ELb1ELb1ELb1ELb1EN3c108BFloat16EffEEv13SSMParamsBase
                                        ; -- End function
	.section	.AMDGPU.csdata,"",@progbits
; Kernel info:
; codeLenInByte = 14532
; NumSgprs: 78
; NumVgprs: 99
; ScratchSize: 0
; MemoryBound: 0
; FloatMode: 240
; IeeeMode: 1
; LDSByteSize: 0 bytes/workgroup (compile time only)
; SGPRBlocks: 9
; VGPRBlocks: 12
; NumSGPRsForWavesPerEU: 78
; NumVGPRsForWavesPerEU: 99
; Occupancy: 12
; WaveLimiterHint : 1
; COMPUTE_PGM_RSRC2:SCRATCH_EN: 0
; COMPUTE_PGM_RSRC2:USER_SGPR: 14
; COMPUTE_PGM_RSRC2:TRAP_HANDLER: 0
; COMPUTE_PGM_RSRC2:TGID_X_EN: 1
; COMPUTE_PGM_RSRC2:TGID_Y_EN: 1
; COMPUTE_PGM_RSRC2:TGID_Z_EN: 0
; COMPUTE_PGM_RSRC2:TIDIG_COMP_CNT: 0
	.section	.text._Z25selective_scan_fwd_kernelI32Selective_Scan_fwd_kernel_traitsILi64ELi8ELi1ELb1ELb1ELb1ELb1ELb0EN3c108BFloat16EffEEv13SSMParamsBase,"axG",@progbits,_Z25selective_scan_fwd_kernelI32Selective_Scan_fwd_kernel_traitsILi64ELi8ELi1ELb1ELb1ELb1ELb1ELb0EN3c108BFloat16EffEEv13SSMParamsBase,comdat
	.protected	_Z25selective_scan_fwd_kernelI32Selective_Scan_fwd_kernel_traitsILi64ELi8ELi1ELb1ELb1ELb1ELb1ELb0EN3c108BFloat16EffEEv13SSMParamsBase ; -- Begin function _Z25selective_scan_fwd_kernelI32Selective_Scan_fwd_kernel_traitsILi64ELi8ELi1ELb1ELb1ELb1ELb1ELb0EN3c108BFloat16EffEEv13SSMParamsBase
	.globl	_Z25selective_scan_fwd_kernelI32Selective_Scan_fwd_kernel_traitsILi64ELi8ELi1ELb1ELb1ELb1ELb1ELb0EN3c108BFloat16EffEEv13SSMParamsBase
	.p2align	8
	.type	_Z25selective_scan_fwd_kernelI32Selective_Scan_fwd_kernel_traitsILi64ELi8ELi1ELb1ELb1ELb1ELb1ELb0EN3c108BFloat16EffEEv13SSMParamsBase,@function
_Z25selective_scan_fwd_kernelI32Selective_Scan_fwd_kernel_traitsILi64ELi8ELi1ELb1ELb1ELb1ELb1ELb0EN3c108BFloat16EffEEv13SSMParamsBase: ; @_Z25selective_scan_fwd_kernelI32Selective_Scan_fwd_kernel_traitsILi64ELi8ELi1ELb1ELb1ELb1ELb1ELb0EN3c108BFloat16EffEEv13SSMParamsBase
; %bb.0:
	s_clause 0x1
	s_load_b32 s9, s[0:1], 0x18
	s_load_b128 s[4:7], s[0:1], 0xe8
	s_mov_b32 s12, s15
	s_mov_b32 s33, 0
	s_waitcnt lgkmcnt(0)
	s_abs_i32 s8, s9
	s_cmp_eq_u64 s[6:7], 0
	v_cvt_f32_u32_e32 v1, s8
	s_delay_alu instid0(VALU_DEP_1) | instskip(SKIP_2) | instid1(VALU_DEP_1)
	v_rcp_iflag_f32_e32 v1, v1
	s_waitcnt_depctr 0xfff
	v_mul_f32_e32 v1, 0x4f7ffffe, v1
	v_cvt_u32_f32_e32 v1, v1
	s_delay_alu instid0(VALU_DEP_1)
	v_readfirstlane_b32 s10, v1
	s_cbranch_scc1 .LBB41_2
; %bb.1:
	v_mov_b32_e32 v1, 0
	s_ashr_i32 s3, s14, 31
	s_add_u32 s2, s6, s14
	s_addc_u32 s3, s7, s3
	global_load_u8 v1, v1, s[2:3]
	s_waitcnt vmcnt(0)
	v_and_b32_e32 v1, 1, v1
	s_delay_alu instid0(VALU_DEP_1)
	v_cmp_eq_u32_e64 s33, 1, v1
.LBB41_2:
	s_load_b64 s[6:7], s[0:1], 0x20
	s_cmp_eq_u64 s[4:5], 0
	s_cbranch_scc1 .LBB41_4
; %bb.3:
	s_ashr_i32 s15, s14, 31
	s_delay_alu instid0(SALU_CYCLE_1) | instskip(NEXT) | instid1(SALU_CYCLE_1)
	s_lshl_b64 s[2:3], s[14:15], 2
	s_add_u32 s2, s4, s2
	s_addc_u32 s3, s5, s3
	s_load_b32 s2, s[2:3], 0x0
	s_waitcnt lgkmcnt(0)
	s_ashr_i32 s3, s2, 31
	s_delay_alu instid0(SALU_CYCLE_1)
	s_cmp_eq_u64 s[6:7], s[2:3]
	s_cbranch_scc0 .LBB41_5
	s_branch .LBB41_64
.LBB41_4:
	s_mov_b32 s2, s14
	s_delay_alu instid0(SALU_CYCLE_1)
	s_ashr_i32 s3, s2, 31
	s_waitcnt lgkmcnt(0)
	s_cmp_eq_u64 s[6:7], s[2:3]
	s_cbranch_scc1 .LBB41_64
.LBB41_5:
	s_clause 0x1
	s_load_b512 s[16:31], s[0:1], 0x88
	s_load_b64 s[34:35], s[0:1], 0x8
	s_mov_b32 s52, 0
	s_mov_b32 s53, 0
	s_waitcnt lgkmcnt(0)
	s_cmp_eq_u64 s[22:23], 0
	s_cbranch_scc1 .LBB41_7
; %bb.6:
	s_ashr_i32 s13, s12, 31
	s_delay_alu instid0(SALU_CYCLE_1) | instskip(NEXT) | instid1(SALU_CYCLE_1)
	s_lshl_b64 s[4:5], s[12:13], 2
	s_add_u32 s4, s22, s4
	s_addc_u32 s5, s23, s5
	s_load_b32 s53, s[4:5], 0x0
.LBB41_7:
	s_cmp_eq_u64 s[28:29], 0
	s_cbranch_scc1 .LBB41_9
; %bb.8:
	s_ashr_i32 s13, s12, 31
	s_delay_alu instid0(SALU_CYCLE_1) | instskip(NEXT) | instid1(SALU_CYCLE_1)
	s_lshl_b64 s[4:5], s[12:13], 2
	s_add_u32 s4, s28, s4
	s_addc_u32 s5, s29, s5
	s_load_b32 s52, s[4:5], 0x0
.LBB41_9:
	s_cmp_lt_i32 s34, 1
	s_cbranch_scc1 .LBB41_64
; %bb.10:
	s_sub_i32 s3, 0, s8
	s_load_b256 s[36:43], s[0:1], 0x4c
	s_mul_i32 s3, s3, s10
	s_abs_i32 s4, s12
	s_mul_hi_u32 s3, s10, s3
	s_ashr_i32 s6, s9, 31
	s_add_i32 s10, s10, s3
	s_ashr_i32 s3, s12, 31
	s_mul_hi_u32 s5, s4, s10
	s_xor_b32 s3, s3, s6
	s_mul_i32 s7, s5, s8
	s_add_i32 s6, s5, 1
	s_sub_i32 s4, s4, s7
	s_load_b256 s[44:51], s[0:1], 0x2c
	s_sub_i32 s7, s4, s8
	s_cmp_ge_u32 s4, s8
	s_mov_b32 s29, 0
	s_cselect_b32 s5, s6, s5
	s_cselect_b32 s4, s7, s4
	s_add_i32 s6, s5, 1
	s_cmp_ge_u32 s4, s8
	s_waitcnt lgkmcnt(0)
	s_mul_i32 s28, s38, s14
	s_cselect_b32 s6, s6, s5
	s_lshl_b64 s[4:5], s[28:29], 1
	s_xor_b32 s6, s6, s3
	s_mul_i32 s28, s39, s12
	s_sub_i32 s3, s6, s3
	s_add_u32 s6, s24, s4
	s_addc_u32 s7, s25, s5
	s_lshl_b64 s[4:5], s[28:29], 1
	s_mul_i32 s28, s40, s14
	s_add_u32 s24, s6, s4
	s_addc_u32 s25, s7, s5
	s_lshl_b64 s[4:5], s[28:29], 1
	s_mul_i32 s28, s41, s12
	;; [unrolled: 4-line block ×3, first 2 shown]
	s_add_u32 s26, s6, s4
	s_load_b64 s[38:39], s[0:1], 0x7c
	s_addc_u32 s27, s7, s5
	s_lshl_b64 s[4:5], s[28:29], 2
	s_mul_i32 s28, s46, s14
	s_add_u32 s23, s16, s4
	s_addc_u32 s44, s17, s5
	s_load_b128 s[4:7], s[0:1], 0xc8
	s_lshl_b64 s[8:9], s[28:29], 1
	s_mul_i32 s28, s3, s49
	s_add_u32 s10, s18, s8
	s_addc_u32 s11, s19, s9
	s_lshl_b64 s[8:9], s[28:29], 1
	s_load_b32 s13, s[0:1], 0x28
	s_mul_i32 s28, s50, s14
	s_load_b32 s50, s[0:1], 0x84
	s_add_u32 s46, s10, s8
	s_addc_u32 s47, s11, s9
	s_lshl_b64 s[8:9], s[28:29], 1
	s_mul_i32 s28, s3, s37
	s_add_u32 s15, s20, s8
	s_addc_u32 s3, s21, s9
	s_load_b128 s[8:11], s[0:1], 0x6c
	s_lshl_b64 s[16:17], s[28:29], 1
	s_waitcnt lgkmcnt(0)
	s_mul_i32 s28, s2, s38
	s_add_u32 s37, s15, s16
	s_addc_u32 s49, s3, s17
	s_lshl_b64 s[2:3], s[28:29], 2
	s_mul_i32 s28, s39, s12
	s_add_u32 s4, s4, s2
	s_addc_u32 s5, s5, s3
	s_lshl_b64 s[2:3], s[28:29], 2
	s_load_b64 s[16:17], s[0:1], 0xd8
	s_add_u32 s51, s4, s2
	s_addc_u32 s54, s5, s3
	s_add_i32 s2, s34, 0x7ff
	v_lshrrev_b32_e32 v1, 2, v0
	s_lshr_b32 s55, s2, 11
	s_bitcmp1_b32 s13, 0
	v_mov_b32_e32 v22, 0
	s_cselect_b32 s56, -1, 0
	s_cmp_gt_i32 s35, 0
	s_mul_i32 s28, s8, s14
	s_cselect_b32 s57, -1, 0
	s_and_b32 s1, s34, 0x1ff
	v_and_b32_e32 v1, 8, v1
	s_cmp_eq_u32 s1, 0
	v_or_b32_e32 v2, 31, v0
	s_cselect_b32 s58, -1, 0
	s_lshl_b64 s[4:5], s[28:29], 1
	s_add_i32 s59, s55, -1
	s_mul_i32 s28, s9, s12
	s_add_u32 s8, s30, s4
	s_addc_u32 s9, s31, s5
	s_lshl_b64 s[4:5], s[28:29], 1
	s_mul_i32 s28, s10, s14
	s_add_u32 s13, s8, s4
	s_addc_u32 s10, s9, s5
	s_lshl_b64 s[8:9], s[28:29], 1
	s_mul_i32 s28, s11, s12
	s_waitcnt lgkmcnt(0)
	s_add_u32 s15, s16, s8
	s_addc_u32 s11, s17, s9
	s_lshl_b64 s[8:9], s[28:29], 1
	s_mul_i32 s28, s42, s14
	s_add_u32 s15, s15, s8
	s_addc_u32 s11, s11, s9
	s_lshl_b64 s[8:9], s[28:29], 1
	s_mul_i32 s28, s43, s12
	v_add_nc_u32_e32 v24, 0, v1
	v_lshlrev_b32_e32 v1, 4, v0
	s_add_u32 s8, s6, s8
	s_addc_u32 s9, s7, s9
	s_lshl_b64 s[6:7], s[28:29], 1
	v_lshlrev_b32_e32 v23, 3, v0
	s_add_u32 s6, s8, s6
	s_addc_u32 s7, s9, s7
	v_add_co_u32 v28, s6, s6, v1
	v_add_co_u32 v26, s12, s13, v1
	v_add_co_ci_u32_e64 v29, null, s7, 0, s6
	v_add_co_u32 v30, s6, s15, v1
	v_cmp_gt_u32_e64 s0, 64, v0
	v_cmp_eq_u32_e64 s1, v2, v0
	v_cmp_gt_u32_e64 s2, 2, v0
	v_add_nc_u32_e32 v25, 0, v23
	v_cmp_gt_u32_e64 s3, 32, v0
	v_cmp_lt_u32_e64 s4, 31, v0
	v_cmp_eq_u32_e64 s5, 0, v0
	v_add_co_ci_u32_e64 v27, null, s10, 0, s12
	v_add_co_ci_u32_e64 v31, null, s11, 0, s6
	v_or_b32_e32 v32, 1, v23
	v_or_b32_e32 v33, 2, v23
	;; [unrolled: 1-line block ×7, first 2 shown]
	v_lshlrev_b32_e32 v39, 4, v0
	v_mbcnt_lo_u32_b32 v40, -1, 0
	s_mov_b32 s60, 0x3e9b6dac
	s_add_i32 s61, 0, 0x850
	s_mov_b32 s62, 0
                                        ; implicit-def: $vgpr48
                                        ; implicit-def: $vgpr7
                                        ; implicit-def: $vgpr47
                                        ; implicit-def: $vgpr45
                                        ; implicit-def: $vgpr43
                                        ; implicit-def: $vgpr0
                                        ; implicit-def: $vgpr41
                                        ; implicit-def: $vgpr42
                                        ; implicit-def: $vgpr44
                                        ; implicit-def: $vgpr46
                                        ; implicit-def: $vgpr8
	s_branch .LBB41_12
.LBB41_11:                              ;   in Loop: Header=BB41_12 Depth=1
	s_or_b32 exec_lo, exec_lo, s6
	s_waitcnt vmcnt(0)
	v_lshlrev_b32_e32 v13, 16, v8
	s_add_u32 s26, s26, 0x400
	s_addc_u32 s27, s27, 0
	s_add_u32 s24, s24, 0x400
	s_addc_u32 s25, s25, 0
	v_mul_f32_e32 v15, 0xbfb8aa3b, v13
	s_add_u32 s46, s46, 0x400
	s_addc_u32 s47, s47, 0
	s_add_u32 s37, s37, 0x400
	s_addc_u32 s49, s49, 0
	v_rndne_f32_e32 v18, v15
	v_and_b32_e32 v12, 0xffff0000, v8
	v_fma_f32 v19, 0xbfb8aa3b, v13, -v15
	s_add_i32 s62, s62, 1
	s_delay_alu instid0(VALU_DEP_2)
	v_dual_sub_f32 v15, v15, v18 :: v_dual_mul_f32 v14, 0xbfb8aa3b, v12
	v_lshlrev_b32_e32 v21, 16, v9
	v_cvt_i32_f32_e32 v18, v18
	v_cmp_nlt_f32_e32 vcc_lo, 0x42ce8ed0, v12
	s_cmp_eq_u32 s62, s55
	v_fma_f32 v16, 0xbfb8aa3b, v12, -v14
	v_rndne_f32_e32 v17, v14
	v_cmp_nlt_f32_e64 s7, 0x42ce8ed0, v21
	s_barrier
	buffer_gl0_inv
	v_sub_f32_e32 v14, v14, v17
	v_dual_fmac_f32 v16, 0xb2a5705f, v12 :: v_dual_fmac_f32 v19, 0xb2a5705f, v13
	v_and_b32_e32 v20, 0xffff0000, v9
	v_cvt_i32_f32_e32 v17, v17
	s_delay_alu instid0(VALU_DEP_3) | instskip(NEXT) | instid1(VALU_DEP_3)
	v_dual_add_f32 v14, v14, v16 :: v_dual_add_f32 v15, v15, v19
	v_dual_mul_f32 v16, 0xbfb8aa3b, v20 :: v_dual_mul_f32 v19, 0xbfb8aa3b, v21
	s_delay_alu instid0(VALU_DEP_2) | instskip(NEXT) | instid1(VALU_DEP_2)
	v_exp_f32_e32 v14, v14
	v_exp_f32_e32 v15, v15
	s_delay_alu instid0(VALU_DEP_1)
	v_fma_f32 v50, 0xbfb8aa3b, v20, -v16
	v_rndne_f32_e32 v51, v16
	v_rndne_f32_e32 v52, v19
	v_and_b32_e32 v49, 0xffff0000, v10
	v_fma_f32 v57, 0xbfb8aa3b, v21, -v19
	v_fmac_f32_e32 v50, 0xb2a5705f, v20
	v_sub_f32_e32 v16, v16, v51
	s_delay_alu instid0(TRANS32_DEP_2) | instskip(NEXT) | instid1(VALU_DEP_4)
	v_ldexp_f32 v14, v14, v17
	v_fmac_f32_e32 v57, 0xb2a5705f, v21
	v_sub_f32_e32 v17, v19, v52
	v_ldexp_f32 v15, v15, v18
	v_cvt_i32_f32_e32 v19, v51
	v_cndmask_b32_e32 v14, 0, v14, vcc_lo
	v_cmp_nlt_f32_e32 vcc_lo, 0x42ce8ed0, v13
	v_add_f32_e32 v16, v16, v50
	v_cvt_i32_f32_e32 v52, v52
	v_dual_add_f32 v17, v17, v57 :: v_dual_lshlrev_b32 v18, 16, v10
	v_cndmask_b32_e32 v15, 0, v15, vcc_lo
	v_cmp_ngt_f32_e32 vcc_lo, 0xc2b17218, v12
	v_exp_f32_e32 v16, v16
	s_delay_alu instid0(VALU_DEP_3) | instskip(SKIP_3) | instid1(VALU_DEP_2)
	v_exp_f32_e32 v17, v17
	v_mul_f32_e32 v69, 0xbfb8aa3b, v49
	v_cndmask_b32_e32 v14, 0x7f800000, v14, vcc_lo
	v_cmp_ngt_f32_e32 vcc_lo, 0xc2b17218, v13
	v_dual_cndmask_b32 v15, 0x7f800000, v15 :: v_dual_add_f32 v14, 1.0, v14
	s_waitcnt_depctr 0xfff
	v_ldexp_f32 v16, v16, v19
	v_cmp_nlt_f32_e32 vcc_lo, 0x42ce8ed0, v20
	v_ldexp_f32 v17, v17, v52
	v_add_f32_e32 v15, 1.0, v15
	v_div_scale_f32 v50, null, v14, v14, v12
	s_delay_alu instid0(VALU_DEP_3) | instskip(NEXT) | instid1(VALU_DEP_3)
	v_cndmask_b32_e64 v17, 0, v17, s7
	v_div_scale_f32 v19, null, v15, v15, v13
	s_delay_alu instid0(VALU_DEP_3) | instskip(SKIP_1) | instid1(VALU_DEP_2)
	v_rcp_f32_e32 v51, v50
	v_cmp_ngt_f32_e64 s7, 0xc2b17218, v21
	v_rcp_f32_e32 v57, v19
	s_delay_alu instid0(VALU_DEP_1)
	v_cndmask_b32_e64 v17, 0x7f800000, v17, s7
	v_mul_f32_e32 v70, 0xbfb8aa3b, v18
	s_waitcnt_depctr 0xfff
	v_fma_f32 v52, -v50, v51, 1.0
	v_dual_add_f32 v17, 1.0, v17 :: v_dual_cndmask_b32 v16, 0, v16
	v_cmp_ngt_f32_e32 vcc_lo, 0xc2b17218, v20
	v_fma_f32 v60, -v19, v57, 1.0
	s_delay_alu instid0(VALU_DEP_4) | instskip(SKIP_1) | instid1(VALU_DEP_3)
	v_fmac_f32_e32 v51, v52, v51
	v_div_scale_f32 v52, s6, v13, v15, v13
	v_dual_cndmask_b32 v16, 0x7f800000, v16 :: v_dual_fmac_f32 v57, v60, v57
	v_div_scale_f32 v63, vcc_lo, v12, v14, v12
	s_delay_alu instid0(VALU_DEP_2) | instskip(NEXT) | instid1(VALU_DEP_2)
	v_dual_add_f32 v16, 1.0, v16 :: v_dual_mul_f32 v65, v52, v57
	v_mul_f32_e32 v60, v63, v51
	s_delay_alu instid0(VALU_DEP_2) | instskip(NEXT) | instid1(VALU_DEP_2)
	v_div_scale_f32 v64, null, v16, v16, v20
	v_fma_f32 v66, -v50, v60, v63
	s_delay_alu instid0(VALU_DEP_4) | instskip(NEXT) | instid1(VALU_DEP_3)
	v_fma_f32 v68, -v19, v65, v52
	v_rcp_f32_e32 v67, v64
	s_delay_alu instid0(VALU_DEP_1) | instskip(SKIP_1) | instid1(VALU_DEP_2)
	v_dual_fmac_f32 v60, v66, v51 :: v_dual_fmac_f32 v65, v68, v57
	v_div_scale_f32 v66, s7, v20, v16, v20
	v_fma_f32 v50, -v50, v60, v63
	s_delay_alu instid0(VALU_DEP_3)
	v_fma_f32 v19, -v19, v65, v52
	s_waitcnt_depctr 0xfff
	v_fma_f32 v63, -v64, v67, 1.0
	v_div_fmas_f32 v50, v50, v51, v60
	s_mov_b32 vcc_lo, s6
	v_div_scale_f32 v51, null, v17, v17, v21
	v_div_fmas_f32 v19, v19, v57, v65
	s_delay_alu instid0(VALU_DEP_3)
	v_div_fixup_f32 v12, v50, v14, v12
	v_fmac_f32_e32 v67, v63, v67
	v_fma_f32 v14, 0xbfb8aa3b, v49, -v69
	s_mov_b32 vcc_lo, s7
	v_div_fixup_f32 v13, v19, v15, v13
	v_mul_f32_e32 v12, v62, v12
	v_rcp_f32_e32 v15, v51
	v_dual_mul_f32 v19, v66, v67 :: v_dual_fmac_f32 v14, 0xb2a5705f, v49
	v_rndne_f32_e32 v50, v69
	s_delay_alu instid0(VALU_DEP_3) | instskip(NEXT) | instid1(VALU_DEP_3)
	v_bfe_u32 v57, v12, 16, 1
	v_fma_f32 v52, -v64, v19, v66
	s_waitcnt_depctr 0xfff
	v_fma_f32 v62, -v51, v15, 1.0
	v_fmac_f32_e32 v19, v52, v67
	v_add3_u32 v52, v12, v57, 0x7fff
	s_delay_alu instid0(VALU_DEP_3) | instskip(NEXT) | instid1(VALU_DEP_3)
	v_fmac_f32_e32 v15, v62, v15
	v_fma_f32 v62, -v64, v19, v66
	s_delay_alu instid0(VALU_DEP_3) | instskip(SKIP_1) | instid1(VALU_DEP_3)
	v_lshrrev_b32_e32 v52, 16, v52
	v_lshlrev_b32_e32 v64, 16, v11
	v_div_fmas_f32 v19, v62, v67, v19
	v_cmp_o_f32_e32 vcc_lo, v12, v12
	s_delay_alu instid0(VALU_DEP_4) | instskip(NEXT) | instid1(VALU_DEP_1)
	v_dual_mul_f32 v13, v61, v13 :: v_dual_cndmask_b32 v12, 0x7fc0, v52
	v_bfe_u32 v60, v13, 16, 1
	v_cmp_o_f32_e32 vcc_lo, v13, v13
	s_delay_alu instid0(VALU_DEP_2) | instskip(SKIP_1) | instid1(VALU_DEP_2)
	v_add3_u32 v57, v13, v60, 0x7fff
	v_div_scale_f32 v60, s6, v21, v17, v21
	v_lshrrev_b32_e32 v57, 16, v57
	v_sub_f32_e32 v61, v69, v50
	v_cvt_i32_f32_e32 v50, v50
	s_delay_alu instid0(VALU_DEP_2)
	v_dual_cndmask_b32 v52, 0x7fc0, v57 :: v_dual_add_f32 v13, v61, v14
	v_div_fixup_f32 v14, v19, v16, v20
	v_rndne_f32_e32 v16, v70
	v_fma_f32 v19, 0xbfb8aa3b, v18, -v70
	v_cmp_nlt_f32_e32 vcc_lo, 0x42ce8ed0, v49
	v_perm_b32 v12, v12, v52, 0x5040100
	s_delay_alu instid0(VALU_DEP_4) | instskip(NEXT) | instid1(VALU_DEP_4)
	v_dual_mul_f32 v14, v59, v14 :: v_dual_sub_f32 v61, v70, v16
	v_fmac_f32_e32 v19, 0xb2a5705f, v18
	v_cvt_i32_f32_e32 v16, v16
	s_delay_alu instid0(VALU_DEP_2) | instskip(SKIP_1) | instid1(VALU_DEP_2)
	v_add_f32_e32 v19, v61, v19
	v_mul_f32_e32 v61, 0xbfb8aa3b, v64
	v_exp_f32_e32 v19, v19
	s_delay_alu instid0(VALU_DEP_1) | instskip(SKIP_1) | instid1(VALU_DEP_2)
	v_fma_f32 v66, 0xbfb8aa3b, v64, -v61
	v_rndne_f32_e32 v65, v61
	v_fmac_f32_e32 v66, 0xb2a5705f, v64
	v_mul_f32_e32 v20, v60, v15
	v_exp_f32_e32 v13, v13
	s_delay_alu instid0(VALU_DEP_3) | instskip(SKIP_1) | instid1(TRANS32_DEP_2)
	v_sub_f32_e32 v61, v61, v65
	v_and_b32_e32 v57, 0xffff0000, v11
	v_ldexp_f32 v16, v19, v16
	v_fma_f32 v62, -v51, v20, v60
	s_delay_alu instid0(VALU_DEP_1) | instskip(SKIP_3) | instid1(VALU_DEP_2)
	v_fmac_f32_e32 v20, v62, v15
	s_waitcnt_depctr 0xfff
	v_ldexp_f32 v13, v13, v50
	v_fma_f32 v51, -v51, v20, v60
	v_cndmask_b32_e32 v13, 0, v13, vcc_lo
	v_cmp_ngt_f32_e32 vcc_lo, 0xc2b17218, v49
	s_delay_alu instid0(VALU_DEP_2) | instskip(SKIP_2) | instid1(VALU_DEP_1)
	v_cndmask_b32_e32 v13, 0x7f800000, v13, vcc_lo
	v_cmp_nlt_f32_e32 vcc_lo, 0x42ce8ed0, v18
	v_dual_mul_f32 v63, 0xbfb8aa3b, v57 :: v_dual_cndmask_b32 v16, 0, v16
	v_fma_f32 v50, 0xbfb8aa3b, v57, -v63
	v_rndne_f32_e32 v62, v63
	v_cmp_ngt_f32_e32 vcc_lo, 0xc2b17218, v18
	s_delay_alu instid0(VALU_DEP_3) | instskip(NEXT) | instid1(VALU_DEP_3)
	v_fmac_f32_e32 v50, 0xb2a5705f, v57
	v_dual_cndmask_b32 v16, 0x7f800000, v16 :: v_dual_sub_f32 v63, v63, v62
	s_delay_alu instid0(VALU_DEP_1)
	v_dual_add_f32 v16, 1.0, v16 :: v_dual_add_f32 v19, v63, v50
	v_add_f32_e32 v50, v61, v66
	v_cvt_i32_f32_e32 v61, v62
	v_cvt_i32_f32_e32 v63, v65
	v_cmp_nlt_f32_e32 vcc_lo, 0x42ce8ed0, v57
	v_exp_f32_e32 v19, v19
	v_exp_f32_e32 v50, v50
	s_waitcnt_depctr 0xfff
	v_ldexp_f32 v19, v19, v61
	v_ldexp_f32 v50, v50, v63
	v_div_scale_f32 v61, null, v16, v16, v18
	s_delay_alu instid0(VALU_DEP_3) | instskip(SKIP_1) | instid1(VALU_DEP_3)
	v_cndmask_b32_e32 v19, 0, v19, vcc_lo
	v_cmp_nlt_f32_e32 vcc_lo, 0x42ce8ed0, v64
	v_rcp_f32_e32 v65, v61
	v_cndmask_b32_e32 v50, 0, v50, vcc_lo
	v_cmp_ngt_f32_e32 vcc_lo, 0xc2b17218, v57
	v_cndmask_b32_e32 v19, 0x7f800000, v19, vcc_lo
	v_cmp_ngt_f32_e32 vcc_lo, 0xc2b17218, v64
	s_delay_alu instid0(VALU_DEP_2) | instskip(SKIP_3) | instid1(VALU_DEP_3)
	v_dual_add_f32 v19, 1.0, v19 :: v_dual_cndmask_b32 v50, 0x7f800000, v50
	s_mov_b32 vcc_lo, s6
	v_div_scale_f32 v59, s6, v18, v16, v18
	v_div_fmas_f32 v15, v51, v15, v20
	v_dual_add_f32 v50, 1.0, v50 :: v_dual_add_f32 v13, 1.0, v13
	v_div_scale_f32 v20, null, v19, v19, v57
	s_delay_alu instid0(VALU_DEP_3) | instskip(NEXT) | instid1(VALU_DEP_3)
	v_div_fixup_f32 v15, v15, v17, v21
	v_div_scale_f32 v67, null, v50, v50, v64
	s_delay_alu instid0(VALU_DEP_4) | instskip(SKIP_2) | instid1(VALU_DEP_2)
	v_div_scale_f32 v62, null, v13, v13, v49
	v_div_scale_f32 v51, vcc_lo, v49, v13, v49
	v_rcp_f32_e32 v66, v20
	v_rcp_f32_e32 v60, v62
	v_rcp_f32_e32 v21, v67
	s_waitcnt_depctr 0xfff
	v_fma_f32 v63, -v62, v60, 1.0
	v_fma_f32 v70, -v67, v21, 1.0
	s_delay_alu instid0(VALU_DEP_2) | instskip(SKIP_1) | instid1(VALU_DEP_2)
	v_fmac_f32_e32 v60, v63, v60
	v_fma_f32 v63, -v61, v65, 1.0
	v_mul_f32_e32 v17, v51, v60
	s_delay_alu instid0(VALU_DEP_2) | instskip(SKIP_1) | instid1(VALU_DEP_3)
	v_fmac_f32_e32 v65, v63, v65
	v_fma_f32 v63, -v20, v66, 1.0
	v_fma_f32 v68, -v62, v17, v51
	s_delay_alu instid0(VALU_DEP_3) | instskip(NEXT) | instid1(VALU_DEP_3)
	v_mul_f32_e32 v69, v59, v65
	v_fmac_f32_e32 v66, v63, v66
	v_div_scale_f32 v63, s7, v57, v19, v57
	s_delay_alu instid0(VALU_DEP_4) | instskip(NEXT) | instid1(VALU_DEP_4)
	v_fmac_f32_e32 v17, v68, v60
	v_fma_f32 v68, -v61, v69, v59
	s_delay_alu instid0(VALU_DEP_3) | instskip(NEXT) | instid1(VALU_DEP_3)
	v_mul_f32_e32 v72, v63, v66
	v_fma_f32 v51, -v62, v17, v51
	s_delay_alu instid0(VALU_DEP_3) | instskip(NEXT) | instid1(VALU_DEP_3)
	v_fmac_f32_e32 v69, v68, v65
	v_fma_f32 v62, -v20, v72, v63
	s_delay_alu instid0(VALU_DEP_3) | instskip(NEXT) | instid1(VALU_DEP_3)
	v_div_fmas_f32 v17, v51, v60, v17
	v_fma_f32 v51, -v61, v69, v59
	s_mov_b32 vcc_lo, s6
	s_delay_alu instid0(VALU_DEP_3) | instskip(NEXT) | instid1(VALU_DEP_3)
	v_fmac_f32_e32 v72, v62, v66
	v_div_fixup_f32 v13, v17, v13, v49
	s_delay_alu instid0(VALU_DEP_3) | instskip(SKIP_1) | instid1(VALU_DEP_3)
	v_div_fmas_f32 v51, v51, v65, v69
	s_mov_b32 vcc_lo, s7
	v_fma_f32 v17, -v20, v72, v63
	s_delay_alu instid0(VALU_DEP_3) | instskip(NEXT) | instid1(VALU_DEP_3)
	v_mul_f32_e32 v13, v54, v13
	v_div_fixup_f32 v16, v51, v16, v18
	v_fmac_f32_e32 v21, v70, v21
	v_div_scale_f32 v70, s8, v64, v50, v64
	v_div_fmas_f32 v17, v17, v66, v72
	s_delay_alu instid0(VALU_DEP_4) | instskip(SKIP_1) | instid1(VALU_DEP_3)
	v_mul_f32_e32 v16, v55, v16
	s_mov_b32 vcc_lo, s8
	v_mul_f32_e32 v68, v70, v21
	s_delay_alu instid0(VALU_DEP_3) | instskip(NEXT) | instid1(VALU_DEP_3)
	v_div_fixup_f32 v17, v17, v19, v57
	v_bfe_u32 v49, v16, 16, 1
	s_delay_alu instid0(VALU_DEP_3) | instskip(SKIP_3) | instid1(VALU_DEP_4)
	v_fma_f32 v59, -v67, v68, v70
	v_mul_f32_e32 v15, v58, v15
	v_bfe_u32 v58, v14, 16, 1
	v_mul_f32_e32 v17, v56, v17
	v_fmac_f32_e32 v68, v59, v21
	s_delay_alu instid0(VALU_DEP_4) | instskip(NEXT) | instid1(VALU_DEP_4)
	v_bfe_u32 v71, v15, 16, 1
	v_add3_u32 v58, v14, v58, 0x7fff
	s_delay_alu instid0(VALU_DEP_3) | instskip(NEXT) | instid1(VALU_DEP_3)
	v_fma_f32 v18, -v67, v68, v70
	v_add3_u32 v59, v15, v71, 0x7fff
	s_delay_alu instid0(VALU_DEP_3) | instskip(NEXT) | instid1(VALU_DEP_3)
	v_lshrrev_b32_e32 v20, 16, v58
	v_div_fmas_f32 v18, v18, v21, v68
	v_bfe_u32 v21, v13, 16, 1
	v_cmp_o_f32_e32 vcc_lo, v14, v14
	v_lshrrev_b32_e32 v19, 16, v59
	s_delay_alu instid0(VALU_DEP_4) | instskip(NEXT) | instid1(VALU_DEP_4)
	v_div_fixup_f32 v18, v18, v50, v64
	v_add3_u32 v14, v13, v21, 0x7fff
	v_cndmask_b32_e32 v20, 0x7fc0, v20, vcc_lo
	v_cmp_o_f32_e32 vcc_lo, v15, v15
	v_add3_u32 v21, v16, v49, 0x7fff
	v_mul_f32_e32 v18, v53, v18
	v_bfe_u32 v49, v17, 16, 1
	v_lshrrev_b32_e32 v14, 16, v14
	v_cndmask_b32_e32 v19, 0x7fc0, v19, vcc_lo
	v_cmp_o_f32_e32 vcc_lo, v13, v13
	v_bfe_u32 v50, v18, 16, 1
	v_add3_u32 v15, v17, v49, 0x7fff
	v_lshrrev_b32_e32 v21, 16, v21
	v_cndmask_b32_e32 v13, 0x7fc0, v14, vcc_lo
	v_cmp_o_f32_e32 vcc_lo, v16, v16
	v_add3_u32 v49, v18, v50, 0x7fff
	v_lshrrev_b32_e32 v14, 16, v15
	v_cndmask_b32_e32 v21, 0x7fc0, v21, vcc_lo
	v_cmp_o_f32_e32 vcc_lo, v17, v17
	s_delay_alu instid0(VALU_DEP_4) | instskip(NEXT) | instid1(VALU_DEP_4)
	v_lshrrev_b32_e32 v15, 16, v49
	v_cndmask_b32_e32 v14, 0x7fc0, v14, vcc_lo
	v_cmp_o_f32_e32 vcc_lo, v18, v18
	s_delay_alu instid0(VALU_DEP_3) | instskip(SKIP_2) | instid1(VALU_DEP_3)
	v_cndmask_b32_e32 v15, 0x7fc0, v15, vcc_lo
	v_add_co_u32 v16, vcc_lo, v30, s10
	v_add_co_ci_u32_e32 v17, vcc_lo, s11, v31, vcc_lo
	v_perm_b32 v15, v14, v15, 0x5040100
	v_perm_b32 v14, v13, v21, 0x5040100
	;; [unrolled: 1-line block ×3, first 2 shown]
	global_store_b128 v[16:17], v[12:15], off
	s_cbranch_scc1 .LBB41_64
.LBB41_12:                              ; =>This Loop Header: Depth=1
                                        ;     Child Loop BB41_33 Depth 2
	s_waitcnt_vscnt null, 0x0
	s_barrier
	buffer_gl0_inv
	s_and_saveexec_b32 s6, s0
	s_cbranch_execz .LBB41_14
; %bb.13:                               ;   in Loop: Header=BB41_12 Depth=1
	s_clause 0x1
	global_load_b128 v[0:3], v39, s[24:25]
	global_load_b128 v[4:7], v39, s[26:27]
	s_waitcnt vmcnt(1)
	v_lshrrev_b32_e32 v41, 16, v0
	v_lshrrev_b32_e32 v42, 16, v1
	;; [unrolled: 1-line block ×4, first 2 shown]
	s_waitcnt vmcnt(0)
	v_lshrrev_b32_e32 v43, 16, v4
	v_lshrrev_b32_e32 v45, 16, v5
	;; [unrolled: 1-line block ×4, first 2 shown]
.LBB41_14:                              ;   in Loop: Header=BB41_12 Depth=1
	s_or_b32 exec_lo, exec_lo, s6
	v_lshlrev_b32_e32 v12, 16, v4
	s_delay_alu instid0(VALU_DEP_1) | instskip(NEXT) | instid1(VALU_DEP_1)
	v_add_f32_e32 v49, s52, v12
	v_cmp_ge_f32_e32 vcc_lo, 0x41a00000, v49
	s_and_b32 s6, s56, vcc_lo
	s_delay_alu instid0(SALU_CYCLE_1)
	s_and_saveexec_b32 s7, s6
	s_cbranch_execz .LBB41_16
; %bb.15:                               ;   in Loop: Header=BB41_12 Depth=1
	v_mul_f32_e32 v12, 0x3fb8aa3b, v49
	v_cmp_ngt_f32_e32 vcc_lo, 0xc2ce8ed0, v49
	s_delay_alu instid0(VALU_DEP_2) | instskip(SKIP_1) | instid1(VALU_DEP_2)
	v_rndne_f32_e32 v13, v12
	v_fma_f32 v14, 0x3fb8aa3b, v49, -v12
	v_sub_f32_e32 v12, v12, v13
	s_delay_alu instid0(VALU_DEP_2) | instskip(SKIP_1) | instid1(VALU_DEP_2)
	v_fmac_f32_e32 v14, 0x32a5705f, v49
	v_cvt_i32_f32_e32 v13, v13
	v_add_f32_e32 v12, v12, v14
	s_delay_alu instid0(VALU_DEP_1) | instskip(SKIP_2) | instid1(VALU_DEP_1)
	v_exp_f32_e32 v12, v12
	s_waitcnt_depctr 0xfff
	v_ldexp_f32 v12, v12, v13
	v_cndmask_b32_e32 v12, 0, v12, vcc_lo
	v_cmp_nlt_f32_e32 vcc_lo, 0x42b17218, v49
	s_delay_alu instid0(VALU_DEP_2) | instskip(NEXT) | instid1(VALU_DEP_1)
	v_cndmask_b32_e32 v14, 0x7f800000, v12, vcc_lo
	v_add_f32_e32 v15, 1.0, v14
	s_delay_alu instid0(VALU_DEP_1) | instskip(NEXT) | instid1(VALU_DEP_1)
	v_cvt_f64_f32_e32 v[12:13], v15
	v_frexp_exp_i32_f64_e32 v12, v[12:13]
	v_frexp_mant_f32_e32 v13, v15
	s_delay_alu instid0(VALU_DEP_1) | instskip(SKIP_1) | instid1(VALU_DEP_1)
	v_cmp_gt_f32_e32 vcc_lo, 0x3f2aaaab, v13
	v_add_f32_e32 v13, -1.0, v15
	v_sub_f32_e32 v17, v13, v15
	v_sub_f32_e32 v13, v14, v13
	s_delay_alu instid0(VALU_DEP_2) | instskip(NEXT) | instid1(VALU_DEP_1)
	v_add_f32_e32 v17, 1.0, v17
	v_add_f32_e32 v13, v13, v17
	v_cmp_gt_f32_e64 s6, 0x33800000, v14
	v_subrev_co_ci_u32_e32 v12, vcc_lo, 0, v12, vcc_lo
	v_cmp_eq_f32_e32 vcc_lo, 0x7f800000, v14
	s_delay_alu instid0(VALU_DEP_2) | instskip(SKIP_2) | instid1(VALU_DEP_2)
	v_sub_nc_u32_e32 v16, 0, v12
	v_cvt_f32_i32_e32 v12, v12
	s_or_b32 vcc_lo, s6, vcc_lo
	v_ldexp_f32 v15, v15, v16
	v_ldexp_f32 v13, v13, v16
	s_delay_alu instid0(VALU_DEP_2) | instskip(NEXT) | instid1(VALU_DEP_1)
	v_add_f32_e32 v18, 1.0, v15
	v_dual_add_f32 v16, -1.0, v15 :: v_dual_add_f32 v17, -1.0, v18
	s_delay_alu instid0(VALU_DEP_1) | instskip(NEXT) | instid1(VALU_DEP_2)
	v_add_f32_e32 v19, 1.0, v16
	v_sub_f32_e32 v17, v15, v17
	s_delay_alu instid0(VALU_DEP_2) | instskip(NEXT) | instid1(VALU_DEP_2)
	v_sub_f32_e32 v15, v15, v19
	v_add_f32_e32 v17, v13, v17
	s_delay_alu instid0(VALU_DEP_2) | instskip(NEXT) | instid1(VALU_DEP_2)
	v_add_f32_e32 v13, v13, v15
	v_add_f32_e32 v19, v18, v17
	s_delay_alu instid0(VALU_DEP_2) | instskip(NEXT) | instid1(VALU_DEP_2)
	v_add_f32_e32 v20, v16, v13
	v_rcp_f32_e32 v15, v19
	v_sub_f32_e32 v18, v18, v19
	s_delay_alu instid0(VALU_DEP_1) | instskip(SKIP_2) | instid1(VALU_DEP_1)
	v_dual_sub_f32 v16, v16, v20 :: v_dual_add_f32 v17, v17, v18
	s_waitcnt_depctr 0xfff
	v_mul_f32_e32 v21, v20, v15
	v_mul_f32_e32 v49, v19, v21
	s_delay_alu instid0(VALU_DEP_1) | instskip(NEXT) | instid1(VALU_DEP_1)
	v_fma_f32 v18, v21, v19, -v49
	v_fmac_f32_e32 v18, v21, v17
	s_delay_alu instid0(VALU_DEP_1) | instskip(NEXT) | instid1(VALU_DEP_1)
	v_add_f32_e32 v50, v49, v18
	v_sub_f32_e32 v51, v20, v50
	s_delay_alu instid0(VALU_DEP_1) | instskip(SKIP_1) | instid1(VALU_DEP_2)
	v_dual_sub_f32 v20, v20, v51 :: v_dual_add_f32 v13, v13, v16
	v_sub_f32_e32 v16, v50, v49
	v_sub_f32_e32 v20, v20, v50
	s_delay_alu instid0(VALU_DEP_1) | instskip(NEXT) | instid1(VALU_DEP_1)
	v_dual_sub_f32 v16, v16, v18 :: v_dual_add_f32 v13, v13, v20
	v_add_f32_e32 v13, v16, v13
	s_delay_alu instid0(VALU_DEP_1) | instskip(NEXT) | instid1(VALU_DEP_1)
	v_add_f32_e32 v16, v51, v13
	v_mul_f32_e32 v18, v15, v16
	v_sub_f32_e32 v50, v51, v16
	s_delay_alu instid0(VALU_DEP_2) | instskip(NEXT) | instid1(VALU_DEP_2)
	v_mul_f32_e32 v20, v19, v18
	v_add_f32_e32 v13, v13, v50
	s_delay_alu instid0(VALU_DEP_2) | instskip(NEXT) | instid1(VALU_DEP_1)
	v_fma_f32 v19, v18, v19, -v20
	v_fmac_f32_e32 v19, v18, v17
	s_delay_alu instid0(VALU_DEP_1) | instskip(NEXT) | instid1(VALU_DEP_1)
	v_add_f32_e32 v17, v20, v19
	v_sub_f32_e32 v49, v16, v17
	s_delay_alu instid0(VALU_DEP_1) | instskip(NEXT) | instid1(VALU_DEP_1)
	v_sub_f32_e32 v16, v16, v49
	v_sub_f32_e32 v16, v16, v17
	s_delay_alu instid0(VALU_DEP_1) | instskip(SKIP_2) | instid1(VALU_DEP_1)
	v_add_f32_e32 v13, v13, v16
	v_add_f32_e32 v16, v21, v18
	v_sub_f32_e32 v20, v17, v20
	v_sub_f32_e32 v17, v20, v19
	s_delay_alu instid0(VALU_DEP_1) | instskip(NEXT) | instid1(VALU_DEP_4)
	v_add_f32_e32 v13, v17, v13
	v_sub_f32_e32 v17, v16, v21
	s_delay_alu instid0(VALU_DEP_2) | instskip(NEXT) | instid1(VALU_DEP_2)
	v_add_f32_e32 v13, v49, v13
	v_sub_f32_e32 v17, v18, v17
	s_delay_alu instid0(VALU_DEP_2) | instskip(NEXT) | instid1(VALU_DEP_1)
	v_mul_f32_e32 v13, v15, v13
	v_add_f32_e32 v13, v17, v13
	s_delay_alu instid0(VALU_DEP_1) | instskip(NEXT) | instid1(VALU_DEP_1)
	v_add_f32_e32 v15, v16, v13
	v_mul_f32_e32 v17, v15, v15
	s_delay_alu instid0(VALU_DEP_1) | instskip(SKIP_1) | instid1(VALU_DEP_2)
	v_fmaak_f32 v18, s60, v17, 0x3ecc95a3
	v_mul_f32_e32 v19, v15, v17
	v_fmaak_f32 v17, v17, v18, 0x3f2aaada
	v_ldexp_f32 v18, v15, 1
	s_delay_alu instid0(VALU_DEP_2) | instskip(SKIP_1) | instid1(VALU_DEP_2)
	v_mul_f32_e32 v17, v19, v17
	v_sub_f32_e32 v15, v15, v16
	v_dual_mul_f32 v19, 0x3f317218, v12 :: v_dual_add_f32 v16, v18, v17
	s_delay_alu instid0(VALU_DEP_2) | instskip(NEXT) | instid1(VALU_DEP_2)
	v_sub_f32_e32 v13, v13, v15
	v_sub_f32_e32 v15, v16, v18
	s_delay_alu instid0(VALU_DEP_3) | instskip(NEXT) | instid1(VALU_DEP_3)
	v_fma_f32 v18, 0x3f317218, v12, -v19
	v_ldexp_f32 v13, v13, 1
	s_delay_alu instid0(VALU_DEP_2) | instskip(NEXT) | instid1(VALU_DEP_1)
	v_dual_sub_f32 v15, v17, v15 :: v_dual_fmac_f32 v18, 0xb102e308, v12
	v_dual_add_f32 v12, v13, v15 :: v_dual_add_f32 v13, v19, v18
	s_delay_alu instid0(VALU_DEP_1) | instskip(NEXT) | instid1(VALU_DEP_1)
	v_add_f32_e32 v15, v16, v12
	v_dual_add_f32 v17, v13, v15 :: v_dual_sub_f32 v16, v15, v16
	s_delay_alu instid0(VALU_DEP_1) | instskip(NEXT) | instid1(VALU_DEP_2)
	v_sub_f32_e32 v20, v17, v13
	v_dual_sub_f32 v19, v13, v19 :: v_dual_sub_f32 v12, v12, v16
	s_delay_alu instid0(VALU_DEP_1) | instskip(SKIP_1) | instid1(VALU_DEP_2)
	v_dual_sub_f32 v21, v17, v20 :: v_dual_sub_f32 v18, v18, v19
	v_sub_f32_e32 v15, v15, v20
	v_dual_sub_f32 v13, v13, v21 :: v_dual_add_f32 v16, v18, v12
	s_delay_alu instid0(VALU_DEP_1) | instskip(NEXT) | instid1(VALU_DEP_2)
	v_add_f32_e32 v13, v15, v13
	v_sub_f32_e32 v15, v16, v18
	s_delay_alu instid0(VALU_DEP_2) | instskip(NEXT) | instid1(VALU_DEP_2)
	v_add_f32_e32 v13, v16, v13
	v_sub_f32_e32 v16, v16, v15
	s_delay_alu instid0(VALU_DEP_2) | instskip(NEXT) | instid1(VALU_DEP_1)
	v_dual_sub_f32 v12, v12, v15 :: v_dual_add_f32 v19, v17, v13
	v_dual_sub_f32 v16, v18, v16 :: v_dual_sub_f32 v15, v19, v17
	s_delay_alu instid0(VALU_DEP_1) | instskip(NEXT) | instid1(VALU_DEP_1)
	v_dual_add_f32 v12, v12, v16 :: v_dual_sub_f32 v13, v13, v15
	v_add_f32_e32 v12, v12, v13
	s_delay_alu instid0(VALU_DEP_1) | instskip(NEXT) | instid1(VALU_DEP_1)
	v_add_f32_e32 v12, v19, v12
	v_cndmask_b32_e32 v49, v12, v14, vcc_lo
.LBB41_16:                              ;   in Loop: Header=BB41_12 Depth=1
	s_or_b32 exec_lo, exec_lo, s7
	v_lshlrev_b32_e32 v12, 16, v43
	s_delay_alu instid0(VALU_DEP_1) | instskip(NEXT) | instid1(VALU_DEP_1)
	v_add_f32_e32 v50, s52, v12
	v_cmp_ge_f32_e32 vcc_lo, 0x41a00000, v50
	s_and_b32 s6, s56, vcc_lo
	s_delay_alu instid0(SALU_CYCLE_1)
	s_and_saveexec_b32 s7, s6
	s_cbranch_execz .LBB41_18
; %bb.17:                               ;   in Loop: Header=BB41_12 Depth=1
	v_mul_f32_e32 v12, 0x3fb8aa3b, v50
	v_cmp_ngt_f32_e32 vcc_lo, 0xc2ce8ed0, v50
	s_delay_alu instid0(VALU_DEP_2) | instskip(SKIP_1) | instid1(VALU_DEP_2)
	v_rndne_f32_e32 v13, v12
	v_fma_f32 v14, 0x3fb8aa3b, v50, -v12
	v_sub_f32_e32 v12, v12, v13
	s_delay_alu instid0(VALU_DEP_2) | instskip(SKIP_1) | instid1(VALU_DEP_2)
	v_fmac_f32_e32 v14, 0x32a5705f, v50
	v_cvt_i32_f32_e32 v13, v13
	v_add_f32_e32 v12, v12, v14
	s_delay_alu instid0(VALU_DEP_1) | instskip(SKIP_2) | instid1(VALU_DEP_1)
	v_exp_f32_e32 v12, v12
	s_waitcnt_depctr 0xfff
	v_ldexp_f32 v12, v12, v13
	v_cndmask_b32_e32 v12, 0, v12, vcc_lo
	v_cmp_nlt_f32_e32 vcc_lo, 0x42b17218, v50
	s_delay_alu instid0(VALU_DEP_2) | instskip(NEXT) | instid1(VALU_DEP_1)
	v_cndmask_b32_e32 v14, 0x7f800000, v12, vcc_lo
	v_add_f32_e32 v15, 1.0, v14
	s_delay_alu instid0(VALU_DEP_1) | instskip(NEXT) | instid1(VALU_DEP_1)
	v_cvt_f64_f32_e32 v[12:13], v15
	v_frexp_exp_i32_f64_e32 v12, v[12:13]
	v_frexp_mant_f32_e32 v13, v15
	s_delay_alu instid0(VALU_DEP_1) | instskip(SKIP_1) | instid1(VALU_DEP_1)
	v_cmp_gt_f32_e32 vcc_lo, 0x3f2aaaab, v13
	v_add_f32_e32 v13, -1.0, v15
	v_sub_f32_e32 v17, v13, v15
	v_sub_f32_e32 v13, v14, v13
	s_delay_alu instid0(VALU_DEP_2) | instskip(NEXT) | instid1(VALU_DEP_1)
	v_add_f32_e32 v17, 1.0, v17
	v_add_f32_e32 v13, v13, v17
	v_cmp_gt_f32_e64 s6, 0x33800000, v14
	v_subrev_co_ci_u32_e32 v12, vcc_lo, 0, v12, vcc_lo
	v_cmp_eq_f32_e32 vcc_lo, 0x7f800000, v14
	s_delay_alu instid0(VALU_DEP_2) | instskip(SKIP_2) | instid1(VALU_DEP_2)
	v_sub_nc_u32_e32 v16, 0, v12
	v_cvt_f32_i32_e32 v12, v12
	s_or_b32 vcc_lo, s6, vcc_lo
	v_ldexp_f32 v15, v15, v16
	v_ldexp_f32 v13, v13, v16
	s_delay_alu instid0(VALU_DEP_2) | instskip(NEXT) | instid1(VALU_DEP_1)
	v_add_f32_e32 v18, 1.0, v15
	v_dual_add_f32 v16, -1.0, v15 :: v_dual_add_f32 v17, -1.0, v18
	s_delay_alu instid0(VALU_DEP_1) | instskip(NEXT) | instid1(VALU_DEP_2)
	v_add_f32_e32 v19, 1.0, v16
	v_sub_f32_e32 v17, v15, v17
	s_delay_alu instid0(VALU_DEP_2) | instskip(NEXT) | instid1(VALU_DEP_2)
	v_sub_f32_e32 v15, v15, v19
	v_add_f32_e32 v17, v13, v17
	s_delay_alu instid0(VALU_DEP_2) | instskip(NEXT) | instid1(VALU_DEP_1)
	v_add_f32_e32 v13, v13, v15
	v_add_f32_e32 v20, v16, v13
	s_delay_alu instid0(VALU_DEP_1) | instskip(NEXT) | instid1(VALU_DEP_1)
	v_dual_add_f32 v19, v18, v17 :: v_dual_sub_f32 v16, v16, v20
	v_rcp_f32_e32 v15, v19
	v_sub_f32_e32 v18, v18, v19
	s_delay_alu instid0(VALU_DEP_1) | instskip(SKIP_2) | instid1(VALU_DEP_1)
	v_add_f32_e32 v17, v17, v18
	s_waitcnt_depctr 0xfff
	v_mul_f32_e32 v21, v20, v15
	v_mul_f32_e32 v50, v19, v21
	s_delay_alu instid0(VALU_DEP_1) | instskip(NEXT) | instid1(VALU_DEP_1)
	v_fma_f32 v18, v21, v19, -v50
	v_fmac_f32_e32 v18, v21, v17
	s_delay_alu instid0(VALU_DEP_1) | instskip(NEXT) | instid1(VALU_DEP_1)
	v_add_f32_e32 v51, v50, v18
	v_sub_f32_e32 v52, v20, v51
	s_delay_alu instid0(VALU_DEP_1) | instskip(SKIP_1) | instid1(VALU_DEP_2)
	v_sub_f32_e32 v20, v20, v52
	v_dual_add_f32 v13, v13, v16 :: v_dual_sub_f32 v16, v51, v50
	v_sub_f32_e32 v20, v20, v51
	s_delay_alu instid0(VALU_DEP_1) | instskip(NEXT) | instid1(VALU_DEP_1)
	v_dual_sub_f32 v16, v16, v18 :: v_dual_add_f32 v13, v13, v20
	v_add_f32_e32 v13, v16, v13
	s_delay_alu instid0(VALU_DEP_1) | instskip(NEXT) | instid1(VALU_DEP_1)
	v_add_f32_e32 v16, v52, v13
	v_mul_f32_e32 v18, v15, v16
	s_delay_alu instid0(VALU_DEP_1) | instskip(NEXT) | instid1(VALU_DEP_1)
	v_dual_sub_f32 v51, v52, v16 :: v_dual_mul_f32 v20, v19, v18
	v_add_f32_e32 v13, v13, v51
	s_delay_alu instid0(VALU_DEP_2) | instskip(NEXT) | instid1(VALU_DEP_1)
	v_fma_f32 v19, v18, v19, -v20
	v_fmac_f32_e32 v19, v18, v17
	s_delay_alu instid0(VALU_DEP_1) | instskip(NEXT) | instid1(VALU_DEP_1)
	v_add_f32_e32 v17, v20, v19
	v_sub_f32_e32 v50, v16, v17
	s_delay_alu instid0(VALU_DEP_1) | instskip(NEXT) | instid1(VALU_DEP_1)
	v_sub_f32_e32 v16, v16, v50
	v_sub_f32_e32 v16, v16, v17
	s_delay_alu instid0(VALU_DEP_1) | instskip(SKIP_2) | instid1(VALU_DEP_1)
	v_add_f32_e32 v13, v13, v16
	v_add_f32_e32 v16, v21, v18
	v_sub_f32_e32 v20, v17, v20
	v_sub_f32_e32 v17, v20, v19
	s_delay_alu instid0(VALU_DEP_1) | instskip(NEXT) | instid1(VALU_DEP_4)
	v_add_f32_e32 v13, v17, v13
	v_sub_f32_e32 v17, v16, v21
	s_delay_alu instid0(VALU_DEP_2) | instskip(NEXT) | instid1(VALU_DEP_2)
	v_add_f32_e32 v13, v50, v13
	v_sub_f32_e32 v17, v18, v17
	s_delay_alu instid0(VALU_DEP_2) | instskip(NEXT) | instid1(VALU_DEP_1)
	v_mul_f32_e32 v13, v15, v13
	v_add_f32_e32 v13, v17, v13
	s_delay_alu instid0(VALU_DEP_1) | instskip(NEXT) | instid1(VALU_DEP_1)
	v_add_f32_e32 v15, v16, v13
	v_mul_f32_e32 v17, v15, v15
	s_delay_alu instid0(VALU_DEP_1) | instskip(SKIP_1) | instid1(VALU_DEP_2)
	v_fmaak_f32 v18, s60, v17, 0x3ecc95a3
	v_mul_f32_e32 v19, v15, v17
	v_fmaak_f32 v17, v17, v18, 0x3f2aaada
	v_ldexp_f32 v18, v15, 1
	s_delay_alu instid0(VALU_DEP_2) | instskip(SKIP_1) | instid1(VALU_DEP_2)
	v_mul_f32_e32 v17, v19, v17
	v_sub_f32_e32 v15, v15, v16
	v_dual_mul_f32 v19, 0x3f317218, v12 :: v_dual_add_f32 v16, v18, v17
	s_delay_alu instid0(VALU_DEP_2) | instskip(NEXT) | instid1(VALU_DEP_2)
	v_sub_f32_e32 v13, v13, v15
	v_sub_f32_e32 v15, v16, v18
	s_delay_alu instid0(VALU_DEP_3) | instskip(NEXT) | instid1(VALU_DEP_3)
	v_fma_f32 v18, 0x3f317218, v12, -v19
	v_ldexp_f32 v13, v13, 1
	s_delay_alu instid0(VALU_DEP_2) | instskip(NEXT) | instid1(VALU_DEP_1)
	v_dual_sub_f32 v15, v17, v15 :: v_dual_fmac_f32 v18, 0xb102e308, v12
	v_dual_add_f32 v12, v13, v15 :: v_dual_add_f32 v13, v19, v18
	s_delay_alu instid0(VALU_DEP_1) | instskip(NEXT) | instid1(VALU_DEP_1)
	v_add_f32_e32 v15, v16, v12
	v_dual_add_f32 v17, v13, v15 :: v_dual_sub_f32 v16, v15, v16
	s_delay_alu instid0(VALU_DEP_1) | instskip(NEXT) | instid1(VALU_DEP_2)
	v_sub_f32_e32 v20, v17, v13
	v_dual_sub_f32 v19, v13, v19 :: v_dual_sub_f32 v12, v12, v16
	s_delay_alu instid0(VALU_DEP_1) | instskip(SKIP_1) | instid1(VALU_DEP_2)
	v_dual_sub_f32 v21, v17, v20 :: v_dual_sub_f32 v18, v18, v19
	v_sub_f32_e32 v15, v15, v20
	v_dual_sub_f32 v13, v13, v21 :: v_dual_add_f32 v16, v18, v12
	s_delay_alu instid0(VALU_DEP_1) | instskip(NEXT) | instid1(VALU_DEP_2)
	v_add_f32_e32 v13, v15, v13
	v_sub_f32_e32 v15, v16, v18
	s_delay_alu instid0(VALU_DEP_2) | instskip(NEXT) | instid1(VALU_DEP_2)
	v_add_f32_e32 v13, v16, v13
	v_sub_f32_e32 v16, v16, v15
	s_delay_alu instid0(VALU_DEP_2) | instskip(NEXT) | instid1(VALU_DEP_1)
	v_dual_sub_f32 v12, v12, v15 :: v_dual_add_f32 v19, v17, v13
	v_dual_sub_f32 v16, v18, v16 :: v_dual_sub_f32 v15, v19, v17
	s_delay_alu instid0(VALU_DEP_1) | instskip(NEXT) | instid1(VALU_DEP_1)
	v_dual_add_f32 v12, v12, v16 :: v_dual_sub_f32 v13, v13, v15
	v_add_f32_e32 v12, v12, v13
	s_delay_alu instid0(VALU_DEP_1) | instskip(NEXT) | instid1(VALU_DEP_1)
	v_add_f32_e32 v12, v19, v12
	v_cndmask_b32_e32 v50, v12, v14, vcc_lo
.LBB41_18:                              ;   in Loop: Header=BB41_12 Depth=1
	s_or_b32 exec_lo, exec_lo, s7
	v_lshlrev_b32_e32 v12, 16, v5
	s_delay_alu instid0(VALU_DEP_1) | instskip(NEXT) | instid1(VALU_DEP_1)
	v_add_f32_e32 v51, s52, v12
	v_cmp_ge_f32_e32 vcc_lo, 0x41a00000, v51
	s_and_b32 s6, s56, vcc_lo
	s_delay_alu instid0(SALU_CYCLE_1)
	s_and_saveexec_b32 s7, s6
	s_cbranch_execz .LBB41_20
; %bb.19:                               ;   in Loop: Header=BB41_12 Depth=1
	v_mul_f32_e32 v12, 0x3fb8aa3b, v51
	v_cmp_ngt_f32_e32 vcc_lo, 0xc2ce8ed0, v51
	s_delay_alu instid0(VALU_DEP_2) | instskip(SKIP_1) | instid1(VALU_DEP_2)
	v_rndne_f32_e32 v13, v12
	v_fma_f32 v14, 0x3fb8aa3b, v51, -v12
	v_sub_f32_e32 v12, v12, v13
	s_delay_alu instid0(VALU_DEP_2) | instskip(SKIP_1) | instid1(VALU_DEP_2)
	v_fmac_f32_e32 v14, 0x32a5705f, v51
	v_cvt_i32_f32_e32 v13, v13
	v_add_f32_e32 v12, v12, v14
	s_delay_alu instid0(VALU_DEP_1) | instskip(SKIP_2) | instid1(VALU_DEP_1)
	v_exp_f32_e32 v12, v12
	s_waitcnt_depctr 0xfff
	v_ldexp_f32 v12, v12, v13
	v_cndmask_b32_e32 v12, 0, v12, vcc_lo
	v_cmp_nlt_f32_e32 vcc_lo, 0x42b17218, v51
	s_delay_alu instid0(VALU_DEP_2) | instskip(NEXT) | instid1(VALU_DEP_1)
	v_cndmask_b32_e32 v14, 0x7f800000, v12, vcc_lo
	v_add_f32_e32 v15, 1.0, v14
	s_delay_alu instid0(VALU_DEP_1) | instskip(NEXT) | instid1(VALU_DEP_1)
	v_cvt_f64_f32_e32 v[12:13], v15
	v_frexp_exp_i32_f64_e32 v12, v[12:13]
	v_frexp_mant_f32_e32 v13, v15
	s_delay_alu instid0(VALU_DEP_1) | instskip(SKIP_1) | instid1(VALU_DEP_1)
	v_cmp_gt_f32_e32 vcc_lo, 0x3f2aaaab, v13
	v_add_f32_e32 v13, -1.0, v15
	v_sub_f32_e32 v17, v13, v15
	v_sub_f32_e32 v13, v14, v13
	s_delay_alu instid0(VALU_DEP_2) | instskip(NEXT) | instid1(VALU_DEP_1)
	v_add_f32_e32 v17, 1.0, v17
	v_add_f32_e32 v13, v13, v17
	v_cmp_gt_f32_e64 s6, 0x33800000, v14
	v_subrev_co_ci_u32_e32 v12, vcc_lo, 0, v12, vcc_lo
	v_cmp_eq_f32_e32 vcc_lo, 0x7f800000, v14
	s_delay_alu instid0(VALU_DEP_2) | instskip(SKIP_2) | instid1(VALU_DEP_2)
	v_sub_nc_u32_e32 v16, 0, v12
	v_cvt_f32_i32_e32 v12, v12
	s_or_b32 vcc_lo, s6, vcc_lo
	v_ldexp_f32 v15, v15, v16
	v_ldexp_f32 v13, v13, v16
	s_delay_alu instid0(VALU_DEP_2) | instskip(NEXT) | instid1(VALU_DEP_1)
	v_add_f32_e32 v18, 1.0, v15
	v_dual_add_f32 v16, -1.0, v15 :: v_dual_add_f32 v17, -1.0, v18
	s_delay_alu instid0(VALU_DEP_1) | instskip(NEXT) | instid1(VALU_DEP_2)
	v_add_f32_e32 v19, 1.0, v16
	v_sub_f32_e32 v17, v15, v17
	s_delay_alu instid0(VALU_DEP_2) | instskip(NEXT) | instid1(VALU_DEP_2)
	v_sub_f32_e32 v15, v15, v19
	v_add_f32_e32 v17, v13, v17
	s_delay_alu instid0(VALU_DEP_2) | instskip(NEXT) | instid1(VALU_DEP_2)
	v_add_f32_e32 v13, v13, v15
	v_add_f32_e32 v19, v18, v17
	s_delay_alu instid0(VALU_DEP_2) | instskip(NEXT) | instid1(VALU_DEP_2)
	v_add_f32_e32 v20, v16, v13
	v_rcp_f32_e32 v15, v19
	v_sub_f32_e32 v18, v18, v19
	s_delay_alu instid0(VALU_DEP_1) | instskip(SKIP_2) | instid1(VALU_DEP_1)
	v_dual_sub_f32 v16, v16, v20 :: v_dual_add_f32 v17, v17, v18
	s_waitcnt_depctr 0xfff
	v_mul_f32_e32 v21, v20, v15
	v_mul_f32_e32 v51, v19, v21
	s_delay_alu instid0(VALU_DEP_1) | instskip(NEXT) | instid1(VALU_DEP_1)
	v_fma_f32 v18, v21, v19, -v51
	v_fmac_f32_e32 v18, v21, v17
	s_delay_alu instid0(VALU_DEP_1) | instskip(NEXT) | instid1(VALU_DEP_1)
	v_add_f32_e32 v52, v51, v18
	v_sub_f32_e32 v53, v20, v52
	s_delay_alu instid0(VALU_DEP_1) | instskip(NEXT) | instid1(VALU_DEP_1)
	v_sub_f32_e32 v20, v20, v53
	v_sub_f32_e32 v20, v20, v52
	v_dual_add_f32 v13, v13, v16 :: v_dual_sub_f32 v16, v52, v51
	s_delay_alu instid0(VALU_DEP_1) | instskip(NEXT) | instid1(VALU_DEP_1)
	v_dual_add_f32 v13, v13, v20 :: v_dual_sub_f32 v16, v16, v18
	v_add_f32_e32 v13, v16, v13
	s_delay_alu instid0(VALU_DEP_1) | instskip(NEXT) | instid1(VALU_DEP_1)
	v_add_f32_e32 v16, v53, v13
	v_mul_f32_e32 v18, v15, v16
	s_delay_alu instid0(VALU_DEP_1) | instskip(SKIP_1) | instid1(VALU_DEP_2)
	v_mul_f32_e32 v20, v19, v18
	v_sub_f32_e32 v52, v53, v16
	v_fma_f32 v19, v18, v19, -v20
	s_delay_alu instid0(VALU_DEP_2) | instskip(NEXT) | instid1(VALU_DEP_2)
	v_add_f32_e32 v13, v13, v52
	v_fmac_f32_e32 v19, v18, v17
	s_delay_alu instid0(VALU_DEP_1) | instskip(NEXT) | instid1(VALU_DEP_1)
	v_add_f32_e32 v17, v20, v19
	v_sub_f32_e32 v51, v16, v17
	s_delay_alu instid0(VALU_DEP_1) | instskip(NEXT) | instid1(VALU_DEP_1)
	v_sub_f32_e32 v16, v16, v51
	v_sub_f32_e32 v16, v16, v17
	s_delay_alu instid0(VALU_DEP_1) | instskip(SKIP_2) | instid1(VALU_DEP_1)
	v_add_f32_e32 v13, v13, v16
	v_add_f32_e32 v16, v21, v18
	v_sub_f32_e32 v20, v17, v20
	v_sub_f32_e32 v17, v20, v19
	s_delay_alu instid0(VALU_DEP_1) | instskip(NEXT) | instid1(VALU_DEP_4)
	v_add_f32_e32 v13, v17, v13
	v_sub_f32_e32 v17, v16, v21
	s_delay_alu instid0(VALU_DEP_2) | instskip(NEXT) | instid1(VALU_DEP_2)
	v_add_f32_e32 v13, v51, v13
	v_sub_f32_e32 v17, v18, v17
	s_delay_alu instid0(VALU_DEP_2) | instskip(NEXT) | instid1(VALU_DEP_1)
	v_mul_f32_e32 v13, v15, v13
	v_add_f32_e32 v13, v17, v13
	s_delay_alu instid0(VALU_DEP_1) | instskip(NEXT) | instid1(VALU_DEP_1)
	v_add_f32_e32 v15, v16, v13
	v_mul_f32_e32 v17, v15, v15
	s_delay_alu instid0(VALU_DEP_1) | instskip(SKIP_1) | instid1(VALU_DEP_2)
	v_fmaak_f32 v18, s60, v17, 0x3ecc95a3
	v_mul_f32_e32 v19, v15, v17
	v_fmaak_f32 v17, v17, v18, 0x3f2aaada
	v_ldexp_f32 v18, v15, 1
	s_delay_alu instid0(VALU_DEP_2) | instskip(SKIP_1) | instid1(VALU_DEP_2)
	v_mul_f32_e32 v17, v19, v17
	v_sub_f32_e32 v15, v15, v16
	v_dual_mul_f32 v19, 0x3f317218, v12 :: v_dual_add_f32 v16, v18, v17
	s_delay_alu instid0(VALU_DEP_2) | instskip(NEXT) | instid1(VALU_DEP_2)
	v_sub_f32_e32 v13, v13, v15
	v_sub_f32_e32 v15, v16, v18
	s_delay_alu instid0(VALU_DEP_3) | instskip(NEXT) | instid1(VALU_DEP_3)
	v_fma_f32 v18, 0x3f317218, v12, -v19
	v_ldexp_f32 v13, v13, 1
	s_delay_alu instid0(VALU_DEP_2) | instskip(NEXT) | instid1(VALU_DEP_1)
	v_dual_sub_f32 v15, v17, v15 :: v_dual_fmac_f32 v18, 0xb102e308, v12
	v_dual_add_f32 v12, v13, v15 :: v_dual_add_f32 v13, v19, v18
	s_delay_alu instid0(VALU_DEP_1) | instskip(NEXT) | instid1(VALU_DEP_1)
	v_add_f32_e32 v15, v16, v12
	v_dual_add_f32 v17, v13, v15 :: v_dual_sub_f32 v16, v15, v16
	s_delay_alu instid0(VALU_DEP_1) | instskip(NEXT) | instid1(VALU_DEP_2)
	v_sub_f32_e32 v20, v17, v13
	v_dual_sub_f32 v19, v13, v19 :: v_dual_sub_f32 v12, v12, v16
	s_delay_alu instid0(VALU_DEP_1) | instskip(SKIP_1) | instid1(VALU_DEP_2)
	v_dual_sub_f32 v21, v17, v20 :: v_dual_sub_f32 v18, v18, v19
	v_sub_f32_e32 v15, v15, v20
	v_dual_sub_f32 v13, v13, v21 :: v_dual_add_f32 v16, v18, v12
	s_delay_alu instid0(VALU_DEP_1) | instskip(NEXT) | instid1(VALU_DEP_2)
	v_add_f32_e32 v13, v15, v13
	v_sub_f32_e32 v15, v16, v18
	s_delay_alu instid0(VALU_DEP_2) | instskip(NEXT) | instid1(VALU_DEP_2)
	v_add_f32_e32 v13, v16, v13
	v_sub_f32_e32 v16, v16, v15
	s_delay_alu instid0(VALU_DEP_2) | instskip(NEXT) | instid1(VALU_DEP_1)
	v_dual_sub_f32 v12, v12, v15 :: v_dual_add_f32 v19, v17, v13
	v_dual_sub_f32 v16, v18, v16 :: v_dual_sub_f32 v15, v19, v17
	s_delay_alu instid0(VALU_DEP_1) | instskip(NEXT) | instid1(VALU_DEP_1)
	v_dual_add_f32 v12, v12, v16 :: v_dual_sub_f32 v13, v13, v15
	v_add_f32_e32 v12, v12, v13
	s_delay_alu instid0(VALU_DEP_1) | instskip(NEXT) | instid1(VALU_DEP_1)
	v_add_f32_e32 v12, v19, v12
	v_cndmask_b32_e32 v51, v12, v14, vcc_lo
.LBB41_20:                              ;   in Loop: Header=BB41_12 Depth=1
	s_or_b32 exec_lo, exec_lo, s7
	v_lshlrev_b32_e32 v12, 16, v45
	s_delay_alu instid0(VALU_DEP_1) | instskip(NEXT) | instid1(VALU_DEP_1)
	v_add_f32_e32 v52, s52, v12
	v_cmp_ge_f32_e32 vcc_lo, 0x41a00000, v52
	s_and_b32 s6, s56, vcc_lo
	s_delay_alu instid0(SALU_CYCLE_1)
	s_and_saveexec_b32 s7, s6
	s_cbranch_execz .LBB41_22
; %bb.21:                               ;   in Loop: Header=BB41_12 Depth=1
	v_mul_f32_e32 v12, 0x3fb8aa3b, v52
	v_cmp_ngt_f32_e32 vcc_lo, 0xc2ce8ed0, v52
	s_delay_alu instid0(VALU_DEP_2) | instskip(SKIP_1) | instid1(VALU_DEP_2)
	v_rndne_f32_e32 v13, v12
	v_fma_f32 v14, 0x3fb8aa3b, v52, -v12
	v_sub_f32_e32 v12, v12, v13
	s_delay_alu instid0(VALU_DEP_2) | instskip(SKIP_1) | instid1(VALU_DEP_2)
	v_fmac_f32_e32 v14, 0x32a5705f, v52
	v_cvt_i32_f32_e32 v13, v13
	v_add_f32_e32 v12, v12, v14
	s_delay_alu instid0(VALU_DEP_1) | instskip(SKIP_2) | instid1(VALU_DEP_1)
	v_exp_f32_e32 v12, v12
	s_waitcnt_depctr 0xfff
	v_ldexp_f32 v12, v12, v13
	v_cndmask_b32_e32 v12, 0, v12, vcc_lo
	v_cmp_nlt_f32_e32 vcc_lo, 0x42b17218, v52
	s_delay_alu instid0(VALU_DEP_2) | instskip(NEXT) | instid1(VALU_DEP_1)
	v_cndmask_b32_e32 v14, 0x7f800000, v12, vcc_lo
	v_add_f32_e32 v15, 1.0, v14
	s_delay_alu instid0(VALU_DEP_1) | instskip(NEXT) | instid1(VALU_DEP_1)
	v_cvt_f64_f32_e32 v[12:13], v15
	v_frexp_exp_i32_f64_e32 v12, v[12:13]
	v_frexp_mant_f32_e32 v13, v15
	s_delay_alu instid0(VALU_DEP_1) | instskip(SKIP_1) | instid1(VALU_DEP_1)
	v_cmp_gt_f32_e32 vcc_lo, 0x3f2aaaab, v13
	v_add_f32_e32 v13, -1.0, v15
	v_sub_f32_e32 v17, v13, v15
	v_sub_f32_e32 v13, v14, v13
	s_delay_alu instid0(VALU_DEP_2) | instskip(NEXT) | instid1(VALU_DEP_1)
	v_add_f32_e32 v17, 1.0, v17
	v_add_f32_e32 v13, v13, v17
	v_cmp_gt_f32_e64 s6, 0x33800000, v14
	v_subrev_co_ci_u32_e32 v12, vcc_lo, 0, v12, vcc_lo
	v_cmp_eq_f32_e32 vcc_lo, 0x7f800000, v14
	s_delay_alu instid0(VALU_DEP_2) | instskip(SKIP_2) | instid1(VALU_DEP_2)
	v_sub_nc_u32_e32 v16, 0, v12
	v_cvt_f32_i32_e32 v12, v12
	s_or_b32 vcc_lo, s6, vcc_lo
	v_ldexp_f32 v15, v15, v16
	v_ldexp_f32 v13, v13, v16
	s_delay_alu instid0(VALU_DEP_2) | instskip(NEXT) | instid1(VALU_DEP_1)
	v_add_f32_e32 v18, 1.0, v15
	v_dual_add_f32 v16, -1.0, v15 :: v_dual_add_f32 v17, -1.0, v18
	s_delay_alu instid0(VALU_DEP_1) | instskip(NEXT) | instid1(VALU_DEP_2)
	v_add_f32_e32 v19, 1.0, v16
	v_sub_f32_e32 v17, v15, v17
	s_delay_alu instid0(VALU_DEP_2) | instskip(NEXT) | instid1(VALU_DEP_2)
	v_sub_f32_e32 v15, v15, v19
	v_add_f32_e32 v17, v13, v17
	s_delay_alu instid0(VALU_DEP_2) | instskip(NEXT) | instid1(VALU_DEP_1)
	v_add_f32_e32 v13, v13, v15
	v_add_f32_e32 v20, v16, v13
	s_delay_alu instid0(VALU_DEP_1) | instskip(NEXT) | instid1(VALU_DEP_1)
	v_dual_add_f32 v19, v18, v17 :: v_dual_sub_f32 v16, v16, v20
	v_rcp_f32_e32 v15, v19
	v_sub_f32_e32 v18, v18, v19
	s_delay_alu instid0(VALU_DEP_1) | instskip(SKIP_2) | instid1(VALU_DEP_1)
	v_add_f32_e32 v17, v17, v18
	s_waitcnt_depctr 0xfff
	v_mul_f32_e32 v21, v20, v15
	v_dual_mul_f32 v52, v19, v21 :: v_dual_add_f32 v13, v13, v16
	s_delay_alu instid0(VALU_DEP_1) | instskip(NEXT) | instid1(VALU_DEP_1)
	v_fma_f32 v18, v21, v19, -v52
	v_fmac_f32_e32 v18, v21, v17
	s_delay_alu instid0(VALU_DEP_1) | instskip(NEXT) | instid1(VALU_DEP_1)
	v_add_f32_e32 v53, v52, v18
	v_sub_f32_e32 v54, v20, v53
	v_sub_f32_e32 v16, v53, v52
	s_delay_alu instid0(VALU_DEP_2) | instskip(NEXT) | instid1(VALU_DEP_1)
	v_sub_f32_e32 v20, v20, v54
	v_sub_f32_e32 v20, v20, v53
	s_delay_alu instid0(VALU_DEP_1) | instskip(NEXT) | instid1(VALU_DEP_1)
	v_dual_sub_f32 v16, v16, v18 :: v_dual_add_f32 v13, v13, v20
	v_add_f32_e32 v13, v16, v13
	s_delay_alu instid0(VALU_DEP_1) | instskip(NEXT) | instid1(VALU_DEP_1)
	v_add_f32_e32 v16, v54, v13
	v_mul_f32_e32 v18, v15, v16
	s_delay_alu instid0(VALU_DEP_1) | instskip(NEXT) | instid1(VALU_DEP_1)
	v_dual_sub_f32 v53, v54, v16 :: v_dual_mul_f32 v20, v19, v18
	v_add_f32_e32 v13, v13, v53
	s_delay_alu instid0(VALU_DEP_2) | instskip(NEXT) | instid1(VALU_DEP_1)
	v_fma_f32 v19, v18, v19, -v20
	v_fmac_f32_e32 v19, v18, v17
	s_delay_alu instid0(VALU_DEP_1) | instskip(NEXT) | instid1(VALU_DEP_1)
	v_add_f32_e32 v17, v20, v19
	v_sub_f32_e32 v52, v16, v17
	s_delay_alu instid0(VALU_DEP_1) | instskip(NEXT) | instid1(VALU_DEP_1)
	v_sub_f32_e32 v16, v16, v52
	v_sub_f32_e32 v16, v16, v17
	s_delay_alu instid0(VALU_DEP_1) | instskip(SKIP_2) | instid1(VALU_DEP_1)
	v_add_f32_e32 v13, v13, v16
	v_add_f32_e32 v16, v21, v18
	v_sub_f32_e32 v20, v17, v20
	v_sub_f32_e32 v17, v20, v19
	s_delay_alu instid0(VALU_DEP_1) | instskip(NEXT) | instid1(VALU_DEP_4)
	v_add_f32_e32 v13, v17, v13
	v_sub_f32_e32 v17, v16, v21
	s_delay_alu instid0(VALU_DEP_2) | instskip(NEXT) | instid1(VALU_DEP_2)
	v_add_f32_e32 v13, v52, v13
	v_sub_f32_e32 v17, v18, v17
	s_delay_alu instid0(VALU_DEP_2) | instskip(NEXT) | instid1(VALU_DEP_1)
	v_mul_f32_e32 v13, v15, v13
	v_add_f32_e32 v13, v17, v13
	s_delay_alu instid0(VALU_DEP_1) | instskip(NEXT) | instid1(VALU_DEP_1)
	v_add_f32_e32 v15, v16, v13
	v_mul_f32_e32 v17, v15, v15
	s_delay_alu instid0(VALU_DEP_1) | instskip(SKIP_1) | instid1(VALU_DEP_2)
	v_fmaak_f32 v18, s60, v17, 0x3ecc95a3
	v_mul_f32_e32 v19, v15, v17
	v_fmaak_f32 v17, v17, v18, 0x3f2aaada
	v_ldexp_f32 v18, v15, 1
	v_sub_f32_e32 v15, v15, v16
	s_delay_alu instid0(VALU_DEP_3) | instskip(SKIP_1) | instid1(VALU_DEP_2)
	v_mul_f32_e32 v17, v19, v17
	v_mul_f32_e32 v19, 0x3f317218, v12
	v_dual_sub_f32 v13, v13, v15 :: v_dual_add_f32 v16, v18, v17
	s_delay_alu instid0(VALU_DEP_1) | instskip(NEXT) | instid1(VALU_DEP_2)
	v_ldexp_f32 v13, v13, 1
	v_sub_f32_e32 v15, v16, v18
	s_delay_alu instid0(VALU_DEP_4) | instskip(NEXT) | instid1(VALU_DEP_1)
	v_fma_f32 v18, 0x3f317218, v12, -v19
	v_dual_sub_f32 v15, v17, v15 :: v_dual_fmac_f32 v18, 0xb102e308, v12
	s_delay_alu instid0(VALU_DEP_1) | instskip(NEXT) | instid1(VALU_DEP_1)
	v_dual_add_f32 v12, v13, v15 :: v_dual_add_f32 v13, v19, v18
	v_add_f32_e32 v15, v16, v12
	s_delay_alu instid0(VALU_DEP_2) | instskip(NEXT) | instid1(VALU_DEP_2)
	v_sub_f32_e32 v19, v13, v19
	v_dual_add_f32 v17, v13, v15 :: v_dual_sub_f32 v16, v15, v16
	s_delay_alu instid0(VALU_DEP_2) | instskip(NEXT) | instid1(VALU_DEP_2)
	v_sub_f32_e32 v18, v18, v19
	v_sub_f32_e32 v20, v17, v13
	s_delay_alu instid0(VALU_DEP_3) | instskip(NEXT) | instid1(VALU_DEP_2)
	v_sub_f32_e32 v12, v12, v16
	v_sub_f32_e32 v21, v17, v20
	;; [unrolled: 1-line block ×3, first 2 shown]
	s_delay_alu instid0(VALU_DEP_2) | instskip(NEXT) | instid1(VALU_DEP_1)
	v_dual_add_f32 v16, v18, v12 :: v_dual_sub_f32 v13, v13, v21
	v_add_f32_e32 v13, v15, v13
	s_delay_alu instid0(VALU_DEP_2) | instskip(NEXT) | instid1(VALU_DEP_2)
	v_sub_f32_e32 v15, v16, v18
	v_add_f32_e32 v13, v16, v13
	s_delay_alu instid0(VALU_DEP_2) | instskip(NEXT) | instid1(VALU_DEP_2)
	v_sub_f32_e32 v16, v16, v15
	v_dual_sub_f32 v12, v12, v15 :: v_dual_add_f32 v19, v17, v13
	s_delay_alu instid0(VALU_DEP_1) | instskip(NEXT) | instid1(VALU_DEP_1)
	v_dual_sub_f32 v16, v18, v16 :: v_dual_sub_f32 v15, v19, v17
	v_dual_add_f32 v12, v12, v16 :: v_dual_sub_f32 v13, v13, v15
	s_delay_alu instid0(VALU_DEP_1) | instskip(NEXT) | instid1(VALU_DEP_1)
	v_add_f32_e32 v12, v12, v13
	v_add_f32_e32 v12, v19, v12
	s_delay_alu instid0(VALU_DEP_1)
	v_cndmask_b32_e32 v52, v12, v14, vcc_lo
.LBB41_22:                              ;   in Loop: Header=BB41_12 Depth=1
	s_or_b32 exec_lo, exec_lo, s7
	v_lshlrev_b32_e32 v12, 16, v6
	s_delay_alu instid0(VALU_DEP_1) | instskip(NEXT) | instid1(VALU_DEP_1)
	v_add_f32_e32 v57, s52, v12
	v_cmp_ge_f32_e32 vcc_lo, 0x41a00000, v57
	s_and_b32 s6, s56, vcc_lo
	s_delay_alu instid0(SALU_CYCLE_1)
	s_and_saveexec_b32 s7, s6
	s_cbranch_execz .LBB41_24
; %bb.23:                               ;   in Loop: Header=BB41_12 Depth=1
	v_mul_f32_e32 v12, 0x3fb8aa3b, v57
	v_cmp_ngt_f32_e32 vcc_lo, 0xc2ce8ed0, v57
	s_delay_alu instid0(VALU_DEP_2) | instskip(SKIP_1) | instid1(VALU_DEP_2)
	v_rndne_f32_e32 v13, v12
	v_fma_f32 v14, 0x3fb8aa3b, v57, -v12
	v_sub_f32_e32 v12, v12, v13
	s_delay_alu instid0(VALU_DEP_2) | instskip(SKIP_1) | instid1(VALU_DEP_2)
	v_fmac_f32_e32 v14, 0x32a5705f, v57
	v_cvt_i32_f32_e32 v13, v13
	v_add_f32_e32 v12, v12, v14
	s_delay_alu instid0(VALU_DEP_1) | instskip(SKIP_2) | instid1(VALU_DEP_1)
	v_exp_f32_e32 v12, v12
	s_waitcnt_depctr 0xfff
	v_ldexp_f32 v12, v12, v13
	v_cndmask_b32_e32 v12, 0, v12, vcc_lo
	v_cmp_nlt_f32_e32 vcc_lo, 0x42b17218, v57
	s_delay_alu instid0(VALU_DEP_2) | instskip(NEXT) | instid1(VALU_DEP_1)
	v_cndmask_b32_e32 v14, 0x7f800000, v12, vcc_lo
	v_add_f32_e32 v15, 1.0, v14
	s_delay_alu instid0(VALU_DEP_1) | instskip(NEXT) | instid1(VALU_DEP_1)
	v_cvt_f64_f32_e32 v[12:13], v15
	v_frexp_exp_i32_f64_e32 v12, v[12:13]
	v_frexp_mant_f32_e32 v13, v15
	s_delay_alu instid0(VALU_DEP_1) | instskip(SKIP_1) | instid1(VALU_DEP_1)
	v_cmp_gt_f32_e32 vcc_lo, 0x3f2aaaab, v13
	v_add_f32_e32 v13, -1.0, v15
	v_sub_f32_e32 v17, v13, v15
	v_sub_f32_e32 v13, v14, v13
	s_delay_alu instid0(VALU_DEP_2) | instskip(NEXT) | instid1(VALU_DEP_1)
	v_add_f32_e32 v17, 1.0, v17
	v_add_f32_e32 v13, v13, v17
	v_cmp_gt_f32_e64 s6, 0x33800000, v14
	v_subrev_co_ci_u32_e32 v12, vcc_lo, 0, v12, vcc_lo
	v_cmp_eq_f32_e32 vcc_lo, 0x7f800000, v14
	s_delay_alu instid0(VALU_DEP_2) | instskip(SKIP_2) | instid1(VALU_DEP_2)
	v_sub_nc_u32_e32 v16, 0, v12
	v_cvt_f32_i32_e32 v12, v12
	s_or_b32 vcc_lo, s6, vcc_lo
	v_ldexp_f32 v15, v15, v16
	v_ldexp_f32 v13, v13, v16
	s_delay_alu instid0(VALU_DEP_2) | instskip(NEXT) | instid1(VALU_DEP_1)
	v_add_f32_e32 v18, 1.0, v15
	v_dual_add_f32 v16, -1.0, v15 :: v_dual_add_f32 v17, -1.0, v18
	s_delay_alu instid0(VALU_DEP_1) | instskip(NEXT) | instid1(VALU_DEP_2)
	v_add_f32_e32 v19, 1.0, v16
	v_sub_f32_e32 v17, v15, v17
	s_delay_alu instid0(VALU_DEP_2) | instskip(NEXT) | instid1(VALU_DEP_2)
	v_sub_f32_e32 v15, v15, v19
	v_add_f32_e32 v17, v13, v17
	s_delay_alu instid0(VALU_DEP_2) | instskip(NEXT) | instid1(VALU_DEP_2)
	v_add_f32_e32 v13, v13, v15
	v_add_f32_e32 v19, v18, v17
	s_delay_alu instid0(VALU_DEP_2) | instskip(NEXT) | instid1(VALU_DEP_2)
	v_add_f32_e32 v20, v16, v13
	v_rcp_f32_e32 v15, v19
	v_sub_f32_e32 v18, v18, v19
	s_delay_alu instid0(VALU_DEP_1) | instskip(SKIP_2) | instid1(VALU_DEP_1)
	v_dual_sub_f32 v16, v16, v20 :: v_dual_add_f32 v17, v17, v18
	s_waitcnt_depctr 0xfff
	v_mul_f32_e32 v21, v20, v15
	v_mul_f32_e32 v53, v19, v21
	s_delay_alu instid0(VALU_DEP_1) | instskip(NEXT) | instid1(VALU_DEP_1)
	v_fma_f32 v18, v21, v19, -v53
	v_fmac_f32_e32 v18, v21, v17
	s_delay_alu instid0(VALU_DEP_1) | instskip(NEXT) | instid1(VALU_DEP_1)
	v_add_f32_e32 v54, v53, v18
	v_sub_f32_e32 v55, v20, v54
	s_delay_alu instid0(VALU_DEP_1) | instskip(SKIP_1) | instid1(VALU_DEP_2)
	v_dual_sub_f32 v20, v20, v55 :: v_dual_add_f32 v13, v13, v16
	v_sub_f32_e32 v16, v54, v53
	v_sub_f32_e32 v20, v20, v54
	s_delay_alu instid0(VALU_DEP_1) | instskip(NEXT) | instid1(VALU_DEP_1)
	v_dual_sub_f32 v16, v16, v18 :: v_dual_add_f32 v13, v13, v20
	v_add_f32_e32 v13, v16, v13
	s_delay_alu instid0(VALU_DEP_1) | instskip(NEXT) | instid1(VALU_DEP_1)
	v_add_f32_e32 v16, v55, v13
	v_mul_f32_e32 v18, v15, v16
	v_sub_f32_e32 v54, v55, v16
	s_delay_alu instid0(VALU_DEP_2) | instskip(NEXT) | instid1(VALU_DEP_2)
	v_mul_f32_e32 v20, v19, v18
	v_add_f32_e32 v13, v13, v54
	s_delay_alu instid0(VALU_DEP_2) | instskip(NEXT) | instid1(VALU_DEP_1)
	v_fma_f32 v19, v18, v19, -v20
	v_fmac_f32_e32 v19, v18, v17
	s_delay_alu instid0(VALU_DEP_1) | instskip(NEXT) | instid1(VALU_DEP_1)
	v_add_f32_e32 v17, v20, v19
	v_sub_f32_e32 v53, v16, v17
	s_delay_alu instid0(VALU_DEP_1) | instskip(NEXT) | instid1(VALU_DEP_1)
	v_sub_f32_e32 v16, v16, v53
	v_sub_f32_e32 v16, v16, v17
	s_delay_alu instid0(VALU_DEP_1) | instskip(SKIP_2) | instid1(VALU_DEP_1)
	v_add_f32_e32 v13, v13, v16
	v_add_f32_e32 v16, v21, v18
	v_sub_f32_e32 v20, v17, v20
	v_sub_f32_e32 v17, v20, v19
	s_delay_alu instid0(VALU_DEP_1) | instskip(NEXT) | instid1(VALU_DEP_4)
	v_add_f32_e32 v13, v17, v13
	v_sub_f32_e32 v17, v16, v21
	s_delay_alu instid0(VALU_DEP_2) | instskip(NEXT) | instid1(VALU_DEP_2)
	v_add_f32_e32 v13, v53, v13
	v_sub_f32_e32 v17, v18, v17
	s_delay_alu instid0(VALU_DEP_2) | instskip(NEXT) | instid1(VALU_DEP_1)
	v_mul_f32_e32 v13, v15, v13
	v_add_f32_e32 v13, v17, v13
	s_delay_alu instid0(VALU_DEP_1) | instskip(NEXT) | instid1(VALU_DEP_1)
	v_add_f32_e32 v15, v16, v13
	v_mul_f32_e32 v17, v15, v15
	s_delay_alu instid0(VALU_DEP_1) | instskip(SKIP_1) | instid1(VALU_DEP_2)
	v_fmaak_f32 v18, s60, v17, 0x3ecc95a3
	v_mul_f32_e32 v19, v15, v17
	v_fmaak_f32 v17, v17, v18, 0x3f2aaada
	v_ldexp_f32 v18, v15, 1
	s_delay_alu instid0(VALU_DEP_2) | instskip(SKIP_1) | instid1(VALU_DEP_2)
	v_mul_f32_e32 v17, v19, v17
	v_sub_f32_e32 v15, v15, v16
	v_dual_mul_f32 v19, 0x3f317218, v12 :: v_dual_add_f32 v16, v18, v17
	s_delay_alu instid0(VALU_DEP_2) | instskip(NEXT) | instid1(VALU_DEP_2)
	v_sub_f32_e32 v13, v13, v15
	v_sub_f32_e32 v15, v16, v18
	s_delay_alu instid0(VALU_DEP_3) | instskip(NEXT) | instid1(VALU_DEP_3)
	v_fma_f32 v18, 0x3f317218, v12, -v19
	v_ldexp_f32 v13, v13, 1
	s_delay_alu instid0(VALU_DEP_2) | instskip(NEXT) | instid1(VALU_DEP_1)
	v_dual_sub_f32 v15, v17, v15 :: v_dual_fmac_f32 v18, 0xb102e308, v12
	v_dual_add_f32 v12, v13, v15 :: v_dual_add_f32 v13, v19, v18
	s_delay_alu instid0(VALU_DEP_1) | instskip(NEXT) | instid1(VALU_DEP_1)
	v_add_f32_e32 v15, v16, v12
	v_dual_add_f32 v17, v13, v15 :: v_dual_sub_f32 v16, v15, v16
	s_delay_alu instid0(VALU_DEP_1) | instskip(NEXT) | instid1(VALU_DEP_2)
	v_sub_f32_e32 v20, v17, v13
	v_dual_sub_f32 v19, v13, v19 :: v_dual_sub_f32 v12, v12, v16
	s_delay_alu instid0(VALU_DEP_1) | instskip(SKIP_1) | instid1(VALU_DEP_2)
	v_dual_sub_f32 v21, v17, v20 :: v_dual_sub_f32 v18, v18, v19
	v_sub_f32_e32 v15, v15, v20
	v_dual_sub_f32 v13, v13, v21 :: v_dual_add_f32 v16, v18, v12
	s_delay_alu instid0(VALU_DEP_1) | instskip(NEXT) | instid1(VALU_DEP_2)
	v_add_f32_e32 v13, v15, v13
	v_sub_f32_e32 v15, v16, v18
	s_delay_alu instid0(VALU_DEP_2) | instskip(NEXT) | instid1(VALU_DEP_2)
	v_add_f32_e32 v13, v16, v13
	v_sub_f32_e32 v16, v16, v15
	s_delay_alu instid0(VALU_DEP_2) | instskip(NEXT) | instid1(VALU_DEP_1)
	v_dual_sub_f32 v12, v12, v15 :: v_dual_add_f32 v19, v17, v13
	v_dual_sub_f32 v16, v18, v16 :: v_dual_sub_f32 v15, v19, v17
	s_delay_alu instid0(VALU_DEP_1) | instskip(NEXT) | instid1(VALU_DEP_1)
	v_dual_add_f32 v12, v12, v16 :: v_dual_sub_f32 v13, v13, v15
	v_add_f32_e32 v12, v12, v13
	s_delay_alu instid0(VALU_DEP_1) | instskip(NEXT) | instid1(VALU_DEP_1)
	v_add_f32_e32 v12, v19, v12
	v_cndmask_b32_e32 v57, v12, v14, vcc_lo
.LBB41_24:                              ;   in Loop: Header=BB41_12 Depth=1
	s_or_b32 exec_lo, exec_lo, s7
	v_lshlrev_b32_e32 v12, 16, v47
	s_delay_alu instid0(VALU_DEP_1) | instskip(NEXT) | instid1(VALU_DEP_1)
	v_add_f32_e32 v60, s52, v12
	v_cmp_ge_f32_e32 vcc_lo, 0x41a00000, v60
	s_and_b32 s6, s56, vcc_lo
	s_delay_alu instid0(SALU_CYCLE_1)
	s_and_saveexec_b32 s7, s6
	s_cbranch_execz .LBB41_26
; %bb.25:                               ;   in Loop: Header=BB41_12 Depth=1
	v_mul_f32_e32 v12, 0x3fb8aa3b, v60
	v_cmp_ngt_f32_e32 vcc_lo, 0xc2ce8ed0, v60
	s_delay_alu instid0(VALU_DEP_2) | instskip(SKIP_1) | instid1(VALU_DEP_2)
	v_rndne_f32_e32 v13, v12
	v_fma_f32 v14, 0x3fb8aa3b, v60, -v12
	v_sub_f32_e32 v12, v12, v13
	s_delay_alu instid0(VALU_DEP_2) | instskip(SKIP_1) | instid1(VALU_DEP_2)
	v_fmac_f32_e32 v14, 0x32a5705f, v60
	v_cvt_i32_f32_e32 v13, v13
	v_add_f32_e32 v12, v12, v14
	s_delay_alu instid0(VALU_DEP_1) | instskip(SKIP_2) | instid1(VALU_DEP_1)
	v_exp_f32_e32 v12, v12
	s_waitcnt_depctr 0xfff
	v_ldexp_f32 v12, v12, v13
	v_cndmask_b32_e32 v12, 0, v12, vcc_lo
	v_cmp_nlt_f32_e32 vcc_lo, 0x42b17218, v60
	s_delay_alu instid0(VALU_DEP_2) | instskip(NEXT) | instid1(VALU_DEP_1)
	v_cndmask_b32_e32 v14, 0x7f800000, v12, vcc_lo
	v_add_f32_e32 v15, 1.0, v14
	s_delay_alu instid0(VALU_DEP_1) | instskip(NEXT) | instid1(VALU_DEP_1)
	v_cvt_f64_f32_e32 v[12:13], v15
	v_frexp_exp_i32_f64_e32 v12, v[12:13]
	v_frexp_mant_f32_e32 v13, v15
	s_delay_alu instid0(VALU_DEP_1) | instskip(SKIP_1) | instid1(VALU_DEP_1)
	v_cmp_gt_f32_e32 vcc_lo, 0x3f2aaaab, v13
	v_add_f32_e32 v13, -1.0, v15
	v_sub_f32_e32 v17, v13, v15
	v_sub_f32_e32 v13, v14, v13
	s_delay_alu instid0(VALU_DEP_2) | instskip(NEXT) | instid1(VALU_DEP_1)
	v_add_f32_e32 v17, 1.0, v17
	v_add_f32_e32 v13, v13, v17
	v_cmp_gt_f32_e64 s6, 0x33800000, v14
	v_subrev_co_ci_u32_e32 v12, vcc_lo, 0, v12, vcc_lo
	v_cmp_eq_f32_e32 vcc_lo, 0x7f800000, v14
	s_delay_alu instid0(VALU_DEP_2) | instskip(SKIP_2) | instid1(VALU_DEP_2)
	v_sub_nc_u32_e32 v16, 0, v12
	v_cvt_f32_i32_e32 v12, v12
	s_or_b32 vcc_lo, s6, vcc_lo
	v_ldexp_f32 v15, v15, v16
	v_ldexp_f32 v13, v13, v16
	s_delay_alu instid0(VALU_DEP_2) | instskip(NEXT) | instid1(VALU_DEP_1)
	v_add_f32_e32 v18, 1.0, v15
	v_dual_add_f32 v16, -1.0, v15 :: v_dual_add_f32 v17, -1.0, v18
	s_delay_alu instid0(VALU_DEP_1) | instskip(NEXT) | instid1(VALU_DEP_2)
	v_add_f32_e32 v19, 1.0, v16
	v_sub_f32_e32 v17, v15, v17
	s_delay_alu instid0(VALU_DEP_2) | instskip(NEXT) | instid1(VALU_DEP_2)
	v_sub_f32_e32 v15, v15, v19
	v_add_f32_e32 v17, v13, v17
	s_delay_alu instid0(VALU_DEP_2) | instskip(NEXT) | instid1(VALU_DEP_2)
	v_add_f32_e32 v13, v13, v15
	v_add_f32_e32 v19, v18, v17
	s_delay_alu instid0(VALU_DEP_2) | instskip(NEXT) | instid1(VALU_DEP_2)
	v_add_f32_e32 v20, v16, v13
	v_rcp_f32_e32 v15, v19
	v_sub_f32_e32 v18, v18, v19
	s_delay_alu instid0(VALU_DEP_1) | instskip(SKIP_2) | instid1(VALU_DEP_1)
	v_dual_sub_f32 v16, v16, v20 :: v_dual_add_f32 v17, v17, v18
	s_waitcnt_depctr 0xfff
	v_mul_f32_e32 v21, v20, v15
	v_mul_f32_e32 v53, v19, v21
	s_delay_alu instid0(VALU_DEP_1) | instskip(NEXT) | instid1(VALU_DEP_1)
	v_fma_f32 v18, v21, v19, -v53
	v_fmac_f32_e32 v18, v21, v17
	s_delay_alu instid0(VALU_DEP_1) | instskip(NEXT) | instid1(VALU_DEP_1)
	v_add_f32_e32 v54, v53, v18
	v_sub_f32_e32 v55, v20, v54
	s_delay_alu instid0(VALU_DEP_1) | instskip(SKIP_1) | instid1(VALU_DEP_2)
	v_dual_sub_f32 v20, v20, v55 :: v_dual_add_f32 v13, v13, v16
	v_sub_f32_e32 v16, v54, v53
	v_sub_f32_e32 v20, v20, v54
	s_delay_alu instid0(VALU_DEP_1) | instskip(NEXT) | instid1(VALU_DEP_1)
	v_dual_sub_f32 v16, v16, v18 :: v_dual_add_f32 v13, v13, v20
	v_add_f32_e32 v13, v16, v13
	s_delay_alu instid0(VALU_DEP_1) | instskip(NEXT) | instid1(VALU_DEP_1)
	v_add_f32_e32 v16, v55, v13
	v_mul_f32_e32 v18, v15, v16
	v_sub_f32_e32 v54, v55, v16
	s_delay_alu instid0(VALU_DEP_2) | instskip(NEXT) | instid1(VALU_DEP_2)
	v_mul_f32_e32 v20, v19, v18
	v_add_f32_e32 v13, v13, v54
	s_delay_alu instid0(VALU_DEP_2) | instskip(NEXT) | instid1(VALU_DEP_1)
	v_fma_f32 v19, v18, v19, -v20
	v_fmac_f32_e32 v19, v18, v17
	s_delay_alu instid0(VALU_DEP_1) | instskip(NEXT) | instid1(VALU_DEP_1)
	v_add_f32_e32 v17, v20, v19
	v_sub_f32_e32 v53, v16, v17
	s_delay_alu instid0(VALU_DEP_1) | instskip(NEXT) | instid1(VALU_DEP_1)
	v_sub_f32_e32 v16, v16, v53
	v_sub_f32_e32 v16, v16, v17
	s_delay_alu instid0(VALU_DEP_1) | instskip(SKIP_2) | instid1(VALU_DEP_1)
	v_add_f32_e32 v13, v13, v16
	v_add_f32_e32 v16, v21, v18
	v_sub_f32_e32 v20, v17, v20
	v_sub_f32_e32 v17, v20, v19
	s_delay_alu instid0(VALU_DEP_1) | instskip(NEXT) | instid1(VALU_DEP_4)
	v_add_f32_e32 v13, v17, v13
	v_sub_f32_e32 v17, v16, v21
	s_delay_alu instid0(VALU_DEP_2) | instskip(NEXT) | instid1(VALU_DEP_2)
	v_add_f32_e32 v13, v53, v13
	v_sub_f32_e32 v17, v18, v17
	s_delay_alu instid0(VALU_DEP_2) | instskip(NEXT) | instid1(VALU_DEP_1)
	v_mul_f32_e32 v13, v15, v13
	v_add_f32_e32 v13, v17, v13
	s_delay_alu instid0(VALU_DEP_1) | instskip(NEXT) | instid1(VALU_DEP_1)
	v_add_f32_e32 v15, v16, v13
	v_mul_f32_e32 v17, v15, v15
	s_delay_alu instid0(VALU_DEP_1) | instskip(SKIP_1) | instid1(VALU_DEP_2)
	v_fmaak_f32 v18, s60, v17, 0x3ecc95a3
	v_mul_f32_e32 v19, v15, v17
	v_fmaak_f32 v17, v17, v18, 0x3f2aaada
	v_ldexp_f32 v18, v15, 1
	s_delay_alu instid0(VALU_DEP_2) | instskip(SKIP_1) | instid1(VALU_DEP_2)
	v_mul_f32_e32 v17, v19, v17
	v_sub_f32_e32 v15, v15, v16
	v_dual_mul_f32 v19, 0x3f317218, v12 :: v_dual_add_f32 v16, v18, v17
	s_delay_alu instid0(VALU_DEP_2) | instskip(NEXT) | instid1(VALU_DEP_2)
	v_sub_f32_e32 v13, v13, v15
	v_sub_f32_e32 v15, v16, v18
	s_delay_alu instid0(VALU_DEP_3) | instskip(NEXT) | instid1(VALU_DEP_3)
	v_fma_f32 v18, 0x3f317218, v12, -v19
	v_ldexp_f32 v13, v13, 1
	s_delay_alu instid0(VALU_DEP_2) | instskip(NEXT) | instid1(VALU_DEP_1)
	v_dual_sub_f32 v15, v17, v15 :: v_dual_fmac_f32 v18, 0xb102e308, v12
	v_dual_add_f32 v12, v13, v15 :: v_dual_add_f32 v13, v19, v18
	s_delay_alu instid0(VALU_DEP_1) | instskip(NEXT) | instid1(VALU_DEP_1)
	v_add_f32_e32 v15, v16, v12
	v_dual_add_f32 v17, v13, v15 :: v_dual_sub_f32 v16, v15, v16
	s_delay_alu instid0(VALU_DEP_1) | instskip(NEXT) | instid1(VALU_DEP_2)
	v_sub_f32_e32 v20, v17, v13
	v_dual_sub_f32 v19, v13, v19 :: v_dual_sub_f32 v12, v12, v16
	s_delay_alu instid0(VALU_DEP_1) | instskip(SKIP_1) | instid1(VALU_DEP_2)
	v_dual_sub_f32 v21, v17, v20 :: v_dual_sub_f32 v18, v18, v19
	v_sub_f32_e32 v15, v15, v20
	v_dual_sub_f32 v13, v13, v21 :: v_dual_add_f32 v16, v18, v12
	s_delay_alu instid0(VALU_DEP_1) | instskip(NEXT) | instid1(VALU_DEP_2)
	v_add_f32_e32 v13, v15, v13
	v_sub_f32_e32 v15, v16, v18
	s_delay_alu instid0(VALU_DEP_2) | instskip(NEXT) | instid1(VALU_DEP_2)
	v_add_f32_e32 v13, v16, v13
	v_sub_f32_e32 v16, v16, v15
	s_delay_alu instid0(VALU_DEP_2) | instskip(NEXT) | instid1(VALU_DEP_1)
	v_dual_sub_f32 v12, v12, v15 :: v_dual_add_f32 v19, v17, v13
	v_dual_sub_f32 v16, v18, v16 :: v_dual_sub_f32 v15, v19, v17
	s_delay_alu instid0(VALU_DEP_1) | instskip(NEXT) | instid1(VALU_DEP_1)
	v_dual_add_f32 v12, v12, v16 :: v_dual_sub_f32 v13, v13, v15
	v_add_f32_e32 v12, v12, v13
	s_delay_alu instid0(VALU_DEP_1) | instskip(NEXT) | instid1(VALU_DEP_1)
	v_add_f32_e32 v12, v19, v12
	v_cndmask_b32_e32 v60, v12, v14, vcc_lo
.LBB41_26:                              ;   in Loop: Header=BB41_12 Depth=1
	s_or_b32 exec_lo, exec_lo, s7
	v_lshlrev_b32_e32 v12, 16, v7
	s_delay_alu instid0(VALU_DEP_1) | instskip(NEXT) | instid1(VALU_DEP_1)
	v_add_f32_e32 v63, s52, v12
	v_cmp_ge_f32_e32 vcc_lo, 0x41a00000, v63
	s_and_b32 s6, s56, vcc_lo
	s_delay_alu instid0(SALU_CYCLE_1)
	s_and_saveexec_b32 s7, s6
	s_cbranch_execz .LBB41_28
; %bb.27:                               ;   in Loop: Header=BB41_12 Depth=1
	v_mul_f32_e32 v12, 0x3fb8aa3b, v63
	v_cmp_ngt_f32_e32 vcc_lo, 0xc2ce8ed0, v63
	s_delay_alu instid0(VALU_DEP_2) | instskip(SKIP_1) | instid1(VALU_DEP_2)
	v_rndne_f32_e32 v13, v12
	v_fma_f32 v14, 0x3fb8aa3b, v63, -v12
	v_sub_f32_e32 v12, v12, v13
	s_delay_alu instid0(VALU_DEP_2) | instskip(SKIP_1) | instid1(VALU_DEP_2)
	v_fmac_f32_e32 v14, 0x32a5705f, v63
	v_cvt_i32_f32_e32 v13, v13
	v_add_f32_e32 v12, v12, v14
	s_delay_alu instid0(VALU_DEP_1) | instskip(SKIP_2) | instid1(VALU_DEP_1)
	v_exp_f32_e32 v12, v12
	s_waitcnt_depctr 0xfff
	v_ldexp_f32 v12, v12, v13
	v_cndmask_b32_e32 v12, 0, v12, vcc_lo
	v_cmp_nlt_f32_e32 vcc_lo, 0x42b17218, v63
	s_delay_alu instid0(VALU_DEP_2) | instskip(NEXT) | instid1(VALU_DEP_1)
	v_cndmask_b32_e32 v14, 0x7f800000, v12, vcc_lo
	v_add_f32_e32 v15, 1.0, v14
	s_delay_alu instid0(VALU_DEP_1) | instskip(NEXT) | instid1(VALU_DEP_1)
	v_cvt_f64_f32_e32 v[12:13], v15
	v_frexp_exp_i32_f64_e32 v12, v[12:13]
	v_frexp_mant_f32_e32 v13, v15
	s_delay_alu instid0(VALU_DEP_1) | instskip(SKIP_1) | instid1(VALU_DEP_1)
	v_cmp_gt_f32_e32 vcc_lo, 0x3f2aaaab, v13
	v_add_f32_e32 v13, -1.0, v15
	v_sub_f32_e32 v17, v13, v15
	v_sub_f32_e32 v13, v14, v13
	s_delay_alu instid0(VALU_DEP_2) | instskip(NEXT) | instid1(VALU_DEP_1)
	v_add_f32_e32 v17, 1.0, v17
	v_add_f32_e32 v13, v13, v17
	v_cmp_gt_f32_e64 s6, 0x33800000, v14
	v_subrev_co_ci_u32_e32 v12, vcc_lo, 0, v12, vcc_lo
	v_cmp_eq_f32_e32 vcc_lo, 0x7f800000, v14
	s_delay_alu instid0(VALU_DEP_2) | instskip(SKIP_2) | instid1(VALU_DEP_2)
	v_sub_nc_u32_e32 v16, 0, v12
	v_cvt_f32_i32_e32 v12, v12
	s_or_b32 vcc_lo, s6, vcc_lo
	v_ldexp_f32 v15, v15, v16
	v_ldexp_f32 v13, v13, v16
	s_delay_alu instid0(VALU_DEP_2) | instskip(NEXT) | instid1(VALU_DEP_1)
	v_add_f32_e32 v18, 1.0, v15
	v_dual_add_f32 v16, -1.0, v15 :: v_dual_add_f32 v17, -1.0, v18
	s_delay_alu instid0(VALU_DEP_1) | instskip(NEXT) | instid1(VALU_DEP_2)
	v_add_f32_e32 v19, 1.0, v16
	v_sub_f32_e32 v17, v15, v17
	s_delay_alu instid0(VALU_DEP_2) | instskip(NEXT) | instid1(VALU_DEP_2)
	v_sub_f32_e32 v15, v15, v19
	v_add_f32_e32 v17, v13, v17
	s_delay_alu instid0(VALU_DEP_2) | instskip(NEXT) | instid1(VALU_DEP_2)
	v_add_f32_e32 v13, v13, v15
	v_add_f32_e32 v19, v18, v17
	s_delay_alu instid0(VALU_DEP_2) | instskip(NEXT) | instid1(VALU_DEP_2)
	v_add_f32_e32 v20, v16, v13
	v_rcp_f32_e32 v15, v19
	v_sub_f32_e32 v18, v18, v19
	s_delay_alu instid0(VALU_DEP_1) | instskip(SKIP_2) | instid1(VALU_DEP_1)
	v_dual_sub_f32 v16, v16, v20 :: v_dual_add_f32 v17, v17, v18
	s_waitcnt_depctr 0xfff
	v_mul_f32_e32 v21, v20, v15
	v_mul_f32_e32 v53, v19, v21
	s_delay_alu instid0(VALU_DEP_1) | instskip(NEXT) | instid1(VALU_DEP_1)
	v_fma_f32 v18, v21, v19, -v53
	v_fmac_f32_e32 v18, v21, v17
	s_delay_alu instid0(VALU_DEP_1) | instskip(NEXT) | instid1(VALU_DEP_1)
	v_add_f32_e32 v54, v53, v18
	v_sub_f32_e32 v55, v20, v54
	s_delay_alu instid0(VALU_DEP_1) | instskip(SKIP_1) | instid1(VALU_DEP_2)
	v_dual_sub_f32 v20, v20, v55 :: v_dual_add_f32 v13, v13, v16
	v_sub_f32_e32 v16, v54, v53
	v_sub_f32_e32 v20, v20, v54
	s_delay_alu instid0(VALU_DEP_1) | instskip(NEXT) | instid1(VALU_DEP_1)
	v_dual_sub_f32 v16, v16, v18 :: v_dual_add_f32 v13, v13, v20
	v_add_f32_e32 v13, v16, v13
	s_delay_alu instid0(VALU_DEP_1) | instskip(NEXT) | instid1(VALU_DEP_1)
	v_add_f32_e32 v16, v55, v13
	v_mul_f32_e32 v18, v15, v16
	v_sub_f32_e32 v54, v55, v16
	s_delay_alu instid0(VALU_DEP_2) | instskip(NEXT) | instid1(VALU_DEP_2)
	v_mul_f32_e32 v20, v19, v18
	v_add_f32_e32 v13, v13, v54
	s_delay_alu instid0(VALU_DEP_2) | instskip(NEXT) | instid1(VALU_DEP_1)
	v_fma_f32 v19, v18, v19, -v20
	v_fmac_f32_e32 v19, v18, v17
	s_delay_alu instid0(VALU_DEP_1) | instskip(NEXT) | instid1(VALU_DEP_1)
	v_add_f32_e32 v17, v20, v19
	v_sub_f32_e32 v53, v16, v17
	s_delay_alu instid0(VALU_DEP_1) | instskip(NEXT) | instid1(VALU_DEP_1)
	v_sub_f32_e32 v16, v16, v53
	v_sub_f32_e32 v16, v16, v17
	s_delay_alu instid0(VALU_DEP_1) | instskip(SKIP_2) | instid1(VALU_DEP_1)
	v_add_f32_e32 v13, v13, v16
	v_add_f32_e32 v16, v21, v18
	v_sub_f32_e32 v20, v17, v20
	v_sub_f32_e32 v17, v20, v19
	s_delay_alu instid0(VALU_DEP_1) | instskip(NEXT) | instid1(VALU_DEP_4)
	v_add_f32_e32 v13, v17, v13
	v_sub_f32_e32 v17, v16, v21
	s_delay_alu instid0(VALU_DEP_2) | instskip(NEXT) | instid1(VALU_DEP_2)
	v_add_f32_e32 v13, v53, v13
	v_sub_f32_e32 v17, v18, v17
	s_delay_alu instid0(VALU_DEP_2) | instskip(NEXT) | instid1(VALU_DEP_1)
	v_mul_f32_e32 v13, v15, v13
	v_add_f32_e32 v13, v17, v13
	s_delay_alu instid0(VALU_DEP_1) | instskip(NEXT) | instid1(VALU_DEP_1)
	v_add_f32_e32 v15, v16, v13
	v_mul_f32_e32 v17, v15, v15
	s_delay_alu instid0(VALU_DEP_1) | instskip(SKIP_1) | instid1(VALU_DEP_2)
	v_fmaak_f32 v18, s60, v17, 0x3ecc95a3
	v_mul_f32_e32 v19, v15, v17
	v_fmaak_f32 v17, v17, v18, 0x3f2aaada
	v_ldexp_f32 v18, v15, 1
	s_delay_alu instid0(VALU_DEP_2) | instskip(SKIP_1) | instid1(VALU_DEP_2)
	v_mul_f32_e32 v17, v19, v17
	v_sub_f32_e32 v15, v15, v16
	v_dual_mul_f32 v19, 0x3f317218, v12 :: v_dual_add_f32 v16, v18, v17
	s_delay_alu instid0(VALU_DEP_2) | instskip(NEXT) | instid1(VALU_DEP_2)
	v_sub_f32_e32 v13, v13, v15
	v_sub_f32_e32 v15, v16, v18
	s_delay_alu instid0(VALU_DEP_3) | instskip(NEXT) | instid1(VALU_DEP_3)
	v_fma_f32 v18, 0x3f317218, v12, -v19
	v_ldexp_f32 v13, v13, 1
	s_delay_alu instid0(VALU_DEP_2) | instskip(NEXT) | instid1(VALU_DEP_1)
	v_dual_sub_f32 v15, v17, v15 :: v_dual_fmac_f32 v18, 0xb102e308, v12
	v_dual_add_f32 v12, v13, v15 :: v_dual_add_f32 v13, v19, v18
	s_delay_alu instid0(VALU_DEP_1) | instskip(NEXT) | instid1(VALU_DEP_1)
	v_add_f32_e32 v15, v16, v12
	v_dual_add_f32 v17, v13, v15 :: v_dual_sub_f32 v16, v15, v16
	s_delay_alu instid0(VALU_DEP_1) | instskip(NEXT) | instid1(VALU_DEP_2)
	v_sub_f32_e32 v20, v17, v13
	v_dual_sub_f32 v19, v13, v19 :: v_dual_sub_f32 v12, v12, v16
	s_delay_alu instid0(VALU_DEP_1) | instskip(SKIP_1) | instid1(VALU_DEP_2)
	v_dual_sub_f32 v21, v17, v20 :: v_dual_sub_f32 v18, v18, v19
	v_sub_f32_e32 v15, v15, v20
	v_dual_sub_f32 v13, v13, v21 :: v_dual_add_f32 v16, v18, v12
	s_delay_alu instid0(VALU_DEP_1) | instskip(NEXT) | instid1(VALU_DEP_2)
	v_add_f32_e32 v13, v15, v13
	v_sub_f32_e32 v15, v16, v18
	s_delay_alu instid0(VALU_DEP_2) | instskip(NEXT) | instid1(VALU_DEP_2)
	v_add_f32_e32 v13, v16, v13
	v_sub_f32_e32 v16, v16, v15
	s_delay_alu instid0(VALU_DEP_2) | instskip(NEXT) | instid1(VALU_DEP_1)
	v_dual_sub_f32 v12, v12, v15 :: v_dual_add_f32 v19, v17, v13
	v_dual_sub_f32 v16, v18, v16 :: v_dual_sub_f32 v15, v19, v17
	s_delay_alu instid0(VALU_DEP_1) | instskip(NEXT) | instid1(VALU_DEP_1)
	v_dual_add_f32 v12, v12, v16 :: v_dual_sub_f32 v13, v13, v15
	v_add_f32_e32 v12, v12, v13
	s_delay_alu instid0(VALU_DEP_1) | instskip(NEXT) | instid1(VALU_DEP_1)
	v_add_f32_e32 v12, v19, v12
	v_cndmask_b32_e32 v63, v12, v14, vcc_lo
.LBB41_28:                              ;   in Loop: Header=BB41_12 Depth=1
	s_or_b32 exec_lo, exec_lo, s7
	v_lshlrev_b32_e32 v12, 16, v48
	s_delay_alu instid0(VALU_DEP_1) | instskip(NEXT) | instid1(VALU_DEP_1)
	v_add_f32_e32 v64, s52, v12
	v_cmp_ge_f32_e32 vcc_lo, 0x41a00000, v64
	s_and_b32 s6, s56, vcc_lo
	s_delay_alu instid0(SALU_CYCLE_1)
	s_and_saveexec_b32 s7, s6
	s_cbranch_execz .LBB41_30
; %bb.29:                               ;   in Loop: Header=BB41_12 Depth=1
	v_mul_f32_e32 v12, 0x3fb8aa3b, v64
	v_cmp_ngt_f32_e32 vcc_lo, 0xc2ce8ed0, v64
	s_delay_alu instid0(VALU_DEP_2) | instskip(SKIP_1) | instid1(VALU_DEP_2)
	v_rndne_f32_e32 v13, v12
	v_fma_f32 v14, 0x3fb8aa3b, v64, -v12
	v_sub_f32_e32 v12, v12, v13
	s_delay_alu instid0(VALU_DEP_2) | instskip(SKIP_1) | instid1(VALU_DEP_2)
	v_fmac_f32_e32 v14, 0x32a5705f, v64
	v_cvt_i32_f32_e32 v13, v13
	v_add_f32_e32 v12, v12, v14
	s_delay_alu instid0(VALU_DEP_1) | instskip(SKIP_2) | instid1(VALU_DEP_1)
	v_exp_f32_e32 v12, v12
	s_waitcnt_depctr 0xfff
	v_ldexp_f32 v12, v12, v13
	v_cndmask_b32_e32 v12, 0, v12, vcc_lo
	v_cmp_nlt_f32_e32 vcc_lo, 0x42b17218, v64
	s_delay_alu instid0(VALU_DEP_2) | instskip(NEXT) | instid1(VALU_DEP_1)
	v_cndmask_b32_e32 v14, 0x7f800000, v12, vcc_lo
	v_add_f32_e32 v15, 1.0, v14
	s_delay_alu instid0(VALU_DEP_1) | instskip(NEXT) | instid1(VALU_DEP_1)
	v_cvt_f64_f32_e32 v[12:13], v15
	v_frexp_exp_i32_f64_e32 v12, v[12:13]
	v_frexp_mant_f32_e32 v13, v15
	s_delay_alu instid0(VALU_DEP_1) | instskip(SKIP_1) | instid1(VALU_DEP_1)
	v_cmp_gt_f32_e32 vcc_lo, 0x3f2aaaab, v13
	v_add_f32_e32 v13, -1.0, v15
	v_sub_f32_e32 v17, v13, v15
	v_sub_f32_e32 v13, v14, v13
	s_delay_alu instid0(VALU_DEP_2) | instskip(NEXT) | instid1(VALU_DEP_1)
	v_add_f32_e32 v17, 1.0, v17
	v_add_f32_e32 v13, v13, v17
	v_cmp_gt_f32_e64 s6, 0x33800000, v14
	v_subrev_co_ci_u32_e32 v12, vcc_lo, 0, v12, vcc_lo
	v_cmp_eq_f32_e32 vcc_lo, 0x7f800000, v14
	s_delay_alu instid0(VALU_DEP_2) | instskip(SKIP_2) | instid1(VALU_DEP_2)
	v_sub_nc_u32_e32 v16, 0, v12
	v_cvt_f32_i32_e32 v12, v12
	s_or_b32 vcc_lo, s6, vcc_lo
	v_ldexp_f32 v15, v15, v16
	v_ldexp_f32 v13, v13, v16
	s_delay_alu instid0(VALU_DEP_2) | instskip(NEXT) | instid1(VALU_DEP_1)
	v_add_f32_e32 v18, 1.0, v15
	v_dual_add_f32 v16, -1.0, v15 :: v_dual_add_f32 v17, -1.0, v18
	s_delay_alu instid0(VALU_DEP_1) | instskip(NEXT) | instid1(VALU_DEP_2)
	v_add_f32_e32 v19, 1.0, v16
	v_sub_f32_e32 v17, v15, v17
	s_delay_alu instid0(VALU_DEP_2) | instskip(NEXT) | instid1(VALU_DEP_2)
	v_sub_f32_e32 v15, v15, v19
	v_add_f32_e32 v17, v13, v17
	s_delay_alu instid0(VALU_DEP_2) | instskip(NEXT) | instid1(VALU_DEP_2)
	v_add_f32_e32 v13, v13, v15
	v_add_f32_e32 v19, v18, v17
	s_delay_alu instid0(VALU_DEP_2) | instskip(NEXT) | instid1(VALU_DEP_2)
	v_add_f32_e32 v20, v16, v13
	v_rcp_f32_e32 v15, v19
	v_sub_f32_e32 v18, v18, v19
	s_delay_alu instid0(VALU_DEP_1) | instskip(SKIP_2) | instid1(VALU_DEP_1)
	v_dual_sub_f32 v16, v16, v20 :: v_dual_add_f32 v17, v17, v18
	s_waitcnt_depctr 0xfff
	v_mul_f32_e32 v21, v20, v15
	v_mul_f32_e32 v53, v19, v21
	s_delay_alu instid0(VALU_DEP_1) | instskip(NEXT) | instid1(VALU_DEP_1)
	v_fma_f32 v18, v21, v19, -v53
	v_fmac_f32_e32 v18, v21, v17
	s_delay_alu instid0(VALU_DEP_1) | instskip(NEXT) | instid1(VALU_DEP_1)
	v_add_f32_e32 v54, v53, v18
	v_sub_f32_e32 v55, v20, v54
	s_delay_alu instid0(VALU_DEP_1) | instskip(SKIP_1) | instid1(VALU_DEP_2)
	v_dual_sub_f32 v20, v20, v55 :: v_dual_add_f32 v13, v13, v16
	v_sub_f32_e32 v16, v54, v53
	v_sub_f32_e32 v20, v20, v54
	s_delay_alu instid0(VALU_DEP_1) | instskip(NEXT) | instid1(VALU_DEP_1)
	v_dual_sub_f32 v16, v16, v18 :: v_dual_add_f32 v13, v13, v20
	v_add_f32_e32 v13, v16, v13
	s_delay_alu instid0(VALU_DEP_1) | instskip(NEXT) | instid1(VALU_DEP_1)
	v_add_f32_e32 v16, v55, v13
	v_mul_f32_e32 v18, v15, v16
	v_sub_f32_e32 v54, v55, v16
	s_delay_alu instid0(VALU_DEP_2) | instskip(NEXT) | instid1(VALU_DEP_2)
	v_mul_f32_e32 v20, v19, v18
	v_add_f32_e32 v13, v13, v54
	s_delay_alu instid0(VALU_DEP_2) | instskip(NEXT) | instid1(VALU_DEP_1)
	v_fma_f32 v19, v18, v19, -v20
	v_fmac_f32_e32 v19, v18, v17
	s_delay_alu instid0(VALU_DEP_1) | instskip(NEXT) | instid1(VALU_DEP_1)
	v_add_f32_e32 v17, v20, v19
	v_sub_f32_e32 v53, v16, v17
	s_delay_alu instid0(VALU_DEP_1) | instskip(NEXT) | instid1(VALU_DEP_1)
	v_sub_f32_e32 v16, v16, v53
	v_sub_f32_e32 v16, v16, v17
	s_delay_alu instid0(VALU_DEP_1) | instskip(SKIP_2) | instid1(VALU_DEP_1)
	v_add_f32_e32 v13, v13, v16
	v_add_f32_e32 v16, v21, v18
	v_sub_f32_e32 v20, v17, v20
	v_sub_f32_e32 v17, v20, v19
	s_delay_alu instid0(VALU_DEP_1) | instskip(NEXT) | instid1(VALU_DEP_4)
	v_add_f32_e32 v13, v17, v13
	v_sub_f32_e32 v17, v16, v21
	s_delay_alu instid0(VALU_DEP_2) | instskip(NEXT) | instid1(VALU_DEP_2)
	v_add_f32_e32 v13, v53, v13
	v_sub_f32_e32 v17, v18, v17
	s_delay_alu instid0(VALU_DEP_2) | instskip(NEXT) | instid1(VALU_DEP_1)
	v_mul_f32_e32 v13, v15, v13
	v_add_f32_e32 v13, v17, v13
	s_delay_alu instid0(VALU_DEP_1) | instskip(NEXT) | instid1(VALU_DEP_1)
	v_add_f32_e32 v15, v16, v13
	v_mul_f32_e32 v17, v15, v15
	s_delay_alu instid0(VALU_DEP_1) | instskip(SKIP_1) | instid1(VALU_DEP_2)
	v_fmaak_f32 v18, s60, v17, 0x3ecc95a3
	v_mul_f32_e32 v19, v15, v17
	v_fmaak_f32 v17, v17, v18, 0x3f2aaada
	v_ldexp_f32 v18, v15, 1
	s_delay_alu instid0(VALU_DEP_2) | instskip(SKIP_1) | instid1(VALU_DEP_2)
	v_mul_f32_e32 v17, v19, v17
	v_sub_f32_e32 v15, v15, v16
	v_dual_mul_f32 v19, 0x3f317218, v12 :: v_dual_add_f32 v16, v18, v17
	s_delay_alu instid0(VALU_DEP_2) | instskip(NEXT) | instid1(VALU_DEP_2)
	v_sub_f32_e32 v13, v13, v15
	v_sub_f32_e32 v15, v16, v18
	s_delay_alu instid0(VALU_DEP_3) | instskip(NEXT) | instid1(VALU_DEP_3)
	v_fma_f32 v18, 0x3f317218, v12, -v19
	v_ldexp_f32 v13, v13, 1
	s_delay_alu instid0(VALU_DEP_2) | instskip(NEXT) | instid1(VALU_DEP_1)
	v_dual_sub_f32 v15, v17, v15 :: v_dual_fmac_f32 v18, 0xb102e308, v12
	v_dual_add_f32 v12, v13, v15 :: v_dual_add_f32 v13, v19, v18
	s_delay_alu instid0(VALU_DEP_1) | instskip(NEXT) | instid1(VALU_DEP_1)
	v_add_f32_e32 v15, v16, v12
	v_dual_add_f32 v17, v13, v15 :: v_dual_sub_f32 v16, v15, v16
	s_delay_alu instid0(VALU_DEP_1) | instskip(NEXT) | instid1(VALU_DEP_2)
	v_sub_f32_e32 v20, v17, v13
	v_dual_sub_f32 v19, v13, v19 :: v_dual_sub_f32 v12, v12, v16
	s_delay_alu instid0(VALU_DEP_1) | instskip(SKIP_1) | instid1(VALU_DEP_2)
	v_dual_sub_f32 v21, v17, v20 :: v_dual_sub_f32 v18, v18, v19
	v_sub_f32_e32 v15, v15, v20
	v_dual_sub_f32 v13, v13, v21 :: v_dual_add_f32 v16, v18, v12
	s_delay_alu instid0(VALU_DEP_1) | instskip(NEXT) | instid1(VALU_DEP_2)
	v_add_f32_e32 v13, v15, v13
	v_sub_f32_e32 v15, v16, v18
	s_delay_alu instid0(VALU_DEP_2) | instskip(NEXT) | instid1(VALU_DEP_2)
	v_add_f32_e32 v13, v16, v13
	v_sub_f32_e32 v16, v16, v15
	s_delay_alu instid0(VALU_DEP_2) | instskip(NEXT) | instid1(VALU_DEP_1)
	v_dual_sub_f32 v12, v12, v15 :: v_dual_add_f32 v19, v17, v13
	v_dual_sub_f32 v16, v18, v16 :: v_dual_sub_f32 v15, v19, v17
	s_delay_alu instid0(VALU_DEP_1) | instskip(NEXT) | instid1(VALU_DEP_1)
	v_dual_add_f32 v12, v12, v16 :: v_dual_sub_f32 v13, v13, v15
	v_add_f32_e32 v12, v12, v13
	s_delay_alu instid0(VALU_DEP_1) | instskip(NEXT) | instid1(VALU_DEP_1)
	v_add_f32_e32 v12, v19, v12
	v_cndmask_b32_e32 v64, v12, v14, vcc_lo
.LBB41_30:                              ;   in Loop: Header=BB41_12 Depth=1
	s_or_b32 exec_lo, exec_lo, s7
	v_lshlrev_b32_e32 v19, 16, v0
	v_lshlrev_b32_e32 v16, 16, v42
	;; [unrolled: 1-line block ×4, first 2 shown]
	s_lshl_b32 s30, s62, 9
	v_dual_mul_f32 v61, s53, v19 :: v_dual_lshlrev_b32 v18, 16, v41
	v_mul_f32_e32 v59, s53, v16
	v_lshlrev_b32_e32 v17, 16, v1
	v_mul_f32_e32 v55, s53, v14
	s_delay_alu instid0(VALU_DEP_4) | instskip(NEXT) | instid1(VALU_DEP_3)
	v_dual_mul_f32 v53, s53, v12 :: v_dual_mul_f32 v62, s53, v18
	v_dual_mul_f32 v58, s53, v17 :: v_dual_lshlrev_b32 v13, 16, v44
	v_lshlrev_b32_e32 v15, 16, v46
	s_and_b32 vcc_lo, exec_lo, s57
	s_delay_alu instid0(VALU_DEP_2) | instskip(SKIP_1) | instid1(VALU_DEP_2)
	v_mul_f32_e32 v54, s53, v13
	s_barrier
	v_mul_f32_e32 v56, s53, v15
	buffer_gl0_inv
	s_cbranch_vccz .LBB41_62
; %bb.31:                               ;   in Loop: Header=BB41_12 Depth=1
	v_dual_mul_f32 v67, v60, v13 :: v_dual_mul_f32 v68, v57, v14
	v_add_nc_u32_e32 v13, -1, v40
	s_sub_i32 s16, s34, s30
	s_cmp_lg_u32 s62, 0
	v_dual_mul_f32 v65, v64, v15 :: v_dual_mul_f32 v66, v63, v12
	s_delay_alu instid0(VALU_DEP_2)
	v_cmp_gt_i32_e32 vcc_lo, 0, v13
	v_and_b32_e32 v12, 15, v40
	v_and_b32_e32 v14, 16, v40
	;; [unrolled: 1-line block ×3, first 2 shown]
	v_add_co_u32 v73, s6, s46, v39
	v_cndmask_b32_e32 v13, v13, v40, vcc_lo
	v_cmp_gt_u32_e32 vcc_lo, s16, v23
	s_cselect_b32 s31, -1, 0
	s_cmp_eq_u32 s62, s59
	v_add_co_ci_u32_e64 v74, null, s47, 0, s6
	v_add_co_u32 v75, s6, s37, v39
	v_cmp_gt_u32_e64 s14, s16, v32
	v_cmp_gt_u32_e64 s15, s16, v33
	s_cselect_b32 s63, -1, 0
	s_or_b32 s13, s58, vcc_lo
	v_cmp_gt_u32_e32 vcc_lo, s16, v34
	v_cmp_gt_u32_e64 s17, s16, v35
	v_cmp_gt_u32_e64 s18, s16, v36
	;; [unrolled: 1-line block ×4, first 2 shown]
	v_dual_mul_f32 v69, v52, v16 :: v_dual_mul_f32 v70, v51, v17
	v_dual_mul_f32 v71, v50, v18 :: v_dual_mul_f32 v72, v49, v19
	v_add_co_ci_u32_e64 v76, null, s49, 0, s6
	v_cmp_ne_u32_e64 s6, 0, v12
	v_cmp_lt_u32_e64 s7, 1, v12
	v_cmp_lt_u32_e64 s8, 3, v12
	;; [unrolled: 1-line block ×3, first 2 shown]
	v_cmp_ne_u32_e64 s10, 0, v14
	v_cmp_eq_u32_e64 s11, 0, v15
	v_lshlrev_b32_e32 v77, 2, v13
	v_cmp_eq_u32_e64 s12, 0, v40
	s_mov_b32 s28, 0
	s_or_b32 s14, s58, s14
	s_or_b32 s15, s58, s15
	s_or_b32 s16, s58, vcc_lo
	s_or_b32 s17, s58, s17
	s_or_b32 s18, s58, s18
	;; [unrolled: 1-line block ×4, first 2 shown]
	s_mov_b32 s38, s28
	s_mov_b32 s40, s28
	;; [unrolled: 1-line block ×5, first 2 shown]
	s_branch .LBB41_33
.LBB41_32:                              ;   in Loop: Header=BB41_33 Depth=2
	s_or_b32 exec_lo, exec_lo, s21
	v_cndmask_b32_e64 v17, v95, v19, s12
	v_cndmask_b32_e64 v18, v94, v18, s12
	s_add_i32 s64, s64, -1
	s_add_i32 s65, s65, 8
	s_add_i32 s42, s42, s50
	v_fma_f32 v17, v17, v83, v81
	v_mul_f32_e32 v18, v18, v83
	s_add_i32 s40, s40, s36
	s_add_i32 s38, s38, s48
	;; [unrolled: 1-line block ×3, first 2 shown]
	v_cndmask_b32_e64 v17, v17, v81, s5
	v_cndmask_b32_e64 v18, v18, v83, s5
	s_cmp_eq_u32 s64, 0
	v_and_b32_e32 v19, 0xffff0000, v14
	s_waitcnt lgkmcnt(0)
	s_delay_alu instid0(VALU_DEP_2) | instskip(NEXT) | instid1(VALU_DEP_1)
	v_dual_fmac_f32 v17, v16, v18 :: v_dual_and_b32 v16, 0xffff0000, v12
	v_fmac_f32_e32 v78, v17, v84
	s_delay_alu instid0(VALU_DEP_1) | instskip(NEXT) | instid1(VALU_DEP_3)
	v_fmac_f32_e32 v79, v78, v86
	v_fmac_f32_e32 v62, v78, v16
	s_delay_alu instid0(VALU_DEP_2) | instskip(SKIP_1) | instid1(VALU_DEP_2)
	v_fmac_f32_e32 v80, v79, v87
	v_and_b32_e32 v20, 0xffff0000, v15
	v_dual_fmac_f32 v82, v80, v89 :: v_dual_lshlrev_b32 v15, 16, v15
	s_delay_alu instid0(VALU_DEP_1) | instskip(NEXT) | instid1(VALU_DEP_1)
	v_dual_fmac_f32 v85, v82, v93 :: v_dual_lshlrev_b32 v12, 16, v12
	v_dual_fmac_f32 v61, v17, v12 :: v_dual_and_b32 v18, 0xffff0000, v13
	s_delay_alu instid0(VALU_DEP_2) | instskip(SKIP_1) | instid1(VALU_DEP_2)
	v_dual_fmac_f32 v88, v85, v91 :: v_dual_lshlrev_b32 v13, 16, v13
	v_lshlrev_b32_e32 v14, 16, v14
	v_dual_fmac_f32 v59, v80, v18 :: v_dual_fmac_f32 v58, v79, v13
	v_fmac_f32_e32 v54, v85, v19
	s_delay_alu instid0(VALU_DEP_4) | instskip(NEXT) | instid1(VALU_DEP_4)
	v_fmac_f32_e32 v53, v88, v15
	v_dual_fmac_f32 v55, v82, v14 :: v_dual_fmac_f32 v90, v88, v92
	s_delay_alu instid0(VALU_DEP_1)
	v_fmac_f32_e32 v56, v90, v20
	s_cbranch_scc1 .LBB41_62
.LBB41_33:                              ;   Parent Loop BB41_12 Depth=1
                                        ; =>  This Inner Loop Header: Depth=2
	s_lshl_b64 s[66:67], s[28:29], 2
	s_mov_b32 s39, s29
	s_add_u32 s66, s23, s66
	s_addc_u32 s67, s44, s67
	s_lshl_b64 s[68:69], s[38:39], 1
	s_mov_b32 s41, s29
	v_add_co_u32 v12, vcc_lo, v73, s68
	v_add_co_ci_u32_e32 v13, vcc_lo, s69, v74, vcc_lo
	s_lshl_b64 s[68:69], s[40:41], 1
	s_delay_alu instid0(SALU_CYCLE_1)
	v_add_co_u32 v14, vcc_lo, v75, s68
	v_add_co_ci_u32_e32 v15, vcc_lo, s69, v76, vcc_lo
	global_load_b32 v78, v22, s[66:67]
	global_load_b128 v[16:19], v[12:13], off
	global_load_b128 v[12:15], v[14:15], off
	s_and_not1_b32 vcc_lo, exec_lo, s31
	s_cbranch_vccnz .LBB41_35
; %bb.34:                               ;   in Loop: Header=BB41_33 Depth=2
	v_mov_b32_e32 v20, s65
	ds_load_b64 v[20:21], v20
	s_cbranch_execz .LBB41_36
	s_branch .LBB41_39
.LBB41_35:                              ;   in Loop: Header=BB41_33 Depth=2
                                        ; implicit-def: $vgpr20
.LBB41_36:                              ;   in Loop: Header=BB41_33 Depth=2
	s_waitcnt lgkmcnt(0)
	v_mov_b32_e32 v21, 0
	s_and_not1_b32 vcc_lo, exec_lo, s33
	s_cbranch_vccnz .LBB41_38
; %bb.37:                               ;   in Loop: Header=BB41_33 Depth=2
	s_mov_b32 s43, s29
	s_delay_alu instid0(SALU_CYCLE_1) | instskip(NEXT) | instid1(SALU_CYCLE_1)
	s_lshl_b64 s[66:67], s[42:43], 2
	s_add_u32 s66, s51, s66
	s_addc_u32 s67, s54, s67
	global_load_b32 v21, v22, s[66:67]
.LBB41_38:                              ;   in Loop: Header=BB41_33 Depth=2
	v_mov_b32_e32 v20, 1.0
.LBB41_39:                              ;   in Loop: Header=BB41_33 Depth=2
	s_waitcnt vmcnt(2)
	v_mul_f32_e32 v88, 0x3fb8aa3b, v78
	s_waitcnt vmcnt(1)
	v_lshlrev_b32_e32 v78, 16, v16
	s_delay_alu instid0(VALU_DEP_2) | instskip(NEXT) | instid1(VALU_DEP_1)
	v_dual_mul_f32 v81, v88, v50 :: v_dual_and_b32 v16, 0xffff0000, v16
	v_dual_mul_f32 v79, v88, v49 :: v_dual_mul_f32 v16, v71, v16
	s_delay_alu instid0(VALU_DEP_3) | instskip(NEXT) | instid1(VALU_DEP_3)
	v_mul_f32_e32 v78, v72, v78
	v_cmp_gt_f32_e64 s21, 0xc2fc0000, v81
	s_delay_alu instid0(VALU_DEP_3) | instskip(NEXT) | instid1(VALU_DEP_2)
	v_cmp_gt_f32_e32 vcc_lo, 0xc2fc0000, v79
	v_cndmask_b32_e64 v81, 0, 0x42800000, s21
	v_cndmask_b32_e64 v79, 0, 0x42800000, vcc_lo
	v_lshlrev_b32_e32 v80, 16, v17
	v_lshlrev_b32_e32 v82, 16, v18
	v_and_b32_e32 v17, 0xffff0000, v17
	v_fmac_f32_e32 v81, v88, v50
	v_fmac_f32_e32 v79, v88, v49
	v_cndmask_b32_e64 v86, 1.0, 0x1f800000, vcc_lo
	v_cndmask_b32_e64 v87, 1.0, 0x1f800000, s21
	v_dual_mul_f32 v80, v70, v80 :: v_dual_mul_f32 v17, v69, v17
	s_delay_alu instid0(VALU_DEP_4)
	v_exp_f32_e32 v79, v79
	v_exp_f32_e32 v84, v81
	v_cndmask_b32_e64 v81, 0, v78, s13
	v_cndmask_b32_e64 v78, 0, v16, s14
	s_waitcnt_depctr 0xfff
	v_dual_mul_f32 v16, v79, v86 :: v_dual_mul_f32 v79, v84, v87
	v_dual_mul_f32 v83, v88, v51 :: v_dual_and_b32 v18, 0xffff0000, v18
	v_dual_mul_f32 v85, v88, v52 :: v_dual_lshlrev_b32 v90, 16, v19
	v_and_b32_e32 v19, 0xffff0000, v19
	s_delay_alu instid0(VALU_DEP_4) | instskip(NEXT) | instid1(VALU_DEP_4)
	v_cndmask_b32_e64 v84, 1.0, v79, s14
	v_cmp_gt_f32_e64 s22, 0xc2fc0000, v83
	v_mul_f32_e32 v92, v88, v64
	v_cmp_gt_f32_e32 vcc_lo, 0xc2fc0000, v85
	v_mul_f32_e32 v18, v67, v18
	v_mul_f32_e32 v90, v66, v90
	v_cndmask_b32_e64 v83, 0, 0x42800000, s22
	v_cndmask_b32_e64 v79, 1.0, 0x1f800000, s22
	v_cndmask_b32_e64 v85, 0, 0x42800000, vcc_lo
	s_delay_alu instid0(VALU_DEP_3) | instskip(NEXT) | instid1(VALU_DEP_2)
	v_fmac_f32_e32 v83, v88, v51
	v_fmac_f32_e32 v85, v88, v52
	s_delay_alu instid0(VALU_DEP_2) | instskip(SKIP_2) | instid1(VALU_DEP_3)
	v_exp_f32_e32 v86, v83
	v_cndmask_b32_e64 v83, 1.0, v16, s13
	v_mul_f32_e32 v16, v88, v57
	v_exp_f32_e32 v85, v85
	v_mul_f32_e32 v87, v88, v60
	v_mul_f32_e32 v19, v65, v19
	s_delay_alu instid0(VALU_DEP_3) | instskip(NEXT) | instid1(TRANS32_DEP_2)
	v_cmp_gt_f32_e64 s21, 0xc2fc0000, v16
	v_mul_f32_e32 v86, v86, v79
	v_cndmask_b32_e64 v79, 0, v80, s15
	s_delay_alu instid0(VALU_DEP_3) | instskip(SKIP_3) | instid1(VALU_DEP_3)
	v_cndmask_b32_e64 v16, 0, 0x42800000, s21
	v_cndmask_b32_e64 v80, 1.0, 0x1f800000, vcc_lo
	v_cmp_gt_f32_e32 vcc_lo, 0xc2fc0000, v87
	v_cndmask_b32_e64 v86, 1.0, v86, s15
	v_dual_fmac_f32 v16, v88, v57 :: v_dual_mul_f32 v85, v85, v80
	v_cndmask_b32_e64 v89, 0, 0x42800000, vcc_lo
	v_cndmask_b32_e64 v80, 0, v17, s16
	v_cndmask_b32_e64 v17, 1.0, 0x1f800000, s21
	s_delay_alu instid0(VALU_DEP_4) | instskip(SKIP_4) | instid1(VALU_DEP_3)
	v_exp_f32_e32 v16, v16
	v_cndmask_b32_e64 v87, 1.0, v85, s16
	v_fmac_f32_e32 v89, v88, v60
	v_cmp_gt_f32_e64 s21, 0xc2fc0000, v92
	v_fma_f32 v92, v84, v81, v78
	v_exp_f32_e32 v85, v89
	s_waitcnt_depctr 0xfff
	v_mul_f32_e32 v16, v16, v17
	v_cndmask_b32_e64 v17, 1.0, 0x1f800000, vcc_lo
	v_mul_f32_e32 v89, v88, v63
	s_delay_alu instid0(VALU_DEP_1) | instskip(NEXT) | instid1(VALU_DEP_4)
	v_cmp_gt_f32_e32 vcc_lo, 0xc2fc0000, v89
	v_cndmask_b32_e64 v89, 1.0, v16, s17
	s_delay_alu instid0(VALU_DEP_4)
	v_mul_f32_e32 v16, v85, v17
	v_cndmask_b32_e64 v85, 0, v18, s18
	v_mul_f32_e32 v18, v84, v83
	v_cndmask_b32_e64 v91, 0, 0x42800000, vcc_lo
	v_cndmask_b32_e64 v17, 0, 0x42800000, s21
	v_cndmask_b32_e64 v93, 1.0, v16, s18
	s_delay_alu instid0(VALU_DEP_3) | instskip(NEXT) | instid1(VALU_DEP_3)
	v_dual_mul_f32 v16, v18, v86 :: v_dual_fmac_f32 v91, v88, v63
	v_fmac_f32_e32 v17, v88, v64
	v_fma_f32 v18, v92, v86, v79
	v_cndmask_b32_e64 v88, 1.0, 0x1f800000, vcc_lo
	s_delay_alu instid0(VALU_DEP_4)
	v_mul_f32_e32 v16, v16, v87
	v_exp_f32_e32 v91, v91
	v_mul_f32_e32 v82, v68, v82
	v_exp_f32_e32 v17, v17
	v_fma_f32 v18, v18, v87, v80
	v_mul_f32_e32 v16, v16, v89
	s_waitcnt_depctr 0xfff
	v_dual_mul_f32 v16, v16, v93 :: v_dual_mul_f32 v91, v91, v88
	v_cndmask_b32_e64 v82, 0, v82, s17
	v_cndmask_b32_e64 v88, 0, v90, s19
	v_cndmask_b32_e64 v90, 1.0, 0x1f800000, s21
	s_delay_alu instid0(VALU_DEP_4) | instskip(NEXT) | instid1(VALU_DEP_4)
	v_cndmask_b32_e64 v91, 1.0, v91, s19
	v_fma_f32 v18, v18, v89, v82
	s_delay_alu instid0(VALU_DEP_3) | instskip(SKIP_1) | instid1(VALU_DEP_4)
	v_mul_f32_e32 v17, v17, v90
	v_cndmask_b32_e64 v90, 0, v19, s20
	v_mul_f32_e32 v16, v16, v91
	s_delay_alu instid0(VALU_DEP_4) | instskip(NEXT) | instid1(VALU_DEP_4)
	v_fma_f32 v18, v18, v93, v85
	v_cndmask_b32_e64 v92, 1.0, v17, s20
	s_delay_alu instid0(VALU_DEP_2) | instskip(NEXT) | instid1(VALU_DEP_2)
	v_fma_f32 v17, v18, v91, v88
	v_mul_f32_e32 v16, v16, v92
	s_delay_alu instid0(VALU_DEP_2) | instskip(NEXT) | instid1(VALU_DEP_2)
	v_fma_f32 v17, v17, v92, v90
	v_mov_b32_dpp v19, v16 row_shr:1 row_mask:0xf bank_mask:0xf
	s_delay_alu instid0(VALU_DEP_2)
	v_mov_b32_dpp v18, v17 row_shr:1 row_mask:0xf bank_mask:0xf
	s_and_saveexec_b32 s21, s6
; %bb.40:                               ;   in Loop: Header=BB41_33 Depth=2
	s_delay_alu instid0(VALU_DEP_2) | instskip(NEXT) | instid1(VALU_DEP_1)
	v_mul_f32_e32 v19, v16, v19
	v_dual_fmac_f32 v17, v16, v18 :: v_dual_mov_b32 v16, v19
; %bb.41:                               ;   in Loop: Header=BB41_33 Depth=2
	s_or_b32 exec_lo, exec_lo, s21
	s_delay_alu instid0(VALU_DEP_1) | instskip(NEXT) | instid1(VALU_DEP_2)
	v_mov_b32_dpp v18, v16 row_shr:2 row_mask:0xf bank_mask:0xf
	v_mov_b32_dpp v19, v17 row_shr:2 row_mask:0xf bank_mask:0xf
	s_and_saveexec_b32 s21, s7
; %bb.42:                               ;   in Loop: Header=BB41_33 Depth=2
	s_delay_alu instid0(VALU_DEP_1) | instskip(NEXT) | instid1(VALU_DEP_3)
	v_fmac_f32_e32 v17, v16, v19
	v_mul_f32_e32 v16, v16, v18
; %bb.43:                               ;   in Loop: Header=BB41_33 Depth=2
	s_or_b32 exec_lo, exec_lo, s21
	s_delay_alu instid0(VALU_DEP_1) | instskip(NEXT) | instid1(VALU_DEP_3)
	v_mov_b32_dpp v18, v16 row_shr:4 row_mask:0xf bank_mask:0xf
	v_mov_b32_dpp v19, v17 row_shr:4 row_mask:0xf bank_mask:0xf
	s_and_saveexec_b32 s21, s8
; %bb.44:                               ;   in Loop: Header=BB41_33 Depth=2
	s_delay_alu instid0(VALU_DEP_1) | instskip(NEXT) | instid1(VALU_DEP_3)
	v_fmac_f32_e32 v17, v16, v19
	v_mul_f32_e32 v16, v16, v18
; %bb.45:                               ;   in Loop: Header=BB41_33 Depth=2
	s_or_b32 exec_lo, exec_lo, s21
	s_delay_alu instid0(VALU_DEP_1) | instskip(NEXT) | instid1(VALU_DEP_3)
	v_mov_b32_dpp v18, v16 row_shr:8 row_mask:0xf bank_mask:0xf
	v_mov_b32_dpp v19, v17 row_shr:8 row_mask:0xf bank_mask:0xf
	s_and_saveexec_b32 s21, s9
; %bb.46:                               ;   in Loop: Header=BB41_33 Depth=2
	s_delay_alu instid0(VALU_DEP_1) | instskip(NEXT) | instid1(VALU_DEP_3)
	v_fmac_f32_e32 v17, v16, v19
	v_mul_f32_e32 v16, v16, v18
; %bb.47:                               ;   in Loop: Header=BB41_33 Depth=2
	s_or_b32 exec_lo, exec_lo, s21
	ds_swizzle_b32 v19, v16 offset:swizzle(BROADCAST,32,15)
	ds_swizzle_b32 v18, v17 offset:swizzle(BROADCAST,32,15)
	s_and_saveexec_b32 s21, s10
	s_cbranch_execz .LBB41_49
; %bb.48:                               ;   in Loop: Header=BB41_33 Depth=2
	s_waitcnt lgkmcnt(1)
	v_mul_f32_e32 v19, v16, v19
	s_waitcnt lgkmcnt(0)
	s_delay_alu instid0(VALU_DEP_1)
	v_dual_fmac_f32 v17, v16, v18 :: v_dual_mov_b32 v16, v19
.LBB41_49:                              ;   in Loop: Header=BB41_33 Depth=2
	s_or_b32 exec_lo, exec_lo, s21
	s_and_saveexec_b32 s21, s1
	s_cbranch_execz .LBB41_51
; %bb.50:                               ;   in Loop: Header=BB41_33 Depth=2
	ds_store_b64 v24, v[16:17] offset:2112
.LBB41_51:                              ;   in Loop: Header=BB41_33 Depth=2
	s_or_b32 exec_lo, exec_lo, s21
	s_waitcnt vmcnt(0) lgkmcnt(0)
	s_waitcnt_vscnt null, 0x0
	s_barrier
	buffer_gl0_inv
	s_and_saveexec_b32 s21, s2
	s_cbranch_execz .LBB41_53
; %bb.52:                               ;   in Loop: Header=BB41_33 Depth=2
	ds_load_b64 v[18:19], v25 offset:2112
	s_waitcnt lgkmcnt(0)
	v_mov_b32_dpp v94, v18 row_shr:1 row_mask:0xf bank_mask:0xf
	v_mov_b32_dpp v95, v19 row_shr:1 row_mask:0xf bank_mask:0xf
	s_delay_alu instid0(VALU_DEP_2) | instskip(NEXT) | instid1(VALU_DEP_2)
	v_mul_f32_e32 v94, v18, v94
	v_fma_f32 v95, v18, v95, v19
	s_delay_alu instid0(VALU_DEP_2) | instskip(NEXT) | instid1(VALU_DEP_2)
	v_cndmask_b32_e64 v18, v94, v18, s11
	v_cndmask_b32_e64 v19, v95, v19, s11
	ds_store_b64 v25, v[18:19] offset:2112
.LBB41_53:                              ;   in Loop: Header=BB41_33 Depth=2
	s_or_b32 exec_lo, exec_lo, s21
	s_waitcnt lgkmcnt(0)
	s_barrier
	buffer_gl0_inv
                                        ; implicit-def: $vgpr19
	s_and_saveexec_b32 s21, s4
	s_cbranch_execz .LBB41_55
; %bb.54:                               ;   in Loop: Header=BB41_33 Depth=2
	ds_load_b64 v[18:19], v24 offset:2104
	s_waitcnt lgkmcnt(0)
	v_mul_f32_e32 v94, v16, v18
	s_delay_alu instid0(VALU_DEP_1)
	v_dual_fmac_f32 v17, v16, v19 :: v_dual_mov_b32 v16, v94
.LBB41_55:                              ;   in Loop: Header=BB41_33 Depth=2
	s_or_b32 exec_lo, exec_lo, s21
	ds_bpermute_b32 v94, v77, v16
	ds_bpermute_b32 v95, v77, v17
	s_and_saveexec_b32 s21, s3
	s_cbranch_execz .LBB41_59
; %bb.56:                               ;   in Loop: Header=BB41_33 Depth=2
	ds_load_b64 v[16:17], v22 offset:2120
	s_and_saveexec_b32 s22, s5
	s_cbranch_execz .LBB41_58
; %bb.57:                               ;   in Loop: Header=BB41_33 Depth=2
	ds_store_b64 v22, v[20:21] offset:2120
.LBB41_58:                              ;   in Loop: Header=BB41_33 Depth=2
	s_or_b32 exec_lo, exec_lo, s22
	s_waitcnt lgkmcnt(0)
	v_fmac_f32_e32 v17, v21, v16
	s_delay_alu instid0(VALU_DEP_1)
	v_dual_mul_f32 v20, v20, v16 :: v_dual_mov_b32 v21, v17
.LBB41_59:                              ;   in Loop: Header=BB41_33 Depth=2
	s_or_b32 exec_lo, exec_lo, s21
	s_waitcnt lgkmcnt(0)
	s_barrier
	buffer_gl0_inv
	ds_load_b32 v16, v22 offset:2124
	s_and_saveexec_b32 s21, s5
	s_cbranch_execz .LBB41_32
; %bb.60:                               ;   in Loop: Header=BB41_33 Depth=2
	v_mov_b32_e32 v17, s65
	s_and_not1_b32 vcc_lo, exec_lo, s63
	ds_store_b64 v17, v[20:21]
	s_cbranch_vccnz .LBB41_32
; %bb.61:                               ;   in Loop: Header=BB41_33 Depth=2
	s_mov_b32 s43, s29
	s_delay_alu instid0(SALU_CYCLE_1) | instskip(NEXT) | instid1(SALU_CYCLE_1)
	s_lshl_b64 s[66:67], s[42:43], 2
	s_add_u32 s66, s51, s66
	s_addc_u32 s67, s54, s67
	global_store_b32 v22, v21, s[66:67]
	s_branch .LBB41_32
.LBB41_62:                              ;   in Loop: Header=BB41_12 Depth=1
	v_bfe_u32 v12, v61, 16, 1
	v_bfe_u32 v13, v62, 16, 1
	v_bfe_u32 v15, v58, 16, 1
	v_cmp_o_f32_e32 vcc_lo, v61, v61
	v_bfe_u32 v14, v59, 16, 1
	v_add3_u32 v12, v61, v12, 0x7fff
	v_add3_u32 v13, v62, v13, 0x7fff
	;; [unrolled: 1-line block ×3, first 2 shown]
	v_bfe_u32 v16, v55, 16, 1
	v_add3_u32 v14, v59, v14, 0x7fff
	v_lshrrev_b32_e32 v12, 16, v12
	v_lshrrev_b32_e32 v13, 16, v13
	v_bfe_u32 v17, v53, 16, 1
	v_add3_u32 v16, v55, v16, 0x7fff
	v_lshrrev_b32_e32 v14, 16, v14
	v_cndmask_b32_e32 v12, 0x7fc0, v12, vcc_lo
	v_cmp_o_f32_e32 vcc_lo, v62, v62
	v_bfe_u32 v19, v56, 16, 1
	s_mov_b32 s31, s29
	s_waitcnt_vscnt null, 0x0
	s_lshl_b64 s[10:11], s[30:31], 1
	v_cndmask_b32_e32 v18, 0x7fc0, v13, vcc_lo
	v_lshrrev_b32_e32 v13, 16, v15
	v_cmp_o_f32_e32 vcc_lo, v58, v58
	v_bfe_u32 v15, v54, 16, 1
	s_barrier
	v_perm_b32 v12, v18, v12, 0x5040100
	buffer_gl0_inv
	v_cndmask_b32_e32 v13, 0x7fc0, v13, vcc_lo
	v_cmp_o_f32_e32 vcc_lo, v59, v59
	v_add3_u32 v15, v54, v15, 0x7fff
	v_cndmask_b32_e32 v20, 0x7fc0, v14, vcc_lo
	v_lshrrev_b32_e32 v14, 16, v16
	v_cmp_o_f32_e32 vcc_lo, v55, v55
	v_add3_u32 v16, v53, v17, 0x7fff
	v_lshrrev_b32_e32 v15, 16, v15
	v_add3_u32 v17, v56, v19, 0x7fff
	v_perm_b32 v13, v20, v13, 0x5040100
	v_cndmask_b32_e32 v14, 0x7fc0, v14, vcc_lo
	v_cmp_o_f32_e32 vcc_lo, v54, v54
	v_lshrrev_b32_e32 v16, 16, v16
	v_lshrrev_b32_e32 v17, 16, v17
	v_cndmask_b32_e32 v19, 0x7fc0, v15, vcc_lo
	v_cmp_o_f32_e32 vcc_lo, v53, v53
	s_delay_alu instid0(VALU_DEP_2)
	v_perm_b32 v14, v19, v14, 0x5040100
	v_cndmask_b32_e32 v15, 0x7fc0, v16, vcc_lo
	v_cmp_o_f32_e32 vcc_lo, v56, v56
	v_cndmask_b32_e32 v21, 0x7fc0, v17, vcc_lo
	v_add_co_u32 v16, vcc_lo, v26, s10
	v_add_co_ci_u32_e32 v17, vcc_lo, s11, v27, vcc_lo
	s_delay_alu instid0(VALU_DEP_3)
	v_perm_b32 v15, v21, v15, 0x5040100
	global_store_b128 v[16:17], v[12:15], off
	s_waitcnt_vscnt null, 0x0
	s_barrier
	buffer_gl0_inv
	s_and_saveexec_b32 s6, s0
	s_cbranch_execz .LBB41_11
; %bb.63:                               ;   in Loop: Header=BB41_12 Depth=1
	v_add_co_u32 v8, vcc_lo, v28, s10
	v_add_co_ci_u32_e32 v9, vcc_lo, s11, v29, vcc_lo
	global_load_b128 v[8:11], v[8:9], off
	s_branch .LBB41_11
.LBB41_64:
	s_nop 0
	s_sendmsg sendmsg(MSG_DEALLOC_VGPRS)
	s_endpgm
	.section	.rodata,"a",@progbits
	.p2align	6, 0x0
	.amdhsa_kernel _Z25selective_scan_fwd_kernelI32Selective_Scan_fwd_kernel_traitsILi64ELi8ELi1ELb1ELb1ELb1ELb1ELb0EN3c108BFloat16EffEEv13SSMParamsBase
		.amdhsa_group_segment_fixed_size 0
		.amdhsa_private_segment_fixed_size 0
		.amdhsa_kernarg_size 248
		.amdhsa_user_sgpr_count 14
		.amdhsa_user_sgpr_dispatch_ptr 0
		.amdhsa_user_sgpr_queue_ptr 0
		.amdhsa_user_sgpr_kernarg_segment_ptr 1
		.amdhsa_user_sgpr_dispatch_id 0
		.amdhsa_user_sgpr_private_segment_size 0
		.amdhsa_wavefront_size32 1
		.amdhsa_uses_dynamic_stack 0
		.amdhsa_enable_private_segment 0
		.amdhsa_system_sgpr_workgroup_id_x 1
		.amdhsa_system_sgpr_workgroup_id_y 1
		.amdhsa_system_sgpr_workgroup_id_z 0
		.amdhsa_system_sgpr_workgroup_info 0
		.amdhsa_system_vgpr_workitem_id 0
		.amdhsa_next_free_vgpr 96
		.amdhsa_next_free_sgpr 70
		.amdhsa_reserve_vcc 1
		.amdhsa_float_round_mode_32 0
		.amdhsa_float_round_mode_16_64 0
		.amdhsa_float_denorm_mode_32 3
		.amdhsa_float_denorm_mode_16_64 3
		.amdhsa_dx10_clamp 1
		.amdhsa_ieee_mode 1
		.amdhsa_fp16_overflow 0
		.amdhsa_workgroup_processor_mode 1
		.amdhsa_memory_ordered 1
		.amdhsa_forward_progress 0
		.amdhsa_shared_vgpr_count 0
		.amdhsa_exception_fp_ieee_invalid_op 0
		.amdhsa_exception_fp_denorm_src 0
		.amdhsa_exception_fp_ieee_div_zero 0
		.amdhsa_exception_fp_ieee_overflow 0
		.amdhsa_exception_fp_ieee_underflow 0
		.amdhsa_exception_fp_ieee_inexact 0
		.amdhsa_exception_int_div_zero 0
	.end_amdhsa_kernel
	.section	.text._Z25selective_scan_fwd_kernelI32Selective_Scan_fwd_kernel_traitsILi64ELi8ELi1ELb1ELb1ELb1ELb1ELb0EN3c108BFloat16EffEEv13SSMParamsBase,"axG",@progbits,_Z25selective_scan_fwd_kernelI32Selective_Scan_fwd_kernel_traitsILi64ELi8ELi1ELb1ELb1ELb1ELb1ELb0EN3c108BFloat16EffEEv13SSMParamsBase,comdat
.Lfunc_end41:
	.size	_Z25selective_scan_fwd_kernelI32Selective_Scan_fwd_kernel_traitsILi64ELi8ELi1ELb1ELb1ELb1ELb1ELb0EN3c108BFloat16EffEEv13SSMParamsBase, .Lfunc_end41-_Z25selective_scan_fwd_kernelI32Selective_Scan_fwd_kernel_traitsILi64ELi8ELi1ELb1ELb1ELb1ELb1ELb0EN3c108BFloat16EffEEv13SSMParamsBase
                                        ; -- End function
	.section	.AMDGPU.csdata,"",@progbits
; Kernel info:
; codeLenInByte = 12064
; NumSgprs: 72
; NumVgprs: 96
; ScratchSize: 0
; MemoryBound: 1
; FloatMode: 240
; IeeeMode: 1
; LDSByteSize: 0 bytes/workgroup (compile time only)
; SGPRBlocks: 8
; VGPRBlocks: 11
; NumSGPRsForWavesPerEU: 72
; NumVGPRsForWavesPerEU: 96
; Occupancy: 16
; WaveLimiterHint : 0
; COMPUTE_PGM_RSRC2:SCRATCH_EN: 0
; COMPUTE_PGM_RSRC2:USER_SGPR: 14
; COMPUTE_PGM_RSRC2:TRAP_HANDLER: 0
; COMPUTE_PGM_RSRC2:TGID_X_EN: 1
; COMPUTE_PGM_RSRC2:TGID_Y_EN: 1
; COMPUTE_PGM_RSRC2:TGID_Z_EN: 0
; COMPUTE_PGM_RSRC2:TIDIG_COMP_CNT: 0
	.section	.text._Z25selective_scan_fwd_kernelI32Selective_Scan_fwd_kernel_traitsILi64ELi8ELi1ELb1ELb1ELb1ELb0ELb1EN3c108BFloat16EffEEv13SSMParamsBase,"axG",@progbits,_Z25selective_scan_fwd_kernelI32Selective_Scan_fwd_kernel_traitsILi64ELi8ELi1ELb1ELb1ELb1ELb0ELb1EN3c108BFloat16EffEEv13SSMParamsBase,comdat
	.protected	_Z25selective_scan_fwd_kernelI32Selective_Scan_fwd_kernel_traitsILi64ELi8ELi1ELb1ELb1ELb1ELb0ELb1EN3c108BFloat16EffEEv13SSMParamsBase ; -- Begin function _Z25selective_scan_fwd_kernelI32Selective_Scan_fwd_kernel_traitsILi64ELi8ELi1ELb1ELb1ELb1ELb0ELb1EN3c108BFloat16EffEEv13SSMParamsBase
	.globl	_Z25selective_scan_fwd_kernelI32Selective_Scan_fwd_kernel_traitsILi64ELi8ELi1ELb1ELb1ELb1ELb0ELb1EN3c108BFloat16EffEEv13SSMParamsBase
	.p2align	8
	.type	_Z25selective_scan_fwd_kernelI32Selective_Scan_fwd_kernel_traitsILi64ELi8ELi1ELb1ELb1ELb1ELb0ELb1EN3c108BFloat16EffEEv13SSMParamsBase,@function
_Z25selective_scan_fwd_kernelI32Selective_Scan_fwd_kernel_traitsILi64ELi8ELi1ELb1ELb1ELb1ELb0ELb1EN3c108BFloat16EffEEv13SSMParamsBase: ; @_Z25selective_scan_fwd_kernelI32Selective_Scan_fwd_kernel_traitsILi64ELi8ELi1ELb1ELb1ELb1ELb0ELb1EN3c108BFloat16EffEEv13SSMParamsBase
; %bb.0:
	s_clause 0x2
	s_load_b32 s35, s[0:1], 0x18
	s_load_b128 s[4:7], s[0:1], 0xe0
	s_load_b64 s[10:11], s[0:1], 0xf0
	s_mov_b32 s12, s15
	s_ashr_i32 s15, s14, 31
	s_mov_b32 s33, 0
	s_lshl_b64 s[8:9], s[14:15], 2
	s_waitcnt lgkmcnt(0)
	s_abs_i32 s34, s35
	s_add_u32 s2, s4, s8
	v_cvt_f32_u32_e32 v1, s34
	s_addc_u32 s3, s5, s9
	s_cmp_eq_u64 s[10:11], 0
	s_delay_alu instid0(VALU_DEP_1) | instskip(SKIP_2) | instid1(VALU_DEP_1)
	v_rcp_iflag_f32_e32 v1, v1
	s_waitcnt_depctr 0xfff
	v_mul_f32_e32 v1, 0x4f7ffffe, v1
	v_cvt_u32_f32_e32 v1, v1
	s_delay_alu instid0(VALU_DEP_1)
	v_readfirstlane_b32 s36, v1
	s_cbranch_scc1 .LBB42_2
; %bb.1:
	v_mov_b32_e32 v1, 0
	s_add_u32 s4, s10, s14
	s_addc_u32 s5, s11, s15
	global_load_u8 v1, v1, s[4:5]
	s_waitcnt vmcnt(0)
	v_and_b32_e32 v1, 1, v1
	s_delay_alu instid0(VALU_DEP_1)
	v_cmp_eq_u32_e64 s33, 1, v1
.LBB42_2:
	s_load_b64 s[4:5], s[0:1], 0x20
	s_cmp_eq_u64 s[6:7], 0
	s_cbranch_scc1 .LBB42_4
; %bb.3:
	s_add_u32 s6, s6, s8
	s_addc_u32 s7, s7, s9
	s_load_b32 s14, s[6:7], 0x0
	s_waitcnt lgkmcnt(0)
	s_ashr_i32 s15, s14, 31
.LBB42_4:
	s_waitcnt lgkmcnt(0)
	s_cmp_eq_u64 s[4:5], s[14:15]
	s_cbranch_scc1 .LBB42_140
; %bb.5:
	s_load_b512 s[16:31], s[0:1], 0x88
	s_load_b64 s[10:11], s[2:3], 0x0
	s_mov_b32 s52, 0
	s_mov_b32 s53, 0
	s_waitcnt lgkmcnt(0)
	s_cmp_eq_u64 s[22:23], 0
	s_cbranch_scc1 .LBB42_7
; %bb.6:
	s_ashr_i32 s13, s12, 31
	s_delay_alu instid0(SALU_CYCLE_1) | instskip(NEXT) | instid1(SALU_CYCLE_1)
	s_lshl_b64 s[2:3], s[12:13], 2
	s_add_u32 s2, s22, s2
	s_addc_u32 s3, s23, s3
	s_load_b32 s53, s[2:3], 0x0
.LBB42_7:
	s_cmp_eq_u64 s[28:29], 0
	s_cbranch_scc1 .LBB42_9
; %bb.8:
	s_ashr_i32 s13, s12, 31
	s_delay_alu instid0(SALU_CYCLE_1) | instskip(NEXT) | instid1(SALU_CYCLE_1)
	s_lshl_b64 s[2:3], s[12:13], 2
	s_add_u32 s2, s28, s2
	s_addc_u32 s3, s29, s3
	s_load_b32 s52, s[2:3], 0x0
.LBB42_9:
	s_sub_i32 s54, s11, s10
	s_delay_alu instid0(SALU_CYCLE_1)
	s_cmp_lt_i32 s54, 1
	s_cbranch_scc1 .LBB42_140
; %bb.10:
	s_sub_i32 s2, 0, s34
	s_abs_i32 s5, s12
	s_mul_i32 s4, s2, s36
	s_clause 0x1
	s_load_b64 s[2:3], s[0:1], 0x5c
	s_load_b128 s[44:47], s[0:1], 0x4c
	s_mul_hi_u32 s4, s36, s4
	s_ashr_i32 s7, s35, 31
	s_add_i32 s36, s36, s4
	s_ashr_i32 s4, s12, 31
	s_mul_hi_u32 s6, s5, s36
	s_xor_b32 s7, s4, s7
	s_mul_i32 s8, s6, s34
	s_load_b256 s[36:43], s[0:1], 0x2c
	s_sub_i32 s4, s5, s8
	s_add_i32 s5, s6, 1
	s_sub_i32 s8, s4, s34
	s_cmp_ge_u32 s4, s34
	s_mov_b32 s35, 0
	s_cselect_b32 s5, s5, s6
	s_cselect_b32 s4, s8, s4
	s_add_i32 s6, s5, 1
	s_cmp_ge_u32 s4, s34
	s_load_b128 s[48:51], s[0:1], 0x7c
	s_cselect_b32 s4, s6, s5
	s_waitcnt lgkmcnt(0)
	s_mul_i32 s34, s10, s46
	s_xor_b32 s6, s4, s7
	s_lshl_b64 s[4:5], s[34:35], 1
	s_sub_i32 s6, s6, s7
	s_mul_i32 s34, s47, s12
	s_add_u32 s7, s24, s4
	s_addc_u32 s8, s25, s5
	s_lshl_b64 s[4:5], s[34:35], 1
	s_mul_i32 s34, s10, s2
	s_add_u32 s55, s7, s4
	s_addc_u32 s56, s8, s5
	s_lshl_b64 s[4:5], s[34:35], 1
	;; [unrolled: 4-line block ×4, first 2 shown]
	s_mul_i32 s34, s10, s38
	s_add_u32 s58, s16, s2
	s_addc_u32 s59, s17, s3
	s_load_b64 s[16:17], s[0:1], 0x6c
	s_lshl_b64 s[2:3], s[34:35], 1
	s_mul_i32 s34, s6, s41
	s_add_u32 s7, s18, s2
	s_addc_u32 s8, s19, s3
	s_lshl_b64 s[2:3], s[34:35], 1
	v_dual_mov_b32 v13, 0 :: v_dual_lshlrev_b32 v10, 3, v0
	s_mul_i32 s34, s10, s42
	s_load_b64 s[4:5], s[0:1], 0xc8
	s_add_u32 s41, s7, s2
	s_addc_u32 s51, s8, s3
	s_lshl_b64 s[2:3], s[34:35], 1
	s_mul_i32 s34, s6, s45
	s_add_u32 s7, s20, s2
	v_mbcnt_lo_u32_b32 v1, -1, 0
	v_and_b32_e32 v2, 0x100, v10
	s_addc_u32 s6, s21, s3
	s_lshl_b64 s[2:3], s[34:35], 1
	s_mul_i32 s34, s14, s48
	s_add_u32 s45, s7, s2
	s_addc_u32 s48, s6, s3
	s_lshl_b64 s[2:3], s[34:35], 2
	s_mul_i32 s34, s49, s12
	s_clause 0x1
	s_load_b32 s49, s[0:1], 0xc
	s_load_b32 s0, s[0:1], 0x28
	v_or_b32_e32 v11, v1, v2
	v_and_b32_e32 v6, 32, v0
	v_lshrrev_b32_e32 v4, 5, v2
	v_cmp_gt_u32_e64 s6, 2, v0
	s_waitcnt lgkmcnt(0)
	s_add_u32 s4, s4, s2
	v_or_b32_e32 v12, 0x60, v11
	v_or_b32_e32 v17, 0xa0, v11
	;; [unrolled: 1-line block ×3, first 2 shown]
	s_addc_u32 s5, s5, s3
	s_lshl_b64 s[2:3], s[34:35], 2
	v_lshrrev_b32_e32 v3, 5, v12
	s_add_u32 s60, s4, s2
	v_or_b32_e32 v15, 64, v11
	v_or_b32_e32 v16, 0x80, v11
	;; [unrolled: 1-line block ×3, first 2 shown]
	v_and_b32_e32 v3, 10, v3
	v_lshrrev_b32_e32 v7, 5, v17
	v_lshrrev_b32_e32 v24, 5, v19
	s_addc_u32 s61, s5, s3
	s_add_i32 s1, s54, 0x7ff
	v_lshrrev_b32_e32 v5, 5, v15
	s_lshr_b32 s62, s1, 11
	s_bitcmp1_b32 s0, 0
	v_add_lshl_u32 v3, v3, v11, 1
	v_lshrrev_b32_e32 v8, 5, v16
	v_or_b32_e32 v9, v1, v6
	v_and_b32_e32 v7, 12, v7
	v_lshrrev_b32_e32 v23, 5, v18
	v_and_b32_e32 v26, 14, v24
	s_cselect_b32 s63, -1, 0
	s_cmp_gt_i32 s49, 0
	v_add_lshl_u32 v4, v4, v11, 1
	s_cselect_b32 s64, -1, 0
	s_add_i32 s0, 0, 0x420
	v_add_lshl_u32 v5, v5, v11, 1
	v_add_nc_u32_e32 v22, 0, v3
	v_add_lshl_u32 v8, v8, v11, 1
	v_lshrrev_b32_e32 v25, 2, v9
	v_add_lshl_u32 v7, v7, v11, 1
	v_add_lshl_u32 v33, v23, v11, 1
	;; [unrolled: 1-line block ×3, first 2 shown]
	v_add_nc_u32_e32 v30, s0, v3
	v_and_b32_e32 v3, 15, v1
	s_and_b32 s1, s54, 0x1ff
	v_and_b32_e32 v27, 14, v25
	v_add_nc_u32_e32 v25, 0, v33
	v_add_nc_u32_e32 v26, 0, v34
	;; [unrolled: 1-line block ×7, first 2 shown]
	s_cmp_eq_u32 s1, 0
	v_add_nc_u32_e32 v34, s0, v34
	v_cmp_ne_u32_e64 s0, 0, v3
	v_cmp_lt_u32_e64 s1, 1, v3
	v_cmp_lt_u32_e64 s2, 3, v3
	;; [unrolled: 1-line block ×3, first 2 shown]
	v_add_nc_u32_e32 v3, -1, v1
	v_add_nc_u32_e32 v20, 0, v4
	v_lshrrev_b32_e32 v4, 2, v0
	v_or_b32_e32 v6, 31, v6
	s_mul_i32 s34, s10, s16
	v_cmp_gt_i32_e32 vcc_lo, 0, v3
	s_cselect_b32 s65, -1, 0
	v_and_b32_e32 v4, 8, v4
	s_lshl_b64 s[14:15], s[34:35], 1
	s_add_i32 s66, s62, -1
	v_cndmask_b32_e32 v3, v3, v1, vcc_lo
	s_mul_i32 s34, s17, s12
	v_cmp_eq_u32_e64 s5, v6, v0
	v_cmp_gt_u32_e64 s8, 32, v0
	v_cmp_lt_u32_e64 s9, 31, v0
	v_cmp_eq_u32_e64 s10, 0, v0
	s_add_u32 s11, s30, s14
	v_lshlrev_b32_e32 v0, 1, v1
	s_addc_u32 s14, s31, s15
	s_lshl_b64 s[12:13], s[34:35], 1
	v_add_nc_u32_e32 v35, 0, v4
	v_and_b32_e32 v4, 1, v1
	s_add_u32 s11, s11, s12
	v_lshlrev_b32_e32 v37, 2, v3
	s_addc_u32 s12, s14, s13
	v_lshlrev_b32_e32 v3, 1, v2
	v_add_co_u32 v0, s11, s11, v0
	v_add_nc_u32_e32 v21, 0, v5
	v_lshl_add_u32 v9, v9, 3, v27
	v_and_b32_e32 v5, 16, v1
	v_cmp_eq_u32_e64 s7, 0, v4
	v_add_co_ci_u32_e64 v4, null, s12, 0, s11
	v_add_co_u32 v38, vcc_lo, v0, v3
	v_or_b32_e32 v14, 32, v11
	v_add_nc_u32_e32 v23, 0, v8
	v_add_nc_u32_e32 v24, 0, v7
	v_lshl_add_u32 v27, v9, 1, 0
	v_cmp_ne_u32_e64 s4, 0, v5
	v_add_nc_u32_e32 v36, 0, v10
	v_cmp_eq_u32_e64 s11, 0, v1
	v_add_co_ci_u32_e32 v39, vcc_lo, 0, v4, vcc_lo
	v_or_b32_e32 v40, 1, v10
	v_or_b32_e32 v41, 2, v10
	;; [unrolled: 1-line block ×7, first 2 shown]
	v_lshlrev_b32_e32 v47, 1, v1
	v_lshlrev_b32_e32 v48, 1, v2
	s_mov_b32 s67, 0x3e9b6dac
	s_add_i32 s68, 0, 0x850
	s_mov_b32 s69, 0
	s_branch .LBB42_12
.LBB42_11:                              ;   in Loop: Header=BB42_12 Depth=1
	s_or_b32 exec_lo, exec_lo, s12
	s_add_u32 s57, s57, 0x400
	s_addc_u32 s36, s36, 0
	s_add_u32 s55, s55, 0x400
	s_addc_u32 s56, s56, 0
	s_add_u32 s41, s41, 0x400
	s_addc_u32 s51, s51, 0
	s_add_u32 s45, s45, 0x400
	s_addc_u32 s48, s48, 0
	s_add_i32 s69, s69, 1
	s_delay_alu instid0(SALU_CYCLE_1)
	s_cmp_eq_u32 s69, s62
	s_cbranch_scc1 .LBB42_140
.LBB42_12:                              ; =>This Loop Header: Depth=1
                                        ;     Child Loop BB42_61 Depth 2
	v_add_co_u32 v0, s12, s55, v47
	s_delay_alu instid0(VALU_DEP_1) | instskip(SKIP_1) | instid1(VALU_DEP_2)
	v_add_co_ci_u32_e64 v1, null, s56, 0, s12
	s_lshl_b32 s30, s69, 9
	v_add_co_u32 v0, vcc_lo, v0, v48
	s_sub_i32 s23, s54, s30
	s_delay_alu instid0(VALU_DEP_2)
	v_add_co_ci_u32_e32 v1, vcc_lo, 0, v1, vcc_lo
	v_cmp_gt_u32_e64 s12, s23, v11
	s_waitcnt lgkmcnt(0)
	v_mov_b32_e32 v2, 0
	s_waitcnt_vscnt null, 0x0
	s_barrier
	buffer_gl0_inv
	s_and_saveexec_b32 s13, s12
	s_cbranch_execz .LBB42_14
; %bb.13:                               ;   in Loop: Header=BB42_12 Depth=1
	global_load_u16 v2, v[0:1], off
.LBB42_14:                              ;   in Loop: Header=BB42_12 Depth=1
	s_or_b32 exec_lo, exec_lo, s13
	v_cmp_gt_u32_e64 s13, s23, v14
	v_dual_mov_b32 v3, 0 :: v_dual_mov_b32 v4, 0
	s_delay_alu instid0(VALU_DEP_2)
	s_and_saveexec_b32 s14, s13
	s_cbranch_execz .LBB42_16
; %bb.15:                               ;   in Loop: Header=BB42_12 Depth=1
	global_load_u16 v4, v[0:1], off offset:64
.LBB42_16:                              ;   in Loop: Header=BB42_12 Depth=1
	s_or_b32 exec_lo, exec_lo, s14
	v_cmp_gt_u32_e64 s14, s23, v15
	s_delay_alu instid0(VALU_DEP_1)
	s_and_saveexec_b32 s15, s14
	s_cbranch_execz .LBB42_18
; %bb.17:                               ;   in Loop: Header=BB42_12 Depth=1
	global_load_u16 v3, v[0:1], off offset:128
.LBB42_18:                              ;   in Loop: Header=BB42_12 Depth=1
	s_or_b32 exec_lo, exec_lo, s15
	v_cmp_gt_u32_e64 s15, s23, v12
	v_mov_b32_e32 v5, 0
	v_mov_b32_e32 v7, 0
	s_delay_alu instid0(VALU_DEP_3)
	s_and_saveexec_b32 s16, s15
	s_cbranch_execz .LBB42_20
; %bb.19:                               ;   in Loop: Header=BB42_12 Depth=1
	global_load_u16 v7, v[0:1], off offset:192
.LBB42_20:                              ;   in Loop: Header=BB42_12 Depth=1
	s_or_b32 exec_lo, exec_lo, s16
	v_cmp_gt_u32_e64 s16, s23, v16
	s_delay_alu instid0(VALU_DEP_1)
	s_and_saveexec_b32 s17, s16
	s_cbranch_execz .LBB42_22
; %bb.21:                               ;   in Loop: Header=BB42_12 Depth=1
	global_load_u16 v5, v[0:1], off offset:256
.LBB42_22:                              ;   in Loop: Header=BB42_12 Depth=1
	s_or_b32 exec_lo, exec_lo, s17
	v_cmp_gt_u32_e64 s17, s23, v17
	v_dual_mov_b32 v8, 0 :: v_dual_mov_b32 v9, 0
	s_delay_alu instid0(VALU_DEP_2)
	s_and_saveexec_b32 s18, s17
	s_cbranch_execz .LBB42_24
; %bb.23:                               ;   in Loop: Header=BB42_12 Depth=1
	global_load_u16 v9, v[0:1], off offset:320
.LBB42_24:                              ;   in Loop: Header=BB42_12 Depth=1
	s_or_b32 exec_lo, exec_lo, s18
	v_cmp_gt_u32_e64 s18, s23, v18
	s_delay_alu instid0(VALU_DEP_1)
	s_and_saveexec_b32 s19, s18
	s_cbranch_execz .LBB42_26
; %bb.25:                               ;   in Loop: Header=BB42_12 Depth=1
	global_load_u16 v8, v[0:1], off offset:384
.LBB42_26:                              ;   in Loop: Header=BB42_12 Depth=1
	s_or_b32 exec_lo, exec_lo, s19
	v_cmp_gt_u32_e64 s19, s23, v19
	v_dual_mov_b32 v6, 0 :: v_dual_mov_b32 v49, 0
	s_delay_alu instid0(VALU_DEP_2)
	s_and_saveexec_b32 s20, s19
	s_cbranch_execz .LBB42_28
; %bb.27:                               ;   in Loop: Header=BB42_12 Depth=1
	global_load_u16 v49, v[0:1], off offset:448
.LBB42_28:                              ;   in Loop: Header=BB42_12 Depth=1
	s_or_b32 exec_lo, exec_lo, s20
	s_waitcnt vmcnt(0)
	ds_store_b16 v20, v2
	ds_store_b16 v20, v4 offset:64
	ds_store_b16 v21, v3 offset:128
	;; [unrolled: 1-line block ×7, first 2 shown]
	; wave barrier
	ds_load_b128 v[0:3], v27
	v_add_co_u32 v4, s20, s57, v47
	s_delay_alu instid0(VALU_DEP_1) | instskip(SKIP_1) | instid1(VALU_DEP_2)
	v_add_co_ci_u32_e64 v5, null, s36, 0, s20
	s_waitcnt lgkmcnt(0)
	v_add_co_u32 v4, vcc_lo, v4, v48
	s_delay_alu instid0(VALU_DEP_2)
	v_add_co_ci_u32_e32 v5, vcc_lo, 0, v5, vcc_lo
	s_barrier
	buffer_gl0_inv
	s_and_saveexec_b32 s20, s12
	s_cbranch_execz .LBB42_30
; %bb.29:                               ;   in Loop: Header=BB42_12 Depth=1
	global_load_u16 v6, v[4:5], off
.LBB42_30:                              ;   in Loop: Header=BB42_12 Depth=1
	s_or_b32 exec_lo, exec_lo, s20
	v_dual_mov_b32 v7, 0 :: v_dual_mov_b32 v8, 0
	s_and_saveexec_b32 s20, s13
	s_cbranch_execz .LBB42_32
; %bb.31:                               ;   in Loop: Header=BB42_12 Depth=1
	global_load_u16 v8, v[4:5], off offset:64
.LBB42_32:                              ;   in Loop: Header=BB42_12 Depth=1
	s_or_b32 exec_lo, exec_lo, s20
	s_and_saveexec_b32 s20, s14
	s_cbranch_execz .LBB42_34
; %bb.33:                               ;   in Loop: Header=BB42_12 Depth=1
	global_load_u16 v7, v[4:5], off offset:128
.LBB42_34:                              ;   in Loop: Header=BB42_12 Depth=1
	s_or_b32 exec_lo, exec_lo, s20
	v_mov_b32_e32 v9, 0
	v_mov_b32_e32 v49, 0
	s_and_saveexec_b32 s20, s15
	s_cbranch_execz .LBB42_36
; %bb.35:                               ;   in Loop: Header=BB42_12 Depth=1
	global_load_u16 v49, v[4:5], off offset:192
.LBB42_36:                              ;   in Loop: Header=BB42_12 Depth=1
	s_or_b32 exec_lo, exec_lo, s20
	s_and_saveexec_b32 s20, s16
	s_cbranch_execz .LBB42_38
; %bb.37:                               ;   in Loop: Header=BB42_12 Depth=1
	global_load_u16 v9, v[4:5], off offset:256
.LBB42_38:                              ;   in Loop: Header=BB42_12 Depth=1
	s_or_b32 exec_lo, exec_lo, s20
	v_dual_mov_b32 v50, 0 :: v_dual_mov_b32 v51, 0
	s_and_saveexec_b32 s20, s17
	s_cbranch_execnz .LBB42_130
; %bb.39:                               ;   in Loop: Header=BB42_12 Depth=1
	s_or_b32 exec_lo, exec_lo, s20
	s_and_saveexec_b32 s20, s18
	s_cbranch_execnz .LBB42_131
.LBB42_40:                              ;   in Loop: Header=BB42_12 Depth=1
	s_or_b32 exec_lo, exec_lo, s20
	v_mov_b32_e32 v52, 0
	s_and_saveexec_b32 s20, s19
	s_cbranch_execz .LBB42_42
.LBB42_41:                              ;   in Loop: Header=BB42_12 Depth=1
	global_load_u16 v52, v[4:5], off offset:448
.LBB42_42:                              ;   in Loop: Header=BB42_12 Depth=1
	s_or_b32 exec_lo, exec_lo, s20
	s_waitcnt vmcnt(0)
	ds_store_b16 v20, v6
	ds_store_b16 v20, v8 offset:64
	ds_store_b16 v21, v7 offset:128
	;; [unrolled: 1-line block ×7, first 2 shown]
	; wave barrier
	ds_load_b128 v[4:7], v27
	s_waitcnt lgkmcnt(0)
	v_lshlrev_b32_e32 v8, 16, v4
	s_delay_alu instid0(VALU_DEP_1) | instskip(NEXT) | instid1(VALU_DEP_1)
	v_add_f32_e32 v49, s52, v8
	v_cmp_ge_f32_e32 vcc_lo, 0x41a00000, v49
	s_and_b32 s20, s63, vcc_lo
	s_delay_alu instid0(SALU_CYCLE_1)
	s_and_saveexec_b32 s21, s20
	s_cbranch_execz .LBB42_44
; %bb.43:                               ;   in Loop: Header=BB42_12 Depth=1
	v_mul_f32_e32 v8, 0x3fb8aa3b, v49
	v_cmp_ngt_f32_e32 vcc_lo, 0xc2ce8ed0, v49
	s_delay_alu instid0(VALU_DEP_2) | instskip(SKIP_1) | instid1(VALU_DEP_2)
	v_rndne_f32_e32 v9, v8
	v_fma_f32 v50, 0x3fb8aa3b, v49, -v8
	v_sub_f32_e32 v8, v8, v9
	s_delay_alu instid0(VALU_DEP_2) | instskip(SKIP_1) | instid1(VALU_DEP_2)
	v_fmac_f32_e32 v50, 0x32a5705f, v49
	v_cvt_i32_f32_e32 v9, v9
	v_add_f32_e32 v8, v8, v50
	s_delay_alu instid0(VALU_DEP_1) | instskip(SKIP_2) | instid1(VALU_DEP_1)
	v_exp_f32_e32 v8, v8
	s_waitcnt_depctr 0xfff
	v_ldexp_f32 v8, v8, v9
	v_cndmask_b32_e32 v8, 0, v8, vcc_lo
	v_cmp_nlt_f32_e32 vcc_lo, 0x42b17218, v49
	s_delay_alu instid0(VALU_DEP_2) | instskip(NEXT) | instid1(VALU_DEP_1)
	v_cndmask_b32_e32 v49, 0x7f800000, v8, vcc_lo
	v_add_f32_e32 v50, 1.0, v49
	s_delay_alu instid0(VALU_DEP_1) | instskip(NEXT) | instid1(VALU_DEP_1)
	v_cvt_f64_f32_e32 v[8:9], v50
	v_frexp_exp_i32_f64_e32 v8, v[8:9]
	v_frexp_mant_f32_e32 v9, v50
	s_delay_alu instid0(VALU_DEP_1) | instskip(SKIP_1) | instid1(VALU_DEP_1)
	v_cmp_gt_f32_e32 vcc_lo, 0x3f2aaaab, v9
	v_add_f32_e32 v9, -1.0, v50
	v_sub_f32_e32 v52, v9, v50
	v_sub_f32_e32 v9, v49, v9
	v_cmp_gt_f32_e64 s20, 0x33800000, v49
	s_delay_alu instid0(VALU_DEP_3) | instskip(NEXT) | instid1(VALU_DEP_1)
	v_add_f32_e32 v52, 1.0, v52
	v_add_f32_e32 v9, v9, v52
	v_subrev_co_ci_u32_e32 v8, vcc_lo, 0, v8, vcc_lo
	v_cmp_eq_f32_e32 vcc_lo, 0x7f800000, v49
	s_delay_alu instid0(VALU_DEP_2) | instskip(SKIP_2) | instid1(VALU_DEP_2)
	v_sub_nc_u32_e32 v51, 0, v8
	v_cvt_f32_i32_e32 v8, v8
	s_or_b32 vcc_lo, s20, vcc_lo
	v_ldexp_f32 v50, v50, v51
	v_ldexp_f32 v9, v9, v51
	s_delay_alu instid0(VALU_DEP_2) | instskip(NEXT) | instid1(VALU_DEP_1)
	v_add_f32_e32 v53, 1.0, v50
	v_dual_add_f32 v51, -1.0, v50 :: v_dual_add_f32 v52, -1.0, v53
	s_delay_alu instid0(VALU_DEP_1) | instskip(NEXT) | instid1(VALU_DEP_2)
	v_add_f32_e32 v54, 1.0, v51
	v_sub_f32_e32 v52, v50, v52
	s_delay_alu instid0(VALU_DEP_2) | instskip(NEXT) | instid1(VALU_DEP_2)
	v_sub_f32_e32 v50, v50, v54
	v_add_f32_e32 v52, v9, v52
	s_delay_alu instid0(VALU_DEP_2) | instskip(NEXT) | instid1(VALU_DEP_1)
	v_add_f32_e32 v9, v9, v50
	v_dual_add_f32 v55, v51, v9 :: v_dual_add_f32 v54, v53, v52
	s_delay_alu instid0(VALU_DEP_1) | instskip(NEXT) | instid1(VALU_DEP_2)
	v_sub_f32_e32 v51, v51, v55
	v_rcp_f32_e32 v50, v54
	v_sub_f32_e32 v53, v53, v54
	s_delay_alu instid0(VALU_DEP_1) | instskip(SKIP_2) | instid1(VALU_DEP_1)
	v_dual_add_f32 v9, v9, v51 :: v_dual_add_f32 v52, v52, v53
	s_waitcnt_depctr 0xfff
	v_mul_f32_e32 v56, v55, v50
	v_mul_f32_e32 v57, v54, v56
	s_delay_alu instid0(VALU_DEP_1) | instskip(NEXT) | instid1(VALU_DEP_1)
	v_fma_f32 v53, v56, v54, -v57
	v_fmac_f32_e32 v53, v56, v52
	s_delay_alu instid0(VALU_DEP_1) | instskip(NEXT) | instid1(VALU_DEP_1)
	v_add_f32_e32 v58, v57, v53
	v_sub_f32_e32 v59, v55, v58
	s_delay_alu instid0(VALU_DEP_1) | instskip(NEXT) | instid1(VALU_DEP_1)
	v_sub_f32_e32 v55, v55, v59
	v_sub_f32_e32 v55, v55, v58
	;; [unrolled: 1-line block ×3, first 2 shown]
	s_delay_alu instid0(VALU_DEP_2) | instskip(NEXT) | instid1(VALU_DEP_2)
	v_add_f32_e32 v9, v9, v55
	v_sub_f32_e32 v51, v51, v53
	s_delay_alu instid0(VALU_DEP_1) | instskip(NEXT) | instid1(VALU_DEP_1)
	v_add_f32_e32 v9, v51, v9
	v_add_f32_e32 v51, v59, v9
	s_delay_alu instid0(VALU_DEP_1) | instskip(NEXT) | instid1(VALU_DEP_1)
	v_mul_f32_e32 v53, v50, v51
	v_dual_sub_f32 v58, v59, v51 :: v_dual_mul_f32 v55, v54, v53
	s_delay_alu instid0(VALU_DEP_1) | instskip(NEXT) | instid1(VALU_DEP_2)
	v_add_f32_e32 v9, v9, v58
	v_fma_f32 v54, v53, v54, -v55
	s_delay_alu instid0(VALU_DEP_1) | instskip(NEXT) | instid1(VALU_DEP_1)
	v_fmac_f32_e32 v54, v53, v52
	v_add_f32_e32 v52, v55, v54
	s_delay_alu instid0(VALU_DEP_1) | instskip(NEXT) | instid1(VALU_DEP_1)
	v_sub_f32_e32 v57, v51, v52
	v_sub_f32_e32 v51, v51, v57
	s_delay_alu instid0(VALU_DEP_1) | instskip(NEXT) | instid1(VALU_DEP_1)
	v_sub_f32_e32 v51, v51, v52
	v_add_f32_e32 v9, v9, v51
	v_add_f32_e32 v51, v56, v53
	v_sub_f32_e32 v55, v52, v55
	s_delay_alu instid0(VALU_DEP_1) | instskip(NEXT) | instid1(VALU_DEP_1)
	v_sub_f32_e32 v52, v55, v54
	v_dual_add_f32 v9, v52, v9 :: v_dual_sub_f32 v52, v51, v56
	s_delay_alu instid0(VALU_DEP_1) | instskip(NEXT) | instid1(VALU_DEP_1)
	v_add_f32_e32 v9, v57, v9
	v_dual_sub_f32 v52, v53, v52 :: v_dual_mul_f32 v9, v50, v9
	s_delay_alu instid0(VALU_DEP_1) | instskip(NEXT) | instid1(VALU_DEP_1)
	v_add_f32_e32 v9, v52, v9
	v_add_f32_e32 v50, v51, v9
	s_delay_alu instid0(VALU_DEP_1) | instskip(NEXT) | instid1(VALU_DEP_1)
	v_mul_f32_e32 v52, v50, v50
	v_fmaak_f32 v53, s67, v52, 0x3ecc95a3
	v_mul_f32_e32 v54, v50, v52
	s_delay_alu instid0(VALU_DEP_2) | instskip(SKIP_2) | instid1(VALU_DEP_3)
	v_fmaak_f32 v52, v52, v53, 0x3f2aaada
	v_ldexp_f32 v53, v50, 1
	v_sub_f32_e32 v50, v50, v51
	v_mul_f32_e32 v52, v54, v52
	v_mul_f32_e32 v54, 0x3f317218, v8
	s_delay_alu instid0(VALU_DEP_2) | instskip(NEXT) | instid1(VALU_DEP_1)
	v_add_f32_e32 v51, v53, v52
	v_dual_sub_f32 v9, v9, v50 :: v_dual_sub_f32 v50, v51, v53
	s_delay_alu instid0(VALU_DEP_3) | instskip(NEXT) | instid1(VALU_DEP_2)
	v_fma_f32 v53, 0x3f317218, v8, -v54
	v_ldexp_f32 v9, v9, 1
	s_delay_alu instid0(VALU_DEP_2) | instskip(NEXT) | instid1(VALU_DEP_1)
	v_dual_sub_f32 v50, v52, v50 :: v_dual_fmac_f32 v53, 0xb102e308, v8
	v_dual_add_f32 v8, v9, v50 :: v_dual_add_f32 v9, v54, v53
	s_delay_alu instid0(VALU_DEP_1) | instskip(NEXT) | instid1(VALU_DEP_1)
	v_add_f32_e32 v50, v51, v8
	v_add_f32_e32 v52, v9, v50
	s_delay_alu instid0(VALU_DEP_1) | instskip(NEXT) | instid1(VALU_DEP_1)
	v_sub_f32_e32 v55, v52, v9
	v_sub_f32_e32 v56, v52, v55
	;; [unrolled: 1-line block ×4, first 2 shown]
	s_delay_alu instid0(VALU_DEP_2) | instskip(SKIP_1) | instid1(VALU_DEP_1)
	v_sub_f32_e32 v8, v8, v51
	v_sub_f32_e32 v54, v9, v54
	;; [unrolled: 1-line block ×3, first 2 shown]
	s_delay_alu instid0(VALU_DEP_1) | instskip(SKIP_1) | instid1(VALU_DEP_1)
	v_add_f32_e32 v51, v53, v8
	v_sub_f32_e32 v9, v9, v56
	v_add_f32_e32 v9, v50, v9
	s_delay_alu instid0(VALU_DEP_3) | instskip(NEXT) | instid1(VALU_DEP_1)
	v_sub_f32_e32 v50, v51, v53
	v_dual_sub_f32 v8, v8, v50 :: v_dual_add_f32 v9, v51, v9
	s_delay_alu instid0(VALU_DEP_1) | instskip(NEXT) | instid1(VALU_DEP_1)
	v_dual_sub_f32 v51, v51, v50 :: v_dual_add_f32 v54, v52, v9
	v_dual_sub_f32 v51, v53, v51 :: v_dual_sub_f32 v50, v54, v52
	s_delay_alu instid0(VALU_DEP_1) | instskip(NEXT) | instid1(VALU_DEP_1)
	v_dual_add_f32 v8, v8, v51 :: v_dual_sub_f32 v9, v9, v50
	v_add_f32_e32 v8, v8, v9
	s_delay_alu instid0(VALU_DEP_1) | instskip(NEXT) | instid1(VALU_DEP_1)
	v_add_f32_e32 v8, v54, v8
	v_cndmask_b32_e32 v49, v8, v49, vcc_lo
.LBB42_44:                              ;   in Loop: Header=BB42_12 Depth=1
	s_or_b32 exec_lo, exec_lo, s21
	v_and_b32_e32 v4, 0xffff0000, v4
	s_delay_alu instid0(VALU_DEP_1) | instskip(NEXT) | instid1(VALU_DEP_1)
	v_add_f32_e32 v50, s52, v4
	v_cmp_ge_f32_e32 vcc_lo, 0x41a00000, v50
	s_and_b32 s20, s63, vcc_lo
	s_delay_alu instid0(SALU_CYCLE_1)
	s_and_saveexec_b32 s21, s20
	s_cbranch_execz .LBB42_46
; %bb.45:                               ;   in Loop: Header=BB42_12 Depth=1
	v_mul_f32_e32 v4, 0x3fb8aa3b, v50
	v_cmp_ngt_f32_e32 vcc_lo, 0xc2ce8ed0, v50
	s_delay_alu instid0(VALU_DEP_2) | instskip(SKIP_1) | instid1(VALU_DEP_1)
	v_rndne_f32_e32 v8, v4
	v_fma_f32 v9, 0x3fb8aa3b, v50, -v4
	v_dual_sub_f32 v4, v4, v8 :: v_dual_fmac_f32 v9, 0x32a5705f, v50
	v_cvt_i32_f32_e32 v8, v8
	s_delay_alu instid0(VALU_DEP_2) | instskip(NEXT) | instid1(VALU_DEP_1)
	v_add_f32_e32 v4, v4, v9
	v_exp_f32_e32 v4, v4
	s_waitcnt_depctr 0xfff
	v_ldexp_f32 v4, v4, v8
	s_delay_alu instid0(VALU_DEP_1) | instskip(SKIP_1) | instid1(VALU_DEP_2)
	v_cndmask_b32_e32 v4, 0, v4, vcc_lo
	v_cmp_nlt_f32_e32 vcc_lo, 0x42b17218, v50
	v_cndmask_b32_e32 v4, 0x7f800000, v4, vcc_lo
	s_delay_alu instid0(VALU_DEP_1) | instskip(NEXT) | instid1(VALU_DEP_1)
	v_add_f32_e32 v50, 1.0, v4
	v_cvt_f64_f32_e32 v[8:9], v50
	s_delay_alu instid0(VALU_DEP_1) | instskip(SKIP_1) | instid1(VALU_DEP_1)
	v_frexp_exp_i32_f64_e32 v8, v[8:9]
	v_frexp_mant_f32_e32 v9, v50
	v_cmp_gt_f32_e32 vcc_lo, 0x3f2aaaab, v9
	v_add_f32_e32 v9, -1.0, v50
	s_delay_alu instid0(VALU_DEP_1) | instskip(NEXT) | instid1(VALU_DEP_1)
	v_dual_sub_f32 v52, v9, v50 :: v_dual_sub_f32 v9, v4, v9
	v_add_f32_e32 v52, 1.0, v52
	s_delay_alu instid0(VALU_DEP_1) | instskip(SKIP_1) | instid1(VALU_DEP_1)
	v_add_f32_e32 v9, v9, v52
	v_subrev_co_ci_u32_e32 v8, vcc_lo, 0, v8, vcc_lo
	v_sub_nc_u32_e32 v51, 0, v8
	v_cvt_f32_i32_e32 v8, v8
	s_delay_alu instid0(VALU_DEP_2) | instskip(SKIP_1) | instid1(VALU_DEP_2)
	v_ldexp_f32 v50, v50, v51
	v_ldexp_f32 v9, v9, v51
	v_add_f32_e32 v53, 1.0, v50
	v_add_f32_e32 v51, -1.0, v50
	v_cmp_eq_f32_e32 vcc_lo, 0x7f800000, v4
	v_cmp_gt_f32_e64 s20, 0x33800000, v4
	s_delay_alu instid0(VALU_DEP_4) | instskip(NEXT) | instid1(VALU_DEP_4)
	v_add_f32_e32 v52, -1.0, v53
	v_add_f32_e32 v54, 1.0, v51
	s_delay_alu instid0(VALU_DEP_3) | instskip(NEXT) | instid1(VALU_DEP_2)
	s_or_b32 vcc_lo, s20, vcc_lo
	v_sub_f32_e32 v52, v50, v52
	s_delay_alu instid0(VALU_DEP_2) | instskip(NEXT) | instid1(VALU_DEP_2)
	v_sub_f32_e32 v50, v50, v54
	v_add_f32_e32 v52, v9, v52
	s_delay_alu instid0(VALU_DEP_2) | instskip(NEXT) | instid1(VALU_DEP_1)
	v_add_f32_e32 v9, v9, v50
	v_add_f32_e32 v55, v51, v9
	s_delay_alu instid0(VALU_DEP_1) | instskip(NEXT) | instid1(VALU_DEP_1)
	v_dual_sub_f32 v51, v51, v55 :: v_dual_add_f32 v54, v53, v52
	v_add_f32_e32 v9, v9, v51
	s_delay_alu instid0(VALU_DEP_2) | instskip(SKIP_1) | instid1(VALU_DEP_1)
	v_rcp_f32_e32 v50, v54
	v_sub_f32_e32 v53, v53, v54
	v_add_f32_e32 v52, v52, v53
	s_waitcnt_depctr 0xfff
	v_mul_f32_e32 v56, v55, v50
	s_delay_alu instid0(VALU_DEP_1) | instskip(NEXT) | instid1(VALU_DEP_1)
	v_mul_f32_e32 v57, v54, v56
	v_fma_f32 v53, v56, v54, -v57
	s_delay_alu instid0(VALU_DEP_1) | instskip(NEXT) | instid1(VALU_DEP_1)
	v_fmac_f32_e32 v53, v56, v52
	v_add_f32_e32 v58, v57, v53
	s_delay_alu instid0(VALU_DEP_1) | instskip(SKIP_1) | instid1(VALU_DEP_2)
	v_sub_f32_e32 v59, v55, v58
	v_sub_f32_e32 v51, v58, v57
	;; [unrolled: 1-line block ×3, first 2 shown]
	s_delay_alu instid0(VALU_DEP_2) | instskip(NEXT) | instid1(VALU_DEP_2)
	v_sub_f32_e32 v51, v51, v53
	v_sub_f32_e32 v55, v55, v58
	s_delay_alu instid0(VALU_DEP_1) | instskip(NEXT) | instid1(VALU_DEP_1)
	v_add_f32_e32 v9, v9, v55
	v_add_f32_e32 v9, v51, v9
	s_delay_alu instid0(VALU_DEP_1) | instskip(NEXT) | instid1(VALU_DEP_1)
	v_add_f32_e32 v51, v59, v9
	v_mul_f32_e32 v53, v50, v51
	s_delay_alu instid0(VALU_DEP_1) | instskip(NEXT) | instid1(VALU_DEP_1)
	v_dual_sub_f32 v58, v59, v51 :: v_dual_mul_f32 v55, v54, v53
	v_add_f32_e32 v9, v9, v58
	s_delay_alu instid0(VALU_DEP_2) | instskip(NEXT) | instid1(VALU_DEP_1)
	v_fma_f32 v54, v53, v54, -v55
	v_fmac_f32_e32 v54, v53, v52
	s_delay_alu instid0(VALU_DEP_1) | instskip(NEXT) | instid1(VALU_DEP_1)
	v_add_f32_e32 v52, v55, v54
	v_sub_f32_e32 v57, v51, v52
	s_delay_alu instid0(VALU_DEP_1) | instskip(NEXT) | instid1(VALU_DEP_1)
	v_sub_f32_e32 v51, v51, v57
	v_sub_f32_e32 v51, v51, v52
	s_delay_alu instid0(VALU_DEP_1) | instskip(SKIP_2) | instid1(VALU_DEP_1)
	v_add_f32_e32 v9, v9, v51
	v_add_f32_e32 v51, v56, v53
	v_sub_f32_e32 v55, v52, v55
	v_sub_f32_e32 v52, v55, v54
	s_delay_alu instid0(VALU_DEP_1) | instskip(NEXT) | instid1(VALU_DEP_1)
	v_dual_add_f32 v9, v52, v9 :: v_dual_sub_f32 v52, v51, v56
	v_add_f32_e32 v9, v57, v9
	s_delay_alu instid0(VALU_DEP_1) | instskip(NEXT) | instid1(VALU_DEP_1)
	v_dual_sub_f32 v52, v53, v52 :: v_dual_mul_f32 v9, v50, v9
	v_add_f32_e32 v9, v52, v9
	s_delay_alu instid0(VALU_DEP_1) | instskip(NEXT) | instid1(VALU_DEP_1)
	v_add_f32_e32 v50, v51, v9
	v_mul_f32_e32 v52, v50, v50
	s_delay_alu instid0(VALU_DEP_1) | instskip(SKIP_1) | instid1(VALU_DEP_2)
	v_fmaak_f32 v53, s67, v52, 0x3ecc95a3
	v_mul_f32_e32 v54, v50, v52
	v_fmaak_f32 v52, v52, v53, 0x3f2aaada
	v_ldexp_f32 v53, v50, 1
	v_sub_f32_e32 v50, v50, v51
	s_delay_alu instid0(VALU_DEP_3) | instskip(SKIP_1) | instid1(VALU_DEP_2)
	v_mul_f32_e32 v52, v54, v52
	v_mul_f32_e32 v54, 0x3f317218, v8
	v_add_f32_e32 v51, v53, v52
	s_delay_alu instid0(VALU_DEP_1) | instskip(NEXT) | instid1(VALU_DEP_3)
	v_dual_sub_f32 v9, v9, v50 :: v_dual_sub_f32 v50, v51, v53
	v_fma_f32 v53, 0x3f317218, v8, -v54
	s_delay_alu instid0(VALU_DEP_2) | instskip(NEXT) | instid1(VALU_DEP_2)
	v_ldexp_f32 v9, v9, 1
	v_dual_sub_f32 v50, v52, v50 :: v_dual_fmac_f32 v53, 0xb102e308, v8
	s_delay_alu instid0(VALU_DEP_1) | instskip(NEXT) | instid1(VALU_DEP_1)
	v_dual_add_f32 v8, v9, v50 :: v_dual_add_f32 v9, v54, v53
	v_add_f32_e32 v50, v51, v8
	s_delay_alu instid0(VALU_DEP_1) | instskip(NEXT) | instid1(VALU_DEP_1)
	v_add_f32_e32 v52, v9, v50
	v_sub_f32_e32 v55, v52, v9
	s_delay_alu instid0(VALU_DEP_1) | instskip(SKIP_2) | instid1(VALU_DEP_2)
	v_sub_f32_e32 v56, v52, v55
	v_sub_f32_e32 v51, v50, v51
	;; [unrolled: 1-line block ×5, first 2 shown]
	s_delay_alu instid0(VALU_DEP_1) | instskip(NEXT) | instid1(VALU_DEP_1)
	v_sub_f32_e32 v53, v53, v54
	v_add_f32_e32 v51, v53, v8
	v_sub_f32_e32 v9, v9, v56
	s_delay_alu instid0(VALU_DEP_1) | instskip(NEXT) | instid1(VALU_DEP_3)
	v_add_f32_e32 v9, v50, v9
	v_sub_f32_e32 v50, v51, v53
	s_delay_alu instid0(VALU_DEP_1) | instskip(NEXT) | instid1(VALU_DEP_1)
	v_dual_sub_f32 v8, v8, v50 :: v_dual_add_f32 v9, v51, v9
	v_dual_sub_f32 v51, v51, v50 :: v_dual_add_f32 v54, v52, v9
	s_delay_alu instid0(VALU_DEP_1) | instskip(NEXT) | instid1(VALU_DEP_1)
	v_dual_sub_f32 v51, v53, v51 :: v_dual_sub_f32 v50, v54, v52
	v_dual_add_f32 v8, v8, v51 :: v_dual_sub_f32 v9, v9, v50
	s_delay_alu instid0(VALU_DEP_1) | instskip(NEXT) | instid1(VALU_DEP_1)
	v_add_f32_e32 v8, v8, v9
	v_add_f32_e32 v8, v54, v8
	s_delay_alu instid0(VALU_DEP_1)
	v_cndmask_b32_e32 v50, v8, v4, vcc_lo
.LBB42_46:                              ;   in Loop: Header=BB42_12 Depth=1
	s_or_b32 exec_lo, exec_lo, s21
	v_lshlrev_b32_e32 v4, 16, v5
	s_delay_alu instid0(VALU_DEP_1) | instskip(NEXT) | instid1(VALU_DEP_1)
	v_add_f32_e32 v51, s52, v4
	v_cmp_ge_f32_e32 vcc_lo, 0x41a00000, v51
	s_and_b32 s20, s63, vcc_lo
	s_delay_alu instid0(SALU_CYCLE_1)
	s_and_saveexec_b32 s21, s20
	s_cbranch_execz .LBB42_48
; %bb.47:                               ;   in Loop: Header=BB42_12 Depth=1
	v_mul_f32_e32 v4, 0x3fb8aa3b, v51
	v_cmp_ngt_f32_e32 vcc_lo, 0xc2ce8ed0, v51
	s_delay_alu instid0(VALU_DEP_2) | instskip(SKIP_1) | instid1(VALU_DEP_1)
	v_rndne_f32_e32 v8, v4
	v_fma_f32 v9, 0x3fb8aa3b, v51, -v4
	v_dual_sub_f32 v4, v4, v8 :: v_dual_fmac_f32 v9, 0x32a5705f, v51
	v_cvt_i32_f32_e32 v8, v8
	s_delay_alu instid0(VALU_DEP_2) | instskip(NEXT) | instid1(VALU_DEP_1)
	v_add_f32_e32 v4, v4, v9
	v_exp_f32_e32 v4, v4
	s_waitcnt_depctr 0xfff
	v_ldexp_f32 v4, v4, v8
	s_delay_alu instid0(VALU_DEP_1) | instskip(SKIP_1) | instid1(VALU_DEP_2)
	v_cndmask_b32_e32 v4, 0, v4, vcc_lo
	v_cmp_nlt_f32_e32 vcc_lo, 0x42b17218, v51
	v_cndmask_b32_e32 v4, 0x7f800000, v4, vcc_lo
	s_delay_alu instid0(VALU_DEP_1) | instskip(NEXT) | instid1(VALU_DEP_1)
	v_add_f32_e32 v51, 1.0, v4
	v_cvt_f64_f32_e32 v[8:9], v51
	s_delay_alu instid0(VALU_DEP_1) | instskip(SKIP_1) | instid1(VALU_DEP_1)
	v_frexp_exp_i32_f64_e32 v8, v[8:9]
	v_frexp_mant_f32_e32 v9, v51
	v_cmp_gt_f32_e32 vcc_lo, 0x3f2aaaab, v9
	v_add_f32_e32 v9, -1.0, v51
	s_delay_alu instid0(VALU_DEP_1) | instskip(NEXT) | instid1(VALU_DEP_1)
	v_sub_f32_e32 v53, v9, v51
	v_add_f32_e32 v53, 1.0, v53
	v_subrev_co_ci_u32_e32 v8, vcc_lo, 0, v8, vcc_lo
	s_delay_alu instid0(VALU_DEP_1) | instskip(SKIP_1) | instid1(VALU_DEP_2)
	v_sub_nc_u32_e32 v52, 0, v8
	v_cvt_f32_i32_e32 v8, v8
	v_ldexp_f32 v51, v51, v52
	s_delay_alu instid0(VALU_DEP_1) | instskip(NEXT) | instid1(VALU_DEP_1)
	v_dual_sub_f32 v9, v4, v9 :: v_dual_add_f32 v54, 1.0, v51
	v_add_f32_e32 v9, v9, v53
	v_cmp_eq_f32_e32 vcc_lo, 0x7f800000, v4
	v_cmp_gt_f32_e64 s20, 0x33800000, v4
	s_delay_alu instid0(VALU_DEP_4) | instskip(NEXT) | instid1(VALU_DEP_4)
	v_add_f32_e32 v53, -1.0, v54
	v_ldexp_f32 v9, v9, v52
	v_add_f32_e32 v52, -1.0, v51
	s_delay_alu instid0(VALU_DEP_4) | instskip(NEXT) | instid1(VALU_DEP_3)
	s_or_b32 vcc_lo, s20, vcc_lo
	v_sub_f32_e32 v53, v51, v53
	s_delay_alu instid0(VALU_DEP_2) | instskip(NEXT) | instid1(VALU_DEP_2)
	v_add_f32_e32 v55, 1.0, v52
	v_add_f32_e32 v53, v9, v53
	s_delay_alu instid0(VALU_DEP_2) | instskip(NEXT) | instid1(VALU_DEP_1)
	v_sub_f32_e32 v51, v51, v55
	v_add_f32_e32 v9, v9, v51
	s_delay_alu instid0(VALU_DEP_1) | instskip(NEXT) | instid1(VALU_DEP_1)
	v_add_f32_e32 v56, v52, v9
	v_dual_add_f32 v55, v54, v53 :: v_dual_sub_f32 v52, v52, v56
	s_delay_alu instid0(VALU_DEP_1) | instskip(SKIP_1) | instid1(VALU_DEP_1)
	v_rcp_f32_e32 v51, v55
	v_sub_f32_e32 v54, v54, v55
	v_add_f32_e32 v53, v53, v54
	s_waitcnt_depctr 0xfff
	v_mul_f32_e32 v57, v56, v51
	s_delay_alu instid0(VALU_DEP_1) | instskip(NEXT) | instid1(VALU_DEP_1)
	v_mul_f32_e32 v58, v55, v57
	v_fma_f32 v54, v57, v55, -v58
	s_delay_alu instid0(VALU_DEP_1) | instskip(SKIP_1) | instid1(VALU_DEP_2)
	v_fmac_f32_e32 v54, v57, v53
	v_add_f32_e32 v9, v9, v52
	v_add_f32_e32 v59, v58, v54
	s_delay_alu instid0(VALU_DEP_1) | instskip(SKIP_1) | instid1(VALU_DEP_2)
	v_sub_f32_e32 v60, v56, v59
	v_sub_f32_e32 v52, v59, v58
	;; [unrolled: 1-line block ×3, first 2 shown]
	s_delay_alu instid0(VALU_DEP_2) | instskip(NEXT) | instid1(VALU_DEP_2)
	v_sub_f32_e32 v52, v52, v54
	v_sub_f32_e32 v56, v56, v59
	s_delay_alu instid0(VALU_DEP_1) | instskip(NEXT) | instid1(VALU_DEP_1)
	v_add_f32_e32 v9, v9, v56
	v_add_f32_e32 v9, v52, v9
	s_delay_alu instid0(VALU_DEP_1) | instskip(NEXT) | instid1(VALU_DEP_1)
	v_add_f32_e32 v52, v60, v9
	v_mul_f32_e32 v54, v51, v52
	s_delay_alu instid0(VALU_DEP_1) | instskip(NEXT) | instid1(VALU_DEP_1)
	v_dual_sub_f32 v59, v60, v52 :: v_dual_mul_f32 v56, v55, v54
	v_add_f32_e32 v9, v9, v59
	s_delay_alu instid0(VALU_DEP_2) | instskip(NEXT) | instid1(VALU_DEP_1)
	v_fma_f32 v55, v54, v55, -v56
	v_fmac_f32_e32 v55, v54, v53
	s_delay_alu instid0(VALU_DEP_1) | instskip(NEXT) | instid1(VALU_DEP_1)
	v_add_f32_e32 v53, v56, v55
	v_sub_f32_e32 v58, v52, v53
	s_delay_alu instid0(VALU_DEP_1) | instskip(NEXT) | instid1(VALU_DEP_1)
	v_sub_f32_e32 v52, v52, v58
	v_sub_f32_e32 v52, v52, v53
	s_delay_alu instid0(VALU_DEP_1) | instskip(SKIP_2) | instid1(VALU_DEP_1)
	v_add_f32_e32 v9, v9, v52
	v_add_f32_e32 v52, v57, v54
	v_sub_f32_e32 v56, v53, v56
	v_sub_f32_e32 v53, v56, v55
	s_delay_alu instid0(VALU_DEP_1) | instskip(NEXT) | instid1(VALU_DEP_4)
	v_add_f32_e32 v9, v53, v9
	v_sub_f32_e32 v53, v52, v57
	s_delay_alu instid0(VALU_DEP_2) | instskip(NEXT) | instid1(VALU_DEP_2)
	v_add_f32_e32 v9, v58, v9
	v_sub_f32_e32 v53, v54, v53
	s_delay_alu instid0(VALU_DEP_2) | instskip(NEXT) | instid1(VALU_DEP_1)
	v_mul_f32_e32 v9, v51, v9
	v_add_f32_e32 v9, v53, v9
	s_delay_alu instid0(VALU_DEP_1) | instskip(NEXT) | instid1(VALU_DEP_1)
	v_add_f32_e32 v51, v52, v9
	v_mul_f32_e32 v53, v51, v51
	s_delay_alu instid0(VALU_DEP_1) | instskip(SKIP_1) | instid1(VALU_DEP_2)
	v_fmaak_f32 v54, s67, v53, 0x3ecc95a3
	v_mul_f32_e32 v55, v51, v53
	v_fmaak_f32 v53, v53, v54, 0x3f2aaada
	v_ldexp_f32 v54, v51, 1
	v_sub_f32_e32 v51, v51, v52
	s_delay_alu instid0(VALU_DEP_3) | instskip(SKIP_1) | instid1(VALU_DEP_2)
	v_mul_f32_e32 v53, v55, v53
	v_mul_f32_e32 v55, 0x3f317218, v8
	v_dual_sub_f32 v9, v9, v51 :: v_dual_add_f32 v52, v54, v53
	s_delay_alu instid0(VALU_DEP_1) | instskip(NEXT) | instid1(VALU_DEP_2)
	v_ldexp_f32 v9, v9, 1
	v_sub_f32_e32 v51, v52, v54
	s_delay_alu instid0(VALU_DEP_4) | instskip(NEXT) | instid1(VALU_DEP_1)
	v_fma_f32 v54, 0x3f317218, v8, -v55
	v_dual_sub_f32 v51, v53, v51 :: v_dual_fmac_f32 v54, 0xb102e308, v8
	s_delay_alu instid0(VALU_DEP_1) | instskip(NEXT) | instid1(VALU_DEP_1)
	v_dual_add_f32 v8, v9, v51 :: v_dual_add_f32 v9, v55, v54
	v_add_f32_e32 v51, v52, v8
	s_delay_alu instid0(VALU_DEP_2) | instskip(NEXT) | instid1(VALU_DEP_2)
	v_sub_f32_e32 v55, v9, v55
	v_dual_add_f32 v53, v9, v51 :: v_dual_sub_f32 v52, v51, v52
	s_delay_alu instid0(VALU_DEP_2) | instskip(NEXT) | instid1(VALU_DEP_2)
	v_sub_f32_e32 v54, v54, v55
	v_sub_f32_e32 v56, v53, v9
	s_delay_alu instid0(VALU_DEP_3) | instskip(NEXT) | instid1(VALU_DEP_2)
	v_sub_f32_e32 v8, v8, v52
	v_sub_f32_e32 v57, v53, v56
	;; [unrolled: 1-line block ×3, first 2 shown]
	s_delay_alu instid0(VALU_DEP_2) | instskip(NEXT) | instid1(VALU_DEP_1)
	v_dual_add_f32 v52, v54, v8 :: v_dual_sub_f32 v9, v9, v57
	v_add_f32_e32 v9, v51, v9
	s_delay_alu instid0(VALU_DEP_2) | instskip(NEXT) | instid1(VALU_DEP_2)
	v_sub_f32_e32 v51, v52, v54
	v_add_f32_e32 v9, v52, v9
	s_delay_alu instid0(VALU_DEP_2) | instskip(NEXT) | instid1(VALU_DEP_2)
	v_sub_f32_e32 v52, v52, v51
	v_dual_sub_f32 v8, v8, v51 :: v_dual_add_f32 v55, v53, v9
	s_delay_alu instid0(VALU_DEP_1) | instskip(NEXT) | instid1(VALU_DEP_1)
	v_dual_sub_f32 v52, v54, v52 :: v_dual_sub_f32 v51, v55, v53
	v_dual_add_f32 v8, v8, v52 :: v_dual_sub_f32 v9, v9, v51
	s_delay_alu instid0(VALU_DEP_1) | instskip(NEXT) | instid1(VALU_DEP_1)
	v_add_f32_e32 v8, v8, v9
	v_add_f32_e32 v8, v55, v8
	s_delay_alu instid0(VALU_DEP_1)
	v_cndmask_b32_e32 v51, v8, v4, vcc_lo
.LBB42_48:                              ;   in Loop: Header=BB42_12 Depth=1
	s_or_b32 exec_lo, exec_lo, s21
	v_and_b32_e32 v4, 0xffff0000, v5
	s_delay_alu instid0(VALU_DEP_1) | instskip(NEXT) | instid1(VALU_DEP_1)
	v_add_f32_e32 v52, s52, v4
	v_cmp_ge_f32_e32 vcc_lo, 0x41a00000, v52
	s_and_b32 s20, s63, vcc_lo
	s_delay_alu instid0(SALU_CYCLE_1)
	s_and_saveexec_b32 s21, s20
	s_cbranch_execz .LBB42_50
; %bb.49:                               ;   in Loop: Header=BB42_12 Depth=1
	v_mul_f32_e32 v4, 0x3fb8aa3b, v52
	v_cmp_ngt_f32_e32 vcc_lo, 0xc2ce8ed0, v52
	s_delay_alu instid0(VALU_DEP_2) | instskip(SKIP_1) | instid1(VALU_DEP_2)
	v_rndne_f32_e32 v5, v4
	v_fma_f32 v8, 0x3fb8aa3b, v52, -v4
	v_sub_f32_e32 v4, v4, v5
	s_delay_alu instid0(VALU_DEP_2) | instskip(SKIP_1) | instid1(VALU_DEP_2)
	v_fmac_f32_e32 v8, 0x32a5705f, v52
	v_cvt_i32_f32_e32 v5, v5
	v_add_f32_e32 v4, v4, v8
	s_delay_alu instid0(VALU_DEP_1) | instskip(SKIP_2) | instid1(VALU_DEP_1)
	v_exp_f32_e32 v4, v4
	s_waitcnt_depctr 0xfff
	v_ldexp_f32 v4, v4, v5
	v_cndmask_b32_e32 v4, 0, v4, vcc_lo
	v_cmp_nlt_f32_e32 vcc_lo, 0x42b17218, v52
	s_delay_alu instid0(VALU_DEP_2) | instskip(NEXT) | instid1(VALU_DEP_1)
	v_cndmask_b32_e32 v8, 0x7f800000, v4, vcc_lo
	v_add_f32_e32 v9, 1.0, v8
	s_delay_alu instid0(VALU_DEP_1) | instskip(NEXT) | instid1(VALU_DEP_1)
	v_cvt_f64_f32_e32 v[4:5], v9
	v_frexp_exp_i32_f64_e32 v4, v[4:5]
	v_frexp_mant_f32_e32 v5, v9
	s_delay_alu instid0(VALU_DEP_1) | instskip(SKIP_1) | instid1(VALU_DEP_1)
	v_cmp_gt_f32_e32 vcc_lo, 0x3f2aaaab, v5
	v_add_f32_e32 v5, -1.0, v9
	v_sub_f32_e32 v53, v5, v9
	v_sub_f32_e32 v5, v8, v5
	s_delay_alu instid0(VALU_DEP_2) | instskip(NEXT) | instid1(VALU_DEP_1)
	v_add_f32_e32 v53, 1.0, v53
	v_add_f32_e32 v5, v5, v53
	v_cmp_gt_f32_e64 s20, 0x33800000, v8
	v_subrev_co_ci_u32_e32 v4, vcc_lo, 0, v4, vcc_lo
	v_cmp_eq_f32_e32 vcc_lo, 0x7f800000, v8
	s_delay_alu instid0(VALU_DEP_2) | instskip(SKIP_2) | instid1(VALU_DEP_2)
	v_sub_nc_u32_e32 v52, 0, v4
	v_cvt_f32_i32_e32 v4, v4
	s_or_b32 vcc_lo, s20, vcc_lo
	v_ldexp_f32 v9, v9, v52
	v_ldexp_f32 v5, v5, v52
	s_delay_alu instid0(VALU_DEP_2) | instskip(NEXT) | instid1(VALU_DEP_1)
	v_add_f32_e32 v52, -1.0, v9
	v_dual_add_f32 v54, 1.0, v9 :: v_dual_add_f32 v55, 1.0, v52
	s_delay_alu instid0(VALU_DEP_1) | instskip(NEXT) | instid1(VALU_DEP_1)
	v_add_f32_e32 v53, -1.0, v54
	v_sub_f32_e32 v53, v9, v53
	s_delay_alu instid0(VALU_DEP_3) | instskip(NEXT) | instid1(VALU_DEP_2)
	v_sub_f32_e32 v9, v9, v55
	v_add_f32_e32 v53, v5, v53
	s_delay_alu instid0(VALU_DEP_2) | instskip(NEXT) | instid1(VALU_DEP_1)
	v_add_f32_e32 v5, v5, v9
	v_add_f32_e32 v56, v52, v5
	s_delay_alu instid0(VALU_DEP_1) | instskip(NEXT) | instid1(VALU_DEP_1)
	v_dual_add_f32 v55, v54, v53 :: v_dual_sub_f32 v52, v52, v56
	v_rcp_f32_e32 v9, v55
	v_sub_f32_e32 v54, v54, v55
	s_delay_alu instid0(VALU_DEP_1) | instskip(SKIP_2) | instid1(VALU_DEP_1)
	v_add_f32_e32 v53, v53, v54
	s_waitcnt_depctr 0xfff
	v_mul_f32_e32 v57, v56, v9
	v_mul_f32_e32 v58, v55, v57
	s_delay_alu instid0(VALU_DEP_1) | instskip(NEXT) | instid1(VALU_DEP_1)
	v_fma_f32 v54, v57, v55, -v58
	v_fmac_f32_e32 v54, v57, v53
	s_delay_alu instid0(VALU_DEP_1) | instskip(NEXT) | instid1(VALU_DEP_1)
	v_add_f32_e32 v59, v58, v54
	v_sub_f32_e32 v60, v56, v59
	s_delay_alu instid0(VALU_DEP_1) | instskip(SKIP_1) | instid1(VALU_DEP_2)
	v_sub_f32_e32 v56, v56, v60
	v_dual_add_f32 v5, v5, v52 :: v_dual_sub_f32 v52, v59, v58
	v_sub_f32_e32 v56, v56, v59
	s_delay_alu instid0(VALU_DEP_1) | instskip(NEXT) | instid1(VALU_DEP_1)
	v_dual_sub_f32 v52, v52, v54 :: v_dual_add_f32 v5, v5, v56
	v_add_f32_e32 v5, v52, v5
	s_delay_alu instid0(VALU_DEP_1) | instskip(NEXT) | instid1(VALU_DEP_1)
	v_add_f32_e32 v52, v60, v5
	v_mul_f32_e32 v54, v9, v52
	s_delay_alu instid0(VALU_DEP_1) | instskip(NEXT) | instid1(VALU_DEP_1)
	v_dual_sub_f32 v59, v60, v52 :: v_dual_mul_f32 v56, v55, v54
	v_add_f32_e32 v5, v5, v59
	s_delay_alu instid0(VALU_DEP_2) | instskip(NEXT) | instid1(VALU_DEP_1)
	v_fma_f32 v55, v54, v55, -v56
	v_fmac_f32_e32 v55, v54, v53
	s_delay_alu instid0(VALU_DEP_1) | instskip(NEXT) | instid1(VALU_DEP_1)
	v_add_f32_e32 v53, v56, v55
	v_sub_f32_e32 v58, v52, v53
	s_delay_alu instid0(VALU_DEP_1) | instskip(NEXT) | instid1(VALU_DEP_1)
	v_sub_f32_e32 v52, v52, v58
	v_sub_f32_e32 v52, v52, v53
	s_delay_alu instid0(VALU_DEP_1) | instskip(SKIP_2) | instid1(VALU_DEP_1)
	v_add_f32_e32 v5, v5, v52
	v_add_f32_e32 v52, v57, v54
	v_sub_f32_e32 v56, v53, v56
	v_sub_f32_e32 v53, v56, v55
	s_delay_alu instid0(VALU_DEP_1) | instskip(NEXT) | instid1(VALU_DEP_4)
	v_add_f32_e32 v5, v53, v5
	v_sub_f32_e32 v53, v52, v57
	s_delay_alu instid0(VALU_DEP_2) | instskip(NEXT) | instid1(VALU_DEP_2)
	v_add_f32_e32 v5, v58, v5
	v_sub_f32_e32 v53, v54, v53
	s_delay_alu instid0(VALU_DEP_2) | instskip(NEXT) | instid1(VALU_DEP_1)
	v_mul_f32_e32 v5, v9, v5
	v_add_f32_e32 v5, v53, v5
	s_delay_alu instid0(VALU_DEP_1) | instskip(NEXT) | instid1(VALU_DEP_1)
	v_add_f32_e32 v9, v52, v5
	v_mul_f32_e32 v53, v9, v9
	s_delay_alu instid0(VALU_DEP_1) | instskip(SKIP_1) | instid1(VALU_DEP_2)
	v_fmaak_f32 v54, s67, v53, 0x3ecc95a3
	v_mul_f32_e32 v55, v9, v53
	v_fmaak_f32 v53, v53, v54, 0x3f2aaada
	v_ldexp_f32 v54, v9, 1
	s_delay_alu instid0(VALU_DEP_2) | instskip(NEXT) | instid1(VALU_DEP_1)
	v_mul_f32_e32 v53, v55, v53
	v_dual_sub_f32 v9, v9, v52 :: v_dual_add_f32 v52, v54, v53
	s_delay_alu instid0(VALU_DEP_1) | instskip(NEXT) | instid1(VALU_DEP_2)
	v_sub_f32_e32 v5, v5, v9
	v_sub_f32_e32 v9, v52, v54
	s_delay_alu instid0(VALU_DEP_2) | instskip(NEXT) | instid1(VALU_DEP_2)
	v_ldexp_f32 v5, v5, 1
	v_sub_f32_e32 v9, v53, v9
	v_mul_f32_e32 v55, 0x3f317218, v4
	s_delay_alu instid0(VALU_DEP_1) | instskip(NEXT) | instid1(VALU_DEP_1)
	v_fma_f32 v54, 0x3f317218, v4, -v55
	v_fmac_f32_e32 v54, 0xb102e308, v4
	s_delay_alu instid0(VALU_DEP_1) | instskip(NEXT) | instid1(VALU_DEP_1)
	v_dual_add_f32 v4, v5, v9 :: v_dual_add_f32 v5, v55, v54
	v_add_f32_e32 v9, v52, v4
	s_delay_alu instid0(VALU_DEP_1) | instskip(SKIP_1) | instid1(VALU_DEP_2)
	v_add_f32_e32 v53, v5, v9
	v_sub_f32_e32 v52, v9, v52
	v_sub_f32_e32 v56, v53, v5
	s_delay_alu instid0(VALU_DEP_2) | instskip(NEXT) | instid1(VALU_DEP_2)
	v_dual_sub_f32 v4, v4, v52 :: v_dual_sub_f32 v55, v5, v55
	v_sub_f32_e32 v57, v53, v56
	s_delay_alu instid0(VALU_DEP_2) | instskip(NEXT) | instid1(VALU_DEP_1)
	v_dual_sub_f32 v9, v9, v56 :: v_dual_sub_f32 v54, v54, v55
	v_dual_sub_f32 v5, v5, v57 :: v_dual_add_f32 v52, v54, v4
	s_delay_alu instid0(VALU_DEP_1) | instskip(NEXT) | instid1(VALU_DEP_2)
	v_add_f32_e32 v5, v9, v5
	v_sub_f32_e32 v9, v52, v54
	s_delay_alu instid0(VALU_DEP_2) | instskip(NEXT) | instid1(VALU_DEP_2)
	v_add_f32_e32 v5, v52, v5
	v_sub_f32_e32 v52, v52, v9
	v_sub_f32_e32 v4, v4, v9
	s_delay_alu instid0(VALU_DEP_2) | instskip(NEXT) | instid1(VALU_DEP_1)
	v_dual_add_f32 v55, v53, v5 :: v_dual_sub_f32 v52, v54, v52
	v_dual_sub_f32 v9, v55, v53 :: v_dual_add_f32 v4, v4, v52
	s_delay_alu instid0(VALU_DEP_1) | instskip(NEXT) | instid1(VALU_DEP_1)
	v_sub_f32_e32 v5, v5, v9
	v_add_f32_e32 v4, v4, v5
	s_delay_alu instid0(VALU_DEP_1) | instskip(NEXT) | instid1(VALU_DEP_1)
	v_add_f32_e32 v4, v55, v4
	v_cndmask_b32_e32 v52, v4, v8, vcc_lo
.LBB42_50:                              ;   in Loop: Header=BB42_12 Depth=1
	s_or_b32 exec_lo, exec_lo, s21
	v_lshlrev_b32_e32 v4, 16, v6
	s_delay_alu instid0(VALU_DEP_1) | instskip(NEXT) | instid1(VALU_DEP_1)
	v_add_f32_e32 v53, s52, v4
	v_cmp_ge_f32_e32 vcc_lo, 0x41a00000, v53
	s_and_b32 s20, s63, vcc_lo
	s_delay_alu instid0(SALU_CYCLE_1)
	s_and_saveexec_b32 s21, s20
	s_cbranch_execz .LBB42_52
; %bb.51:                               ;   in Loop: Header=BB42_12 Depth=1
	v_mul_f32_e32 v4, 0x3fb8aa3b, v53
	v_cmp_ngt_f32_e32 vcc_lo, 0xc2ce8ed0, v53
	s_delay_alu instid0(VALU_DEP_2) | instskip(SKIP_1) | instid1(VALU_DEP_2)
	v_rndne_f32_e32 v5, v4
	v_fma_f32 v8, 0x3fb8aa3b, v53, -v4
	v_sub_f32_e32 v4, v4, v5
	s_delay_alu instid0(VALU_DEP_2) | instskip(SKIP_1) | instid1(VALU_DEP_2)
	v_fmac_f32_e32 v8, 0x32a5705f, v53
	v_cvt_i32_f32_e32 v5, v5
	v_add_f32_e32 v4, v4, v8
	s_delay_alu instid0(VALU_DEP_1) | instskip(SKIP_2) | instid1(VALU_DEP_1)
	v_exp_f32_e32 v4, v4
	s_waitcnt_depctr 0xfff
	v_ldexp_f32 v4, v4, v5
	v_cndmask_b32_e32 v4, 0, v4, vcc_lo
	v_cmp_nlt_f32_e32 vcc_lo, 0x42b17218, v53
	s_delay_alu instid0(VALU_DEP_2) | instskip(NEXT) | instid1(VALU_DEP_1)
	v_cndmask_b32_e32 v8, 0x7f800000, v4, vcc_lo
	v_add_f32_e32 v9, 1.0, v8
	s_delay_alu instid0(VALU_DEP_1) | instskip(NEXT) | instid1(VALU_DEP_1)
	v_cvt_f64_f32_e32 v[4:5], v9
	v_frexp_exp_i32_f64_e32 v4, v[4:5]
	v_frexp_mant_f32_e32 v5, v9
	s_delay_alu instid0(VALU_DEP_1) | instskip(SKIP_1) | instid1(VALU_DEP_1)
	v_cmp_gt_f32_e32 vcc_lo, 0x3f2aaaab, v5
	v_add_f32_e32 v5, -1.0, v9
	v_sub_f32_e32 v54, v5, v9
	v_subrev_co_ci_u32_e32 v4, vcc_lo, 0, v4, vcc_lo
	s_delay_alu instid0(VALU_DEP_1) | instskip(SKIP_1) | instid1(VALU_DEP_2)
	v_sub_nc_u32_e32 v53, 0, v4
	v_cvt_f32_i32_e32 v4, v4
	v_ldexp_f32 v9, v9, v53
	s_delay_alu instid0(VALU_DEP_1) | instskip(SKIP_3) | instid1(VALU_DEP_3)
	v_dual_add_f32 v54, 1.0, v54 :: v_dual_add_f32 v55, 1.0, v9
	v_sub_f32_e32 v5, v8, v5
	v_cmp_eq_f32_e32 vcc_lo, 0x7f800000, v8
	v_cmp_gt_f32_e64 s20, 0x33800000, v8
	v_add_f32_e32 v5, v5, v54
	s_delay_alu instid0(VALU_DEP_2) | instskip(NEXT) | instid1(VALU_DEP_1)
	s_or_b32 vcc_lo, s20, vcc_lo
	v_ldexp_f32 v5, v5, v53
	v_dual_add_f32 v53, -1.0, v9 :: v_dual_add_f32 v54, -1.0, v55
	s_delay_alu instid0(VALU_DEP_1) | instskip(NEXT) | instid1(VALU_DEP_2)
	v_add_f32_e32 v56, 1.0, v53
	v_sub_f32_e32 v54, v9, v54
	s_delay_alu instid0(VALU_DEP_2) | instskip(NEXT) | instid1(VALU_DEP_2)
	v_sub_f32_e32 v9, v9, v56
	v_add_f32_e32 v54, v5, v54
	s_delay_alu instid0(VALU_DEP_1) | instskip(NEXT) | instid1(VALU_DEP_1)
	v_dual_add_f32 v5, v5, v9 :: v_dual_add_f32 v56, v55, v54
	v_add_f32_e32 v57, v53, v5
	s_delay_alu instid0(VALU_DEP_2) | instskip(SKIP_1) | instid1(VALU_DEP_1)
	v_rcp_f32_e32 v9, v56
	v_sub_f32_e32 v55, v55, v56
	v_dual_sub_f32 v53, v53, v57 :: v_dual_add_f32 v54, v54, v55
	s_delay_alu instid0(VALU_DEP_1) | instskip(SKIP_2) | instid1(VALU_DEP_1)
	v_add_f32_e32 v5, v5, v53
	s_waitcnt_depctr 0xfff
	v_mul_f32_e32 v58, v57, v9
	v_mul_f32_e32 v59, v56, v58
	s_delay_alu instid0(VALU_DEP_1) | instskip(NEXT) | instid1(VALU_DEP_1)
	v_fma_f32 v55, v58, v56, -v59
	v_fmac_f32_e32 v55, v58, v54
	s_delay_alu instid0(VALU_DEP_1) | instskip(NEXT) | instid1(VALU_DEP_1)
	v_add_f32_e32 v60, v59, v55
	v_sub_f32_e32 v61, v57, v60
	v_sub_f32_e32 v53, v60, v59
	s_delay_alu instid0(VALU_DEP_2) | instskip(NEXT) | instid1(VALU_DEP_2)
	v_sub_f32_e32 v57, v57, v61
	v_sub_f32_e32 v53, v53, v55
	s_delay_alu instid0(VALU_DEP_2) | instskip(NEXT) | instid1(VALU_DEP_1)
	v_sub_f32_e32 v57, v57, v60
	v_add_f32_e32 v5, v5, v57
	s_delay_alu instid0(VALU_DEP_1) | instskip(NEXT) | instid1(VALU_DEP_1)
	v_add_f32_e32 v5, v53, v5
	v_add_f32_e32 v53, v61, v5
	s_delay_alu instid0(VALU_DEP_1) | instskip(NEXT) | instid1(VALU_DEP_1)
	v_mul_f32_e32 v55, v9, v53
	v_mul_f32_e32 v57, v56, v55
	s_delay_alu instid0(VALU_DEP_1) | instskip(NEXT) | instid1(VALU_DEP_1)
	v_fma_f32 v56, v55, v56, -v57
	v_fmac_f32_e32 v56, v55, v54
	v_sub_f32_e32 v60, v61, v53
	s_delay_alu instid0(VALU_DEP_2) | instskip(NEXT) | instid1(VALU_DEP_2)
	v_add_f32_e32 v54, v57, v56
	v_add_f32_e32 v5, v5, v60
	s_delay_alu instid0(VALU_DEP_2) | instskip(NEXT) | instid1(VALU_DEP_1)
	v_sub_f32_e32 v59, v53, v54
	v_sub_f32_e32 v53, v53, v59
	s_delay_alu instid0(VALU_DEP_1) | instskip(NEXT) | instid1(VALU_DEP_1)
	v_sub_f32_e32 v53, v53, v54
	v_add_f32_e32 v5, v5, v53
	v_add_f32_e32 v53, v58, v55
	v_sub_f32_e32 v57, v54, v57
	s_delay_alu instid0(VALU_DEP_1) | instskip(NEXT) | instid1(VALU_DEP_1)
	v_sub_f32_e32 v54, v57, v56
	v_dual_add_f32 v5, v54, v5 :: v_dual_sub_f32 v54, v53, v58
	s_delay_alu instid0(VALU_DEP_1) | instskip(NEXT) | instid1(VALU_DEP_1)
	v_add_f32_e32 v5, v59, v5
	v_dual_sub_f32 v54, v55, v54 :: v_dual_mul_f32 v5, v9, v5
	s_delay_alu instid0(VALU_DEP_1) | instskip(NEXT) | instid1(VALU_DEP_1)
	v_add_f32_e32 v5, v54, v5
	v_add_f32_e32 v9, v53, v5
	s_delay_alu instid0(VALU_DEP_1) | instskip(NEXT) | instid1(VALU_DEP_1)
	v_mul_f32_e32 v54, v9, v9
	v_fmaak_f32 v55, s67, v54, 0x3ecc95a3
	v_mul_f32_e32 v56, v9, v54
	s_delay_alu instid0(VALU_DEP_2) | instskip(SKIP_1) | instid1(VALU_DEP_2)
	v_fmaak_f32 v54, v54, v55, 0x3f2aaada
	v_ldexp_f32 v55, v9, 1
	v_dual_sub_f32 v9, v9, v53 :: v_dual_mul_f32 v54, v56, v54
	s_delay_alu instid0(VALU_DEP_1) | instskip(NEXT) | instid1(VALU_DEP_2)
	v_dual_mul_f32 v56, 0x3f317218, v4 :: v_dual_sub_f32 v5, v5, v9
	v_add_f32_e32 v53, v55, v54
	s_delay_alu instid0(VALU_DEP_2) | instskip(NEXT) | instid1(VALU_DEP_2)
	v_ldexp_f32 v5, v5, 1
	v_sub_f32_e32 v9, v53, v55
	s_delay_alu instid0(VALU_DEP_4) | instskip(NEXT) | instid1(VALU_DEP_2)
	v_fma_f32 v55, 0x3f317218, v4, -v56
	v_sub_f32_e32 v9, v54, v9
	s_delay_alu instid0(VALU_DEP_1) | instskip(NEXT) | instid1(VALU_DEP_1)
	v_dual_fmac_f32 v55, 0xb102e308, v4 :: v_dual_add_f32 v4, v5, v9
	v_add_f32_e32 v5, v56, v55
	s_delay_alu instid0(VALU_DEP_2) | instskip(NEXT) | instid1(VALU_DEP_2)
	v_add_f32_e32 v9, v53, v4
	v_sub_f32_e32 v56, v5, v56
	s_delay_alu instid0(VALU_DEP_1) | instskip(SKIP_1) | instid1(VALU_DEP_2)
	v_dual_add_f32 v54, v5, v9 :: v_dual_sub_f32 v55, v55, v56
	v_sub_f32_e32 v53, v9, v53
	v_sub_f32_e32 v57, v54, v5
	s_delay_alu instid0(VALU_DEP_2) | instskip(NEXT) | instid1(VALU_DEP_2)
	v_sub_f32_e32 v4, v4, v53
	v_sub_f32_e32 v58, v54, v57
	;; [unrolled: 1-line block ×3, first 2 shown]
	s_delay_alu instid0(VALU_DEP_3) | instskip(NEXT) | instid1(VALU_DEP_3)
	v_add_f32_e32 v53, v55, v4
	v_sub_f32_e32 v5, v5, v58
	s_delay_alu instid0(VALU_DEP_1) | instskip(NEXT) | instid1(VALU_DEP_3)
	v_add_f32_e32 v5, v9, v5
	v_sub_f32_e32 v9, v53, v55
	s_delay_alu instid0(VALU_DEP_2) | instskip(NEXT) | instid1(VALU_DEP_2)
	v_add_f32_e32 v5, v53, v5
	v_sub_f32_e32 v53, v53, v9
	v_sub_f32_e32 v4, v4, v9
	s_delay_alu instid0(VALU_DEP_3) | instskip(NEXT) | instid1(VALU_DEP_3)
	v_add_f32_e32 v56, v54, v5
	v_sub_f32_e32 v53, v55, v53
	s_delay_alu instid0(VALU_DEP_2) | instskip(NEXT) | instid1(VALU_DEP_2)
	v_sub_f32_e32 v9, v56, v54
	v_add_f32_e32 v4, v4, v53
	s_delay_alu instid0(VALU_DEP_2) | instskip(NEXT) | instid1(VALU_DEP_1)
	v_sub_f32_e32 v5, v5, v9
	v_add_f32_e32 v4, v4, v5
	s_delay_alu instid0(VALU_DEP_1) | instskip(NEXT) | instid1(VALU_DEP_1)
	v_add_f32_e32 v4, v56, v4
	v_cndmask_b32_e32 v53, v4, v8, vcc_lo
.LBB42_52:                              ;   in Loop: Header=BB42_12 Depth=1
	s_or_b32 exec_lo, exec_lo, s21
	v_and_b32_e32 v4, 0xffff0000, v6
	s_delay_alu instid0(VALU_DEP_1) | instskip(NEXT) | instid1(VALU_DEP_1)
	v_add_f32_e32 v54, s52, v4
	v_cmp_ge_f32_e32 vcc_lo, 0x41a00000, v54
	s_and_b32 s20, s63, vcc_lo
	s_delay_alu instid0(SALU_CYCLE_1)
	s_and_saveexec_b32 s21, s20
	s_cbranch_execz .LBB42_54
; %bb.53:                               ;   in Loop: Header=BB42_12 Depth=1
	v_mul_f32_e32 v4, 0x3fb8aa3b, v54
	v_cmp_ngt_f32_e32 vcc_lo, 0xc2ce8ed0, v54
	s_delay_alu instid0(VALU_DEP_2) | instskip(SKIP_1) | instid1(VALU_DEP_2)
	v_rndne_f32_e32 v5, v4
	v_fma_f32 v6, 0x3fb8aa3b, v54, -v4
	v_sub_f32_e32 v4, v4, v5
	s_delay_alu instid0(VALU_DEP_2) | instskip(SKIP_1) | instid1(VALU_DEP_2)
	v_fmac_f32_e32 v6, 0x32a5705f, v54
	v_cvt_i32_f32_e32 v5, v5
	v_add_f32_e32 v4, v4, v6
	s_delay_alu instid0(VALU_DEP_1) | instskip(SKIP_2) | instid1(VALU_DEP_1)
	v_exp_f32_e32 v4, v4
	s_waitcnt_depctr 0xfff
	v_ldexp_f32 v4, v4, v5
	v_cndmask_b32_e32 v4, 0, v4, vcc_lo
	v_cmp_nlt_f32_e32 vcc_lo, 0x42b17218, v54
	s_delay_alu instid0(VALU_DEP_2) | instskip(NEXT) | instid1(VALU_DEP_1)
	v_cndmask_b32_e32 v6, 0x7f800000, v4, vcc_lo
	v_add_f32_e32 v8, 1.0, v6
	s_delay_alu instid0(VALU_DEP_1) | instskip(NEXT) | instid1(VALU_DEP_1)
	v_cvt_f64_f32_e32 v[4:5], v8
	v_frexp_exp_i32_f64_e32 v4, v[4:5]
	v_frexp_mant_f32_e32 v5, v8
	s_delay_alu instid0(VALU_DEP_1) | instskip(SKIP_1) | instid1(VALU_DEP_1)
	v_cmp_gt_f32_e32 vcc_lo, 0x3f2aaaab, v5
	v_add_f32_e32 v5, -1.0, v8
	v_dual_sub_f32 v54, v5, v8 :: v_dual_sub_f32 v5, v6, v5
	s_delay_alu instid0(VALU_DEP_1) | instskip(NEXT) | instid1(VALU_DEP_1)
	v_add_f32_e32 v54, 1.0, v54
	v_add_f32_e32 v5, v5, v54
	v_subrev_co_ci_u32_e32 v4, vcc_lo, 0, v4, vcc_lo
	s_delay_alu instid0(VALU_DEP_1) | instskip(SKIP_1) | instid1(VALU_DEP_2)
	v_sub_nc_u32_e32 v9, 0, v4
	v_cvt_f32_i32_e32 v4, v4
	v_ldexp_f32 v8, v8, v9
	v_ldexp_f32 v5, v5, v9
	s_delay_alu instid0(VALU_DEP_2) | instskip(NEXT) | instid1(VALU_DEP_1)
	v_add_f32_e32 v55, 1.0, v8
	v_dual_add_f32 v9, -1.0, v8 :: v_dual_add_f32 v54, -1.0, v55
	s_delay_alu instid0(VALU_DEP_1) | instskip(NEXT) | instid1(VALU_DEP_2)
	v_add_f32_e32 v56, 1.0, v9
	v_sub_f32_e32 v54, v8, v54
	s_delay_alu instid0(VALU_DEP_2) | instskip(NEXT) | instid1(VALU_DEP_2)
	v_sub_f32_e32 v8, v8, v56
	v_add_f32_e32 v54, v5, v54
	s_delay_alu instid0(VALU_DEP_2) | instskip(NEXT) | instid1(VALU_DEP_1)
	v_add_f32_e32 v5, v5, v8
	v_add_f32_e32 v57, v9, v5
	v_cmp_eq_f32_e32 vcc_lo, 0x7f800000, v6
	v_cmp_gt_f32_e64 s20, 0x33800000, v6
	s_delay_alu instid0(VALU_DEP_3) | instskip(NEXT) | instid1(VALU_DEP_2)
	v_dual_sub_f32 v9, v9, v57 :: v_dual_add_f32 v56, v55, v54
	s_or_b32 vcc_lo, s20, vcc_lo
	s_delay_alu instid0(VALU_DEP_1) | instskip(NEXT) | instid1(VALU_DEP_2)
	v_add_f32_e32 v5, v5, v9
	v_rcp_f32_e32 v8, v56
	v_sub_f32_e32 v55, v55, v56
	s_delay_alu instid0(VALU_DEP_1) | instskip(SKIP_2) | instid1(VALU_DEP_1)
	v_add_f32_e32 v54, v54, v55
	s_waitcnt_depctr 0xfff
	v_mul_f32_e32 v58, v57, v8
	v_mul_f32_e32 v59, v56, v58
	s_delay_alu instid0(VALU_DEP_1) | instskip(NEXT) | instid1(VALU_DEP_1)
	v_fma_f32 v55, v58, v56, -v59
	v_fmac_f32_e32 v55, v58, v54
	s_delay_alu instid0(VALU_DEP_1) | instskip(NEXT) | instid1(VALU_DEP_1)
	v_add_f32_e32 v60, v59, v55
	v_sub_f32_e32 v61, v57, v60
	s_delay_alu instid0(VALU_DEP_1) | instskip(NEXT) | instid1(VALU_DEP_1)
	v_sub_f32_e32 v57, v57, v61
	v_sub_f32_e32 v57, v57, v60
	s_delay_alu instid0(VALU_DEP_1) | instskip(SKIP_1) | instid1(VALU_DEP_1)
	v_add_f32_e32 v5, v5, v57
	v_sub_f32_e32 v9, v60, v59
	v_sub_f32_e32 v9, v9, v55
	s_delay_alu instid0(VALU_DEP_1) | instskip(NEXT) | instid1(VALU_DEP_1)
	v_add_f32_e32 v5, v9, v5
	v_add_f32_e32 v9, v61, v5
	s_delay_alu instid0(VALU_DEP_1) | instskip(NEXT) | instid1(VALU_DEP_1)
	v_mul_f32_e32 v55, v8, v9
	v_dual_sub_f32 v60, v61, v9 :: v_dual_mul_f32 v57, v56, v55
	s_delay_alu instid0(VALU_DEP_1) | instskip(NEXT) | instid1(VALU_DEP_2)
	v_add_f32_e32 v5, v5, v60
	v_fma_f32 v56, v55, v56, -v57
	s_delay_alu instid0(VALU_DEP_1) | instskip(NEXT) | instid1(VALU_DEP_1)
	v_fmac_f32_e32 v56, v55, v54
	v_add_f32_e32 v54, v57, v56
	s_delay_alu instid0(VALU_DEP_1) | instskip(NEXT) | instid1(VALU_DEP_1)
	v_sub_f32_e32 v59, v9, v54
	v_sub_f32_e32 v9, v9, v59
	s_delay_alu instid0(VALU_DEP_1) | instskip(NEXT) | instid1(VALU_DEP_1)
	v_sub_f32_e32 v9, v9, v54
	v_add_f32_e32 v5, v5, v9
	v_add_f32_e32 v9, v58, v55
	v_sub_f32_e32 v57, v54, v57
	s_delay_alu instid0(VALU_DEP_1) | instskip(NEXT) | instid1(VALU_DEP_1)
	v_sub_f32_e32 v54, v57, v56
	v_dual_add_f32 v5, v54, v5 :: v_dual_sub_f32 v54, v9, v58
	s_delay_alu instid0(VALU_DEP_1) | instskip(NEXT) | instid1(VALU_DEP_1)
	v_add_f32_e32 v5, v59, v5
	v_dual_sub_f32 v54, v55, v54 :: v_dual_mul_f32 v5, v8, v5
	s_delay_alu instid0(VALU_DEP_1) | instskip(NEXT) | instid1(VALU_DEP_1)
	v_add_f32_e32 v5, v54, v5
	v_add_f32_e32 v8, v9, v5
	s_delay_alu instid0(VALU_DEP_1) | instskip(NEXT) | instid1(VALU_DEP_1)
	v_mul_f32_e32 v54, v8, v8
	v_fmaak_f32 v55, s67, v54, 0x3ecc95a3
	v_mul_f32_e32 v56, v8, v54
	s_delay_alu instid0(VALU_DEP_2) | instskip(SKIP_1) | instid1(VALU_DEP_2)
	v_fmaak_f32 v54, v54, v55, 0x3f2aaada
	v_ldexp_f32 v55, v8, 1
	v_mul_f32_e32 v54, v56, v54
	v_sub_f32_e32 v8, v8, v9
	s_delay_alu instid0(VALU_DEP_2) | instskip(NEXT) | instid1(VALU_DEP_2)
	v_dual_mul_f32 v56, 0x3f317218, v4 :: v_dual_add_f32 v9, v55, v54
	v_sub_f32_e32 v5, v5, v8
	s_delay_alu instid0(VALU_DEP_2) | instskip(NEXT) | instid1(VALU_DEP_3)
	v_sub_f32_e32 v8, v9, v55
	v_fma_f32 v55, 0x3f317218, v4, -v56
	s_delay_alu instid0(VALU_DEP_3) | instskip(NEXT) | instid1(VALU_DEP_3)
	v_ldexp_f32 v5, v5, 1
	v_sub_f32_e32 v8, v54, v8
	s_delay_alu instid0(VALU_DEP_3) | instskip(NEXT) | instid1(VALU_DEP_2)
	v_fmac_f32_e32 v55, 0xb102e308, v4
	v_add_f32_e32 v4, v5, v8
	s_delay_alu instid0(VALU_DEP_1) | instskip(NEXT) | instid1(VALU_DEP_1)
	v_add_f32_e32 v8, v9, v4
	v_sub_f32_e32 v9, v8, v9
	s_delay_alu instid0(VALU_DEP_1) | instskip(SKIP_1) | instid1(VALU_DEP_1)
	v_sub_f32_e32 v4, v4, v9
	v_add_f32_e32 v5, v56, v55
	v_add_f32_e32 v54, v5, v8
	s_delay_alu instid0(VALU_DEP_1) | instskip(NEXT) | instid1(VALU_DEP_1)
	v_dual_sub_f32 v56, v5, v56 :: v_dual_sub_f32 v57, v54, v5
	v_dual_sub_f32 v55, v55, v56 :: v_dual_sub_f32 v8, v8, v57
	v_sub_f32_e32 v58, v54, v57
	s_delay_alu instid0(VALU_DEP_1) | instskip(NEXT) | instid1(VALU_DEP_1)
	v_sub_f32_e32 v5, v5, v58
	v_add_f32_e32 v5, v8, v5
	s_delay_alu instid0(VALU_DEP_4) | instskip(NEXT) | instid1(VALU_DEP_1)
	v_add_f32_e32 v9, v55, v4
	v_add_f32_e32 v5, v9, v5
	s_delay_alu instid0(VALU_DEP_1) | instskip(SKIP_1) | instid1(VALU_DEP_1)
	v_add_f32_e32 v56, v54, v5
	v_sub_f32_e32 v8, v9, v55
	v_sub_f32_e32 v9, v9, v8
	;; [unrolled: 1-line block ×3, first 2 shown]
	s_delay_alu instid0(VALU_DEP_2) | instskip(NEXT) | instid1(VALU_DEP_1)
	v_dual_sub_f32 v8, v56, v54 :: v_dual_sub_f32 v9, v55, v9
	v_dual_sub_f32 v5, v5, v8 :: v_dual_add_f32 v4, v4, v9
	s_delay_alu instid0(VALU_DEP_1) | instskip(NEXT) | instid1(VALU_DEP_1)
	v_add_f32_e32 v4, v4, v5
	v_add_f32_e32 v4, v56, v4
	s_delay_alu instid0(VALU_DEP_1)
	v_cndmask_b32_e32 v54, v4, v6, vcc_lo
.LBB42_54:                              ;   in Loop: Header=BB42_12 Depth=1
	s_or_b32 exec_lo, exec_lo, s21
	v_lshlrev_b32_e32 v4, 16, v7
	s_delay_alu instid0(VALU_DEP_1) | instskip(NEXT) | instid1(VALU_DEP_1)
	v_add_f32_e32 v55, s52, v4
	v_cmp_ge_f32_e32 vcc_lo, 0x41a00000, v55
	s_and_b32 s20, s63, vcc_lo
	s_delay_alu instid0(SALU_CYCLE_1)
	s_and_saveexec_b32 s21, s20
	s_cbranch_execz .LBB42_56
; %bb.55:                               ;   in Loop: Header=BB42_12 Depth=1
	v_mul_f32_e32 v4, 0x3fb8aa3b, v55
	v_cmp_ngt_f32_e32 vcc_lo, 0xc2ce8ed0, v55
	s_delay_alu instid0(VALU_DEP_2) | instskip(SKIP_1) | instid1(VALU_DEP_2)
	v_rndne_f32_e32 v5, v4
	v_fma_f32 v6, 0x3fb8aa3b, v55, -v4
	v_sub_f32_e32 v4, v4, v5
	s_delay_alu instid0(VALU_DEP_2) | instskip(SKIP_1) | instid1(VALU_DEP_2)
	v_fmac_f32_e32 v6, 0x32a5705f, v55
	v_cvt_i32_f32_e32 v5, v5
	v_add_f32_e32 v4, v4, v6
	s_delay_alu instid0(VALU_DEP_1) | instskip(SKIP_2) | instid1(VALU_DEP_1)
	v_exp_f32_e32 v4, v4
	s_waitcnt_depctr 0xfff
	v_ldexp_f32 v4, v4, v5
	v_cndmask_b32_e32 v4, 0, v4, vcc_lo
	v_cmp_nlt_f32_e32 vcc_lo, 0x42b17218, v55
	s_delay_alu instid0(VALU_DEP_2) | instskip(NEXT) | instid1(VALU_DEP_1)
	v_cndmask_b32_e32 v6, 0x7f800000, v4, vcc_lo
	v_add_f32_e32 v8, 1.0, v6
	s_delay_alu instid0(VALU_DEP_1) | instskip(NEXT) | instid1(VALU_DEP_1)
	v_cvt_f64_f32_e32 v[4:5], v8
	v_frexp_exp_i32_f64_e32 v4, v[4:5]
	v_frexp_mant_f32_e32 v5, v8
	s_delay_alu instid0(VALU_DEP_1) | instskip(SKIP_1) | instid1(VALU_DEP_1)
	v_cmp_gt_f32_e32 vcc_lo, 0x3f2aaaab, v5
	v_add_f32_e32 v5, -1.0, v8
	v_sub_f32_e32 v55, v5, v8
	v_sub_f32_e32 v5, v6, v5
	s_delay_alu instid0(VALU_DEP_2) | instskip(NEXT) | instid1(VALU_DEP_1)
	v_add_f32_e32 v55, 1.0, v55
	v_add_f32_e32 v5, v5, v55
	v_cmp_gt_f32_e64 s20, 0x33800000, v6
	v_subrev_co_ci_u32_e32 v4, vcc_lo, 0, v4, vcc_lo
	v_cmp_eq_f32_e32 vcc_lo, 0x7f800000, v6
	s_delay_alu instid0(VALU_DEP_2) | instskip(SKIP_2) | instid1(VALU_DEP_2)
	v_sub_nc_u32_e32 v9, 0, v4
	v_cvt_f32_i32_e32 v4, v4
	s_or_b32 vcc_lo, s20, vcc_lo
	v_ldexp_f32 v8, v8, v9
	v_ldexp_f32 v5, v5, v9
	s_delay_alu instid0(VALU_DEP_2) | instskip(SKIP_1) | instid1(VALU_DEP_2)
	v_add_f32_e32 v56, 1.0, v8
	v_add_f32_e32 v9, -1.0, v8
	v_add_f32_e32 v55, -1.0, v56
	s_delay_alu instid0(VALU_DEP_2) | instskip(NEXT) | instid1(VALU_DEP_2)
	v_add_f32_e32 v57, 1.0, v9
	v_sub_f32_e32 v55, v8, v55
	s_delay_alu instid0(VALU_DEP_1) | instskip(NEXT) | instid1(VALU_DEP_1)
	v_dual_sub_f32 v8, v8, v57 :: v_dual_add_f32 v55, v5, v55
	v_add_f32_e32 v5, v5, v8
	s_delay_alu instid0(VALU_DEP_1) | instskip(NEXT) | instid1(VALU_DEP_1)
	v_dual_add_f32 v57, v56, v55 :: v_dual_add_f32 v58, v9, v5
	v_rcp_f32_e32 v8, v57
	s_delay_alu instid0(VALU_DEP_1) | instskip(NEXT) | instid1(VALU_DEP_1)
	v_dual_sub_f32 v56, v56, v57 :: v_dual_sub_f32 v9, v9, v58
	v_add_f32_e32 v55, v55, v56
	s_waitcnt_depctr 0xfff
	v_mul_f32_e32 v59, v58, v8
	s_delay_alu instid0(VALU_DEP_1) | instskip(NEXT) | instid1(VALU_DEP_1)
	v_mul_f32_e32 v60, v57, v59
	v_fma_f32 v56, v59, v57, -v60
	s_delay_alu instid0(VALU_DEP_1) | instskip(NEXT) | instid1(VALU_DEP_1)
	v_dual_fmac_f32 v56, v59, v55 :: v_dual_add_f32 v5, v5, v9
	v_add_f32_e32 v61, v60, v56
	s_delay_alu instid0(VALU_DEP_1) | instskip(NEXT) | instid1(VALU_DEP_1)
	v_sub_f32_e32 v62, v58, v61
	v_dual_sub_f32 v58, v58, v62 :: v_dual_sub_f32 v9, v61, v60
	s_delay_alu instid0(VALU_DEP_1) | instskip(NEXT) | instid1(VALU_DEP_1)
	v_dual_sub_f32 v58, v58, v61 :: v_dual_sub_f32 v9, v9, v56
	v_add_f32_e32 v5, v5, v58
	s_delay_alu instid0(VALU_DEP_1) | instskip(NEXT) | instid1(VALU_DEP_1)
	v_add_f32_e32 v5, v9, v5
	v_add_f32_e32 v9, v62, v5
	s_delay_alu instid0(VALU_DEP_1) | instskip(NEXT) | instid1(VALU_DEP_1)
	v_mul_f32_e32 v56, v8, v9
	v_dual_mul_f32 v58, v57, v56 :: v_dual_sub_f32 v61, v62, v9
	s_delay_alu instid0(VALU_DEP_1) | instskip(NEXT) | instid1(VALU_DEP_2)
	v_fma_f32 v57, v56, v57, -v58
	v_add_f32_e32 v5, v5, v61
	s_delay_alu instid0(VALU_DEP_2) | instskip(NEXT) | instid1(VALU_DEP_1)
	v_fmac_f32_e32 v57, v56, v55
	v_add_f32_e32 v55, v58, v57
	s_delay_alu instid0(VALU_DEP_1) | instskip(NEXT) | instid1(VALU_DEP_1)
	v_sub_f32_e32 v60, v9, v55
	v_dual_sub_f32 v58, v55, v58 :: v_dual_sub_f32 v9, v9, v60
	s_delay_alu instid0(VALU_DEP_1) | instskip(NEXT) | instid1(VALU_DEP_2)
	v_sub_f32_e32 v9, v9, v55
	v_sub_f32_e32 v55, v58, v57
	s_delay_alu instid0(VALU_DEP_2) | instskip(SKIP_1) | instid1(VALU_DEP_2)
	v_add_f32_e32 v5, v5, v9
	v_add_f32_e32 v9, v59, v56
	;; [unrolled: 1-line block ×3, first 2 shown]
	s_delay_alu instid0(VALU_DEP_2) | instskip(NEXT) | instid1(VALU_DEP_2)
	v_sub_f32_e32 v55, v9, v59
	v_add_f32_e32 v5, v60, v5
	s_delay_alu instid0(VALU_DEP_2) | instskip(NEXT) | instid1(VALU_DEP_2)
	v_sub_f32_e32 v55, v56, v55
	v_mul_f32_e32 v5, v8, v5
	s_delay_alu instid0(VALU_DEP_1) | instskip(NEXT) | instid1(VALU_DEP_1)
	v_add_f32_e32 v5, v55, v5
	v_add_f32_e32 v8, v9, v5
	s_delay_alu instid0(VALU_DEP_1) | instskip(NEXT) | instid1(VALU_DEP_1)
	v_mul_f32_e32 v55, v8, v8
	v_fmaak_f32 v56, s67, v55, 0x3ecc95a3
	v_mul_f32_e32 v57, v8, v55
	s_delay_alu instid0(VALU_DEP_2) | instskip(SKIP_1) | instid1(VALU_DEP_2)
	v_fmaak_f32 v55, v55, v56, 0x3f2aaada
	v_ldexp_f32 v56, v8, 1
	v_dual_sub_f32 v8, v8, v9 :: v_dual_mul_f32 v55, v57, v55
	v_mul_f32_e32 v57, 0x3f317218, v4
	s_delay_alu instid0(VALU_DEP_2) | instskip(NEXT) | instid1(VALU_DEP_3)
	v_sub_f32_e32 v5, v5, v8
	v_add_f32_e32 v9, v56, v55
	s_delay_alu instid0(VALU_DEP_2) | instskip(NEXT) | instid1(VALU_DEP_2)
	v_ldexp_f32 v5, v5, 1
	v_sub_f32_e32 v8, v9, v56
	v_fma_f32 v56, 0x3f317218, v4, -v57
	s_delay_alu instid0(VALU_DEP_2) | instskip(NEXT) | instid1(VALU_DEP_2)
	v_sub_f32_e32 v8, v55, v8
	v_fmac_f32_e32 v56, 0xb102e308, v4
	s_delay_alu instid0(VALU_DEP_2) | instskip(NEXT) | instid1(VALU_DEP_2)
	v_add_f32_e32 v4, v5, v8
	v_add_f32_e32 v5, v57, v56
	s_delay_alu instid0(VALU_DEP_2) | instskip(NEXT) | instid1(VALU_DEP_2)
	v_add_f32_e32 v8, v9, v4
	v_sub_f32_e32 v57, v5, v57
	s_delay_alu instid0(VALU_DEP_2) | instskip(SKIP_1) | instid1(VALU_DEP_3)
	v_add_f32_e32 v55, v5, v8
	v_sub_f32_e32 v9, v8, v9
	v_sub_f32_e32 v56, v56, v57
	s_delay_alu instid0(VALU_DEP_3) | instskip(NEXT) | instid1(VALU_DEP_1)
	v_sub_f32_e32 v58, v55, v5
	v_dual_sub_f32 v4, v4, v9 :: v_dual_sub_f32 v59, v55, v58
	v_sub_f32_e32 v8, v8, v58
	s_delay_alu instid0(VALU_DEP_2) | instskip(NEXT) | instid1(VALU_DEP_3)
	v_add_f32_e32 v9, v56, v4
	v_sub_f32_e32 v5, v5, v59
	s_delay_alu instid0(VALU_DEP_1) | instskip(NEXT) | instid1(VALU_DEP_1)
	v_dual_add_f32 v5, v8, v5 :: v_dual_sub_f32 v8, v9, v56
	v_add_f32_e32 v5, v9, v5
	s_delay_alu instid0(VALU_DEP_2) | instskip(NEXT) | instid1(VALU_DEP_2)
	v_sub_f32_e32 v9, v9, v8
	v_dual_sub_f32 v4, v4, v8 :: v_dual_add_f32 v57, v55, v5
	s_delay_alu instid0(VALU_DEP_1) | instskip(NEXT) | instid1(VALU_DEP_1)
	v_dual_sub_f32 v9, v56, v9 :: v_dual_sub_f32 v8, v57, v55
	v_dual_add_f32 v4, v4, v9 :: v_dual_sub_f32 v5, v5, v8
	s_delay_alu instid0(VALU_DEP_1) | instskip(NEXT) | instid1(VALU_DEP_1)
	v_add_f32_e32 v4, v4, v5
	v_add_f32_e32 v4, v57, v4
	s_delay_alu instid0(VALU_DEP_1)
	v_cndmask_b32_e32 v55, v4, v6, vcc_lo
.LBB42_56:                              ;   in Loop: Header=BB42_12 Depth=1
	s_or_b32 exec_lo, exec_lo, s21
	v_and_b32_e32 v4, 0xffff0000, v7
	s_delay_alu instid0(VALU_DEP_1) | instskip(NEXT) | instid1(VALU_DEP_1)
	v_add_f32_e32 v64, s52, v4
	v_cmp_ge_f32_e32 vcc_lo, 0x41a00000, v64
	s_and_b32 s20, s63, vcc_lo
	s_delay_alu instid0(SALU_CYCLE_1)
	s_and_saveexec_b32 s21, s20
	s_cbranch_execz .LBB42_58
; %bb.57:                               ;   in Loop: Header=BB42_12 Depth=1
	v_mul_f32_e32 v4, 0x3fb8aa3b, v64
	v_cmp_ngt_f32_e32 vcc_lo, 0xc2ce8ed0, v64
	s_delay_alu instid0(VALU_DEP_2) | instskip(SKIP_1) | instid1(VALU_DEP_2)
	v_rndne_f32_e32 v5, v4
	v_fma_f32 v6, 0x3fb8aa3b, v64, -v4
	v_sub_f32_e32 v4, v4, v5
	s_delay_alu instid0(VALU_DEP_2) | instskip(SKIP_1) | instid1(VALU_DEP_2)
	v_fmac_f32_e32 v6, 0x32a5705f, v64
	v_cvt_i32_f32_e32 v5, v5
	v_add_f32_e32 v4, v4, v6
	s_delay_alu instid0(VALU_DEP_1) | instskip(SKIP_2) | instid1(VALU_DEP_1)
	v_exp_f32_e32 v4, v4
	s_waitcnt_depctr 0xfff
	v_ldexp_f32 v4, v4, v5
	v_cndmask_b32_e32 v4, 0, v4, vcc_lo
	v_cmp_nlt_f32_e32 vcc_lo, 0x42b17218, v64
	s_delay_alu instid0(VALU_DEP_2) | instskip(NEXT) | instid1(VALU_DEP_1)
	v_cndmask_b32_e32 v6, 0x7f800000, v4, vcc_lo
	v_add_f32_e32 v7, 1.0, v6
	s_delay_alu instid0(VALU_DEP_1) | instskip(NEXT) | instid1(VALU_DEP_1)
	v_cvt_f64_f32_e32 v[4:5], v7
	v_frexp_exp_i32_f64_e32 v4, v[4:5]
	v_frexp_mant_f32_e32 v5, v7
	s_delay_alu instid0(VALU_DEP_1) | instskip(SKIP_1) | instid1(VALU_DEP_1)
	v_cmp_gt_f32_e32 vcc_lo, 0x3f2aaaab, v5
	v_add_f32_e32 v5, -1.0, v7
	v_sub_f32_e32 v9, v5, v7
	v_sub_f32_e32 v5, v6, v5
	s_delay_alu instid0(VALU_DEP_2) | instskip(NEXT) | instid1(VALU_DEP_1)
	v_add_f32_e32 v9, 1.0, v9
	v_add_f32_e32 v5, v5, v9
	v_cmp_gt_f32_e64 s20, 0x33800000, v6
	v_subrev_co_ci_u32_e32 v4, vcc_lo, 0, v4, vcc_lo
	v_cmp_eq_f32_e32 vcc_lo, 0x7f800000, v6
	s_delay_alu instid0(VALU_DEP_2) | instskip(SKIP_2) | instid1(VALU_DEP_2)
	v_sub_nc_u32_e32 v8, 0, v4
	v_cvt_f32_i32_e32 v4, v4
	s_or_b32 vcc_lo, s20, vcc_lo
	v_ldexp_f32 v7, v7, v8
	v_ldexp_f32 v5, v5, v8
	s_delay_alu instid0(VALU_DEP_2) | instskip(NEXT) | instid1(VALU_DEP_1)
	v_add_f32_e32 v56, 1.0, v7
	v_dual_add_f32 v8, -1.0, v7 :: v_dual_add_f32 v9, -1.0, v56
	s_delay_alu instid0(VALU_DEP_1) | instskip(NEXT) | instid1(VALU_DEP_2)
	v_add_f32_e32 v57, 1.0, v8
	v_sub_f32_e32 v9, v7, v9
	s_delay_alu instid0(VALU_DEP_2) | instskip(NEXT) | instid1(VALU_DEP_2)
	v_sub_f32_e32 v7, v7, v57
	v_add_f32_e32 v9, v5, v9
	s_delay_alu instid0(VALU_DEP_2) | instskip(NEXT) | instid1(VALU_DEP_1)
	v_add_f32_e32 v5, v5, v7
	v_add_f32_e32 v58, v8, v5
	s_delay_alu instid0(VALU_DEP_1) | instskip(NEXT) | instid1(VALU_DEP_4)
	v_sub_f32_e32 v8, v8, v58
	v_add_f32_e32 v57, v56, v9
	s_delay_alu instid0(VALU_DEP_1) | instskip(NEXT) | instid1(VALU_DEP_2)
	v_rcp_f32_e32 v7, v57
	v_dual_sub_f32 v56, v56, v57 :: v_dual_add_f32 v5, v5, v8
	s_delay_alu instid0(VALU_DEP_1) | instskip(SKIP_2) | instid1(VALU_DEP_1)
	v_add_f32_e32 v9, v9, v56
	s_waitcnt_depctr 0xfff
	v_mul_f32_e32 v59, v58, v7
	v_mul_f32_e32 v60, v57, v59
	s_delay_alu instid0(VALU_DEP_1) | instskip(NEXT) | instid1(VALU_DEP_1)
	v_fma_f32 v56, v59, v57, -v60
	v_fmac_f32_e32 v56, v59, v9
	s_delay_alu instid0(VALU_DEP_1) | instskip(NEXT) | instid1(VALU_DEP_1)
	v_add_f32_e32 v61, v60, v56
	v_sub_f32_e32 v62, v58, v61
	v_sub_f32_e32 v8, v61, v60
	s_delay_alu instid0(VALU_DEP_2) | instskip(NEXT) | instid1(VALU_DEP_1)
	v_sub_f32_e32 v58, v58, v62
	v_sub_f32_e32 v58, v58, v61
	s_delay_alu instid0(VALU_DEP_1) | instskip(NEXT) | instid1(VALU_DEP_1)
	v_dual_sub_f32 v8, v8, v56 :: v_dual_add_f32 v5, v5, v58
	v_add_f32_e32 v5, v8, v5
	s_delay_alu instid0(VALU_DEP_1) | instskip(NEXT) | instid1(VALU_DEP_1)
	v_add_f32_e32 v8, v62, v5
	v_mul_f32_e32 v56, v7, v8
	v_sub_f32_e32 v61, v62, v8
	s_delay_alu instid0(VALU_DEP_2) | instskip(NEXT) | instid1(VALU_DEP_2)
	v_mul_f32_e32 v58, v57, v56
	v_add_f32_e32 v5, v5, v61
	s_delay_alu instid0(VALU_DEP_2) | instskip(NEXT) | instid1(VALU_DEP_1)
	v_fma_f32 v57, v56, v57, -v58
	v_fmac_f32_e32 v57, v56, v9
	s_delay_alu instid0(VALU_DEP_1) | instskip(NEXT) | instid1(VALU_DEP_1)
	v_add_f32_e32 v9, v58, v57
	v_sub_f32_e32 v60, v8, v9
	s_delay_alu instid0(VALU_DEP_1) | instskip(NEXT) | instid1(VALU_DEP_1)
	v_sub_f32_e32 v8, v8, v60
	v_sub_f32_e32 v8, v8, v9
	s_delay_alu instid0(VALU_DEP_1) | instskip(SKIP_2) | instid1(VALU_DEP_1)
	v_add_f32_e32 v5, v5, v8
	v_add_f32_e32 v8, v59, v56
	v_sub_f32_e32 v58, v9, v58
	v_sub_f32_e32 v9, v58, v57
	s_delay_alu instid0(VALU_DEP_1) | instskip(NEXT) | instid1(VALU_DEP_4)
	v_add_f32_e32 v5, v9, v5
	v_sub_f32_e32 v9, v8, v59
	s_delay_alu instid0(VALU_DEP_2) | instskip(NEXT) | instid1(VALU_DEP_2)
	v_add_f32_e32 v5, v60, v5
	v_sub_f32_e32 v9, v56, v9
	s_delay_alu instid0(VALU_DEP_2) | instskip(NEXT) | instid1(VALU_DEP_1)
	v_mul_f32_e32 v5, v7, v5
	v_add_f32_e32 v5, v9, v5
	s_delay_alu instid0(VALU_DEP_1) | instskip(NEXT) | instid1(VALU_DEP_1)
	v_add_f32_e32 v7, v8, v5
	v_mul_f32_e32 v9, v7, v7
	s_delay_alu instid0(VALU_DEP_1) | instskip(SKIP_1) | instid1(VALU_DEP_2)
	v_fmaak_f32 v56, s67, v9, 0x3ecc95a3
	v_mul_f32_e32 v57, v7, v9
	v_fmaak_f32 v9, v9, v56, 0x3f2aaada
	v_ldexp_f32 v56, v7, 1
	v_sub_f32_e32 v7, v7, v8
	s_delay_alu instid0(VALU_DEP_3) | instskip(SKIP_1) | instid1(VALU_DEP_2)
	v_mul_f32_e32 v9, v57, v9
	v_mul_f32_e32 v57, 0x3f317218, v4
	v_dual_sub_f32 v5, v5, v7 :: v_dual_add_f32 v8, v56, v9
	s_delay_alu instid0(VALU_DEP_1) | instskip(NEXT) | instid1(VALU_DEP_2)
	v_ldexp_f32 v5, v5, 1
	v_sub_f32_e32 v7, v8, v56
	s_delay_alu instid0(VALU_DEP_4) | instskip(NEXT) | instid1(VALU_DEP_1)
	v_fma_f32 v56, 0x3f317218, v4, -v57
	v_dual_sub_f32 v7, v9, v7 :: v_dual_fmac_f32 v56, 0xb102e308, v4
	s_delay_alu instid0(VALU_DEP_1) | instskip(NEXT) | instid1(VALU_DEP_1)
	v_add_f32_e32 v4, v5, v7
	v_add_f32_e32 v7, v8, v4
	s_delay_alu instid0(VALU_DEP_1) | instskip(NEXT) | instid1(VALU_DEP_1)
	v_sub_f32_e32 v8, v7, v8
	v_sub_f32_e32 v4, v4, v8
	v_add_f32_e32 v5, v57, v56
	s_delay_alu instid0(VALU_DEP_1) | instskip(SKIP_1) | instid1(VALU_DEP_2)
	v_add_f32_e32 v9, v5, v7
	v_sub_f32_e32 v57, v5, v57
	v_sub_f32_e32 v58, v9, v5
	s_delay_alu instid0(VALU_DEP_1) | instskip(NEXT) | instid1(VALU_DEP_1)
	v_dual_sub_f32 v56, v56, v57 :: v_dual_sub_f32 v59, v9, v58
	v_dual_sub_f32 v7, v7, v58 :: v_dual_add_f32 v8, v56, v4
	s_delay_alu instid0(VALU_DEP_2) | instskip(NEXT) | instid1(VALU_DEP_1)
	v_sub_f32_e32 v5, v5, v59
	v_add_f32_e32 v5, v7, v5
	s_delay_alu instid0(VALU_DEP_3) | instskip(NEXT) | instid1(VALU_DEP_2)
	v_sub_f32_e32 v7, v8, v56
	v_add_f32_e32 v5, v8, v5
	s_delay_alu instid0(VALU_DEP_2) | instskip(NEXT) | instid1(VALU_DEP_2)
	v_sub_f32_e32 v8, v8, v7
	v_dual_sub_f32 v4, v4, v7 :: v_dual_add_f32 v57, v9, v5
	s_delay_alu instid0(VALU_DEP_1) | instskip(NEXT) | instid1(VALU_DEP_1)
	v_dual_sub_f32 v8, v56, v8 :: v_dual_sub_f32 v7, v57, v9
	v_dual_add_f32 v4, v4, v8 :: v_dual_sub_f32 v5, v5, v7
	s_delay_alu instid0(VALU_DEP_1) | instskip(NEXT) | instid1(VALU_DEP_1)
	v_add_f32_e32 v4, v4, v5
	v_add_f32_e32 v4, v57, v4
	s_delay_alu instid0(VALU_DEP_1)
	v_cndmask_b32_e32 v64, v4, v6, vcc_lo
.LBB42_58:                              ;   in Loop: Header=BB42_12 Depth=1
	s_or_b32 exec_lo, exec_lo, s21
	v_and_b32_e32 v5, 0xffff0000, v2
	v_and_b32_e32 v7, 0xffff0000, v3
	v_lshlrev_b32_e32 v2, 16, v2
	v_lshlrev_b32_e32 v4, 16, v3
	v_and_b32_e32 v6, 0xffff0000, v0
	v_and_b32_e32 v3, 0xffff0000, v1
	v_lshlrev_b32_e32 v1, 16, v1
	v_dual_mul_f32 v59, s53, v2 :: v_dual_lshlrev_b32 v0, 16, v0
	s_delay_alu instid0(VALU_DEP_4) | instskip(NEXT) | instid1(VALU_DEP_3)
	v_dual_mul_f32 v57, s53, v4 :: v_dual_mul_f32 v58, s53, v6
	v_dual_mul_f32 v61, s53, v3 :: v_dual_mul_f32 v62, s53, v1
	v_mul_f32_e32 v56, s53, v5
	s_delay_alu instid0(VALU_DEP_4)
	v_dual_mul_f32 v60, s53, v7 :: v_dual_mul_f32 v63, s53, v0
	s_and_b32 vcc_lo, exec_lo, s64
	s_barrier
	buffer_gl0_inv
	s_cbranch_vccz .LBB42_122
; %bb.59:                               ;   in Loop: Header=BB42_12 Depth=1
	v_dual_mul_f32 v65, v64, v7 :: v_dual_mul_f32 v70, v55, v4
	v_add_co_u32 v7, s20, s41, v47
	s_delay_alu instid0(VALU_DEP_1) | instskip(SKIP_1) | instid1(VALU_DEP_1)
	v_add_co_ci_u32_e64 v8, null, s51, 0, s20
	v_add_co_u32 v9, s20, s45, v47
	v_add_co_ci_u32_e64 v69, null, s48, 0, s20
	s_delay_alu instid0(VALU_DEP_4) | instskip(NEXT) | instid1(VALU_DEP_4)
	v_add_co_u32 v66, vcc_lo, v7, v48
	v_add_co_ci_u32_e32 v67, vcc_lo, 0, v8, vcc_lo
	s_delay_alu instid0(VALU_DEP_4) | instskip(NEXT) | instid1(VALU_DEP_4)
	v_add_co_u32 v68, vcc_lo, v9, v48
	v_add_co_ci_u32_e32 v69, vcc_lo, 0, v69, vcc_lo
	v_cmp_gt_u32_e32 vcc_lo, s23, v10
	s_cmp_lg_u32 s69, 0
	v_cmp_gt_u32_e64 s21, s23, v40
	s_cselect_b32 s31, -1, 0
	s_cmp_eq_u32 s69, s66
	v_cmp_gt_u32_e64 s22, s23, v41
	s_cselect_b32 s70, -1, 0
	s_or_b32 s20, s65, vcc_lo
	v_cmp_gt_u32_e32 vcc_lo, s23, v42
	v_cmp_gt_u32_e64 s24, s23, v43
	v_cmp_gt_u32_e64 s25, s23, v44
	;; [unrolled: 1-line block ×4, first 2 shown]
	v_dual_mul_f32 v71, v54, v5 :: v_dual_mul_f32 v72, v53, v2
	v_dual_mul_f32 v73, v52, v3 :: v_dual_mul_f32 v74, v51, v1
	;; [unrolled: 1-line block ×3, first 2 shown]
	s_mov_b32 s34, 0
	s_or_b32 s21, s65, s21
	s_or_b32 s22, s65, s22
	s_or_b32 s23, s65, vcc_lo
	s_or_b32 s24, s65, s24
	s_or_b32 s25, s65, s25
	;; [unrolled: 1-line block ×4, first 2 shown]
	s_mov_b32 s38, s34
	s_mov_b32 s42, s34
	;; [unrolled: 1-line block ×5, first 2 shown]
	s_branch .LBB42_61
.LBB42_60:                              ;   in Loop: Header=BB42_61 Depth=2
	s_or_b32 exec_lo, exec_lo, s28
	v_cndmask_b32_e64 v5, v94, v7, s11
	v_cndmask_b32_e64 v6, v93, v6, s11
	s_add_i32 s71, s71, -1
	s_add_i32 s72, s72, 8
	s_add_i32 s46, s46, s50
	v_fma_f32 v5, v5, v82, v80
	v_mul_f32_e32 v6, v6, v82
	s_add_i32 s42, s42, s44
	s_add_i32 s38, s38, s40
	;; [unrolled: 1-line block ×3, first 2 shown]
	v_cndmask_b32_e64 v5, v5, v80, s10
	v_cndmask_b32_e64 v6, v6, v82, s10
	s_cmp_eq_u32 s71, 0
	s_waitcnt lgkmcnt(0)
	s_delay_alu instid0(VALU_DEP_1) | instskip(NEXT) | instid1(VALU_DEP_1)
	v_dual_fmac_f32 v5, v4, v6 :: v_dual_and_b32 v4, 0xffff0000, v0
	v_fmac_f32_e32 v77, v5, v83
	s_delay_alu instid0(VALU_DEP_1) | instskip(SKIP_1) | instid1(VALU_DEP_1)
	v_dual_fmac_f32 v58, v77, v4 :: v_dual_and_b32 v7, 0xffff0000, v2
	v_fmac_f32_e32 v78, v77, v85
	v_dual_fmac_f32 v79, v78, v86 :: v_dual_and_b32 v6, 0xffff0000, v1
	s_delay_alu instid0(VALU_DEP_1) | instskip(SKIP_1) | instid1(VALU_DEP_3)
	v_fmac_f32_e32 v81, v79, v88
	v_lshlrev_b32_e32 v1, 16, v1
	v_dual_fmac_f32 v61, v79, v6 :: v_dual_and_b32 v8, 0xffff0000, v3
	s_delay_alu instid0(VALU_DEP_3) | instskip(SKIP_1) | instid1(VALU_DEP_4)
	v_fmac_f32_e32 v84, v81, v92
	v_lshlrev_b32_e32 v0, 16, v0
	v_dual_fmac_f32 v62, v78, v1 :: v_dual_lshlrev_b32 v3, 16, v3
	s_delay_alu instid0(VALU_DEP_3) | instskip(NEXT) | instid1(VALU_DEP_3)
	v_fmac_f32_e32 v87, v84, v90
	v_dual_fmac_f32 v63, v5, v0 :: v_dual_lshlrev_b32 v2, 16, v2
	v_fmac_f32_e32 v56, v84, v7
	s_delay_alu instid0(VALU_DEP_3) | instskip(NEXT) | instid1(VALU_DEP_3)
	v_fmac_f32_e32 v89, v87, v91
	v_fmac_f32_e32 v59, v81, v2
	s_delay_alu instid0(VALU_DEP_2)
	v_dual_fmac_f32 v57, v87, v3 :: v_dual_fmac_f32 v60, v89, v8
	s_cbranch_scc1 .LBB42_122
.LBB42_61:                              ;   Parent Loop BB42_12 Depth=1
                                        ; =>  This Inner Loop Header: Depth=2
	s_lshl_b64 s[28:29], s[34:35], 2
	s_mov_b32 s39, s35
	s_add_u32 s28, s58, s28
	s_addc_u32 s29, s59, s29
	v_dual_mov_b32 v2, 0 :: v_dual_mov_b32 v3, 0
	global_load_b32 v77, v13, s[28:29]
	s_lshl_b64 s[28:29], s[38:39], 1
	s_delay_alu instid0(SALU_CYCLE_1)
	v_add_co_u32 v0, vcc_lo, v66, s28
	v_add_co_ci_u32_e32 v1, vcc_lo, s29, v67, vcc_lo
	s_and_saveexec_b32 s28, s12
	s_cbranch_execz .LBB42_63
; %bb.62:                               ;   in Loop: Header=BB42_61 Depth=2
	global_load_u16 v3, v[0:1], off
.LBB42_63:                              ;   in Loop: Header=BB42_61 Depth=2
	s_or_b32 exec_lo, exec_lo, s28
	s_and_saveexec_b32 s28, s13
	s_cbranch_execz .LBB42_65
; %bb.64:                               ;   in Loop: Header=BB42_61 Depth=2
	global_load_u16 v2, v[0:1], off offset:64
.LBB42_65:                              ;   in Loop: Header=BB42_61 Depth=2
	s_or_b32 exec_lo, exec_lo, s28
	v_dual_mov_b32 v4, 0 :: v_dual_mov_b32 v5, 0
	s_and_saveexec_b32 s28, s14
	s_cbranch_execz .LBB42_67
; %bb.66:                               ;   in Loop: Header=BB42_61 Depth=2
	global_load_u16 v5, v[0:1], off offset:128
.LBB42_67:                              ;   in Loop: Header=BB42_61 Depth=2
	s_or_b32 exec_lo, exec_lo, s28
	s_and_saveexec_b32 s28, s15
	s_cbranch_execz .LBB42_69
; %bb.68:                               ;   in Loop: Header=BB42_61 Depth=2
	global_load_u16 v4, v[0:1], off offset:192
.LBB42_69:                              ;   in Loop: Header=BB42_61 Depth=2
	s_or_b32 exec_lo, exec_lo, s28
	v_dual_mov_b32 v6, 0 :: v_dual_mov_b32 v7, 0
	s_and_saveexec_b32 s28, s16
	s_cbranch_execz .LBB42_71
; %bb.70:                               ;   in Loop: Header=BB42_61 Depth=2
	global_load_u16 v7, v[0:1], off offset:256
.LBB42_71:                              ;   in Loop: Header=BB42_61 Depth=2
	;; [unrolled: 13-line block ×3, first 2 shown]
	s_or_b32 exec_lo, exec_lo, s28
	s_and_saveexec_b32 s28, s19
	s_cbranch_execz .LBB42_77
; %bb.76:                               ;   in Loop: Header=BB42_61 Depth=2
	global_load_u16 v8, v[0:1], off offset:448
.LBB42_77:                              ;   in Loop: Header=BB42_61 Depth=2
	s_or_b32 exec_lo, exec_lo, s28
	s_waitcnt vmcnt(0)
	ds_store_b16 v20, v3
	ds_store_b16 v20, v2 offset:64
	ds_store_b16 v21, v5 offset:128
	;; [unrolled: 1-line block ×7, first 2 shown]
	; wave barrier
	ds_load_b128 v[4:7], v27
	s_mov_b32 s43, s35
	v_dual_mov_b32 v2, 0 :: v_dual_mov_b32 v3, 0
	s_lshl_b64 s[28:29], s[42:43], 1
	s_delay_alu instid0(SALU_CYCLE_1)
	v_add_co_u32 v0, vcc_lo, v68, s28
	v_add_co_ci_u32_e32 v1, vcc_lo, s29, v69, vcc_lo
	s_and_saveexec_b32 s28, s12
	s_cbranch_execz .LBB42_79
; %bb.78:                               ;   in Loop: Header=BB42_61 Depth=2
	global_load_u16 v3, v[0:1], off
.LBB42_79:                              ;   in Loop: Header=BB42_61 Depth=2
	s_or_b32 exec_lo, exec_lo, s28
	s_and_saveexec_b32 s28, s13
	s_cbranch_execz .LBB42_81
; %bb.80:                               ;   in Loop: Header=BB42_61 Depth=2
	global_load_u16 v2, v[0:1], off offset:64
.LBB42_81:                              ;   in Loop: Header=BB42_61 Depth=2
	s_or_b32 exec_lo, exec_lo, s28
	v_dual_mov_b32 v8, 0 :: v_dual_mov_b32 v9, 0
	s_and_saveexec_b32 s28, s14
	s_cbranch_execz .LBB42_83
; %bb.82:                               ;   in Loop: Header=BB42_61 Depth=2
	global_load_u16 v9, v[0:1], off offset:128
.LBB42_83:                              ;   in Loop: Header=BB42_61 Depth=2
	s_or_b32 exec_lo, exec_lo, s28
	s_and_saveexec_b32 s28, s15
	s_cbranch_execz .LBB42_85
; %bb.84:                               ;   in Loop: Header=BB42_61 Depth=2
	global_load_u16 v8, v[0:1], off offset:192
.LBB42_85:                              ;   in Loop: Header=BB42_61 Depth=2
	s_or_b32 exec_lo, exec_lo, s28
	v_dual_mov_b32 v78, 0 :: v_dual_mov_b32 v79, 0
	s_and_saveexec_b32 s28, s16
	s_cbranch_execz .LBB42_87
; %bb.86:                               ;   in Loop: Header=BB42_61 Depth=2
	global_load_u16 v79, v[0:1], off offset:256
.LBB42_87:                              ;   in Loop: Header=BB42_61 Depth=2
	;; [unrolled: 13-line block ×3, first 2 shown]
	s_or_b32 exec_lo, exec_lo, s28
	s_and_saveexec_b32 s28, s19
	s_cbranch_execz .LBB42_93
; %bb.92:                               ;   in Loop: Header=BB42_61 Depth=2
	global_load_u16 v80, v[0:1], off offset:448
.LBB42_93:                              ;   in Loop: Header=BB42_61 Depth=2
	s_or_b32 exec_lo, exec_lo, s28
	s_waitcnt vmcnt(0)
	ds_store_b16 v20, v3 offset:1056
	ds_store_b16 v28, v2 offset:64
	;; [unrolled: 1-line block ×8, first 2 shown]
	; wave barrier
	ds_load_b128 v[0:3], v27 offset:1056
	s_and_not1_b32 vcc_lo, exec_lo, s31
	s_cbranch_vccnz .LBB42_95
; %bb.94:                               ;   in Loop: Header=BB42_61 Depth=2
	v_mov_b32_e32 v8, s72
	ds_load_b64 v[8:9], v8
	s_cbranch_execz .LBB42_96
	s_branch .LBB42_99
.LBB42_95:                              ;   in Loop: Header=BB42_61 Depth=2
                                        ; implicit-def: $vgpr8
.LBB42_96:                              ;   in Loop: Header=BB42_61 Depth=2
	s_waitcnt lgkmcnt(0)
	v_mov_b32_e32 v9, 0
	s_and_not1_b32 vcc_lo, exec_lo, s33
	s_cbranch_vccnz .LBB42_98
; %bb.97:                               ;   in Loop: Header=BB42_61 Depth=2
	s_mov_b32 s47, s35
	s_delay_alu instid0(SALU_CYCLE_1) | instskip(NEXT) | instid1(SALU_CYCLE_1)
	s_lshl_b64 s[28:29], s[46:47], 2
	s_add_u32 s28, s60, s28
	s_addc_u32 s29, s61, s29
	global_load_b32 v9, v13, s[28:29]
.LBB42_98:                              ;   in Loop: Header=BB42_61 Depth=2
	v_mov_b32_e32 v8, 1.0
.LBB42_99:                              ;   in Loop: Header=BB42_61 Depth=2
	v_mul_f32_e32 v87, 0x3fb8aa3b, v77
	s_waitcnt lgkmcnt(9)
	v_lshlrev_b32_e32 v77, 16, v4
	v_and_b32_e32 v4, 0xffff0000, v4
	s_delay_alu instid0(VALU_DEP_1) | instskip(SKIP_1) | instid1(VALU_DEP_4)
	v_mul_f32_e32 v4, v75, v4
	v_mul_f32_e32 v78, v87, v49
	;; [unrolled: 1-line block ×3, first 2 shown]
	v_dual_mul_f32 v80, v87, v50 :: v_dual_lshlrev_b32 v79, 16, v5
	v_mul_f32_e32 v82, v87, v51
	s_delay_alu instid0(VALU_DEP_4) | instskip(SKIP_1) | instid1(VALU_DEP_4)
	v_cmp_gt_f32_e32 vcc_lo, 0xc2fc0000, v78
	v_dual_mul_f32 v84, v87, v52 :: v_dual_lshlrev_b32 v89, 16, v7
	v_cmp_gt_f32_e64 s28, 0xc2fc0000, v80
	s_delay_alu instid0(VALU_DEP_4)
	v_cmp_gt_f32_e64 s29, 0xc2fc0000, v82
	v_cndmask_b32_e64 v78, 0, 0x42800000, vcc_lo
	v_lshlrev_b32_e32 v81, 16, v6
	v_cndmask_b32_e64 v85, 1.0, 0x1f800000, vcc_lo
	v_cndmask_b32_e64 v80, 0, 0x42800000, s28
	v_and_b32_e32 v5, 0xffff0000, v5
	v_fmac_f32_e32 v78, v87, v49
	v_cndmask_b32_e64 v82, 0, 0x42800000, s29
	v_cndmask_b32_e64 v86, 1.0, 0x1f800000, s28
	v_fmac_f32_e32 v80, v87, v50
	v_cmp_gt_f32_e32 vcc_lo, 0xc2fc0000, v84
	v_exp_f32_e32 v78, v78
	v_and_b32_e32 v7, 0xffff0000, v7
	v_dual_fmac_f32 v82, v87, v51 :: v_dual_mul_f32 v5, v73, v5
	v_exp_f32_e32 v83, v80
	v_cndmask_b32_e64 v80, 0, v77, s20
	v_cndmask_b32_e64 v77, 0, v4, s21
	v_cndmask_b32_e64 v84, 0, 0x42800000, vcc_lo
	v_dual_mul_f32 v79, v74, v79 :: v_dual_and_b32 v6, 0xffff0000, v6
	s_delay_alu instid0(TRANS32_DEP_2) | instskip(SKIP_1) | instid1(VALU_DEP_3)
	v_mul_f32_e32 v4, v78, v85
	v_exp_f32_e32 v85, v82
	v_dual_fmac_f32 v84, v87, v52 :: v_dual_mul_f32 v89, v70, v89
	s_delay_alu instid0(TRANS32_DEP_2) | instskip(NEXT) | instid1(VALU_DEP_3)
	v_dual_mul_f32 v78, v83, v86 :: v_dual_mul_f32 v81, v72, v81
	v_cndmask_b32_e64 v82, 1.0, v4, s20
	v_dual_mul_f32 v4, v87, v53 :: v_dual_mul_f32 v7, v65, v7
	s_delay_alu instid0(VALU_DEP_3) | instskip(SKIP_2) | instid1(VALU_DEP_4)
	v_cndmask_b32_e64 v83, 1.0, v78, s21
	v_cndmask_b32_e64 v78, 1.0, 0x1f800000, s29
	v_mul_f32_e32 v86, v87, v54
	v_cmp_gt_f32_e64 s28, 0xc2fc0000, v4
	v_exp_f32_e32 v84, v84
	v_mul_f32_e32 v91, v87, v64
	v_mul_f32_e32 v85, v85, v78
	v_cndmask_b32_e64 v78, 0, v79, s22
	v_cndmask_b32_e64 v4, 0, 0x42800000, s28
	v_cndmask_b32_e64 v79, 1.0, 0x1f800000, vcc_lo
	v_cmp_gt_f32_e32 vcc_lo, 0xc2fc0000, v86
	v_mul_f32_e32 v6, v71, v6
	v_cndmask_b32_e64 v85, 1.0, v85, s22
	v_fmac_f32_e32 v4, v87, v53
	v_mul_f32_e32 v84, v84, v79
	v_cndmask_b32_e64 v88, 0, 0x42800000, vcc_lo
	v_cndmask_b32_e64 v79, 0, v5, s23
	v_cndmask_b32_e64 v5, 1.0, 0x1f800000, s28
	v_exp_f32_e32 v4, v4
	v_cndmask_b32_e64 v86, 1.0, v84, s23
	v_fmac_f32_e32 v88, v87, v54
	v_cmp_gt_f32_e64 s28, 0xc2fc0000, v91
	v_fma_f32 v91, v83, v80, v77
	v_cndmask_b32_e64 v81, 0, v81, s24
	s_delay_alu instid0(VALU_DEP_4) | instskip(SKIP_1) | instid1(TRANS32_DEP_2)
	v_exp_f32_e32 v84, v88
	v_mul_f32_e32 v88, v87, v55
	v_mul_f32_e32 v4, v4, v5
	v_cndmask_b32_e64 v5, 1.0, 0x1f800000, vcc_lo
	s_delay_alu instid0(VALU_DEP_3) | instskip(NEXT) | instid1(VALU_DEP_3)
	v_cmp_gt_f32_e32 vcc_lo, 0xc2fc0000, v88
	v_cndmask_b32_e64 v88, 1.0, v4, s24
	s_waitcnt_depctr 0xfff
	v_mul_f32_e32 v4, v84, v5
	v_cndmask_b32_e64 v90, 0, 0x42800000, vcc_lo
	v_cndmask_b32_e64 v84, 0, v6, s25
	v_cndmask_b32_e64 v5, 0, 0x42800000, s28
	v_mul_f32_e32 v6, v83, v82
	v_cndmask_b32_e64 v92, 1.0, v4, s25
	v_fmac_f32_e32 v90, v87, v55
	s_delay_alu instid0(VALU_DEP_3) | instskip(SKIP_1) | instid1(VALU_DEP_3)
	v_dual_fmac_f32 v5, v87, v64 :: v_dual_mul_f32 v4, v6, v85
	v_fma_f32 v6, v91, v85, v78
	v_exp_f32_e32 v90, v90
	v_cndmask_b32_e64 v87, 1.0, 0x1f800000, vcc_lo
	s_delay_alu instid0(VALU_DEP_3) | instskip(SKIP_2) | instid1(VALU_DEP_2)
	v_exp_f32_e32 v5, v5
	v_mul_f32_e32 v4, v4, v86
	v_fma_f32 v6, v6, v86, v79
	v_mul_f32_e32 v4, v4, v88
	s_delay_alu instid0(VALU_DEP_2) | instskip(NEXT) | instid1(TRANS32_DEP_2)
	v_fma_f32 v6, v6, v88, v81
	v_mul_f32_e32 v90, v90, v87
	v_cndmask_b32_e64 v87, 0, v89, s26
	v_cndmask_b32_e64 v89, 1.0, 0x1f800000, s28
	v_mul_f32_e32 v4, v4, v92
	v_fma_f32 v6, v6, v92, v84
	v_cndmask_b32_e64 v90, 1.0, v90, s26
	s_delay_alu instid0(VALU_DEP_4) | instskip(SKIP_1) | instid1(VALU_DEP_3)
	v_mul_f32_e32 v5, v5, v89
	v_cndmask_b32_e64 v89, 0, v7, s27
	v_mul_f32_e32 v4, v4, v90
	s_delay_alu instid0(VALU_DEP_3) | instskip(SKIP_1) | instid1(VALU_DEP_2)
	v_cndmask_b32_e64 v91, 1.0, v5, s27
	v_fma_f32 v5, v6, v90, v87
	v_mul_f32_e32 v4, v4, v91
	s_delay_alu instid0(VALU_DEP_2) | instskip(NEXT) | instid1(VALU_DEP_2)
	v_fma_f32 v5, v5, v91, v89
	v_mov_b32_dpp v7, v4 row_shr:1 row_mask:0xf bank_mask:0xf
	s_delay_alu instid0(VALU_DEP_2)
	v_mov_b32_dpp v6, v5 row_shr:1 row_mask:0xf bank_mask:0xf
	s_and_saveexec_b32 s28, s0
; %bb.100:                              ;   in Loop: Header=BB42_61 Depth=2
	s_delay_alu instid0(VALU_DEP_2) | instskip(NEXT) | instid1(VALU_DEP_1)
	v_mul_f32_e32 v7, v4, v7
	v_dual_fmac_f32 v5, v4, v6 :: v_dual_mov_b32 v4, v7
; %bb.101:                              ;   in Loop: Header=BB42_61 Depth=2
	s_or_b32 exec_lo, exec_lo, s28
	s_delay_alu instid0(VALU_DEP_1) | instskip(NEXT) | instid1(VALU_DEP_2)
	v_mov_b32_dpp v6, v4 row_shr:2 row_mask:0xf bank_mask:0xf
	v_mov_b32_dpp v7, v5 row_shr:2 row_mask:0xf bank_mask:0xf
	s_and_saveexec_b32 s28, s1
; %bb.102:                              ;   in Loop: Header=BB42_61 Depth=2
	s_delay_alu instid0(VALU_DEP_1) | instskip(NEXT) | instid1(VALU_DEP_3)
	v_fmac_f32_e32 v5, v4, v7
	v_mul_f32_e32 v4, v4, v6
; %bb.103:                              ;   in Loop: Header=BB42_61 Depth=2
	s_or_b32 exec_lo, exec_lo, s28
	s_delay_alu instid0(VALU_DEP_1) | instskip(NEXT) | instid1(VALU_DEP_3)
	v_mov_b32_dpp v6, v4 row_shr:4 row_mask:0xf bank_mask:0xf
	v_mov_b32_dpp v7, v5 row_shr:4 row_mask:0xf bank_mask:0xf
	s_and_saveexec_b32 s28, s2
; %bb.104:                              ;   in Loop: Header=BB42_61 Depth=2
	s_delay_alu instid0(VALU_DEP_1) | instskip(NEXT) | instid1(VALU_DEP_3)
	v_fmac_f32_e32 v5, v4, v7
	v_mul_f32_e32 v4, v4, v6
; %bb.105:                              ;   in Loop: Header=BB42_61 Depth=2
	s_or_b32 exec_lo, exec_lo, s28
	s_delay_alu instid0(VALU_DEP_1) | instskip(NEXT) | instid1(VALU_DEP_3)
	v_mov_b32_dpp v6, v4 row_shr:8 row_mask:0xf bank_mask:0xf
	v_mov_b32_dpp v7, v5 row_shr:8 row_mask:0xf bank_mask:0xf
	s_and_saveexec_b32 s28, s3
; %bb.106:                              ;   in Loop: Header=BB42_61 Depth=2
	s_delay_alu instid0(VALU_DEP_1) | instskip(NEXT) | instid1(VALU_DEP_3)
	v_fmac_f32_e32 v5, v4, v7
	v_mul_f32_e32 v4, v4, v6
; %bb.107:                              ;   in Loop: Header=BB42_61 Depth=2
	s_or_b32 exec_lo, exec_lo, s28
	ds_swizzle_b32 v7, v4 offset:swizzle(BROADCAST,32,15)
	ds_swizzle_b32 v6, v5 offset:swizzle(BROADCAST,32,15)
	s_and_saveexec_b32 s28, s4
	s_cbranch_execz .LBB42_109
; %bb.108:                              ;   in Loop: Header=BB42_61 Depth=2
	s_waitcnt lgkmcnt(1)
	v_mul_f32_e32 v7, v4, v7
	s_waitcnt lgkmcnt(0)
	s_delay_alu instid0(VALU_DEP_1)
	v_dual_fmac_f32 v5, v4, v6 :: v_dual_mov_b32 v4, v7
.LBB42_109:                             ;   in Loop: Header=BB42_61 Depth=2
	s_or_b32 exec_lo, exec_lo, s28
	s_and_saveexec_b32 s28, s5
	s_cbranch_execz .LBB42_111
; %bb.110:                              ;   in Loop: Header=BB42_61 Depth=2
	ds_store_b64 v35, v[4:5] offset:2112
.LBB42_111:                             ;   in Loop: Header=BB42_61 Depth=2
	s_or_b32 exec_lo, exec_lo, s28
	s_waitcnt vmcnt(0) lgkmcnt(0)
	s_waitcnt_vscnt null, 0x0
	s_barrier
	buffer_gl0_inv
	s_and_saveexec_b32 s28, s6
	s_cbranch_execz .LBB42_113
; %bb.112:                              ;   in Loop: Header=BB42_61 Depth=2
	ds_load_b64 v[6:7], v36 offset:2112
	s_waitcnt lgkmcnt(0)
	v_mov_b32_dpp v93, v6 row_shr:1 row_mask:0xf bank_mask:0xf
	v_mov_b32_dpp v94, v7 row_shr:1 row_mask:0xf bank_mask:0xf
	s_delay_alu instid0(VALU_DEP_2) | instskip(NEXT) | instid1(VALU_DEP_2)
	v_mul_f32_e32 v93, v6, v93
	v_fma_f32 v94, v6, v94, v7
	s_delay_alu instid0(VALU_DEP_2) | instskip(NEXT) | instid1(VALU_DEP_2)
	v_cndmask_b32_e64 v6, v93, v6, s7
	v_cndmask_b32_e64 v7, v94, v7, s7
	ds_store_b64 v36, v[6:7] offset:2112
.LBB42_113:                             ;   in Loop: Header=BB42_61 Depth=2
	s_or_b32 exec_lo, exec_lo, s28
	s_waitcnt lgkmcnt(0)
	s_barrier
	buffer_gl0_inv
                                        ; implicit-def: $vgpr7
	s_and_saveexec_b32 s28, s9
	s_cbranch_execz .LBB42_115
; %bb.114:                              ;   in Loop: Header=BB42_61 Depth=2
	ds_load_b64 v[6:7], v35 offset:2104
	s_waitcnt lgkmcnt(0)
	v_mul_f32_e32 v93, v4, v6
	s_delay_alu instid0(VALU_DEP_1)
	v_dual_fmac_f32 v5, v4, v7 :: v_dual_mov_b32 v4, v93
.LBB42_115:                             ;   in Loop: Header=BB42_61 Depth=2
	s_or_b32 exec_lo, exec_lo, s28
	ds_bpermute_b32 v93, v37, v4
	ds_bpermute_b32 v94, v37, v5
	s_and_saveexec_b32 s28, s8
	s_cbranch_execz .LBB42_119
; %bb.116:                              ;   in Loop: Header=BB42_61 Depth=2
	ds_load_b64 v[4:5], v13 offset:2120
	s_and_saveexec_b32 s29, s10
	s_cbranch_execz .LBB42_118
; %bb.117:                              ;   in Loop: Header=BB42_61 Depth=2
	ds_store_b64 v13, v[8:9] offset:2120
.LBB42_118:                             ;   in Loop: Header=BB42_61 Depth=2
	s_or_b32 exec_lo, exec_lo, s29
	s_waitcnt lgkmcnt(0)
	v_fmac_f32_e32 v5, v9, v4
	s_delay_alu instid0(VALU_DEP_1)
	v_dual_mul_f32 v8, v8, v4 :: v_dual_mov_b32 v9, v5
.LBB42_119:                             ;   in Loop: Header=BB42_61 Depth=2
	s_or_b32 exec_lo, exec_lo, s28
	s_waitcnt lgkmcnt(0)
	s_barrier
	buffer_gl0_inv
	ds_load_b32 v4, v13 offset:2124
	s_and_saveexec_b32 s28, s10
	s_cbranch_execz .LBB42_60
; %bb.120:                              ;   in Loop: Header=BB42_61 Depth=2
	v_mov_b32_e32 v5, s72
	s_and_not1_b32 vcc_lo, exec_lo, s70
	ds_store_b64 v5, v[8:9]
	s_cbranch_vccnz .LBB42_60
; %bb.121:                              ;   in Loop: Header=BB42_61 Depth=2
	s_mov_b32 s47, s35
	s_delay_alu instid0(SALU_CYCLE_1) | instskip(NEXT) | instid1(SALU_CYCLE_1)
	s_lshl_b64 s[74:75], s[46:47], 2
	s_add_u32 s74, s60, s74
	s_addc_u32 s75, s61, s75
	global_store_b32 v13, v9, s[74:75]
	s_branch .LBB42_60
.LBB42_122:                             ;   in Loop: Header=BB42_12 Depth=1
	v_bfe_u32 v0, v63, 16, 1
	v_bfe_u32 v2, v62, 16, 1
	;; [unrolled: 1-line block ×3, first 2 shown]
	v_cmp_o_f32_e32 vcc_lo, v63, v63
	v_bfe_u32 v4, v59, 16, 1
	v_add3_u32 v0, v63, v0, 0x7fff
	v_add3_u32 v2, v62, v2, 0x7fff
	;; [unrolled: 1-line block ×3, first 2 shown]
	v_bfe_u32 v5, v56, 16, 1
	v_bfe_u32 v6, v57, 16, 1
	v_lshrrev_b32_e32 v0, 16, v0
	v_lshrrev_b32_e32 v2, 16, v2
	;; [unrolled: 1-line block ×3, first 2 shown]
	v_bfe_u32 v7, v60, 16, 1
	v_add3_u32 v4, v59, v4, 0x7fff
	v_cndmask_b32_e32 v0, 0x7fc0, v0, vcc_lo
	v_cmp_o_f32_e32 vcc_lo, v62, v62
	v_add3_u32 v6, v57, v6, 0x7fff
	v_bfe_u32 v1, v58, 16, 1
	s_waitcnt_vscnt null, 0x0
	s_barrier
	v_cndmask_b32_e32 v8, 0x7fc0, v2, vcc_lo
	v_cmp_o_f32_e32 vcc_lo, v61, v61
	v_add3_u32 v2, v56, v5, 0x7fff
	v_add3_u32 v5, v60, v7, 0x7fff
	;; [unrolled: 1-line block ×3, first 2 shown]
	buffer_gl0_inv
	v_cndmask_b32_e32 v7, 0x7fc0, v3, vcc_lo
	v_lshrrev_b32_e32 v3, 16, v4
	v_cmp_o_f32_e32 vcc_lo, v59, v59
	v_lshrrev_b32_e32 v4, 16, v6
	v_lshrrev_b32_e32 v5, 16, v5
	;; [unrolled: 1-line block ×4, first 2 shown]
	v_cndmask_b32_e32 v6, 0x7fc0, v3, vcc_lo
	v_cmp_o_f32_e32 vcc_lo, v57, v57
	s_mov_b32 s31, s35
	s_delay_alu instid0(SALU_CYCLE_1) | instskip(SKIP_4) | instid1(VALU_DEP_2)
	s_lshl_b64 s[20:21], s[30:31], 1
	v_cndmask_b32_e32 v3, 0x7fc0, v4, vcc_lo
	v_cmp_o_f32_e32 vcc_lo, v60, v60
	v_cndmask_b32_e32 v4, 0x7fc0, v5, vcc_lo
	v_cmp_o_f32_e32 vcc_lo, v56, v56
	v_perm_b32 v3, v4, v3, 0x5040100
	v_cndmask_b32_e32 v2, 0x7fc0, v2, vcc_lo
	v_cmp_o_f32_e32 vcc_lo, v58, v58
	s_delay_alu instid0(VALU_DEP_2) | instskip(SKIP_2) | instid1(VALU_DEP_2)
	v_perm_b32 v2, v2, v6, 0x5040100
	v_cndmask_b32_e32 v5, 0x7fc0, v1, vcc_lo
	v_perm_b32 v1, v7, v8, 0x5040100
	v_perm_b32 v0, v5, v0, 0x5040100
	ds_store_b128 v27, v[0:3]
	; wave barrier
	ds_load_u16 v8, v20 offset:64
	ds_load_u16 v7, v21 offset:128
	;; [unrolled: 1-line block ×7, first 2 shown]
	v_add_co_u32 v0, vcc_lo, v38, s20
	v_add_co_ci_u32_e32 v1, vcc_lo, s21, v39, vcc_lo
	s_and_saveexec_b32 s20, s12
	s_cbranch_execnz .LBB42_132
; %bb.123:                              ;   in Loop: Header=BB42_12 Depth=1
	s_or_b32 exec_lo, exec_lo, s20
	s_and_saveexec_b32 s12, s13
	s_cbranch_execnz .LBB42_133
.LBB42_124:                             ;   in Loop: Header=BB42_12 Depth=1
	s_or_b32 exec_lo, exec_lo, s12
	s_and_saveexec_b32 s12, s14
	s_cbranch_execnz .LBB42_134
.LBB42_125:                             ;   in Loop: Header=BB42_12 Depth=1
	s_or_b32 exec_lo, exec_lo, s12
	s_and_saveexec_b32 s12, s15
	s_cbranch_execnz .LBB42_135
.LBB42_126:                             ;   in Loop: Header=BB42_12 Depth=1
	s_or_b32 exec_lo, exec_lo, s12
	s_and_saveexec_b32 s12, s16
	s_cbranch_execnz .LBB42_136
.LBB42_127:                             ;   in Loop: Header=BB42_12 Depth=1
	s_or_b32 exec_lo, exec_lo, s12
	s_and_saveexec_b32 s12, s17
	s_cbranch_execnz .LBB42_137
.LBB42_128:                             ;   in Loop: Header=BB42_12 Depth=1
	s_or_b32 exec_lo, exec_lo, s12
	s_and_saveexec_b32 s12, s18
	s_cbranch_execnz .LBB42_138
.LBB42_129:                             ;   in Loop: Header=BB42_12 Depth=1
	s_or_b32 exec_lo, exec_lo, s12
	s_and_saveexec_b32 s12, s19
	s_cbranch_execz .LBB42_11
	s_branch .LBB42_139
.LBB42_130:                             ;   in Loop: Header=BB42_12 Depth=1
	global_load_u16 v51, v[4:5], off offset:320
	s_or_b32 exec_lo, exec_lo, s20
	s_and_saveexec_b32 s20, s18
	s_cbranch_execz .LBB42_40
.LBB42_131:                             ;   in Loop: Header=BB42_12 Depth=1
	global_load_u16 v50, v[4:5], off offset:384
	s_or_b32 exec_lo, exec_lo, s20
	v_mov_b32_e32 v52, 0
	s_and_saveexec_b32 s20, s19
	s_cbranch_execnz .LBB42_41
	s_branch .LBB42_42
.LBB42_132:                             ;   in Loop: Header=BB42_12 Depth=1
	ds_load_u16 v9, v20
	s_waitcnt lgkmcnt(0)
	global_store_b16 v[0:1], v9, off
	s_or_b32 exec_lo, exec_lo, s20
	s_and_saveexec_b32 s12, s13
	s_cbranch_execz .LBB42_124
.LBB42_133:                             ;   in Loop: Header=BB42_12 Depth=1
	s_waitcnt lgkmcnt(6)
	global_store_b16 v[0:1], v8, off offset:64
	s_or_b32 exec_lo, exec_lo, s12
	s_and_saveexec_b32 s12, s14
	s_cbranch_execz .LBB42_125
.LBB42_134:                             ;   in Loop: Header=BB42_12 Depth=1
	s_waitcnt lgkmcnt(5)
	global_store_b16 v[0:1], v7, off offset:128
	s_or_b32 exec_lo, exec_lo, s12
	s_and_saveexec_b32 s12, s15
	s_cbranch_execz .LBB42_126
.LBB42_135:                             ;   in Loop: Header=BB42_12 Depth=1
	s_waitcnt lgkmcnt(4)
	global_store_b16 v[0:1], v6, off offset:192
	s_or_b32 exec_lo, exec_lo, s12
	s_and_saveexec_b32 s12, s16
	s_cbranch_execz .LBB42_127
.LBB42_136:                             ;   in Loop: Header=BB42_12 Depth=1
	s_waitcnt lgkmcnt(3)
	global_store_b16 v[0:1], v5, off offset:256
	s_or_b32 exec_lo, exec_lo, s12
	s_and_saveexec_b32 s12, s17
	s_cbranch_execz .LBB42_128
.LBB42_137:                             ;   in Loop: Header=BB42_12 Depth=1
	s_waitcnt lgkmcnt(2)
	global_store_b16 v[0:1], v4, off offset:320
	s_or_b32 exec_lo, exec_lo, s12
	s_and_saveexec_b32 s12, s18
	s_cbranch_execz .LBB42_129
.LBB42_138:                             ;   in Loop: Header=BB42_12 Depth=1
	s_waitcnt lgkmcnt(1)
	global_store_b16 v[0:1], v3, off offset:384
	s_or_b32 exec_lo, exec_lo, s12
	s_and_saveexec_b32 s12, s19
	s_cbranch_execz .LBB42_11
.LBB42_139:                             ;   in Loop: Header=BB42_12 Depth=1
	s_waitcnt lgkmcnt(0)
	global_store_b16 v[0:1], v2, off offset:448
	s_branch .LBB42_11
.LBB42_140:
	s_nop 0
	s_sendmsg sendmsg(MSG_DEALLOC_VGPRS)
	s_endpgm
	.section	.rodata,"a",@progbits
	.p2align	6, 0x0
	.amdhsa_kernel _Z25selective_scan_fwd_kernelI32Selective_Scan_fwd_kernel_traitsILi64ELi8ELi1ELb1ELb1ELb1ELb0ELb1EN3c108BFloat16EffEEv13SSMParamsBase
		.amdhsa_group_segment_fixed_size 0
		.amdhsa_private_segment_fixed_size 0
		.amdhsa_kernarg_size 248
		.amdhsa_user_sgpr_count 14
		.amdhsa_user_sgpr_dispatch_ptr 0
		.amdhsa_user_sgpr_queue_ptr 0
		.amdhsa_user_sgpr_kernarg_segment_ptr 1
		.amdhsa_user_sgpr_dispatch_id 0
		.amdhsa_user_sgpr_private_segment_size 0
		.amdhsa_wavefront_size32 1
		.amdhsa_uses_dynamic_stack 0
		.amdhsa_enable_private_segment 0
		.amdhsa_system_sgpr_workgroup_id_x 1
		.amdhsa_system_sgpr_workgroup_id_y 1
		.amdhsa_system_sgpr_workgroup_id_z 0
		.amdhsa_system_sgpr_workgroup_info 0
		.amdhsa_system_vgpr_workitem_id 0
		.amdhsa_next_free_vgpr 95
		.amdhsa_next_free_sgpr 76
		.amdhsa_reserve_vcc 1
		.amdhsa_float_round_mode_32 0
		.amdhsa_float_round_mode_16_64 0
		.amdhsa_float_denorm_mode_32 3
		.amdhsa_float_denorm_mode_16_64 3
		.amdhsa_dx10_clamp 1
		.amdhsa_ieee_mode 1
		.amdhsa_fp16_overflow 0
		.amdhsa_workgroup_processor_mode 1
		.amdhsa_memory_ordered 1
		.amdhsa_forward_progress 0
		.amdhsa_shared_vgpr_count 0
		.amdhsa_exception_fp_ieee_invalid_op 0
		.amdhsa_exception_fp_denorm_src 0
		.amdhsa_exception_fp_ieee_div_zero 0
		.amdhsa_exception_fp_ieee_overflow 0
		.amdhsa_exception_fp_ieee_underflow 0
		.amdhsa_exception_fp_ieee_inexact 0
		.amdhsa_exception_int_div_zero 0
	.end_amdhsa_kernel
	.section	.text._Z25selective_scan_fwd_kernelI32Selective_Scan_fwd_kernel_traitsILi64ELi8ELi1ELb1ELb1ELb1ELb0ELb1EN3c108BFloat16EffEEv13SSMParamsBase,"axG",@progbits,_Z25selective_scan_fwd_kernelI32Selective_Scan_fwd_kernel_traitsILi64ELi8ELi1ELb1ELb1ELb1ELb0ELb1EN3c108BFloat16EffEEv13SSMParamsBase,comdat
.Lfunc_end42:
	.size	_Z25selective_scan_fwd_kernelI32Selective_Scan_fwd_kernel_traitsILi64ELi8ELi1ELb1ELb1ELb1ELb0ELb1EN3c108BFloat16EffEEv13SSMParamsBase, .Lfunc_end42-_Z25selective_scan_fwd_kernelI32Selective_Scan_fwd_kernel_traitsILi64ELi8ELi1ELb1ELb1ELb1ELb0ELb1EN3c108BFloat16EffEEv13SSMParamsBase
                                        ; -- End function
	.section	.AMDGPU.csdata,"",@progbits
; Kernel info:
; codeLenInByte = 11788
; NumSgprs: 78
; NumVgprs: 95
; ScratchSize: 0
; MemoryBound: 0
; FloatMode: 240
; IeeeMode: 1
; LDSByteSize: 0 bytes/workgroup (compile time only)
; SGPRBlocks: 9
; VGPRBlocks: 11
; NumSGPRsForWavesPerEU: 78
; NumVGPRsForWavesPerEU: 95
; Occupancy: 16
; WaveLimiterHint : 1
; COMPUTE_PGM_RSRC2:SCRATCH_EN: 0
; COMPUTE_PGM_RSRC2:USER_SGPR: 14
; COMPUTE_PGM_RSRC2:TRAP_HANDLER: 0
; COMPUTE_PGM_RSRC2:TGID_X_EN: 1
; COMPUTE_PGM_RSRC2:TGID_Y_EN: 1
; COMPUTE_PGM_RSRC2:TGID_Z_EN: 0
; COMPUTE_PGM_RSRC2:TIDIG_COMP_CNT: 0
	.section	.text._Z25selective_scan_fwd_kernelI32Selective_Scan_fwd_kernel_traitsILi64ELi8ELi1ELb1ELb1ELb1ELb0ELb0EN3c108BFloat16EffEEv13SSMParamsBase,"axG",@progbits,_Z25selective_scan_fwd_kernelI32Selective_Scan_fwd_kernel_traitsILi64ELi8ELi1ELb1ELb1ELb1ELb0ELb0EN3c108BFloat16EffEEv13SSMParamsBase,comdat
	.protected	_Z25selective_scan_fwd_kernelI32Selective_Scan_fwd_kernel_traitsILi64ELi8ELi1ELb1ELb1ELb1ELb0ELb0EN3c108BFloat16EffEEv13SSMParamsBase ; -- Begin function _Z25selective_scan_fwd_kernelI32Selective_Scan_fwd_kernel_traitsILi64ELi8ELi1ELb1ELb1ELb1ELb0ELb0EN3c108BFloat16EffEEv13SSMParamsBase
	.globl	_Z25selective_scan_fwd_kernelI32Selective_Scan_fwd_kernel_traitsILi64ELi8ELi1ELb1ELb1ELb1ELb0ELb0EN3c108BFloat16EffEEv13SSMParamsBase
	.p2align	8
	.type	_Z25selective_scan_fwd_kernelI32Selective_Scan_fwd_kernel_traitsILi64ELi8ELi1ELb1ELb1ELb1ELb0ELb0EN3c108BFloat16EffEEv13SSMParamsBase,@function
_Z25selective_scan_fwd_kernelI32Selective_Scan_fwd_kernel_traitsILi64ELi8ELi1ELb1ELb1ELb1ELb0ELb0EN3c108BFloat16EffEEv13SSMParamsBase: ; @_Z25selective_scan_fwd_kernelI32Selective_Scan_fwd_kernel_traitsILi64ELi8ELi1ELb1ELb1ELb1ELb0ELb0EN3c108BFloat16EffEEv13SSMParamsBase
; %bb.0:
	s_clause 0x1
	s_load_b32 s11, s[0:1], 0x18
	s_load_b128 s[4:7], s[0:1], 0xe8
	s_mov_b32 s8, s15
	s_mov_b32 s33, 0
	s_waitcnt lgkmcnt(0)
	s_abs_i32 s10, s11
	s_cmp_eq_u64 s[6:7], 0
	v_cvt_f32_u32_e32 v1, s10
	s_delay_alu instid0(VALU_DEP_1) | instskip(SKIP_2) | instid1(VALU_DEP_1)
	v_rcp_iflag_f32_e32 v1, v1
	s_waitcnt_depctr 0xfff
	v_mul_f32_e32 v1, 0x4f7ffffe, v1
	v_cvt_u32_f32_e32 v1, v1
	s_delay_alu instid0(VALU_DEP_1)
	v_readfirstlane_b32 s12, v1
	s_cbranch_scc1 .LBB43_2
; %bb.1:
	v_mov_b32_e32 v1, 0
	s_ashr_i32 s3, s14, 31
	s_add_u32 s2, s6, s14
	s_addc_u32 s3, s7, s3
	global_load_u8 v1, v1, s[2:3]
	s_waitcnt vmcnt(0)
	v_and_b32_e32 v1, 1, v1
	s_delay_alu instid0(VALU_DEP_1)
	v_cmp_eq_u32_e64 s33, 1, v1
.LBB43_2:
	s_load_b64 s[6:7], s[0:1], 0x20
	s_cmp_eq_u64 s[4:5], 0
	s_cbranch_scc1 .LBB43_4
; %bb.3:
	s_ashr_i32 s15, s14, 31
	s_delay_alu instid0(SALU_CYCLE_1) | instskip(NEXT) | instid1(SALU_CYCLE_1)
	s_lshl_b64 s[2:3], s[14:15], 2
	s_add_u32 s2, s4, s2
	s_addc_u32 s3, s5, s3
	s_load_b32 s2, s[2:3], 0x0
	s_waitcnt lgkmcnt(0)
	s_ashr_i32 s3, s2, 31
	s_delay_alu instid0(SALU_CYCLE_1)
	s_cmp_eq_u64 s[6:7], s[2:3]
	s_cbranch_scc0 .LBB43_5
	s_branch .LBB43_62
.LBB43_4:
	s_mov_b32 s2, s14
	s_delay_alu instid0(SALU_CYCLE_1)
	s_ashr_i32 s3, s2, 31
	s_waitcnt lgkmcnt(0)
	s_cmp_eq_u64 s[6:7], s[2:3]
	s_cbranch_scc1 .LBB43_62
.LBB43_5:
	s_clause 0x1
	s_load_b512 s[16:31], s[0:1], 0x88
	s_load_b64 s[34:35], s[0:1], 0x8
	s_mov_b32 s50, 0
	s_mov_b32 s51, 0
	s_waitcnt lgkmcnt(0)
	s_cmp_eq_u64 s[22:23], 0
	s_cbranch_scc1 .LBB43_7
; %bb.6:
	s_ashr_i32 s9, s8, 31
	s_delay_alu instid0(SALU_CYCLE_1) | instskip(NEXT) | instid1(SALU_CYCLE_1)
	s_lshl_b64 s[4:5], s[8:9], 2
	s_add_u32 s4, s22, s4
	s_addc_u32 s5, s23, s5
	s_load_b32 s51, s[4:5], 0x0
.LBB43_7:
	s_cmp_eq_u64 s[28:29], 0
	s_cbranch_scc1 .LBB43_9
; %bb.8:
	s_ashr_i32 s9, s8, 31
	s_delay_alu instid0(SALU_CYCLE_1) | instskip(NEXT) | instid1(SALU_CYCLE_1)
	s_lshl_b64 s[4:5], s[8:9], 2
	s_add_u32 s4, s28, s4
	s_addc_u32 s5, s29, s5
	s_load_b32 s50, s[4:5], 0x0
.LBB43_9:
	s_cmp_lt_i32 s34, 1
	s_cbranch_scc1 .LBB43_62
; %bb.10:
	s_sub_i32 s3, 0, s10
	s_clause 0x1
	s_load_b64 s[4:5], s[0:1], 0x5c
	s_load_b128 s[44:47], s[0:1], 0x4c
	s_mul_i32 s3, s3, s12
	s_abs_i32 s6, s8
	s_mul_hi_u32 s3, s12, s3
	s_ashr_i32 s9, s11, 31
	s_add_i32 s12, s12, s3
	s_ashr_i32 s3, s8, 31
	s_mul_hi_u32 s7, s6, s12
	s_xor_b32 s3, s3, s9
	s_mul_i32 s11, s7, s10
	s_add_i32 s9, s7, 1
	s_sub_i32 s6, s6, s11
	s_load_b256 s[36:43], s[0:1], 0x2c
	s_sub_i32 s11, s6, s10
	s_cmp_ge_u32 s6, s10
	s_mov_b32 s29, 0
	s_cselect_b32 s7, s9, s7
	s_cselect_b32 s6, s11, s6
	s_add_i32 s9, s7, 1
	s_cmp_ge_u32 s6, s10
	s_waitcnt lgkmcnt(0)
	s_mul_i32 s28, s46, s14
	s_cselect_b32 s6, s9, s7
	v_lshrrev_b32_e32 v1, 2, v0
	s_xor_b32 s9, s6, s3
	s_lshl_b64 s[6:7], s[28:29], 1
	s_sub_i32 s3, s9, s3
	s_mul_i32 s28, s47, s8
	s_add_u32 s9, s24, s6
	s_addc_u32 s10, s25, s7
	s_lshl_b64 s[6:7], s[28:29], 1
	s_mul_i32 s28, s4, s14
	s_add_u32 s46, s9, s6
	s_addc_u32 s47, s10, s7
	s_lshl_b64 s[6:7], s[28:29], 1
	s_mul_i32 s28, s5, s8
	s_add_u32 s6, s26, s6
	s_addc_u32 s7, s27, s7
	s_lshl_b64 s[4:5], s[28:29], 1
	s_load_b128 s[24:27], s[0:1], 0x7c
	s_mul_i32 s28, s36, s8
	s_add_u32 s48, s6, s4
	s_addc_u32 s49, s7, s5
	s_lshl_b64 s[4:5], s[28:29], 2
	s_mul_i32 s28, s38, s14
	s_load_b64 s[6:7], s[0:1], 0xc8
	s_add_u32 s23, s16, s4
	s_waitcnt lgkmcnt(0)
	s_addc_u32 s27, s17, s5
	s_lshl_b64 s[4:5], s[28:29], 1
	s_mul_i32 s28, s3, s41
	s_add_u32 s9, s18, s4
	s_addc_u32 s10, s19, s5
	s_lshl_b64 s[4:5], s[28:29], 1
	s_mul_i32 s28, s42, s14
	s_add_u32 s36, s9, s4
	s_load_b32 s9, s[0:1], 0x28
	s_addc_u32 s41, s10, s5
	s_load_b64 s[10:11], s[0:1], 0x6c
	s_lshl_b64 s[4:5], s[28:29], 1
	s_mul_i32 s28, s3, s45
	s_add_u32 s12, s20, s4
	s_addc_u32 s3, s21, s5
	s_lshl_b64 s[4:5], s[28:29], 1
	s_mul_i32 s28, s2, s24
	s_add_u32 s45, s12, s4
	s_addc_u32 s52, s3, s5
	;; [unrolled: 4-line block ×3, first 2 shown]
	s_lshl_b64 s[0:1], s[28:29], 2
	v_dual_mov_b32 v18, 0 :: v_dual_and_b32 v1, 8, v1
	s_add_u32 s53, s2, s0
	s_addc_u32 s54, s3, s1
	s_add_i32 s0, s34, 0x7ff
	v_or_b32_e32 v2, 31, v0
	s_lshr_b32 s55, s0, 11
	s_waitcnt lgkmcnt(0)
	s_bitcmp1_b32 s9, 0
	s_mul_i32 s28, s10, s14
	s_cselect_b32 s56, -1, 0
	s_cmp_gt_i32 s35, 0
	v_add_nc_u32_e32 v20, 0, v1
	s_cselect_b32 s57, -1, 0
	s_and_b32 s1, s34, 0x1ff
	v_lshlrev_b32_e32 v1, 4, v0
	s_cmp_eq_u32 s1, 0
	v_lshlrev_b32_e32 v19, 3, v0
	s_cselect_b32 s58, -1, 0
	s_lshl_b64 s[6:7], s[28:29], 1
	s_add_i32 s59, s55, -1
	s_mul_i32 s28, s11, s8
	s_add_u32 s9, s30, s6
	s_addc_u32 s8, s31, s7
	s_lshl_b64 s[6:7], s[28:29], 1
	v_cmp_gt_u32_e64 s0, 64, v0
	s_add_u32 s6, s9, s6
	s_addc_u32 s7, s8, s7
	v_add_co_u32 v22, s6, s6, v1
	v_cmp_eq_u32_e64 s1, v2, v0
	v_cmp_gt_u32_e64 s2, 2, v0
	v_add_nc_u32_e32 v21, 0, v19
	v_cmp_gt_u32_e64 s3, 32, v0
	v_cmp_lt_u32_e64 s4, 31, v0
	v_cmp_eq_u32_e64 s5, 0, v0
	v_add_co_ci_u32_e64 v23, null, s7, 0, s6
	v_or_b32_e32 v24, 1, v19
	v_or_b32_e32 v25, 2, v19
	;; [unrolled: 1-line block ×7, first 2 shown]
	v_lshlrev_b32_e32 v31, 4, v0
	v_mbcnt_lo_u32_b32 v32, -1, 0
	s_mov_b32 s60, 0x3e9b6dac
	s_add_i32 s61, 0, 0x850
	s_mov_b32 s62, 0
                                        ; implicit-def: $vgpr40
                                        ; implicit-def: $vgpr7
                                        ; implicit-def: $vgpr39
                                        ; implicit-def: $vgpr37
                                        ; implicit-def: $vgpr35
                                        ; implicit-def: $vgpr0
                                        ; implicit-def: $vgpr33
                                        ; implicit-def: $vgpr34
                                        ; implicit-def: $vgpr36
                                        ; implicit-def: $vgpr38
	s_branch .LBB43_12
.LBB43_11:                              ;   in Loop: Header=BB43_12 Depth=1
	v_bfe_u32 v8, v55, 16, 1
	v_bfe_u32 v9, v54, 16, 1
	;; [unrolled: 1-line block ×3, first 2 shown]
	v_cmp_o_f32_e32 vcc_lo, v55, v55
	v_bfe_u32 v11, v52, 16, 1
	v_add3_u32 v8, v55, v8, 0x7fff
	v_add3_u32 v9, v54, v9, 0x7fff
	;; [unrolled: 1-line block ×3, first 2 shown]
	v_bfe_u32 v12, v51, 16, 1
	v_add3_u32 v11, v52, v11, 0x7fff
	v_lshrrev_b32_e32 v8, 16, v8
	v_lshrrev_b32_e32 v9, 16, v9
	v_bfe_u32 v13, v48, 16, 1
	v_add3_u32 v12, v51, v12, 0x7fff
	v_lshrrev_b32_e32 v11, 16, v11
	v_cndmask_b32_e32 v8, 0x7fc0, v8, vcc_lo
	v_cmp_o_f32_e32 vcc_lo, v54, v54
	v_bfe_u32 v15, v50, 16, 1
	s_add_u32 s48, s48, 0x400
	s_addc_u32 s49, s49, 0
	s_mov_b32 s25, s29
	v_cndmask_b32_e32 v14, 0x7fc0, v9, vcc_lo
	v_lshrrev_b32_e32 v9, 16, v10
	v_cmp_o_f32_e32 vcc_lo, v53, v53
	v_bfe_u32 v10, v49, 16, 1
	s_add_u32 s46, s46, 0x400
	s_addc_u32 s47, s47, 0
	s_lshl_b64 s[6:7], s[24:25], 1
	v_cndmask_b32_e32 v9, 0x7fc0, v9, vcc_lo
	v_cmp_o_f32_e32 vcc_lo, v52, v52
	v_add3_u32 v10, v49, v10, 0x7fff
	s_add_u32 s36, s36, 0x400
	s_addc_u32 s41, s41, 0
	v_perm_b32 v8, v14, v8, 0x5040100
	v_cndmask_b32_e32 v16, 0x7fc0, v11, vcc_lo
	v_lshrrev_b32_e32 v11, 16, v12
	v_cmp_o_f32_e32 vcc_lo, v51, v51
	v_add3_u32 v12, v48, v13, 0x7fff
	v_add3_u32 v13, v50, v15, 0x7fff
	v_lshrrev_b32_e32 v10, 16, v10
	v_perm_b32 v9, v16, v9, 0x5040100
	v_cndmask_b32_e32 v15, 0x7fc0, v11, vcc_lo
	v_cmp_o_f32_e32 vcc_lo, v49, v49
	v_lshrrev_b32_e32 v11, 16, v12
	v_lshrrev_b32_e32 v12, 16, v13
	s_add_u32 s45, s45, 0x400
	s_addc_u32 s52, s52, 0
	v_cndmask_b32_e32 v10, 0x7fc0, v10, vcc_lo
	v_cmp_o_f32_e32 vcc_lo, v48, v48
	s_add_i32 s62, s62, 1
	s_waitcnt_vscnt null, 0x0
	s_cmp_eq_u32 s62, s55
	v_perm_b32 v10, v10, v15, 0x5040100
	v_cndmask_b32_e32 v11, 0x7fc0, v11, vcc_lo
	v_cmp_o_f32_e32 vcc_lo, v50, v50
	s_barrier
	buffer_gl0_inv
	v_cndmask_b32_e32 v17, 0x7fc0, v12, vcc_lo
	v_add_co_u32 v12, vcc_lo, v22, s6
	v_add_co_ci_u32_e32 v13, vcc_lo, s7, v23, vcc_lo
	s_delay_alu instid0(VALU_DEP_3)
	v_perm_b32 v11, v17, v11, 0x5040100
	global_store_b128 v[12:13], v[8:11], off
	s_cbranch_scc1 .LBB43_62
.LBB43_12:                              ; =>This Loop Header: Depth=1
                                        ;     Child Loop BB43_33 Depth 2
	s_waitcnt_vscnt null, 0x0
	s_barrier
	buffer_gl0_inv
	s_and_saveexec_b32 s6, s0
	s_cbranch_execz .LBB43_14
; %bb.13:                               ;   in Loop: Header=BB43_12 Depth=1
	s_clause 0x1
	global_load_b128 v[0:3], v31, s[46:47]
	global_load_b128 v[4:7], v31, s[48:49]
	s_waitcnt vmcnt(1)
	v_lshrrev_b32_e32 v33, 16, v0
	v_lshrrev_b32_e32 v34, 16, v1
	;; [unrolled: 1-line block ×4, first 2 shown]
	s_waitcnt vmcnt(0)
	v_lshrrev_b32_e32 v35, 16, v4
	v_lshrrev_b32_e32 v37, 16, v5
	v_lshrrev_b32_e32 v39, 16, v6
	v_lshrrev_b32_e32 v40, 16, v7
.LBB43_14:                              ;   in Loop: Header=BB43_12 Depth=1
	s_or_b32 exec_lo, exec_lo, s6
	v_lshlrev_b32_e32 v8, 16, v4
	s_delay_alu instid0(VALU_DEP_1) | instskip(NEXT) | instid1(VALU_DEP_1)
	v_add_f32_e32 v41, s50, v8
	v_cmp_ge_f32_e32 vcc_lo, 0x41a00000, v41
	s_and_b32 s6, s56, vcc_lo
	s_delay_alu instid0(SALU_CYCLE_1)
	s_and_saveexec_b32 s7, s6
	s_cbranch_execz .LBB43_16
; %bb.15:                               ;   in Loop: Header=BB43_12 Depth=1
	v_mul_f32_e32 v8, 0x3fb8aa3b, v41
	v_cmp_ngt_f32_e32 vcc_lo, 0xc2ce8ed0, v41
	s_delay_alu instid0(VALU_DEP_2) | instskip(SKIP_1) | instid1(VALU_DEP_2)
	v_rndne_f32_e32 v9, v8
	v_fma_f32 v10, 0x3fb8aa3b, v41, -v8
	v_sub_f32_e32 v8, v8, v9
	s_delay_alu instid0(VALU_DEP_2) | instskip(SKIP_1) | instid1(VALU_DEP_2)
	v_fmac_f32_e32 v10, 0x32a5705f, v41
	v_cvt_i32_f32_e32 v9, v9
	v_add_f32_e32 v8, v8, v10
	s_delay_alu instid0(VALU_DEP_1) | instskip(SKIP_2) | instid1(VALU_DEP_1)
	v_exp_f32_e32 v8, v8
	s_waitcnt_depctr 0xfff
	v_ldexp_f32 v8, v8, v9
	v_cndmask_b32_e32 v8, 0, v8, vcc_lo
	v_cmp_nlt_f32_e32 vcc_lo, 0x42b17218, v41
	s_delay_alu instid0(VALU_DEP_2) | instskip(NEXT) | instid1(VALU_DEP_1)
	v_cndmask_b32_e32 v10, 0x7f800000, v8, vcc_lo
	v_add_f32_e32 v11, 1.0, v10
	s_delay_alu instid0(VALU_DEP_1) | instskip(NEXT) | instid1(VALU_DEP_1)
	v_cvt_f64_f32_e32 v[8:9], v11
	v_frexp_exp_i32_f64_e32 v8, v[8:9]
	v_frexp_mant_f32_e32 v9, v11
	s_delay_alu instid0(VALU_DEP_1) | instskip(SKIP_1) | instid1(VALU_DEP_1)
	v_cmp_gt_f32_e32 vcc_lo, 0x3f2aaaab, v9
	v_add_f32_e32 v9, -1.0, v11
	v_sub_f32_e32 v13, v9, v11
	v_sub_f32_e32 v9, v10, v9
	s_delay_alu instid0(VALU_DEP_2) | instskip(NEXT) | instid1(VALU_DEP_1)
	v_add_f32_e32 v13, 1.0, v13
	v_add_f32_e32 v9, v9, v13
	v_cmp_gt_f32_e64 s6, 0x33800000, v10
	v_subrev_co_ci_u32_e32 v8, vcc_lo, 0, v8, vcc_lo
	v_cmp_eq_f32_e32 vcc_lo, 0x7f800000, v10
	s_delay_alu instid0(VALU_DEP_2) | instskip(SKIP_2) | instid1(VALU_DEP_2)
	v_sub_nc_u32_e32 v12, 0, v8
	v_cvt_f32_i32_e32 v8, v8
	s_or_b32 vcc_lo, s6, vcc_lo
	v_ldexp_f32 v11, v11, v12
	v_ldexp_f32 v9, v9, v12
	s_delay_alu instid0(VALU_DEP_2) | instskip(NEXT) | instid1(VALU_DEP_1)
	v_add_f32_e32 v14, 1.0, v11
	v_dual_add_f32 v12, -1.0, v11 :: v_dual_add_f32 v13, -1.0, v14
	s_delay_alu instid0(VALU_DEP_1) | instskip(NEXT) | instid1(VALU_DEP_2)
	v_add_f32_e32 v15, 1.0, v12
	v_sub_f32_e32 v13, v11, v13
	s_delay_alu instid0(VALU_DEP_2) | instskip(NEXT) | instid1(VALU_DEP_2)
	v_sub_f32_e32 v11, v11, v15
	v_add_f32_e32 v13, v9, v13
	s_delay_alu instid0(VALU_DEP_2) | instskip(NEXT) | instid1(VALU_DEP_2)
	v_add_f32_e32 v9, v9, v11
	v_add_f32_e32 v15, v14, v13
	s_delay_alu instid0(VALU_DEP_2) | instskip(NEXT) | instid1(VALU_DEP_2)
	v_add_f32_e32 v16, v12, v9
	v_rcp_f32_e32 v11, v15
	v_sub_f32_e32 v14, v14, v15
	s_delay_alu instid0(VALU_DEP_1) | instskip(SKIP_2) | instid1(VALU_DEP_1)
	v_dual_sub_f32 v12, v12, v16 :: v_dual_add_f32 v13, v13, v14
	s_waitcnt_depctr 0xfff
	v_mul_f32_e32 v17, v16, v11
	v_mul_f32_e32 v41, v15, v17
	s_delay_alu instid0(VALU_DEP_1) | instskip(NEXT) | instid1(VALU_DEP_1)
	v_fma_f32 v14, v17, v15, -v41
	v_fmac_f32_e32 v14, v17, v13
	s_delay_alu instid0(VALU_DEP_1) | instskip(NEXT) | instid1(VALU_DEP_1)
	v_add_f32_e32 v42, v41, v14
	v_sub_f32_e32 v43, v16, v42
	s_delay_alu instid0(VALU_DEP_1) | instskip(SKIP_1) | instid1(VALU_DEP_2)
	v_dual_sub_f32 v16, v16, v43 :: v_dual_add_f32 v9, v9, v12
	v_sub_f32_e32 v12, v42, v41
	v_sub_f32_e32 v16, v16, v42
	s_delay_alu instid0(VALU_DEP_1) | instskip(NEXT) | instid1(VALU_DEP_1)
	v_dual_sub_f32 v12, v12, v14 :: v_dual_add_f32 v9, v9, v16
	v_add_f32_e32 v9, v12, v9
	s_delay_alu instid0(VALU_DEP_1) | instskip(NEXT) | instid1(VALU_DEP_1)
	v_add_f32_e32 v12, v43, v9
	v_mul_f32_e32 v14, v11, v12
	v_sub_f32_e32 v42, v43, v12
	s_delay_alu instid0(VALU_DEP_2) | instskip(NEXT) | instid1(VALU_DEP_2)
	v_mul_f32_e32 v16, v15, v14
	v_add_f32_e32 v9, v9, v42
	s_delay_alu instid0(VALU_DEP_2) | instskip(NEXT) | instid1(VALU_DEP_1)
	v_fma_f32 v15, v14, v15, -v16
	v_fmac_f32_e32 v15, v14, v13
	s_delay_alu instid0(VALU_DEP_1) | instskip(NEXT) | instid1(VALU_DEP_1)
	v_add_f32_e32 v13, v16, v15
	v_sub_f32_e32 v41, v12, v13
	s_delay_alu instid0(VALU_DEP_1) | instskip(NEXT) | instid1(VALU_DEP_1)
	v_sub_f32_e32 v12, v12, v41
	v_sub_f32_e32 v12, v12, v13
	s_delay_alu instid0(VALU_DEP_1) | instskip(SKIP_2) | instid1(VALU_DEP_1)
	v_add_f32_e32 v9, v9, v12
	v_add_f32_e32 v12, v17, v14
	v_sub_f32_e32 v16, v13, v16
	v_sub_f32_e32 v13, v16, v15
	s_delay_alu instid0(VALU_DEP_1) | instskip(NEXT) | instid1(VALU_DEP_4)
	v_add_f32_e32 v9, v13, v9
	v_sub_f32_e32 v13, v12, v17
	s_delay_alu instid0(VALU_DEP_2) | instskip(NEXT) | instid1(VALU_DEP_2)
	v_add_f32_e32 v9, v41, v9
	v_sub_f32_e32 v13, v14, v13
	s_delay_alu instid0(VALU_DEP_2) | instskip(NEXT) | instid1(VALU_DEP_1)
	v_mul_f32_e32 v9, v11, v9
	v_add_f32_e32 v9, v13, v9
	s_delay_alu instid0(VALU_DEP_1) | instskip(NEXT) | instid1(VALU_DEP_1)
	v_add_f32_e32 v11, v12, v9
	v_mul_f32_e32 v13, v11, v11
	s_delay_alu instid0(VALU_DEP_1) | instskip(SKIP_1) | instid1(VALU_DEP_2)
	v_fmaak_f32 v14, s60, v13, 0x3ecc95a3
	v_mul_f32_e32 v15, v11, v13
	v_fmaak_f32 v13, v13, v14, 0x3f2aaada
	v_ldexp_f32 v14, v11, 1
	s_delay_alu instid0(VALU_DEP_2) | instskip(SKIP_1) | instid1(VALU_DEP_2)
	v_mul_f32_e32 v13, v15, v13
	v_sub_f32_e32 v11, v11, v12
	v_dual_mul_f32 v15, 0x3f317218, v8 :: v_dual_add_f32 v12, v14, v13
	s_delay_alu instid0(VALU_DEP_2) | instskip(NEXT) | instid1(VALU_DEP_2)
	v_sub_f32_e32 v9, v9, v11
	v_sub_f32_e32 v11, v12, v14
	s_delay_alu instid0(VALU_DEP_3) | instskip(NEXT) | instid1(VALU_DEP_3)
	v_fma_f32 v14, 0x3f317218, v8, -v15
	v_ldexp_f32 v9, v9, 1
	s_delay_alu instid0(VALU_DEP_2) | instskip(NEXT) | instid1(VALU_DEP_1)
	v_dual_sub_f32 v11, v13, v11 :: v_dual_fmac_f32 v14, 0xb102e308, v8
	v_dual_add_f32 v8, v9, v11 :: v_dual_add_f32 v9, v15, v14
	s_delay_alu instid0(VALU_DEP_1) | instskip(NEXT) | instid1(VALU_DEP_1)
	v_add_f32_e32 v11, v12, v8
	v_dual_add_f32 v13, v9, v11 :: v_dual_sub_f32 v12, v11, v12
	s_delay_alu instid0(VALU_DEP_1) | instskip(NEXT) | instid1(VALU_DEP_2)
	v_sub_f32_e32 v16, v13, v9
	v_dual_sub_f32 v15, v9, v15 :: v_dual_sub_f32 v8, v8, v12
	s_delay_alu instid0(VALU_DEP_1) | instskip(SKIP_1) | instid1(VALU_DEP_2)
	v_dual_sub_f32 v17, v13, v16 :: v_dual_sub_f32 v14, v14, v15
	v_sub_f32_e32 v11, v11, v16
	v_dual_sub_f32 v9, v9, v17 :: v_dual_add_f32 v12, v14, v8
	s_delay_alu instid0(VALU_DEP_1) | instskip(NEXT) | instid1(VALU_DEP_2)
	v_add_f32_e32 v9, v11, v9
	v_sub_f32_e32 v11, v12, v14
	s_delay_alu instid0(VALU_DEP_2) | instskip(NEXT) | instid1(VALU_DEP_2)
	v_add_f32_e32 v9, v12, v9
	v_sub_f32_e32 v12, v12, v11
	s_delay_alu instid0(VALU_DEP_2) | instskip(NEXT) | instid1(VALU_DEP_1)
	v_dual_sub_f32 v8, v8, v11 :: v_dual_add_f32 v15, v13, v9
	v_dual_sub_f32 v12, v14, v12 :: v_dual_sub_f32 v11, v15, v13
	s_delay_alu instid0(VALU_DEP_1) | instskip(NEXT) | instid1(VALU_DEP_1)
	v_dual_add_f32 v8, v8, v12 :: v_dual_sub_f32 v9, v9, v11
	v_add_f32_e32 v8, v8, v9
	s_delay_alu instid0(VALU_DEP_1) | instskip(NEXT) | instid1(VALU_DEP_1)
	v_add_f32_e32 v8, v15, v8
	v_cndmask_b32_e32 v41, v8, v10, vcc_lo
.LBB43_16:                              ;   in Loop: Header=BB43_12 Depth=1
	s_or_b32 exec_lo, exec_lo, s7
	v_lshlrev_b32_e32 v8, 16, v35
	s_delay_alu instid0(VALU_DEP_1) | instskip(NEXT) | instid1(VALU_DEP_1)
	v_add_f32_e32 v42, s50, v8
	v_cmp_ge_f32_e32 vcc_lo, 0x41a00000, v42
	s_and_b32 s6, s56, vcc_lo
	s_delay_alu instid0(SALU_CYCLE_1)
	s_and_saveexec_b32 s7, s6
	s_cbranch_execz .LBB43_18
; %bb.17:                               ;   in Loop: Header=BB43_12 Depth=1
	v_mul_f32_e32 v8, 0x3fb8aa3b, v42
	v_cmp_ngt_f32_e32 vcc_lo, 0xc2ce8ed0, v42
	s_delay_alu instid0(VALU_DEP_2) | instskip(SKIP_1) | instid1(VALU_DEP_2)
	v_rndne_f32_e32 v9, v8
	v_fma_f32 v10, 0x3fb8aa3b, v42, -v8
	v_sub_f32_e32 v8, v8, v9
	s_delay_alu instid0(VALU_DEP_2) | instskip(SKIP_1) | instid1(VALU_DEP_2)
	v_fmac_f32_e32 v10, 0x32a5705f, v42
	v_cvt_i32_f32_e32 v9, v9
	v_add_f32_e32 v8, v8, v10
	s_delay_alu instid0(VALU_DEP_1) | instskip(SKIP_2) | instid1(VALU_DEP_1)
	v_exp_f32_e32 v8, v8
	s_waitcnt_depctr 0xfff
	v_ldexp_f32 v8, v8, v9
	v_cndmask_b32_e32 v8, 0, v8, vcc_lo
	v_cmp_nlt_f32_e32 vcc_lo, 0x42b17218, v42
	s_delay_alu instid0(VALU_DEP_2) | instskip(NEXT) | instid1(VALU_DEP_1)
	v_cndmask_b32_e32 v10, 0x7f800000, v8, vcc_lo
	v_add_f32_e32 v11, 1.0, v10
	s_delay_alu instid0(VALU_DEP_1) | instskip(NEXT) | instid1(VALU_DEP_1)
	v_cvt_f64_f32_e32 v[8:9], v11
	v_frexp_exp_i32_f64_e32 v8, v[8:9]
	v_frexp_mant_f32_e32 v9, v11
	s_delay_alu instid0(VALU_DEP_1) | instskip(SKIP_1) | instid1(VALU_DEP_1)
	v_cmp_gt_f32_e32 vcc_lo, 0x3f2aaaab, v9
	v_add_f32_e32 v9, -1.0, v11
	v_sub_f32_e32 v13, v9, v11
	v_sub_f32_e32 v9, v10, v9
	s_delay_alu instid0(VALU_DEP_2) | instskip(NEXT) | instid1(VALU_DEP_1)
	v_add_f32_e32 v13, 1.0, v13
	v_add_f32_e32 v9, v9, v13
	v_cmp_gt_f32_e64 s6, 0x33800000, v10
	v_subrev_co_ci_u32_e32 v8, vcc_lo, 0, v8, vcc_lo
	v_cmp_eq_f32_e32 vcc_lo, 0x7f800000, v10
	s_delay_alu instid0(VALU_DEP_2) | instskip(SKIP_2) | instid1(VALU_DEP_2)
	v_sub_nc_u32_e32 v12, 0, v8
	v_cvt_f32_i32_e32 v8, v8
	s_or_b32 vcc_lo, s6, vcc_lo
	v_ldexp_f32 v11, v11, v12
	v_ldexp_f32 v9, v9, v12
	s_delay_alu instid0(VALU_DEP_2) | instskip(NEXT) | instid1(VALU_DEP_1)
	v_add_f32_e32 v14, 1.0, v11
	v_dual_add_f32 v12, -1.0, v11 :: v_dual_add_f32 v13, -1.0, v14
	s_delay_alu instid0(VALU_DEP_1) | instskip(NEXT) | instid1(VALU_DEP_2)
	v_add_f32_e32 v15, 1.0, v12
	v_sub_f32_e32 v13, v11, v13
	s_delay_alu instid0(VALU_DEP_2) | instskip(NEXT) | instid1(VALU_DEP_2)
	v_sub_f32_e32 v11, v11, v15
	v_add_f32_e32 v13, v9, v13
	s_delay_alu instid0(VALU_DEP_2) | instskip(NEXT) | instid1(VALU_DEP_1)
	v_add_f32_e32 v9, v9, v11
	v_add_f32_e32 v16, v12, v9
	s_delay_alu instid0(VALU_DEP_1) | instskip(NEXT) | instid1(VALU_DEP_1)
	v_dual_add_f32 v15, v14, v13 :: v_dual_sub_f32 v12, v12, v16
	v_rcp_f32_e32 v11, v15
	v_sub_f32_e32 v14, v14, v15
	s_delay_alu instid0(VALU_DEP_1) | instskip(SKIP_2) | instid1(VALU_DEP_1)
	v_add_f32_e32 v13, v13, v14
	s_waitcnt_depctr 0xfff
	v_mul_f32_e32 v17, v16, v11
	v_mul_f32_e32 v42, v15, v17
	s_delay_alu instid0(VALU_DEP_1) | instskip(NEXT) | instid1(VALU_DEP_1)
	v_fma_f32 v14, v17, v15, -v42
	v_fmac_f32_e32 v14, v17, v13
	s_delay_alu instid0(VALU_DEP_1) | instskip(NEXT) | instid1(VALU_DEP_1)
	v_add_f32_e32 v43, v42, v14
	v_sub_f32_e32 v44, v16, v43
	s_delay_alu instid0(VALU_DEP_1) | instskip(SKIP_1) | instid1(VALU_DEP_2)
	v_sub_f32_e32 v16, v16, v44
	v_dual_add_f32 v9, v9, v12 :: v_dual_sub_f32 v12, v43, v42
	v_sub_f32_e32 v16, v16, v43
	s_delay_alu instid0(VALU_DEP_1) | instskip(NEXT) | instid1(VALU_DEP_1)
	v_dual_sub_f32 v12, v12, v14 :: v_dual_add_f32 v9, v9, v16
	v_add_f32_e32 v9, v12, v9
	s_delay_alu instid0(VALU_DEP_1) | instskip(NEXT) | instid1(VALU_DEP_1)
	v_add_f32_e32 v12, v44, v9
	v_mul_f32_e32 v14, v11, v12
	s_delay_alu instid0(VALU_DEP_1) | instskip(NEXT) | instid1(VALU_DEP_1)
	v_dual_sub_f32 v43, v44, v12 :: v_dual_mul_f32 v16, v15, v14
	v_add_f32_e32 v9, v9, v43
	s_delay_alu instid0(VALU_DEP_2) | instskip(NEXT) | instid1(VALU_DEP_1)
	v_fma_f32 v15, v14, v15, -v16
	v_fmac_f32_e32 v15, v14, v13
	s_delay_alu instid0(VALU_DEP_1) | instskip(NEXT) | instid1(VALU_DEP_1)
	v_add_f32_e32 v13, v16, v15
	v_sub_f32_e32 v42, v12, v13
	s_delay_alu instid0(VALU_DEP_1) | instskip(NEXT) | instid1(VALU_DEP_1)
	v_sub_f32_e32 v12, v12, v42
	v_sub_f32_e32 v12, v12, v13
	s_delay_alu instid0(VALU_DEP_1) | instskip(SKIP_2) | instid1(VALU_DEP_1)
	v_add_f32_e32 v9, v9, v12
	v_add_f32_e32 v12, v17, v14
	v_sub_f32_e32 v16, v13, v16
	v_sub_f32_e32 v13, v16, v15
	s_delay_alu instid0(VALU_DEP_1) | instskip(NEXT) | instid1(VALU_DEP_4)
	v_add_f32_e32 v9, v13, v9
	v_sub_f32_e32 v13, v12, v17
	s_delay_alu instid0(VALU_DEP_2) | instskip(NEXT) | instid1(VALU_DEP_2)
	v_add_f32_e32 v9, v42, v9
	v_sub_f32_e32 v13, v14, v13
	s_delay_alu instid0(VALU_DEP_2) | instskip(NEXT) | instid1(VALU_DEP_1)
	v_mul_f32_e32 v9, v11, v9
	v_add_f32_e32 v9, v13, v9
	s_delay_alu instid0(VALU_DEP_1) | instskip(NEXT) | instid1(VALU_DEP_1)
	v_add_f32_e32 v11, v12, v9
	v_mul_f32_e32 v13, v11, v11
	s_delay_alu instid0(VALU_DEP_1) | instskip(SKIP_1) | instid1(VALU_DEP_2)
	v_fmaak_f32 v14, s60, v13, 0x3ecc95a3
	v_mul_f32_e32 v15, v11, v13
	v_fmaak_f32 v13, v13, v14, 0x3f2aaada
	v_ldexp_f32 v14, v11, 1
	s_delay_alu instid0(VALU_DEP_2) | instskip(SKIP_1) | instid1(VALU_DEP_2)
	v_mul_f32_e32 v13, v15, v13
	v_sub_f32_e32 v11, v11, v12
	v_dual_mul_f32 v15, 0x3f317218, v8 :: v_dual_add_f32 v12, v14, v13
	s_delay_alu instid0(VALU_DEP_2) | instskip(NEXT) | instid1(VALU_DEP_2)
	v_sub_f32_e32 v9, v9, v11
	v_sub_f32_e32 v11, v12, v14
	s_delay_alu instid0(VALU_DEP_3) | instskip(NEXT) | instid1(VALU_DEP_3)
	v_fma_f32 v14, 0x3f317218, v8, -v15
	v_ldexp_f32 v9, v9, 1
	s_delay_alu instid0(VALU_DEP_2) | instskip(NEXT) | instid1(VALU_DEP_1)
	v_dual_sub_f32 v11, v13, v11 :: v_dual_fmac_f32 v14, 0xb102e308, v8
	v_dual_add_f32 v8, v9, v11 :: v_dual_add_f32 v9, v15, v14
	s_delay_alu instid0(VALU_DEP_1) | instskip(NEXT) | instid1(VALU_DEP_1)
	v_add_f32_e32 v11, v12, v8
	v_dual_add_f32 v13, v9, v11 :: v_dual_sub_f32 v12, v11, v12
	s_delay_alu instid0(VALU_DEP_1) | instskip(NEXT) | instid1(VALU_DEP_2)
	v_sub_f32_e32 v16, v13, v9
	v_dual_sub_f32 v15, v9, v15 :: v_dual_sub_f32 v8, v8, v12
	s_delay_alu instid0(VALU_DEP_1) | instskip(SKIP_1) | instid1(VALU_DEP_2)
	v_dual_sub_f32 v17, v13, v16 :: v_dual_sub_f32 v14, v14, v15
	v_sub_f32_e32 v11, v11, v16
	v_dual_sub_f32 v9, v9, v17 :: v_dual_add_f32 v12, v14, v8
	s_delay_alu instid0(VALU_DEP_1) | instskip(NEXT) | instid1(VALU_DEP_2)
	v_add_f32_e32 v9, v11, v9
	v_sub_f32_e32 v11, v12, v14
	s_delay_alu instid0(VALU_DEP_2) | instskip(NEXT) | instid1(VALU_DEP_2)
	v_add_f32_e32 v9, v12, v9
	v_sub_f32_e32 v12, v12, v11
	s_delay_alu instid0(VALU_DEP_2) | instskip(NEXT) | instid1(VALU_DEP_1)
	v_dual_sub_f32 v8, v8, v11 :: v_dual_add_f32 v15, v13, v9
	v_dual_sub_f32 v12, v14, v12 :: v_dual_sub_f32 v11, v15, v13
	s_delay_alu instid0(VALU_DEP_1) | instskip(NEXT) | instid1(VALU_DEP_1)
	v_dual_add_f32 v8, v8, v12 :: v_dual_sub_f32 v9, v9, v11
	v_add_f32_e32 v8, v8, v9
	s_delay_alu instid0(VALU_DEP_1) | instskip(NEXT) | instid1(VALU_DEP_1)
	v_add_f32_e32 v8, v15, v8
	v_cndmask_b32_e32 v42, v8, v10, vcc_lo
.LBB43_18:                              ;   in Loop: Header=BB43_12 Depth=1
	s_or_b32 exec_lo, exec_lo, s7
	v_lshlrev_b32_e32 v8, 16, v5
	s_delay_alu instid0(VALU_DEP_1) | instskip(NEXT) | instid1(VALU_DEP_1)
	v_add_f32_e32 v43, s50, v8
	v_cmp_ge_f32_e32 vcc_lo, 0x41a00000, v43
	s_and_b32 s6, s56, vcc_lo
	s_delay_alu instid0(SALU_CYCLE_1)
	s_and_saveexec_b32 s7, s6
	s_cbranch_execz .LBB43_20
; %bb.19:                               ;   in Loop: Header=BB43_12 Depth=1
	v_mul_f32_e32 v8, 0x3fb8aa3b, v43
	v_cmp_ngt_f32_e32 vcc_lo, 0xc2ce8ed0, v43
	s_delay_alu instid0(VALU_DEP_2) | instskip(SKIP_1) | instid1(VALU_DEP_2)
	v_rndne_f32_e32 v9, v8
	v_fma_f32 v10, 0x3fb8aa3b, v43, -v8
	v_sub_f32_e32 v8, v8, v9
	s_delay_alu instid0(VALU_DEP_2) | instskip(SKIP_1) | instid1(VALU_DEP_2)
	v_fmac_f32_e32 v10, 0x32a5705f, v43
	v_cvt_i32_f32_e32 v9, v9
	v_add_f32_e32 v8, v8, v10
	s_delay_alu instid0(VALU_DEP_1) | instskip(SKIP_2) | instid1(VALU_DEP_1)
	v_exp_f32_e32 v8, v8
	s_waitcnt_depctr 0xfff
	v_ldexp_f32 v8, v8, v9
	v_cndmask_b32_e32 v8, 0, v8, vcc_lo
	v_cmp_nlt_f32_e32 vcc_lo, 0x42b17218, v43
	s_delay_alu instid0(VALU_DEP_2) | instskip(NEXT) | instid1(VALU_DEP_1)
	v_cndmask_b32_e32 v10, 0x7f800000, v8, vcc_lo
	v_add_f32_e32 v11, 1.0, v10
	s_delay_alu instid0(VALU_DEP_1) | instskip(NEXT) | instid1(VALU_DEP_1)
	v_cvt_f64_f32_e32 v[8:9], v11
	v_frexp_exp_i32_f64_e32 v8, v[8:9]
	v_frexp_mant_f32_e32 v9, v11
	s_delay_alu instid0(VALU_DEP_1) | instskip(SKIP_1) | instid1(VALU_DEP_1)
	v_cmp_gt_f32_e32 vcc_lo, 0x3f2aaaab, v9
	v_add_f32_e32 v9, -1.0, v11
	v_sub_f32_e32 v13, v9, v11
	v_sub_f32_e32 v9, v10, v9
	s_delay_alu instid0(VALU_DEP_2) | instskip(NEXT) | instid1(VALU_DEP_1)
	v_add_f32_e32 v13, 1.0, v13
	v_add_f32_e32 v9, v9, v13
	v_cmp_gt_f32_e64 s6, 0x33800000, v10
	v_subrev_co_ci_u32_e32 v8, vcc_lo, 0, v8, vcc_lo
	v_cmp_eq_f32_e32 vcc_lo, 0x7f800000, v10
	s_delay_alu instid0(VALU_DEP_2) | instskip(SKIP_2) | instid1(VALU_DEP_2)
	v_sub_nc_u32_e32 v12, 0, v8
	v_cvt_f32_i32_e32 v8, v8
	s_or_b32 vcc_lo, s6, vcc_lo
	v_ldexp_f32 v11, v11, v12
	v_ldexp_f32 v9, v9, v12
	s_delay_alu instid0(VALU_DEP_2) | instskip(NEXT) | instid1(VALU_DEP_1)
	v_add_f32_e32 v14, 1.0, v11
	v_dual_add_f32 v12, -1.0, v11 :: v_dual_add_f32 v13, -1.0, v14
	s_delay_alu instid0(VALU_DEP_1) | instskip(NEXT) | instid1(VALU_DEP_2)
	v_add_f32_e32 v15, 1.0, v12
	v_sub_f32_e32 v13, v11, v13
	s_delay_alu instid0(VALU_DEP_2) | instskip(NEXT) | instid1(VALU_DEP_2)
	v_sub_f32_e32 v11, v11, v15
	v_add_f32_e32 v13, v9, v13
	s_delay_alu instid0(VALU_DEP_2) | instskip(NEXT) | instid1(VALU_DEP_2)
	v_add_f32_e32 v9, v9, v11
	v_add_f32_e32 v15, v14, v13
	s_delay_alu instid0(VALU_DEP_2) | instskip(NEXT) | instid1(VALU_DEP_2)
	v_add_f32_e32 v16, v12, v9
	v_rcp_f32_e32 v11, v15
	v_sub_f32_e32 v14, v14, v15
	s_delay_alu instid0(VALU_DEP_1) | instskip(SKIP_2) | instid1(VALU_DEP_1)
	v_dual_sub_f32 v12, v12, v16 :: v_dual_add_f32 v13, v13, v14
	s_waitcnt_depctr 0xfff
	v_mul_f32_e32 v17, v16, v11
	v_mul_f32_e32 v43, v15, v17
	s_delay_alu instid0(VALU_DEP_1) | instskip(NEXT) | instid1(VALU_DEP_1)
	v_fma_f32 v14, v17, v15, -v43
	v_fmac_f32_e32 v14, v17, v13
	s_delay_alu instid0(VALU_DEP_1) | instskip(NEXT) | instid1(VALU_DEP_1)
	v_add_f32_e32 v44, v43, v14
	v_sub_f32_e32 v45, v16, v44
	s_delay_alu instid0(VALU_DEP_1) | instskip(NEXT) | instid1(VALU_DEP_1)
	v_sub_f32_e32 v16, v16, v45
	v_sub_f32_e32 v16, v16, v44
	v_dual_add_f32 v9, v9, v12 :: v_dual_sub_f32 v12, v44, v43
	s_delay_alu instid0(VALU_DEP_1) | instskip(NEXT) | instid1(VALU_DEP_1)
	v_dual_add_f32 v9, v9, v16 :: v_dual_sub_f32 v12, v12, v14
	v_add_f32_e32 v9, v12, v9
	s_delay_alu instid0(VALU_DEP_1) | instskip(NEXT) | instid1(VALU_DEP_1)
	v_add_f32_e32 v12, v45, v9
	v_mul_f32_e32 v14, v11, v12
	s_delay_alu instid0(VALU_DEP_1) | instskip(SKIP_1) | instid1(VALU_DEP_2)
	v_mul_f32_e32 v16, v15, v14
	v_sub_f32_e32 v44, v45, v12
	v_fma_f32 v15, v14, v15, -v16
	s_delay_alu instid0(VALU_DEP_2) | instskip(NEXT) | instid1(VALU_DEP_2)
	v_add_f32_e32 v9, v9, v44
	v_fmac_f32_e32 v15, v14, v13
	s_delay_alu instid0(VALU_DEP_1) | instskip(NEXT) | instid1(VALU_DEP_1)
	v_add_f32_e32 v13, v16, v15
	v_sub_f32_e32 v43, v12, v13
	s_delay_alu instid0(VALU_DEP_1) | instskip(NEXT) | instid1(VALU_DEP_1)
	v_sub_f32_e32 v12, v12, v43
	v_sub_f32_e32 v12, v12, v13
	s_delay_alu instid0(VALU_DEP_1) | instskip(SKIP_2) | instid1(VALU_DEP_1)
	v_add_f32_e32 v9, v9, v12
	v_add_f32_e32 v12, v17, v14
	v_sub_f32_e32 v16, v13, v16
	v_sub_f32_e32 v13, v16, v15
	s_delay_alu instid0(VALU_DEP_1) | instskip(NEXT) | instid1(VALU_DEP_4)
	v_add_f32_e32 v9, v13, v9
	v_sub_f32_e32 v13, v12, v17
	s_delay_alu instid0(VALU_DEP_2) | instskip(NEXT) | instid1(VALU_DEP_2)
	v_add_f32_e32 v9, v43, v9
	v_sub_f32_e32 v13, v14, v13
	s_delay_alu instid0(VALU_DEP_2) | instskip(NEXT) | instid1(VALU_DEP_1)
	v_mul_f32_e32 v9, v11, v9
	v_add_f32_e32 v9, v13, v9
	s_delay_alu instid0(VALU_DEP_1) | instskip(NEXT) | instid1(VALU_DEP_1)
	v_add_f32_e32 v11, v12, v9
	v_mul_f32_e32 v13, v11, v11
	s_delay_alu instid0(VALU_DEP_1) | instskip(SKIP_1) | instid1(VALU_DEP_2)
	v_fmaak_f32 v14, s60, v13, 0x3ecc95a3
	v_mul_f32_e32 v15, v11, v13
	v_fmaak_f32 v13, v13, v14, 0x3f2aaada
	v_ldexp_f32 v14, v11, 1
	s_delay_alu instid0(VALU_DEP_2) | instskip(SKIP_1) | instid1(VALU_DEP_2)
	v_mul_f32_e32 v13, v15, v13
	v_sub_f32_e32 v11, v11, v12
	v_dual_mul_f32 v15, 0x3f317218, v8 :: v_dual_add_f32 v12, v14, v13
	s_delay_alu instid0(VALU_DEP_2) | instskip(NEXT) | instid1(VALU_DEP_2)
	v_sub_f32_e32 v9, v9, v11
	v_sub_f32_e32 v11, v12, v14
	s_delay_alu instid0(VALU_DEP_3) | instskip(NEXT) | instid1(VALU_DEP_3)
	v_fma_f32 v14, 0x3f317218, v8, -v15
	v_ldexp_f32 v9, v9, 1
	s_delay_alu instid0(VALU_DEP_2) | instskip(NEXT) | instid1(VALU_DEP_1)
	v_dual_sub_f32 v11, v13, v11 :: v_dual_fmac_f32 v14, 0xb102e308, v8
	v_dual_add_f32 v8, v9, v11 :: v_dual_add_f32 v9, v15, v14
	s_delay_alu instid0(VALU_DEP_1) | instskip(NEXT) | instid1(VALU_DEP_1)
	v_add_f32_e32 v11, v12, v8
	v_dual_add_f32 v13, v9, v11 :: v_dual_sub_f32 v12, v11, v12
	s_delay_alu instid0(VALU_DEP_1) | instskip(NEXT) | instid1(VALU_DEP_2)
	v_sub_f32_e32 v16, v13, v9
	v_dual_sub_f32 v15, v9, v15 :: v_dual_sub_f32 v8, v8, v12
	s_delay_alu instid0(VALU_DEP_1) | instskip(SKIP_1) | instid1(VALU_DEP_2)
	v_dual_sub_f32 v17, v13, v16 :: v_dual_sub_f32 v14, v14, v15
	v_sub_f32_e32 v11, v11, v16
	v_dual_sub_f32 v9, v9, v17 :: v_dual_add_f32 v12, v14, v8
	s_delay_alu instid0(VALU_DEP_1) | instskip(NEXT) | instid1(VALU_DEP_2)
	v_add_f32_e32 v9, v11, v9
	v_sub_f32_e32 v11, v12, v14
	s_delay_alu instid0(VALU_DEP_2) | instskip(NEXT) | instid1(VALU_DEP_2)
	v_add_f32_e32 v9, v12, v9
	v_sub_f32_e32 v12, v12, v11
	s_delay_alu instid0(VALU_DEP_2) | instskip(NEXT) | instid1(VALU_DEP_1)
	v_dual_sub_f32 v8, v8, v11 :: v_dual_add_f32 v15, v13, v9
	v_dual_sub_f32 v12, v14, v12 :: v_dual_sub_f32 v11, v15, v13
	s_delay_alu instid0(VALU_DEP_1) | instskip(NEXT) | instid1(VALU_DEP_1)
	v_dual_add_f32 v8, v8, v12 :: v_dual_sub_f32 v9, v9, v11
	v_add_f32_e32 v8, v8, v9
	s_delay_alu instid0(VALU_DEP_1) | instskip(NEXT) | instid1(VALU_DEP_1)
	v_add_f32_e32 v8, v15, v8
	v_cndmask_b32_e32 v43, v8, v10, vcc_lo
.LBB43_20:                              ;   in Loop: Header=BB43_12 Depth=1
	s_or_b32 exec_lo, exec_lo, s7
	v_lshlrev_b32_e32 v8, 16, v37
	s_delay_alu instid0(VALU_DEP_1) | instskip(NEXT) | instid1(VALU_DEP_1)
	v_add_f32_e32 v44, s50, v8
	v_cmp_ge_f32_e32 vcc_lo, 0x41a00000, v44
	s_and_b32 s6, s56, vcc_lo
	s_delay_alu instid0(SALU_CYCLE_1)
	s_and_saveexec_b32 s7, s6
	s_cbranch_execz .LBB43_22
; %bb.21:                               ;   in Loop: Header=BB43_12 Depth=1
	v_mul_f32_e32 v8, 0x3fb8aa3b, v44
	v_cmp_ngt_f32_e32 vcc_lo, 0xc2ce8ed0, v44
	s_delay_alu instid0(VALU_DEP_2) | instskip(SKIP_1) | instid1(VALU_DEP_2)
	v_rndne_f32_e32 v9, v8
	v_fma_f32 v10, 0x3fb8aa3b, v44, -v8
	v_sub_f32_e32 v8, v8, v9
	s_delay_alu instid0(VALU_DEP_2) | instskip(SKIP_1) | instid1(VALU_DEP_2)
	v_fmac_f32_e32 v10, 0x32a5705f, v44
	v_cvt_i32_f32_e32 v9, v9
	v_add_f32_e32 v8, v8, v10
	s_delay_alu instid0(VALU_DEP_1) | instskip(SKIP_2) | instid1(VALU_DEP_1)
	v_exp_f32_e32 v8, v8
	s_waitcnt_depctr 0xfff
	v_ldexp_f32 v8, v8, v9
	v_cndmask_b32_e32 v8, 0, v8, vcc_lo
	v_cmp_nlt_f32_e32 vcc_lo, 0x42b17218, v44
	s_delay_alu instid0(VALU_DEP_2) | instskip(NEXT) | instid1(VALU_DEP_1)
	v_cndmask_b32_e32 v10, 0x7f800000, v8, vcc_lo
	v_add_f32_e32 v11, 1.0, v10
	s_delay_alu instid0(VALU_DEP_1) | instskip(NEXT) | instid1(VALU_DEP_1)
	v_cvt_f64_f32_e32 v[8:9], v11
	v_frexp_exp_i32_f64_e32 v8, v[8:9]
	v_frexp_mant_f32_e32 v9, v11
	s_delay_alu instid0(VALU_DEP_1) | instskip(SKIP_1) | instid1(VALU_DEP_1)
	v_cmp_gt_f32_e32 vcc_lo, 0x3f2aaaab, v9
	v_add_f32_e32 v9, -1.0, v11
	v_sub_f32_e32 v13, v9, v11
	v_sub_f32_e32 v9, v10, v9
	s_delay_alu instid0(VALU_DEP_2) | instskip(NEXT) | instid1(VALU_DEP_1)
	v_add_f32_e32 v13, 1.0, v13
	v_add_f32_e32 v9, v9, v13
	v_cmp_gt_f32_e64 s6, 0x33800000, v10
	v_subrev_co_ci_u32_e32 v8, vcc_lo, 0, v8, vcc_lo
	v_cmp_eq_f32_e32 vcc_lo, 0x7f800000, v10
	s_delay_alu instid0(VALU_DEP_2) | instskip(SKIP_2) | instid1(VALU_DEP_2)
	v_sub_nc_u32_e32 v12, 0, v8
	v_cvt_f32_i32_e32 v8, v8
	s_or_b32 vcc_lo, s6, vcc_lo
	v_ldexp_f32 v11, v11, v12
	v_ldexp_f32 v9, v9, v12
	s_delay_alu instid0(VALU_DEP_2) | instskip(NEXT) | instid1(VALU_DEP_1)
	v_add_f32_e32 v14, 1.0, v11
	v_dual_add_f32 v12, -1.0, v11 :: v_dual_add_f32 v13, -1.0, v14
	s_delay_alu instid0(VALU_DEP_1) | instskip(NEXT) | instid1(VALU_DEP_2)
	v_add_f32_e32 v15, 1.0, v12
	v_sub_f32_e32 v13, v11, v13
	s_delay_alu instid0(VALU_DEP_2) | instskip(NEXT) | instid1(VALU_DEP_2)
	v_sub_f32_e32 v11, v11, v15
	v_add_f32_e32 v13, v9, v13
	s_delay_alu instid0(VALU_DEP_2) | instskip(NEXT) | instid1(VALU_DEP_1)
	v_add_f32_e32 v9, v9, v11
	v_add_f32_e32 v16, v12, v9
	s_delay_alu instid0(VALU_DEP_1) | instskip(NEXT) | instid1(VALU_DEP_1)
	v_dual_add_f32 v15, v14, v13 :: v_dual_sub_f32 v12, v12, v16
	v_rcp_f32_e32 v11, v15
	v_sub_f32_e32 v14, v14, v15
	s_delay_alu instid0(VALU_DEP_1) | instskip(SKIP_2) | instid1(VALU_DEP_1)
	v_add_f32_e32 v13, v13, v14
	s_waitcnt_depctr 0xfff
	v_mul_f32_e32 v17, v16, v11
	v_dual_mul_f32 v44, v15, v17 :: v_dual_add_f32 v9, v9, v12
	s_delay_alu instid0(VALU_DEP_1) | instskip(NEXT) | instid1(VALU_DEP_1)
	v_fma_f32 v14, v17, v15, -v44
	v_fmac_f32_e32 v14, v17, v13
	s_delay_alu instid0(VALU_DEP_1) | instskip(NEXT) | instid1(VALU_DEP_1)
	v_add_f32_e32 v45, v44, v14
	v_sub_f32_e32 v46, v16, v45
	v_sub_f32_e32 v12, v45, v44
	s_delay_alu instid0(VALU_DEP_2) | instskip(NEXT) | instid1(VALU_DEP_1)
	v_sub_f32_e32 v16, v16, v46
	v_sub_f32_e32 v16, v16, v45
	s_delay_alu instid0(VALU_DEP_1) | instskip(NEXT) | instid1(VALU_DEP_1)
	v_dual_sub_f32 v12, v12, v14 :: v_dual_add_f32 v9, v9, v16
	v_add_f32_e32 v9, v12, v9
	s_delay_alu instid0(VALU_DEP_1) | instskip(NEXT) | instid1(VALU_DEP_1)
	v_add_f32_e32 v12, v46, v9
	v_mul_f32_e32 v14, v11, v12
	s_delay_alu instid0(VALU_DEP_1) | instskip(NEXT) | instid1(VALU_DEP_1)
	v_dual_sub_f32 v45, v46, v12 :: v_dual_mul_f32 v16, v15, v14
	v_add_f32_e32 v9, v9, v45
	s_delay_alu instid0(VALU_DEP_2) | instskip(NEXT) | instid1(VALU_DEP_1)
	v_fma_f32 v15, v14, v15, -v16
	v_fmac_f32_e32 v15, v14, v13
	s_delay_alu instid0(VALU_DEP_1) | instskip(NEXT) | instid1(VALU_DEP_1)
	v_add_f32_e32 v13, v16, v15
	v_sub_f32_e32 v44, v12, v13
	s_delay_alu instid0(VALU_DEP_1) | instskip(NEXT) | instid1(VALU_DEP_1)
	v_sub_f32_e32 v12, v12, v44
	v_sub_f32_e32 v12, v12, v13
	s_delay_alu instid0(VALU_DEP_1) | instskip(SKIP_2) | instid1(VALU_DEP_1)
	v_add_f32_e32 v9, v9, v12
	v_add_f32_e32 v12, v17, v14
	v_sub_f32_e32 v16, v13, v16
	v_sub_f32_e32 v13, v16, v15
	s_delay_alu instid0(VALU_DEP_1) | instskip(NEXT) | instid1(VALU_DEP_4)
	v_add_f32_e32 v9, v13, v9
	v_sub_f32_e32 v13, v12, v17
	s_delay_alu instid0(VALU_DEP_2) | instskip(NEXT) | instid1(VALU_DEP_2)
	v_add_f32_e32 v9, v44, v9
	v_sub_f32_e32 v13, v14, v13
	s_delay_alu instid0(VALU_DEP_2) | instskip(NEXT) | instid1(VALU_DEP_1)
	v_mul_f32_e32 v9, v11, v9
	v_add_f32_e32 v9, v13, v9
	s_delay_alu instid0(VALU_DEP_1) | instskip(NEXT) | instid1(VALU_DEP_1)
	v_add_f32_e32 v11, v12, v9
	v_mul_f32_e32 v13, v11, v11
	s_delay_alu instid0(VALU_DEP_1) | instskip(SKIP_1) | instid1(VALU_DEP_2)
	v_fmaak_f32 v14, s60, v13, 0x3ecc95a3
	v_mul_f32_e32 v15, v11, v13
	v_fmaak_f32 v13, v13, v14, 0x3f2aaada
	v_ldexp_f32 v14, v11, 1
	v_sub_f32_e32 v11, v11, v12
	s_delay_alu instid0(VALU_DEP_3) | instskip(SKIP_1) | instid1(VALU_DEP_2)
	v_mul_f32_e32 v13, v15, v13
	v_mul_f32_e32 v15, 0x3f317218, v8
	v_dual_sub_f32 v9, v9, v11 :: v_dual_add_f32 v12, v14, v13
	s_delay_alu instid0(VALU_DEP_1) | instskip(NEXT) | instid1(VALU_DEP_2)
	v_ldexp_f32 v9, v9, 1
	v_sub_f32_e32 v11, v12, v14
	s_delay_alu instid0(VALU_DEP_4) | instskip(NEXT) | instid1(VALU_DEP_1)
	v_fma_f32 v14, 0x3f317218, v8, -v15
	v_dual_sub_f32 v11, v13, v11 :: v_dual_fmac_f32 v14, 0xb102e308, v8
	s_delay_alu instid0(VALU_DEP_1) | instskip(NEXT) | instid1(VALU_DEP_1)
	v_dual_add_f32 v8, v9, v11 :: v_dual_add_f32 v9, v15, v14
	v_add_f32_e32 v11, v12, v8
	s_delay_alu instid0(VALU_DEP_2) | instskip(NEXT) | instid1(VALU_DEP_2)
	v_sub_f32_e32 v15, v9, v15
	v_dual_add_f32 v13, v9, v11 :: v_dual_sub_f32 v12, v11, v12
	s_delay_alu instid0(VALU_DEP_2) | instskip(NEXT) | instid1(VALU_DEP_2)
	v_sub_f32_e32 v14, v14, v15
	v_sub_f32_e32 v16, v13, v9
	s_delay_alu instid0(VALU_DEP_3) | instskip(NEXT) | instid1(VALU_DEP_2)
	v_sub_f32_e32 v8, v8, v12
	v_sub_f32_e32 v17, v13, v16
	;; [unrolled: 1-line block ×3, first 2 shown]
	s_delay_alu instid0(VALU_DEP_2) | instskip(NEXT) | instid1(VALU_DEP_1)
	v_dual_add_f32 v12, v14, v8 :: v_dual_sub_f32 v9, v9, v17
	v_add_f32_e32 v9, v11, v9
	s_delay_alu instid0(VALU_DEP_2) | instskip(NEXT) | instid1(VALU_DEP_2)
	v_sub_f32_e32 v11, v12, v14
	v_add_f32_e32 v9, v12, v9
	s_delay_alu instid0(VALU_DEP_2) | instskip(NEXT) | instid1(VALU_DEP_2)
	v_sub_f32_e32 v12, v12, v11
	v_dual_sub_f32 v8, v8, v11 :: v_dual_add_f32 v15, v13, v9
	s_delay_alu instid0(VALU_DEP_1) | instskip(NEXT) | instid1(VALU_DEP_1)
	v_dual_sub_f32 v12, v14, v12 :: v_dual_sub_f32 v11, v15, v13
	v_dual_add_f32 v8, v8, v12 :: v_dual_sub_f32 v9, v9, v11
	s_delay_alu instid0(VALU_DEP_1) | instskip(NEXT) | instid1(VALU_DEP_1)
	v_add_f32_e32 v8, v8, v9
	v_add_f32_e32 v8, v15, v8
	s_delay_alu instid0(VALU_DEP_1)
	v_cndmask_b32_e32 v44, v8, v10, vcc_lo
.LBB43_22:                              ;   in Loop: Header=BB43_12 Depth=1
	s_or_b32 exec_lo, exec_lo, s7
	v_lshlrev_b32_e32 v8, 16, v6
	s_delay_alu instid0(VALU_DEP_1) | instskip(NEXT) | instid1(VALU_DEP_1)
	v_add_f32_e32 v45, s50, v8
	v_cmp_ge_f32_e32 vcc_lo, 0x41a00000, v45
	s_and_b32 s6, s56, vcc_lo
	s_delay_alu instid0(SALU_CYCLE_1)
	s_and_saveexec_b32 s7, s6
	s_cbranch_execz .LBB43_24
; %bb.23:                               ;   in Loop: Header=BB43_12 Depth=1
	v_mul_f32_e32 v8, 0x3fb8aa3b, v45
	v_cmp_ngt_f32_e32 vcc_lo, 0xc2ce8ed0, v45
	s_delay_alu instid0(VALU_DEP_2) | instskip(SKIP_1) | instid1(VALU_DEP_2)
	v_rndne_f32_e32 v9, v8
	v_fma_f32 v10, 0x3fb8aa3b, v45, -v8
	v_sub_f32_e32 v8, v8, v9
	s_delay_alu instid0(VALU_DEP_2) | instskip(SKIP_1) | instid1(VALU_DEP_2)
	v_fmac_f32_e32 v10, 0x32a5705f, v45
	v_cvt_i32_f32_e32 v9, v9
	v_add_f32_e32 v8, v8, v10
	s_delay_alu instid0(VALU_DEP_1) | instskip(SKIP_2) | instid1(VALU_DEP_1)
	v_exp_f32_e32 v8, v8
	s_waitcnt_depctr 0xfff
	v_ldexp_f32 v8, v8, v9
	v_cndmask_b32_e32 v8, 0, v8, vcc_lo
	v_cmp_nlt_f32_e32 vcc_lo, 0x42b17218, v45
	s_delay_alu instid0(VALU_DEP_2) | instskip(NEXT) | instid1(VALU_DEP_1)
	v_cndmask_b32_e32 v10, 0x7f800000, v8, vcc_lo
	v_add_f32_e32 v11, 1.0, v10
	s_delay_alu instid0(VALU_DEP_1) | instskip(NEXT) | instid1(VALU_DEP_1)
	v_cvt_f64_f32_e32 v[8:9], v11
	v_frexp_exp_i32_f64_e32 v8, v[8:9]
	v_frexp_mant_f32_e32 v9, v11
	s_delay_alu instid0(VALU_DEP_1) | instskip(SKIP_1) | instid1(VALU_DEP_1)
	v_cmp_gt_f32_e32 vcc_lo, 0x3f2aaaab, v9
	v_add_f32_e32 v9, -1.0, v11
	v_sub_f32_e32 v13, v9, v11
	v_sub_f32_e32 v9, v10, v9
	s_delay_alu instid0(VALU_DEP_2) | instskip(NEXT) | instid1(VALU_DEP_1)
	v_add_f32_e32 v13, 1.0, v13
	v_add_f32_e32 v9, v9, v13
	v_cmp_gt_f32_e64 s6, 0x33800000, v10
	v_subrev_co_ci_u32_e32 v8, vcc_lo, 0, v8, vcc_lo
	v_cmp_eq_f32_e32 vcc_lo, 0x7f800000, v10
	s_delay_alu instid0(VALU_DEP_2) | instskip(SKIP_2) | instid1(VALU_DEP_2)
	v_sub_nc_u32_e32 v12, 0, v8
	v_cvt_f32_i32_e32 v8, v8
	s_or_b32 vcc_lo, s6, vcc_lo
	v_ldexp_f32 v11, v11, v12
	v_ldexp_f32 v9, v9, v12
	s_delay_alu instid0(VALU_DEP_2) | instskip(NEXT) | instid1(VALU_DEP_1)
	v_add_f32_e32 v14, 1.0, v11
	v_dual_add_f32 v12, -1.0, v11 :: v_dual_add_f32 v13, -1.0, v14
	s_delay_alu instid0(VALU_DEP_1) | instskip(NEXT) | instid1(VALU_DEP_2)
	v_add_f32_e32 v15, 1.0, v12
	v_sub_f32_e32 v13, v11, v13
	s_delay_alu instid0(VALU_DEP_2) | instskip(NEXT) | instid1(VALU_DEP_2)
	v_sub_f32_e32 v11, v11, v15
	v_add_f32_e32 v13, v9, v13
	s_delay_alu instid0(VALU_DEP_2) | instskip(NEXT) | instid1(VALU_DEP_2)
	v_add_f32_e32 v9, v9, v11
	v_add_f32_e32 v15, v14, v13
	s_delay_alu instid0(VALU_DEP_2) | instskip(NEXT) | instid1(VALU_DEP_2)
	v_add_f32_e32 v16, v12, v9
	v_rcp_f32_e32 v11, v15
	v_sub_f32_e32 v14, v14, v15
	s_delay_alu instid0(VALU_DEP_1) | instskip(SKIP_2) | instid1(VALU_DEP_1)
	v_dual_sub_f32 v12, v12, v16 :: v_dual_add_f32 v13, v13, v14
	s_waitcnt_depctr 0xfff
	v_mul_f32_e32 v17, v16, v11
	v_mul_f32_e32 v45, v15, v17
	s_delay_alu instid0(VALU_DEP_1) | instskip(NEXT) | instid1(VALU_DEP_1)
	v_fma_f32 v14, v17, v15, -v45
	v_fmac_f32_e32 v14, v17, v13
	s_delay_alu instid0(VALU_DEP_1) | instskip(NEXT) | instid1(VALU_DEP_1)
	v_add_f32_e32 v46, v45, v14
	v_sub_f32_e32 v47, v16, v46
	s_delay_alu instid0(VALU_DEP_1) | instskip(SKIP_1) | instid1(VALU_DEP_2)
	v_dual_sub_f32 v16, v16, v47 :: v_dual_add_f32 v9, v9, v12
	v_sub_f32_e32 v12, v46, v45
	v_sub_f32_e32 v16, v16, v46
	s_delay_alu instid0(VALU_DEP_1) | instskip(NEXT) | instid1(VALU_DEP_1)
	v_dual_sub_f32 v12, v12, v14 :: v_dual_add_f32 v9, v9, v16
	v_add_f32_e32 v9, v12, v9
	s_delay_alu instid0(VALU_DEP_1) | instskip(NEXT) | instid1(VALU_DEP_1)
	v_add_f32_e32 v12, v47, v9
	v_mul_f32_e32 v14, v11, v12
	v_sub_f32_e32 v46, v47, v12
	s_delay_alu instid0(VALU_DEP_2) | instskip(NEXT) | instid1(VALU_DEP_2)
	v_mul_f32_e32 v16, v15, v14
	v_add_f32_e32 v9, v9, v46
	s_delay_alu instid0(VALU_DEP_2) | instskip(NEXT) | instid1(VALU_DEP_1)
	v_fma_f32 v15, v14, v15, -v16
	v_fmac_f32_e32 v15, v14, v13
	s_delay_alu instid0(VALU_DEP_1) | instskip(NEXT) | instid1(VALU_DEP_1)
	v_add_f32_e32 v13, v16, v15
	v_sub_f32_e32 v45, v12, v13
	s_delay_alu instid0(VALU_DEP_1) | instskip(NEXT) | instid1(VALU_DEP_1)
	v_sub_f32_e32 v12, v12, v45
	v_sub_f32_e32 v12, v12, v13
	s_delay_alu instid0(VALU_DEP_1) | instskip(SKIP_2) | instid1(VALU_DEP_1)
	v_add_f32_e32 v9, v9, v12
	v_add_f32_e32 v12, v17, v14
	v_sub_f32_e32 v16, v13, v16
	v_sub_f32_e32 v13, v16, v15
	s_delay_alu instid0(VALU_DEP_1) | instskip(NEXT) | instid1(VALU_DEP_4)
	v_add_f32_e32 v9, v13, v9
	v_sub_f32_e32 v13, v12, v17
	s_delay_alu instid0(VALU_DEP_2) | instskip(NEXT) | instid1(VALU_DEP_2)
	v_add_f32_e32 v9, v45, v9
	v_sub_f32_e32 v13, v14, v13
	s_delay_alu instid0(VALU_DEP_2) | instskip(NEXT) | instid1(VALU_DEP_1)
	v_mul_f32_e32 v9, v11, v9
	v_add_f32_e32 v9, v13, v9
	s_delay_alu instid0(VALU_DEP_1) | instskip(NEXT) | instid1(VALU_DEP_1)
	v_add_f32_e32 v11, v12, v9
	v_mul_f32_e32 v13, v11, v11
	s_delay_alu instid0(VALU_DEP_1) | instskip(SKIP_1) | instid1(VALU_DEP_2)
	v_fmaak_f32 v14, s60, v13, 0x3ecc95a3
	v_mul_f32_e32 v15, v11, v13
	v_fmaak_f32 v13, v13, v14, 0x3f2aaada
	v_ldexp_f32 v14, v11, 1
	s_delay_alu instid0(VALU_DEP_2) | instskip(SKIP_1) | instid1(VALU_DEP_2)
	v_mul_f32_e32 v13, v15, v13
	v_sub_f32_e32 v11, v11, v12
	v_dual_mul_f32 v15, 0x3f317218, v8 :: v_dual_add_f32 v12, v14, v13
	s_delay_alu instid0(VALU_DEP_2) | instskip(NEXT) | instid1(VALU_DEP_2)
	v_sub_f32_e32 v9, v9, v11
	v_sub_f32_e32 v11, v12, v14
	s_delay_alu instid0(VALU_DEP_3) | instskip(NEXT) | instid1(VALU_DEP_3)
	v_fma_f32 v14, 0x3f317218, v8, -v15
	v_ldexp_f32 v9, v9, 1
	s_delay_alu instid0(VALU_DEP_2) | instskip(NEXT) | instid1(VALU_DEP_1)
	v_dual_sub_f32 v11, v13, v11 :: v_dual_fmac_f32 v14, 0xb102e308, v8
	v_dual_add_f32 v8, v9, v11 :: v_dual_add_f32 v9, v15, v14
	s_delay_alu instid0(VALU_DEP_1) | instskip(NEXT) | instid1(VALU_DEP_1)
	v_add_f32_e32 v11, v12, v8
	v_dual_add_f32 v13, v9, v11 :: v_dual_sub_f32 v12, v11, v12
	s_delay_alu instid0(VALU_DEP_1) | instskip(NEXT) | instid1(VALU_DEP_2)
	v_sub_f32_e32 v16, v13, v9
	v_dual_sub_f32 v15, v9, v15 :: v_dual_sub_f32 v8, v8, v12
	s_delay_alu instid0(VALU_DEP_1) | instskip(SKIP_1) | instid1(VALU_DEP_2)
	v_dual_sub_f32 v17, v13, v16 :: v_dual_sub_f32 v14, v14, v15
	v_sub_f32_e32 v11, v11, v16
	v_dual_sub_f32 v9, v9, v17 :: v_dual_add_f32 v12, v14, v8
	s_delay_alu instid0(VALU_DEP_1) | instskip(NEXT) | instid1(VALU_DEP_2)
	v_add_f32_e32 v9, v11, v9
	v_sub_f32_e32 v11, v12, v14
	s_delay_alu instid0(VALU_DEP_2) | instskip(NEXT) | instid1(VALU_DEP_2)
	v_add_f32_e32 v9, v12, v9
	v_sub_f32_e32 v12, v12, v11
	s_delay_alu instid0(VALU_DEP_2) | instskip(NEXT) | instid1(VALU_DEP_1)
	v_dual_sub_f32 v8, v8, v11 :: v_dual_add_f32 v15, v13, v9
	v_dual_sub_f32 v12, v14, v12 :: v_dual_sub_f32 v11, v15, v13
	s_delay_alu instid0(VALU_DEP_1) | instskip(NEXT) | instid1(VALU_DEP_1)
	v_dual_add_f32 v8, v8, v12 :: v_dual_sub_f32 v9, v9, v11
	v_add_f32_e32 v8, v8, v9
	s_delay_alu instid0(VALU_DEP_1) | instskip(NEXT) | instid1(VALU_DEP_1)
	v_add_f32_e32 v8, v15, v8
	v_cndmask_b32_e32 v45, v8, v10, vcc_lo
.LBB43_24:                              ;   in Loop: Header=BB43_12 Depth=1
	s_or_b32 exec_lo, exec_lo, s7
	v_lshlrev_b32_e32 v8, 16, v39
	s_delay_alu instid0(VALU_DEP_1) | instskip(NEXT) | instid1(VALU_DEP_1)
	v_add_f32_e32 v46, s50, v8
	v_cmp_ge_f32_e32 vcc_lo, 0x41a00000, v46
	s_and_b32 s6, s56, vcc_lo
	s_delay_alu instid0(SALU_CYCLE_1)
	s_and_saveexec_b32 s7, s6
	s_cbranch_execz .LBB43_26
; %bb.25:                               ;   in Loop: Header=BB43_12 Depth=1
	v_mul_f32_e32 v8, 0x3fb8aa3b, v46
	v_cmp_ngt_f32_e32 vcc_lo, 0xc2ce8ed0, v46
	s_delay_alu instid0(VALU_DEP_2) | instskip(SKIP_1) | instid1(VALU_DEP_2)
	v_rndne_f32_e32 v9, v8
	v_fma_f32 v10, 0x3fb8aa3b, v46, -v8
	v_sub_f32_e32 v8, v8, v9
	s_delay_alu instid0(VALU_DEP_2) | instskip(SKIP_1) | instid1(VALU_DEP_2)
	v_fmac_f32_e32 v10, 0x32a5705f, v46
	v_cvt_i32_f32_e32 v9, v9
	v_add_f32_e32 v8, v8, v10
	s_delay_alu instid0(VALU_DEP_1) | instskip(SKIP_2) | instid1(VALU_DEP_1)
	v_exp_f32_e32 v8, v8
	s_waitcnt_depctr 0xfff
	v_ldexp_f32 v8, v8, v9
	v_cndmask_b32_e32 v8, 0, v8, vcc_lo
	v_cmp_nlt_f32_e32 vcc_lo, 0x42b17218, v46
	s_delay_alu instid0(VALU_DEP_2) | instskip(NEXT) | instid1(VALU_DEP_1)
	v_cndmask_b32_e32 v10, 0x7f800000, v8, vcc_lo
	v_add_f32_e32 v11, 1.0, v10
	s_delay_alu instid0(VALU_DEP_1) | instskip(NEXT) | instid1(VALU_DEP_1)
	v_cvt_f64_f32_e32 v[8:9], v11
	v_frexp_exp_i32_f64_e32 v8, v[8:9]
	v_frexp_mant_f32_e32 v9, v11
	s_delay_alu instid0(VALU_DEP_1) | instskip(SKIP_1) | instid1(VALU_DEP_1)
	v_cmp_gt_f32_e32 vcc_lo, 0x3f2aaaab, v9
	v_add_f32_e32 v9, -1.0, v11
	v_sub_f32_e32 v13, v9, v11
	v_sub_f32_e32 v9, v10, v9
	s_delay_alu instid0(VALU_DEP_2) | instskip(NEXT) | instid1(VALU_DEP_1)
	v_add_f32_e32 v13, 1.0, v13
	v_add_f32_e32 v9, v9, v13
	v_cmp_gt_f32_e64 s6, 0x33800000, v10
	v_subrev_co_ci_u32_e32 v8, vcc_lo, 0, v8, vcc_lo
	v_cmp_eq_f32_e32 vcc_lo, 0x7f800000, v10
	s_delay_alu instid0(VALU_DEP_2) | instskip(SKIP_2) | instid1(VALU_DEP_2)
	v_sub_nc_u32_e32 v12, 0, v8
	v_cvt_f32_i32_e32 v8, v8
	s_or_b32 vcc_lo, s6, vcc_lo
	v_ldexp_f32 v11, v11, v12
	v_ldexp_f32 v9, v9, v12
	s_delay_alu instid0(VALU_DEP_2) | instskip(NEXT) | instid1(VALU_DEP_1)
	v_add_f32_e32 v14, 1.0, v11
	v_dual_add_f32 v12, -1.0, v11 :: v_dual_add_f32 v13, -1.0, v14
	s_delay_alu instid0(VALU_DEP_1) | instskip(NEXT) | instid1(VALU_DEP_2)
	v_add_f32_e32 v15, 1.0, v12
	v_sub_f32_e32 v13, v11, v13
	s_delay_alu instid0(VALU_DEP_2) | instskip(NEXT) | instid1(VALU_DEP_2)
	v_sub_f32_e32 v11, v11, v15
	v_add_f32_e32 v13, v9, v13
	s_delay_alu instid0(VALU_DEP_2) | instskip(NEXT) | instid1(VALU_DEP_1)
	v_add_f32_e32 v9, v9, v11
	v_add_f32_e32 v16, v12, v9
	s_delay_alu instid0(VALU_DEP_1) | instskip(NEXT) | instid1(VALU_DEP_1)
	v_dual_add_f32 v15, v14, v13 :: v_dual_sub_f32 v12, v12, v16
	v_rcp_f32_e32 v11, v15
	v_sub_f32_e32 v14, v14, v15
	s_delay_alu instid0(VALU_DEP_1) | instskip(SKIP_2) | instid1(VALU_DEP_1)
	v_add_f32_e32 v13, v13, v14
	s_waitcnt_depctr 0xfff
	v_mul_f32_e32 v17, v16, v11
	v_mul_f32_e32 v46, v15, v17
	s_delay_alu instid0(VALU_DEP_1) | instskip(NEXT) | instid1(VALU_DEP_1)
	v_fma_f32 v14, v17, v15, -v46
	v_fmac_f32_e32 v14, v17, v13
	s_delay_alu instid0(VALU_DEP_1) | instskip(NEXT) | instid1(VALU_DEP_1)
	v_add_f32_e32 v47, v46, v14
	v_sub_f32_e32 v48, v16, v47
	s_delay_alu instid0(VALU_DEP_1) | instskip(SKIP_1) | instid1(VALU_DEP_2)
	v_sub_f32_e32 v16, v16, v48
	v_dual_add_f32 v9, v9, v12 :: v_dual_sub_f32 v12, v47, v46
	v_sub_f32_e32 v16, v16, v47
	s_delay_alu instid0(VALU_DEP_1) | instskip(NEXT) | instid1(VALU_DEP_1)
	v_dual_sub_f32 v12, v12, v14 :: v_dual_add_f32 v9, v9, v16
	v_add_f32_e32 v9, v12, v9
	s_delay_alu instid0(VALU_DEP_1) | instskip(NEXT) | instid1(VALU_DEP_1)
	v_add_f32_e32 v12, v48, v9
	v_mul_f32_e32 v14, v11, v12
	s_delay_alu instid0(VALU_DEP_1) | instskip(NEXT) | instid1(VALU_DEP_1)
	v_dual_sub_f32 v47, v48, v12 :: v_dual_mul_f32 v16, v15, v14
	v_add_f32_e32 v9, v9, v47
	s_delay_alu instid0(VALU_DEP_2) | instskip(NEXT) | instid1(VALU_DEP_1)
	v_fma_f32 v15, v14, v15, -v16
	v_fmac_f32_e32 v15, v14, v13
	s_delay_alu instid0(VALU_DEP_1) | instskip(NEXT) | instid1(VALU_DEP_1)
	v_add_f32_e32 v13, v16, v15
	v_sub_f32_e32 v46, v12, v13
	s_delay_alu instid0(VALU_DEP_1) | instskip(NEXT) | instid1(VALU_DEP_1)
	v_sub_f32_e32 v12, v12, v46
	v_sub_f32_e32 v12, v12, v13
	s_delay_alu instid0(VALU_DEP_1) | instskip(SKIP_2) | instid1(VALU_DEP_1)
	v_add_f32_e32 v9, v9, v12
	v_add_f32_e32 v12, v17, v14
	v_sub_f32_e32 v16, v13, v16
	v_sub_f32_e32 v13, v16, v15
	s_delay_alu instid0(VALU_DEP_1) | instskip(NEXT) | instid1(VALU_DEP_4)
	v_add_f32_e32 v9, v13, v9
	v_sub_f32_e32 v13, v12, v17
	s_delay_alu instid0(VALU_DEP_2) | instskip(NEXT) | instid1(VALU_DEP_2)
	v_add_f32_e32 v9, v46, v9
	v_sub_f32_e32 v13, v14, v13
	s_delay_alu instid0(VALU_DEP_2) | instskip(NEXT) | instid1(VALU_DEP_1)
	v_mul_f32_e32 v9, v11, v9
	v_add_f32_e32 v9, v13, v9
	s_delay_alu instid0(VALU_DEP_1) | instskip(NEXT) | instid1(VALU_DEP_1)
	v_add_f32_e32 v11, v12, v9
	v_mul_f32_e32 v13, v11, v11
	s_delay_alu instid0(VALU_DEP_1) | instskip(SKIP_1) | instid1(VALU_DEP_2)
	v_fmaak_f32 v14, s60, v13, 0x3ecc95a3
	v_mul_f32_e32 v15, v11, v13
	v_fmaak_f32 v13, v13, v14, 0x3f2aaada
	v_ldexp_f32 v14, v11, 1
	s_delay_alu instid0(VALU_DEP_2) | instskip(SKIP_1) | instid1(VALU_DEP_2)
	v_mul_f32_e32 v13, v15, v13
	v_sub_f32_e32 v11, v11, v12
	v_dual_mul_f32 v15, 0x3f317218, v8 :: v_dual_add_f32 v12, v14, v13
	s_delay_alu instid0(VALU_DEP_2) | instskip(NEXT) | instid1(VALU_DEP_2)
	v_sub_f32_e32 v9, v9, v11
	v_sub_f32_e32 v11, v12, v14
	s_delay_alu instid0(VALU_DEP_3) | instskip(NEXT) | instid1(VALU_DEP_3)
	v_fma_f32 v14, 0x3f317218, v8, -v15
	v_ldexp_f32 v9, v9, 1
	s_delay_alu instid0(VALU_DEP_2) | instskip(NEXT) | instid1(VALU_DEP_1)
	v_dual_sub_f32 v11, v13, v11 :: v_dual_fmac_f32 v14, 0xb102e308, v8
	v_dual_add_f32 v8, v9, v11 :: v_dual_add_f32 v9, v15, v14
	s_delay_alu instid0(VALU_DEP_1) | instskip(NEXT) | instid1(VALU_DEP_1)
	v_add_f32_e32 v11, v12, v8
	v_dual_add_f32 v13, v9, v11 :: v_dual_sub_f32 v12, v11, v12
	s_delay_alu instid0(VALU_DEP_1) | instskip(NEXT) | instid1(VALU_DEP_2)
	v_sub_f32_e32 v16, v13, v9
	v_dual_sub_f32 v15, v9, v15 :: v_dual_sub_f32 v8, v8, v12
	s_delay_alu instid0(VALU_DEP_1) | instskip(SKIP_1) | instid1(VALU_DEP_2)
	v_dual_sub_f32 v17, v13, v16 :: v_dual_sub_f32 v14, v14, v15
	v_sub_f32_e32 v11, v11, v16
	v_dual_sub_f32 v9, v9, v17 :: v_dual_add_f32 v12, v14, v8
	s_delay_alu instid0(VALU_DEP_1) | instskip(NEXT) | instid1(VALU_DEP_2)
	v_add_f32_e32 v9, v11, v9
	v_sub_f32_e32 v11, v12, v14
	s_delay_alu instid0(VALU_DEP_2) | instskip(NEXT) | instid1(VALU_DEP_2)
	v_add_f32_e32 v9, v12, v9
	v_sub_f32_e32 v12, v12, v11
	s_delay_alu instid0(VALU_DEP_2) | instskip(NEXT) | instid1(VALU_DEP_1)
	v_dual_sub_f32 v8, v8, v11 :: v_dual_add_f32 v15, v13, v9
	v_dual_sub_f32 v12, v14, v12 :: v_dual_sub_f32 v11, v15, v13
	s_delay_alu instid0(VALU_DEP_1) | instskip(NEXT) | instid1(VALU_DEP_1)
	v_dual_add_f32 v8, v8, v12 :: v_dual_sub_f32 v9, v9, v11
	v_add_f32_e32 v8, v8, v9
	s_delay_alu instid0(VALU_DEP_1) | instskip(NEXT) | instid1(VALU_DEP_1)
	v_add_f32_e32 v8, v15, v8
	v_cndmask_b32_e32 v46, v8, v10, vcc_lo
.LBB43_26:                              ;   in Loop: Header=BB43_12 Depth=1
	s_or_b32 exec_lo, exec_lo, s7
	v_lshlrev_b32_e32 v8, 16, v7
	s_delay_alu instid0(VALU_DEP_1) | instskip(NEXT) | instid1(VALU_DEP_1)
	v_add_f32_e32 v47, s50, v8
	v_cmp_ge_f32_e32 vcc_lo, 0x41a00000, v47
	s_and_b32 s6, s56, vcc_lo
	s_delay_alu instid0(SALU_CYCLE_1)
	s_and_saveexec_b32 s7, s6
	s_cbranch_execz .LBB43_28
; %bb.27:                               ;   in Loop: Header=BB43_12 Depth=1
	v_mul_f32_e32 v8, 0x3fb8aa3b, v47
	v_cmp_ngt_f32_e32 vcc_lo, 0xc2ce8ed0, v47
	s_delay_alu instid0(VALU_DEP_2) | instskip(SKIP_1) | instid1(VALU_DEP_2)
	v_rndne_f32_e32 v9, v8
	v_fma_f32 v10, 0x3fb8aa3b, v47, -v8
	v_sub_f32_e32 v8, v8, v9
	s_delay_alu instid0(VALU_DEP_2) | instskip(SKIP_1) | instid1(VALU_DEP_2)
	v_fmac_f32_e32 v10, 0x32a5705f, v47
	v_cvt_i32_f32_e32 v9, v9
	v_add_f32_e32 v8, v8, v10
	s_delay_alu instid0(VALU_DEP_1) | instskip(SKIP_2) | instid1(VALU_DEP_1)
	v_exp_f32_e32 v8, v8
	s_waitcnt_depctr 0xfff
	v_ldexp_f32 v8, v8, v9
	v_cndmask_b32_e32 v8, 0, v8, vcc_lo
	v_cmp_nlt_f32_e32 vcc_lo, 0x42b17218, v47
	s_delay_alu instid0(VALU_DEP_2) | instskip(NEXT) | instid1(VALU_DEP_1)
	v_cndmask_b32_e32 v10, 0x7f800000, v8, vcc_lo
	v_add_f32_e32 v11, 1.0, v10
	s_delay_alu instid0(VALU_DEP_1) | instskip(NEXT) | instid1(VALU_DEP_1)
	v_cvt_f64_f32_e32 v[8:9], v11
	v_frexp_exp_i32_f64_e32 v8, v[8:9]
	v_frexp_mant_f32_e32 v9, v11
	s_delay_alu instid0(VALU_DEP_1) | instskip(SKIP_1) | instid1(VALU_DEP_1)
	v_cmp_gt_f32_e32 vcc_lo, 0x3f2aaaab, v9
	v_add_f32_e32 v9, -1.0, v11
	v_sub_f32_e32 v13, v9, v11
	v_sub_f32_e32 v9, v10, v9
	s_delay_alu instid0(VALU_DEP_2) | instskip(NEXT) | instid1(VALU_DEP_1)
	v_add_f32_e32 v13, 1.0, v13
	v_add_f32_e32 v9, v9, v13
	v_cmp_gt_f32_e64 s6, 0x33800000, v10
	v_subrev_co_ci_u32_e32 v8, vcc_lo, 0, v8, vcc_lo
	v_cmp_eq_f32_e32 vcc_lo, 0x7f800000, v10
	s_delay_alu instid0(VALU_DEP_2) | instskip(SKIP_2) | instid1(VALU_DEP_2)
	v_sub_nc_u32_e32 v12, 0, v8
	v_cvt_f32_i32_e32 v8, v8
	s_or_b32 vcc_lo, s6, vcc_lo
	v_ldexp_f32 v11, v11, v12
	v_ldexp_f32 v9, v9, v12
	s_delay_alu instid0(VALU_DEP_2) | instskip(NEXT) | instid1(VALU_DEP_1)
	v_add_f32_e32 v14, 1.0, v11
	v_dual_add_f32 v12, -1.0, v11 :: v_dual_add_f32 v13, -1.0, v14
	s_delay_alu instid0(VALU_DEP_1) | instskip(NEXT) | instid1(VALU_DEP_2)
	v_add_f32_e32 v15, 1.0, v12
	v_sub_f32_e32 v13, v11, v13
	s_delay_alu instid0(VALU_DEP_2) | instskip(NEXT) | instid1(VALU_DEP_2)
	v_sub_f32_e32 v11, v11, v15
	v_add_f32_e32 v13, v9, v13
	s_delay_alu instid0(VALU_DEP_2) | instskip(NEXT) | instid1(VALU_DEP_2)
	v_add_f32_e32 v9, v9, v11
	v_add_f32_e32 v15, v14, v13
	s_delay_alu instid0(VALU_DEP_2) | instskip(NEXT) | instid1(VALU_DEP_2)
	v_add_f32_e32 v16, v12, v9
	v_rcp_f32_e32 v11, v15
	v_sub_f32_e32 v14, v14, v15
	s_delay_alu instid0(VALU_DEP_1) | instskip(SKIP_2) | instid1(VALU_DEP_1)
	v_dual_sub_f32 v12, v12, v16 :: v_dual_add_f32 v13, v13, v14
	s_waitcnt_depctr 0xfff
	v_mul_f32_e32 v17, v16, v11
	v_mul_f32_e32 v47, v15, v17
	s_delay_alu instid0(VALU_DEP_1) | instskip(NEXT) | instid1(VALU_DEP_1)
	v_fma_f32 v14, v17, v15, -v47
	v_fmac_f32_e32 v14, v17, v13
	s_delay_alu instid0(VALU_DEP_1) | instskip(NEXT) | instid1(VALU_DEP_1)
	v_add_f32_e32 v48, v47, v14
	v_sub_f32_e32 v49, v16, v48
	s_delay_alu instid0(VALU_DEP_1) | instskip(NEXT) | instid1(VALU_DEP_1)
	v_sub_f32_e32 v16, v16, v49
	v_sub_f32_e32 v16, v16, v48
	v_dual_add_f32 v9, v9, v12 :: v_dual_sub_f32 v12, v48, v47
	s_delay_alu instid0(VALU_DEP_1) | instskip(NEXT) | instid1(VALU_DEP_1)
	v_dual_add_f32 v9, v9, v16 :: v_dual_sub_f32 v12, v12, v14
	v_add_f32_e32 v9, v12, v9
	s_delay_alu instid0(VALU_DEP_1) | instskip(NEXT) | instid1(VALU_DEP_1)
	v_add_f32_e32 v12, v49, v9
	v_mul_f32_e32 v14, v11, v12
	s_delay_alu instid0(VALU_DEP_1) | instskip(SKIP_1) | instid1(VALU_DEP_2)
	v_mul_f32_e32 v16, v15, v14
	v_sub_f32_e32 v48, v49, v12
	v_fma_f32 v15, v14, v15, -v16
	s_delay_alu instid0(VALU_DEP_2) | instskip(NEXT) | instid1(VALU_DEP_2)
	v_add_f32_e32 v9, v9, v48
	v_fmac_f32_e32 v15, v14, v13
	s_delay_alu instid0(VALU_DEP_1) | instskip(NEXT) | instid1(VALU_DEP_1)
	v_add_f32_e32 v13, v16, v15
	v_sub_f32_e32 v47, v12, v13
	s_delay_alu instid0(VALU_DEP_1) | instskip(NEXT) | instid1(VALU_DEP_1)
	v_sub_f32_e32 v12, v12, v47
	v_sub_f32_e32 v12, v12, v13
	s_delay_alu instid0(VALU_DEP_1) | instskip(SKIP_2) | instid1(VALU_DEP_1)
	v_add_f32_e32 v9, v9, v12
	v_add_f32_e32 v12, v17, v14
	v_sub_f32_e32 v16, v13, v16
	v_sub_f32_e32 v13, v16, v15
	s_delay_alu instid0(VALU_DEP_1) | instskip(NEXT) | instid1(VALU_DEP_4)
	v_add_f32_e32 v9, v13, v9
	v_sub_f32_e32 v13, v12, v17
	s_delay_alu instid0(VALU_DEP_2) | instskip(NEXT) | instid1(VALU_DEP_2)
	v_add_f32_e32 v9, v47, v9
	v_sub_f32_e32 v13, v14, v13
	s_delay_alu instid0(VALU_DEP_2) | instskip(NEXT) | instid1(VALU_DEP_1)
	v_mul_f32_e32 v9, v11, v9
	v_add_f32_e32 v9, v13, v9
	s_delay_alu instid0(VALU_DEP_1) | instskip(NEXT) | instid1(VALU_DEP_1)
	v_add_f32_e32 v11, v12, v9
	v_mul_f32_e32 v13, v11, v11
	s_delay_alu instid0(VALU_DEP_1) | instskip(SKIP_1) | instid1(VALU_DEP_2)
	v_fmaak_f32 v14, s60, v13, 0x3ecc95a3
	v_mul_f32_e32 v15, v11, v13
	v_fmaak_f32 v13, v13, v14, 0x3f2aaada
	v_ldexp_f32 v14, v11, 1
	s_delay_alu instid0(VALU_DEP_2) | instskip(SKIP_1) | instid1(VALU_DEP_2)
	v_mul_f32_e32 v13, v15, v13
	v_sub_f32_e32 v11, v11, v12
	v_dual_mul_f32 v15, 0x3f317218, v8 :: v_dual_add_f32 v12, v14, v13
	s_delay_alu instid0(VALU_DEP_2) | instskip(NEXT) | instid1(VALU_DEP_2)
	v_sub_f32_e32 v9, v9, v11
	v_sub_f32_e32 v11, v12, v14
	s_delay_alu instid0(VALU_DEP_3) | instskip(NEXT) | instid1(VALU_DEP_3)
	v_fma_f32 v14, 0x3f317218, v8, -v15
	v_ldexp_f32 v9, v9, 1
	s_delay_alu instid0(VALU_DEP_2) | instskip(NEXT) | instid1(VALU_DEP_1)
	v_dual_sub_f32 v11, v13, v11 :: v_dual_fmac_f32 v14, 0xb102e308, v8
	v_dual_add_f32 v8, v9, v11 :: v_dual_add_f32 v9, v15, v14
	s_delay_alu instid0(VALU_DEP_1) | instskip(NEXT) | instid1(VALU_DEP_1)
	v_add_f32_e32 v11, v12, v8
	v_dual_add_f32 v13, v9, v11 :: v_dual_sub_f32 v12, v11, v12
	s_delay_alu instid0(VALU_DEP_1) | instskip(NEXT) | instid1(VALU_DEP_2)
	v_sub_f32_e32 v16, v13, v9
	v_dual_sub_f32 v15, v9, v15 :: v_dual_sub_f32 v8, v8, v12
	s_delay_alu instid0(VALU_DEP_1) | instskip(SKIP_1) | instid1(VALU_DEP_2)
	v_dual_sub_f32 v17, v13, v16 :: v_dual_sub_f32 v14, v14, v15
	v_sub_f32_e32 v11, v11, v16
	v_dual_sub_f32 v9, v9, v17 :: v_dual_add_f32 v12, v14, v8
	s_delay_alu instid0(VALU_DEP_1) | instskip(NEXT) | instid1(VALU_DEP_2)
	v_add_f32_e32 v9, v11, v9
	v_sub_f32_e32 v11, v12, v14
	s_delay_alu instid0(VALU_DEP_2) | instskip(NEXT) | instid1(VALU_DEP_2)
	v_add_f32_e32 v9, v12, v9
	v_sub_f32_e32 v12, v12, v11
	s_delay_alu instid0(VALU_DEP_2) | instskip(NEXT) | instid1(VALU_DEP_1)
	v_dual_sub_f32 v8, v8, v11 :: v_dual_add_f32 v15, v13, v9
	v_dual_sub_f32 v12, v14, v12 :: v_dual_sub_f32 v11, v15, v13
	s_delay_alu instid0(VALU_DEP_1) | instskip(NEXT) | instid1(VALU_DEP_1)
	v_dual_add_f32 v8, v8, v12 :: v_dual_sub_f32 v9, v9, v11
	v_add_f32_e32 v8, v8, v9
	s_delay_alu instid0(VALU_DEP_1) | instskip(NEXT) | instid1(VALU_DEP_1)
	v_add_f32_e32 v8, v15, v8
	v_cndmask_b32_e32 v47, v8, v10, vcc_lo
.LBB43_28:                              ;   in Loop: Header=BB43_12 Depth=1
	s_or_b32 exec_lo, exec_lo, s7
	v_lshlrev_b32_e32 v8, 16, v40
	s_delay_alu instid0(VALU_DEP_1) | instskip(NEXT) | instid1(VALU_DEP_1)
	v_add_f32_e32 v56, s50, v8
	v_cmp_ge_f32_e32 vcc_lo, 0x41a00000, v56
	s_and_b32 s6, s56, vcc_lo
	s_delay_alu instid0(SALU_CYCLE_1)
	s_and_saveexec_b32 s7, s6
	s_cbranch_execz .LBB43_30
; %bb.29:                               ;   in Loop: Header=BB43_12 Depth=1
	v_mul_f32_e32 v8, 0x3fb8aa3b, v56
	v_cmp_ngt_f32_e32 vcc_lo, 0xc2ce8ed0, v56
	s_delay_alu instid0(VALU_DEP_2) | instskip(SKIP_1) | instid1(VALU_DEP_2)
	v_rndne_f32_e32 v9, v8
	v_fma_f32 v10, 0x3fb8aa3b, v56, -v8
	v_sub_f32_e32 v8, v8, v9
	s_delay_alu instid0(VALU_DEP_2) | instskip(SKIP_1) | instid1(VALU_DEP_2)
	v_fmac_f32_e32 v10, 0x32a5705f, v56
	v_cvt_i32_f32_e32 v9, v9
	v_add_f32_e32 v8, v8, v10
	s_delay_alu instid0(VALU_DEP_1) | instskip(SKIP_2) | instid1(VALU_DEP_1)
	v_exp_f32_e32 v8, v8
	s_waitcnt_depctr 0xfff
	v_ldexp_f32 v8, v8, v9
	v_cndmask_b32_e32 v8, 0, v8, vcc_lo
	v_cmp_nlt_f32_e32 vcc_lo, 0x42b17218, v56
	s_delay_alu instid0(VALU_DEP_2) | instskip(NEXT) | instid1(VALU_DEP_1)
	v_cndmask_b32_e32 v10, 0x7f800000, v8, vcc_lo
	v_add_f32_e32 v11, 1.0, v10
	s_delay_alu instid0(VALU_DEP_1) | instskip(NEXT) | instid1(VALU_DEP_1)
	v_cvt_f64_f32_e32 v[8:9], v11
	v_frexp_exp_i32_f64_e32 v8, v[8:9]
	v_frexp_mant_f32_e32 v9, v11
	s_delay_alu instid0(VALU_DEP_1) | instskip(SKIP_1) | instid1(VALU_DEP_1)
	v_cmp_gt_f32_e32 vcc_lo, 0x3f2aaaab, v9
	v_add_f32_e32 v9, -1.0, v11
	v_sub_f32_e32 v13, v9, v11
	v_sub_f32_e32 v9, v10, v9
	s_delay_alu instid0(VALU_DEP_2) | instskip(NEXT) | instid1(VALU_DEP_1)
	v_add_f32_e32 v13, 1.0, v13
	v_add_f32_e32 v9, v9, v13
	v_cmp_gt_f32_e64 s6, 0x33800000, v10
	v_subrev_co_ci_u32_e32 v8, vcc_lo, 0, v8, vcc_lo
	v_cmp_eq_f32_e32 vcc_lo, 0x7f800000, v10
	s_delay_alu instid0(VALU_DEP_2) | instskip(SKIP_2) | instid1(VALU_DEP_2)
	v_sub_nc_u32_e32 v12, 0, v8
	v_cvt_f32_i32_e32 v8, v8
	s_or_b32 vcc_lo, s6, vcc_lo
	v_ldexp_f32 v11, v11, v12
	v_ldexp_f32 v9, v9, v12
	s_delay_alu instid0(VALU_DEP_2) | instskip(NEXT) | instid1(VALU_DEP_1)
	v_add_f32_e32 v14, 1.0, v11
	v_dual_add_f32 v12, -1.0, v11 :: v_dual_add_f32 v13, -1.0, v14
	s_delay_alu instid0(VALU_DEP_1) | instskip(NEXT) | instid1(VALU_DEP_2)
	v_add_f32_e32 v15, 1.0, v12
	v_sub_f32_e32 v13, v11, v13
	s_delay_alu instid0(VALU_DEP_2) | instskip(NEXT) | instid1(VALU_DEP_2)
	v_sub_f32_e32 v11, v11, v15
	v_add_f32_e32 v13, v9, v13
	s_delay_alu instid0(VALU_DEP_2) | instskip(NEXT) | instid1(VALU_DEP_1)
	v_add_f32_e32 v9, v9, v11
	v_add_f32_e32 v16, v12, v9
	s_delay_alu instid0(VALU_DEP_1) | instskip(NEXT) | instid1(VALU_DEP_1)
	v_dual_add_f32 v15, v14, v13 :: v_dual_sub_f32 v12, v12, v16
	v_rcp_f32_e32 v11, v15
	v_sub_f32_e32 v14, v14, v15
	s_delay_alu instid0(VALU_DEP_1) | instskip(SKIP_2) | instid1(VALU_DEP_1)
	v_add_f32_e32 v13, v13, v14
	s_waitcnt_depctr 0xfff
	v_mul_f32_e32 v17, v16, v11
	v_dual_mul_f32 v48, v15, v17 :: v_dual_add_f32 v9, v9, v12
	s_delay_alu instid0(VALU_DEP_1) | instskip(NEXT) | instid1(VALU_DEP_1)
	v_fma_f32 v14, v17, v15, -v48
	v_fmac_f32_e32 v14, v17, v13
	s_delay_alu instid0(VALU_DEP_1) | instskip(NEXT) | instid1(VALU_DEP_1)
	v_add_f32_e32 v49, v48, v14
	v_sub_f32_e32 v50, v16, v49
	v_sub_f32_e32 v12, v49, v48
	s_delay_alu instid0(VALU_DEP_2) | instskip(NEXT) | instid1(VALU_DEP_1)
	v_sub_f32_e32 v16, v16, v50
	v_sub_f32_e32 v16, v16, v49
	s_delay_alu instid0(VALU_DEP_1) | instskip(NEXT) | instid1(VALU_DEP_1)
	v_dual_sub_f32 v12, v12, v14 :: v_dual_add_f32 v9, v9, v16
	v_add_f32_e32 v9, v12, v9
	s_delay_alu instid0(VALU_DEP_1) | instskip(NEXT) | instid1(VALU_DEP_1)
	v_add_f32_e32 v12, v50, v9
	v_mul_f32_e32 v14, v11, v12
	s_delay_alu instid0(VALU_DEP_1) | instskip(NEXT) | instid1(VALU_DEP_1)
	v_dual_sub_f32 v49, v50, v12 :: v_dual_mul_f32 v16, v15, v14
	v_add_f32_e32 v9, v9, v49
	s_delay_alu instid0(VALU_DEP_2) | instskip(NEXT) | instid1(VALU_DEP_1)
	v_fma_f32 v15, v14, v15, -v16
	v_fmac_f32_e32 v15, v14, v13
	s_delay_alu instid0(VALU_DEP_1) | instskip(NEXT) | instid1(VALU_DEP_1)
	v_add_f32_e32 v13, v16, v15
	v_sub_f32_e32 v48, v12, v13
	s_delay_alu instid0(VALU_DEP_1) | instskip(NEXT) | instid1(VALU_DEP_1)
	v_sub_f32_e32 v12, v12, v48
	v_sub_f32_e32 v12, v12, v13
	s_delay_alu instid0(VALU_DEP_1) | instskip(SKIP_2) | instid1(VALU_DEP_1)
	v_add_f32_e32 v9, v9, v12
	v_add_f32_e32 v12, v17, v14
	v_sub_f32_e32 v16, v13, v16
	v_sub_f32_e32 v13, v16, v15
	s_delay_alu instid0(VALU_DEP_1) | instskip(NEXT) | instid1(VALU_DEP_4)
	v_add_f32_e32 v9, v13, v9
	v_sub_f32_e32 v13, v12, v17
	s_delay_alu instid0(VALU_DEP_2) | instskip(NEXT) | instid1(VALU_DEP_2)
	v_add_f32_e32 v9, v48, v9
	v_sub_f32_e32 v13, v14, v13
	s_delay_alu instid0(VALU_DEP_2) | instskip(NEXT) | instid1(VALU_DEP_1)
	v_mul_f32_e32 v9, v11, v9
	v_add_f32_e32 v9, v13, v9
	s_delay_alu instid0(VALU_DEP_1) | instskip(NEXT) | instid1(VALU_DEP_1)
	v_add_f32_e32 v11, v12, v9
	v_mul_f32_e32 v13, v11, v11
	s_delay_alu instid0(VALU_DEP_1) | instskip(SKIP_1) | instid1(VALU_DEP_2)
	v_fmaak_f32 v14, s60, v13, 0x3ecc95a3
	v_mul_f32_e32 v15, v11, v13
	v_fmaak_f32 v13, v13, v14, 0x3f2aaada
	v_ldexp_f32 v14, v11, 1
	v_sub_f32_e32 v11, v11, v12
	s_delay_alu instid0(VALU_DEP_3) | instskip(SKIP_1) | instid1(VALU_DEP_2)
	v_mul_f32_e32 v13, v15, v13
	v_mul_f32_e32 v15, 0x3f317218, v8
	v_dual_sub_f32 v9, v9, v11 :: v_dual_add_f32 v12, v14, v13
	s_delay_alu instid0(VALU_DEP_1) | instskip(NEXT) | instid1(VALU_DEP_2)
	v_ldexp_f32 v9, v9, 1
	v_sub_f32_e32 v11, v12, v14
	s_delay_alu instid0(VALU_DEP_4) | instskip(NEXT) | instid1(VALU_DEP_1)
	v_fma_f32 v14, 0x3f317218, v8, -v15
	v_dual_sub_f32 v11, v13, v11 :: v_dual_fmac_f32 v14, 0xb102e308, v8
	s_delay_alu instid0(VALU_DEP_1) | instskip(NEXT) | instid1(VALU_DEP_1)
	v_dual_add_f32 v8, v9, v11 :: v_dual_add_f32 v9, v15, v14
	v_add_f32_e32 v11, v12, v8
	s_delay_alu instid0(VALU_DEP_2) | instskip(NEXT) | instid1(VALU_DEP_2)
	v_sub_f32_e32 v15, v9, v15
	v_dual_add_f32 v13, v9, v11 :: v_dual_sub_f32 v12, v11, v12
	s_delay_alu instid0(VALU_DEP_2) | instskip(NEXT) | instid1(VALU_DEP_2)
	v_sub_f32_e32 v14, v14, v15
	v_sub_f32_e32 v16, v13, v9
	s_delay_alu instid0(VALU_DEP_3) | instskip(NEXT) | instid1(VALU_DEP_2)
	v_sub_f32_e32 v8, v8, v12
	v_sub_f32_e32 v17, v13, v16
	;; [unrolled: 1-line block ×3, first 2 shown]
	s_delay_alu instid0(VALU_DEP_2) | instskip(NEXT) | instid1(VALU_DEP_1)
	v_dual_add_f32 v12, v14, v8 :: v_dual_sub_f32 v9, v9, v17
	v_add_f32_e32 v9, v11, v9
	s_delay_alu instid0(VALU_DEP_2) | instskip(NEXT) | instid1(VALU_DEP_2)
	v_sub_f32_e32 v11, v12, v14
	v_add_f32_e32 v9, v12, v9
	s_delay_alu instid0(VALU_DEP_2) | instskip(NEXT) | instid1(VALU_DEP_2)
	v_sub_f32_e32 v12, v12, v11
	v_dual_sub_f32 v8, v8, v11 :: v_dual_add_f32 v15, v13, v9
	s_delay_alu instid0(VALU_DEP_1) | instskip(NEXT) | instid1(VALU_DEP_1)
	v_dual_sub_f32 v12, v14, v12 :: v_dual_sub_f32 v11, v15, v13
	v_dual_add_f32 v8, v8, v12 :: v_dual_sub_f32 v9, v9, v11
	s_delay_alu instid0(VALU_DEP_1) | instskip(NEXT) | instid1(VALU_DEP_1)
	v_add_f32_e32 v8, v8, v9
	v_add_f32_e32 v8, v15, v8
	s_delay_alu instid0(VALU_DEP_1)
	v_cndmask_b32_e32 v56, v8, v10, vcc_lo
.LBB43_30:                              ;   in Loop: Header=BB43_12 Depth=1
	s_or_b32 exec_lo, exec_lo, s7
	v_lshlrev_b32_e32 v15, 16, v0
	v_lshlrev_b32_e32 v12, 16, v34
	s_lshl_b32 s24, s62, 9
	s_and_b32 vcc_lo, exec_lo, s57
	s_delay_alu instid0(VALU_DEP_2) | instskip(NEXT) | instid1(VALU_DEP_2)
	v_mul_f32_e32 v55, s51, v15
	v_dual_mul_f32 v52, s51, v12 :: v_dual_lshlrev_b32 v13, 16, v1
	v_lshlrev_b32_e32 v10, 16, v2
	s_barrier
	buffer_gl0_inv
	v_mul_f32_e32 v53, s51, v13
	v_dual_mul_f32 v51, s51, v10 :: v_dual_lshlrev_b32 v14, 16, v33
	s_delay_alu instid0(VALU_DEP_1) | instskip(NEXT) | instid1(VALU_DEP_1)
	v_dual_mul_f32 v54, s51, v14 :: v_dual_lshlrev_b32 v9, 16, v36
	v_dual_mul_f32 v49, s51, v9 :: v_dual_lshlrev_b32 v8, 16, v3
	s_delay_alu instid0(VALU_DEP_1) | instskip(NEXT) | instid1(VALU_DEP_1)
	v_dual_mul_f32 v48, s51, v8 :: v_dual_lshlrev_b32 v11, 16, v38
	v_mul_f32_e32 v50, s51, v11
	s_cbranch_vccz .LBB43_11
; %bb.31:                               ;   in Loop: Header=BB43_12 Depth=1
	v_dual_mul_f32 v59, v46, v9 :: v_dual_mul_f32 v60, v45, v10
	v_add_nc_u32_e32 v9, -1, v32
	s_sub_i32 s16, s34, s24
	s_cmp_lg_u32 s62, 0
	v_dual_mul_f32 v57, v56, v11 :: v_dual_mul_f32 v58, v47, v8
	s_delay_alu instid0(VALU_DEP_2)
	v_cmp_gt_i32_e32 vcc_lo, 0, v9
	v_and_b32_e32 v8, 15, v32
	v_and_b32_e32 v10, 16, v32
	;; [unrolled: 1-line block ×3, first 2 shown]
	v_add_co_u32 v65, s6, s36, v31
	v_cndmask_b32_e32 v9, v9, v32, vcc_lo
	v_cmp_gt_u32_e32 vcc_lo, s16, v19
	s_cselect_b32 s25, -1, 0
	s_cmp_eq_u32 s62, s59
	v_add_co_ci_u32_e64 v66, null, s41, 0, s6
	v_add_co_u32 v67, s6, s45, v31
	v_cmp_gt_u32_e64 s14, s16, v24
	v_cmp_gt_u32_e64 s15, s16, v25
	s_cselect_b32 s63, -1, 0
	s_or_b32 s13, s58, vcc_lo
	v_cmp_gt_u32_e32 vcc_lo, s16, v26
	v_cmp_gt_u32_e64 s17, s16, v27
	v_cmp_gt_u32_e64 s18, s16, v28
	;; [unrolled: 1-line block ×4, first 2 shown]
	v_dual_mul_f32 v61, v44, v12 :: v_dual_mul_f32 v62, v43, v13
	v_dual_mul_f32 v63, v42, v14 :: v_dual_mul_f32 v64, v41, v15
	v_add_co_ci_u32_e64 v68, null, s52, 0, s6
	v_cmp_ne_u32_e64 s6, 0, v8
	v_cmp_lt_u32_e64 s7, 1, v8
	v_cmp_lt_u32_e64 s8, 3, v8
	;; [unrolled: 1-line block ×3, first 2 shown]
	v_cmp_ne_u32_e64 s10, 0, v10
	v_cmp_eq_u32_e64 s11, 0, v11
	v_lshlrev_b32_e32 v69, 2, v9
	v_cmp_eq_u32_e64 s12, 0, v32
	s_mov_b32 s28, 0
	s_or_b32 s14, s58, s14
	s_or_b32 s15, s58, s15
	s_or_b32 s16, s58, vcc_lo
	s_or_b32 s17, s58, s17
	s_or_b32 s18, s58, s18
	;; [unrolled: 1-line block ×4, first 2 shown]
	s_mov_b32 s30, s28
	s_mov_b32 s38, s28
	;; [unrolled: 1-line block ×5, first 2 shown]
	s_branch .LBB43_33
.LBB43_32:                              ;   in Loop: Header=BB43_33 Depth=2
	s_or_b32 exec_lo, exec_lo, s21
	v_cndmask_b32_e64 v13, v87, v15, s12
	v_cndmask_b32_e64 v14, v86, v14, s12
	s_add_i32 s64, s64, -1
	s_add_i32 s65, s65, 8
	s_add_i32 s42, s42, s26
	v_fma_f32 v13, v13, v75, v73
	v_mul_f32_e32 v14, v14, v75
	s_add_i32 s38, s38, s44
	s_add_i32 s30, s30, s40
	;; [unrolled: 1-line block ×3, first 2 shown]
	v_cndmask_b32_e64 v13, v13, v73, s5
	v_cndmask_b32_e64 v14, v14, v75, s5
	s_cmp_eq_u32 s64, 0
	v_and_b32_e32 v15, 0xffff0000, v10
	s_waitcnt lgkmcnt(0)
	s_delay_alu instid0(VALU_DEP_2) | instskip(NEXT) | instid1(VALU_DEP_1)
	v_dual_fmac_f32 v13, v12, v14 :: v_dual_and_b32 v12, 0xffff0000, v8
	v_fmac_f32_e32 v70, v13, v76
	s_delay_alu instid0(VALU_DEP_1) | instskip(NEXT) | instid1(VALU_DEP_1)
	v_fmac_f32_e32 v71, v70, v78
	v_fmac_f32_e32 v72, v71, v79
	s_delay_alu instid0(VALU_DEP_1) | instskip(SKIP_2) | instid1(VALU_DEP_3)
	v_fmac_f32_e32 v74, v72, v81
	v_and_b32_e32 v16, 0xffff0000, v11
	v_lshlrev_b32_e32 v11, 16, v11
	v_dual_fmac_f32 v77, v74, v85 :: v_dual_lshlrev_b32 v8, 16, v8
	v_and_b32_e32 v14, 0xffff0000, v9
	v_lshlrev_b32_e32 v9, 16, v9
	s_delay_alu instid0(VALU_DEP_3) | instskip(NEXT) | instid1(VALU_DEP_4)
	v_dual_fmac_f32 v55, v13, v8 :: v_dual_lshlrev_b32 v10, 16, v10
	v_fmac_f32_e32 v80, v77, v83
	v_dual_fmac_f32 v54, v70, v12 :: v_dual_fmac_f32 v49, v77, v15
	s_delay_alu instid0(VALU_DEP_4) | instskip(NEXT) | instid1(VALU_DEP_3)
	v_dual_fmac_f32 v53, v71, v9 :: v_dual_fmac_f32 v52, v72, v14
	v_dual_fmac_f32 v82, v80, v84 :: v_dual_fmac_f32 v51, v74, v10
	v_fmac_f32_e32 v48, v80, v11
	s_delay_alu instid0(VALU_DEP_2)
	v_fmac_f32_e32 v50, v82, v16
	s_cbranch_scc1 .LBB43_11
.LBB43_33:                              ;   Parent Loop BB43_12 Depth=1
                                        ; =>  This Inner Loop Header: Depth=2
	s_lshl_b64 s[66:67], s[28:29], 2
	s_mov_b32 s31, s29
	s_add_u32 s66, s23, s66
	s_addc_u32 s67, s27, s67
	s_lshl_b64 s[68:69], s[30:31], 1
	s_mov_b32 s39, s29
	v_add_co_u32 v8, vcc_lo, v65, s68
	v_add_co_ci_u32_e32 v9, vcc_lo, s69, v66, vcc_lo
	s_lshl_b64 s[68:69], s[38:39], 1
	s_delay_alu instid0(SALU_CYCLE_1)
	v_add_co_u32 v10, vcc_lo, v67, s68
	v_add_co_ci_u32_e32 v11, vcc_lo, s69, v68, vcc_lo
	global_load_b32 v70, v18, s[66:67]
	global_load_b128 v[12:15], v[8:9], off
	global_load_b128 v[8:11], v[10:11], off
	s_and_not1_b32 vcc_lo, exec_lo, s25
	s_cbranch_vccnz .LBB43_35
; %bb.34:                               ;   in Loop: Header=BB43_33 Depth=2
	v_mov_b32_e32 v16, s65
	ds_load_b64 v[16:17], v16
	s_cbranch_execz .LBB43_36
	s_branch .LBB43_39
.LBB43_35:                              ;   in Loop: Header=BB43_33 Depth=2
                                        ; implicit-def: $vgpr16
.LBB43_36:                              ;   in Loop: Header=BB43_33 Depth=2
	s_waitcnt lgkmcnt(0)
	v_mov_b32_e32 v17, 0
	s_and_not1_b32 vcc_lo, exec_lo, s33
	s_cbranch_vccnz .LBB43_38
; %bb.37:                               ;   in Loop: Header=BB43_33 Depth=2
	s_mov_b32 s43, s29
	s_delay_alu instid0(SALU_CYCLE_1) | instskip(NEXT) | instid1(SALU_CYCLE_1)
	s_lshl_b64 s[66:67], s[42:43], 2
	s_add_u32 s66, s53, s66
	s_addc_u32 s67, s54, s67
	global_load_b32 v17, v18, s[66:67]
.LBB43_38:                              ;   in Loop: Header=BB43_33 Depth=2
	v_mov_b32_e32 v16, 1.0
.LBB43_39:                              ;   in Loop: Header=BB43_33 Depth=2
	s_waitcnt vmcnt(2)
	v_mul_f32_e32 v80, 0x3fb8aa3b, v70
	s_waitcnt vmcnt(1)
	v_lshlrev_b32_e32 v70, 16, v12
	s_delay_alu instid0(VALU_DEP_2) | instskip(NEXT) | instid1(VALU_DEP_1)
	v_dual_mul_f32 v73, v80, v42 :: v_dual_and_b32 v12, 0xffff0000, v12
	v_dual_mul_f32 v71, v80, v41 :: v_dual_mul_f32 v12, v63, v12
	s_delay_alu instid0(VALU_DEP_3) | instskip(NEXT) | instid1(VALU_DEP_3)
	v_mul_f32_e32 v70, v64, v70
	v_cmp_gt_f32_e64 s21, 0xc2fc0000, v73
	s_delay_alu instid0(VALU_DEP_3) | instskip(NEXT) | instid1(VALU_DEP_2)
	v_cmp_gt_f32_e32 vcc_lo, 0xc2fc0000, v71
	v_cndmask_b32_e64 v73, 0, 0x42800000, s21
	v_cndmask_b32_e64 v71, 0, 0x42800000, vcc_lo
	v_lshlrev_b32_e32 v72, 16, v13
	v_lshlrev_b32_e32 v74, 16, v14
	v_and_b32_e32 v13, 0xffff0000, v13
	v_fmac_f32_e32 v73, v80, v42
	v_fmac_f32_e32 v71, v80, v41
	v_cndmask_b32_e64 v78, 1.0, 0x1f800000, vcc_lo
	v_cndmask_b32_e64 v79, 1.0, 0x1f800000, s21
	v_mul_f32_e32 v72, v62, v72
	v_exp_f32_e32 v76, v73
	v_exp_f32_e32 v71, v71
	v_cndmask_b32_e64 v73, 0, v70, s13
	v_cndmask_b32_e64 v70, 0, v12, s14
	s_waitcnt_depctr 0xfff
	v_dual_mul_f32 v13, v61, v13 :: v_dual_mul_f32 v12, v71, v78
	v_dual_mul_f32 v71, v76, v79 :: v_dual_and_b32 v14, 0xffff0000, v14
	v_mul_f32_e32 v75, v80, v43
	v_dual_mul_f32 v77, v80, v44 :: v_dual_lshlrev_b32 v82, 16, v15
	v_and_b32_e32 v15, 0xffff0000, v15
	s_delay_alu instid0(VALU_DEP_4) | instskip(NEXT) | instid1(VALU_DEP_4)
	v_cndmask_b32_e64 v76, 1.0, v71, s14
	v_cmp_gt_f32_e64 s22, 0xc2fc0000, v75
	v_mul_f32_e32 v79, v80, v46
	v_cmp_gt_f32_e32 vcc_lo, 0xc2fc0000, v77
	v_mul_f32_e32 v84, v80, v56
	v_mul_f32_e32 v14, v59, v14
	v_cndmask_b32_e64 v75, 0, 0x42800000, s22
	v_cndmask_b32_e64 v71, 1.0, 0x1f800000, s22
	v_cndmask_b32_e64 v77, 0, 0x42800000, vcc_lo
	s_delay_alu instid0(VALU_DEP_3) | instskip(NEXT) | instid1(VALU_DEP_2)
	v_dual_mul_f32 v82, v58, v82 :: v_dual_fmac_f32 v75, v80, v43
	v_fmac_f32_e32 v77, v80, v44
	s_delay_alu instid0(VALU_DEP_2) | instskip(SKIP_2) | instid1(VALU_DEP_3)
	v_exp_f32_e32 v78, v75
	v_cndmask_b32_e64 v75, 1.0, v12, s13
	v_mul_f32_e32 v12, v80, v45
	v_exp_f32_e32 v77, v77
	v_mul_f32_e32 v15, v57, v15
	s_delay_alu instid0(VALU_DEP_2)
	v_cmp_gt_f32_e64 s21, 0xc2fc0000, v12
	s_waitcnt_depctr 0xfff
	v_mul_f32_e32 v78, v78, v71
	v_cndmask_b32_e64 v71, 0, v72, s15
	v_cndmask_b32_e64 v12, 0, 0x42800000, s21
	v_cndmask_b32_e64 v72, 1.0, 0x1f800000, vcc_lo
	v_cmp_gt_f32_e32 vcc_lo, 0xc2fc0000, v79
	v_cndmask_b32_e64 v78, 1.0, v78, s15
	s_delay_alu instid0(VALU_DEP_3) | instskip(SKIP_3) | instid1(VALU_DEP_4)
	v_dual_fmac_f32 v12, v80, v45 :: v_dual_mul_f32 v77, v77, v72
	v_cndmask_b32_e64 v81, 0, 0x42800000, vcc_lo
	v_cndmask_b32_e64 v72, 0, v13, s16
	v_cndmask_b32_e64 v13, 1.0, 0x1f800000, s21
	v_exp_f32_e32 v12, v12
	v_cndmask_b32_e64 v79, 1.0, v77, s16
	v_cmp_gt_f32_e64 s21, 0xc2fc0000, v84
	v_fma_f32 v84, v76, v73, v70
	s_waitcnt_depctr 0xfff
	v_mul_f32_e32 v12, v12, v13
	v_cndmask_b32_e64 v13, 1.0, 0x1f800000, vcc_lo
	v_fmac_f32_e32 v81, v80, v46
	s_delay_alu instid0(VALU_DEP_1) | instskip(SKIP_1) | instid1(VALU_DEP_1)
	v_exp_f32_e32 v77, v81
	v_mul_f32_e32 v81, v80, v47
	v_cmp_gt_f32_e32 vcc_lo, 0xc2fc0000, v81
	v_cndmask_b32_e64 v81, 1.0, v12, s17
	s_waitcnt_depctr 0xfff
	v_mul_f32_e32 v12, v77, v13
	v_cndmask_b32_e64 v83, 0, 0x42800000, vcc_lo
	v_cndmask_b32_e64 v77, 0, v14, s18
	v_mul_f32_e32 v14, v76, v75
	v_cndmask_b32_e64 v13, 0, 0x42800000, s21
	v_cndmask_b32_e64 v85, 1.0, v12, s18
	s_delay_alu instid0(VALU_DEP_3) | instskip(NEXT) | instid1(VALU_DEP_3)
	v_dual_fmac_f32 v83, v80, v47 :: v_dual_mul_f32 v12, v14, v78
	v_fmac_f32_e32 v13, v80, v56
	v_fma_f32 v14, v84, v78, v71
	s_delay_alu instid0(VALU_DEP_3)
	v_exp_f32_e32 v83, v83
	v_cndmask_b32_e64 v80, 1.0, 0x1f800000, vcc_lo
	v_mul_f32_e32 v74, v60, v74
	v_exp_f32_e32 v13, v13
	v_mul_f32_e32 v12, v12, v79
	v_fma_f32 v14, v14, v79, v72
	s_waitcnt_depctr 0xfff
	v_dual_mul_f32 v12, v12, v81 :: v_dual_mul_f32 v83, v83, v80
	v_cndmask_b32_e64 v74, 0, v74, s17
	v_cndmask_b32_e64 v80, 0, v82, s19
	v_cndmask_b32_e64 v82, 1.0, 0x1f800000, s21
	s_delay_alu instid0(VALU_DEP_4) | instskip(SKIP_2) | instid1(VALU_DEP_4)
	v_mul_f32_e32 v12, v12, v85
	v_cndmask_b32_e64 v83, 1.0, v83, s19
	v_fma_f32 v14, v14, v81, v74
	v_mul_f32_e32 v13, v13, v82
	v_cndmask_b32_e64 v82, 0, v15, s20
	s_delay_alu instid0(VALU_DEP_4) | instskip(NEXT) | instid1(VALU_DEP_4)
	v_mul_f32_e32 v12, v12, v83
	v_fma_f32 v14, v14, v85, v77
	s_delay_alu instid0(VALU_DEP_4) | instskip(NEXT) | instid1(VALU_DEP_2)
	v_cndmask_b32_e64 v84, 1.0, v13, s20
	v_fma_f32 v13, v14, v83, v80
	s_delay_alu instid0(VALU_DEP_2) | instskip(NEXT) | instid1(VALU_DEP_2)
	v_mul_f32_e32 v12, v12, v84
	v_fma_f32 v13, v13, v84, v82
	s_delay_alu instid0(VALU_DEP_2) | instskip(NEXT) | instid1(VALU_DEP_2)
	v_mov_b32_dpp v15, v12 row_shr:1 row_mask:0xf bank_mask:0xf
	v_mov_b32_dpp v14, v13 row_shr:1 row_mask:0xf bank_mask:0xf
	s_and_saveexec_b32 s21, s6
; %bb.40:                               ;   in Loop: Header=BB43_33 Depth=2
	s_delay_alu instid0(VALU_DEP_2) | instskip(NEXT) | instid1(VALU_DEP_1)
	v_mul_f32_e32 v15, v12, v15
	v_dual_fmac_f32 v13, v12, v14 :: v_dual_mov_b32 v12, v15
; %bb.41:                               ;   in Loop: Header=BB43_33 Depth=2
	s_or_b32 exec_lo, exec_lo, s21
	s_delay_alu instid0(VALU_DEP_1) | instskip(NEXT) | instid1(VALU_DEP_2)
	v_mov_b32_dpp v14, v12 row_shr:2 row_mask:0xf bank_mask:0xf
	v_mov_b32_dpp v15, v13 row_shr:2 row_mask:0xf bank_mask:0xf
	s_and_saveexec_b32 s21, s7
; %bb.42:                               ;   in Loop: Header=BB43_33 Depth=2
	s_delay_alu instid0(VALU_DEP_1) | instskip(NEXT) | instid1(VALU_DEP_3)
	v_fmac_f32_e32 v13, v12, v15
	v_mul_f32_e32 v12, v12, v14
; %bb.43:                               ;   in Loop: Header=BB43_33 Depth=2
	s_or_b32 exec_lo, exec_lo, s21
	s_delay_alu instid0(VALU_DEP_1) | instskip(NEXT) | instid1(VALU_DEP_3)
	v_mov_b32_dpp v14, v12 row_shr:4 row_mask:0xf bank_mask:0xf
	v_mov_b32_dpp v15, v13 row_shr:4 row_mask:0xf bank_mask:0xf
	s_and_saveexec_b32 s21, s8
; %bb.44:                               ;   in Loop: Header=BB43_33 Depth=2
	s_delay_alu instid0(VALU_DEP_1) | instskip(NEXT) | instid1(VALU_DEP_3)
	v_fmac_f32_e32 v13, v12, v15
	v_mul_f32_e32 v12, v12, v14
; %bb.45:                               ;   in Loop: Header=BB43_33 Depth=2
	s_or_b32 exec_lo, exec_lo, s21
	s_delay_alu instid0(VALU_DEP_1) | instskip(NEXT) | instid1(VALU_DEP_3)
	v_mov_b32_dpp v14, v12 row_shr:8 row_mask:0xf bank_mask:0xf
	v_mov_b32_dpp v15, v13 row_shr:8 row_mask:0xf bank_mask:0xf
	s_and_saveexec_b32 s21, s9
; %bb.46:                               ;   in Loop: Header=BB43_33 Depth=2
	s_delay_alu instid0(VALU_DEP_1) | instskip(NEXT) | instid1(VALU_DEP_3)
	v_fmac_f32_e32 v13, v12, v15
	v_mul_f32_e32 v12, v12, v14
; %bb.47:                               ;   in Loop: Header=BB43_33 Depth=2
	s_or_b32 exec_lo, exec_lo, s21
	ds_swizzle_b32 v15, v12 offset:swizzle(BROADCAST,32,15)
	ds_swizzle_b32 v14, v13 offset:swizzle(BROADCAST,32,15)
	s_and_saveexec_b32 s21, s10
	s_cbranch_execz .LBB43_49
; %bb.48:                               ;   in Loop: Header=BB43_33 Depth=2
	s_waitcnt lgkmcnt(1)
	v_mul_f32_e32 v15, v12, v15
	s_waitcnt lgkmcnt(0)
	s_delay_alu instid0(VALU_DEP_1)
	v_dual_fmac_f32 v13, v12, v14 :: v_dual_mov_b32 v12, v15
.LBB43_49:                              ;   in Loop: Header=BB43_33 Depth=2
	s_or_b32 exec_lo, exec_lo, s21
	s_and_saveexec_b32 s21, s1
	s_cbranch_execz .LBB43_51
; %bb.50:                               ;   in Loop: Header=BB43_33 Depth=2
	ds_store_b64 v20, v[12:13] offset:2112
.LBB43_51:                              ;   in Loop: Header=BB43_33 Depth=2
	s_or_b32 exec_lo, exec_lo, s21
	s_waitcnt vmcnt(0) lgkmcnt(0)
	s_waitcnt_vscnt null, 0x0
	s_barrier
	buffer_gl0_inv
	s_and_saveexec_b32 s21, s2
	s_cbranch_execz .LBB43_53
; %bb.52:                               ;   in Loop: Header=BB43_33 Depth=2
	ds_load_b64 v[14:15], v21 offset:2112
	s_waitcnt lgkmcnt(0)
	v_mov_b32_dpp v86, v14 row_shr:1 row_mask:0xf bank_mask:0xf
	v_mov_b32_dpp v87, v15 row_shr:1 row_mask:0xf bank_mask:0xf
	s_delay_alu instid0(VALU_DEP_2) | instskip(NEXT) | instid1(VALU_DEP_2)
	v_mul_f32_e32 v86, v14, v86
	v_fma_f32 v87, v14, v87, v15
	s_delay_alu instid0(VALU_DEP_2) | instskip(NEXT) | instid1(VALU_DEP_2)
	v_cndmask_b32_e64 v14, v86, v14, s11
	v_cndmask_b32_e64 v15, v87, v15, s11
	ds_store_b64 v21, v[14:15] offset:2112
.LBB43_53:                              ;   in Loop: Header=BB43_33 Depth=2
	s_or_b32 exec_lo, exec_lo, s21
	s_waitcnt lgkmcnt(0)
	s_barrier
	buffer_gl0_inv
                                        ; implicit-def: $vgpr15
	s_and_saveexec_b32 s21, s4
	s_cbranch_execz .LBB43_55
; %bb.54:                               ;   in Loop: Header=BB43_33 Depth=2
	ds_load_b64 v[14:15], v20 offset:2104
	s_waitcnt lgkmcnt(0)
	v_mul_f32_e32 v86, v12, v14
	s_delay_alu instid0(VALU_DEP_1)
	v_dual_fmac_f32 v13, v12, v15 :: v_dual_mov_b32 v12, v86
.LBB43_55:                              ;   in Loop: Header=BB43_33 Depth=2
	s_or_b32 exec_lo, exec_lo, s21
	ds_bpermute_b32 v86, v69, v12
	ds_bpermute_b32 v87, v69, v13
	s_and_saveexec_b32 s21, s3
	s_cbranch_execz .LBB43_59
; %bb.56:                               ;   in Loop: Header=BB43_33 Depth=2
	ds_load_b64 v[12:13], v18 offset:2120
	s_and_saveexec_b32 s22, s5
	s_cbranch_execz .LBB43_58
; %bb.57:                               ;   in Loop: Header=BB43_33 Depth=2
	ds_store_b64 v18, v[16:17] offset:2120
.LBB43_58:                              ;   in Loop: Header=BB43_33 Depth=2
	s_or_b32 exec_lo, exec_lo, s22
	s_waitcnt lgkmcnt(0)
	v_fmac_f32_e32 v13, v17, v12
	s_delay_alu instid0(VALU_DEP_1)
	v_dual_mul_f32 v16, v16, v12 :: v_dual_mov_b32 v17, v13
.LBB43_59:                              ;   in Loop: Header=BB43_33 Depth=2
	s_or_b32 exec_lo, exec_lo, s21
	s_waitcnt lgkmcnt(0)
	s_barrier
	buffer_gl0_inv
	ds_load_b32 v12, v18 offset:2124
	s_and_saveexec_b32 s21, s5
	s_cbranch_execz .LBB43_32
; %bb.60:                               ;   in Loop: Header=BB43_33 Depth=2
	v_mov_b32_e32 v13, s65
	s_and_not1_b32 vcc_lo, exec_lo, s63
	ds_store_b64 v13, v[16:17]
	s_cbranch_vccnz .LBB43_32
; %bb.61:                               ;   in Loop: Header=BB43_33 Depth=2
	s_mov_b32 s43, s29
	s_delay_alu instid0(SALU_CYCLE_1) | instskip(NEXT) | instid1(SALU_CYCLE_1)
	s_lshl_b64 s[66:67], s[42:43], 2
	s_add_u32 s66, s53, s66
	s_addc_u32 s67, s54, s67
	global_store_b32 v18, v17, s[66:67]
	s_branch .LBB43_32
.LBB43_62:
	s_nop 0
	s_sendmsg sendmsg(MSG_DEALLOC_VGPRS)
	s_endpgm
	.section	.rodata,"a",@progbits
	.p2align	6, 0x0
	.amdhsa_kernel _Z25selective_scan_fwd_kernelI32Selective_Scan_fwd_kernel_traitsILi64ELi8ELi1ELb1ELb1ELb1ELb0ELb0EN3c108BFloat16EffEEv13SSMParamsBase
		.amdhsa_group_segment_fixed_size 0
		.amdhsa_private_segment_fixed_size 0
		.amdhsa_kernarg_size 248
		.amdhsa_user_sgpr_count 14
		.amdhsa_user_sgpr_dispatch_ptr 0
		.amdhsa_user_sgpr_queue_ptr 0
		.amdhsa_user_sgpr_kernarg_segment_ptr 1
		.amdhsa_user_sgpr_dispatch_id 0
		.amdhsa_user_sgpr_private_segment_size 0
		.amdhsa_wavefront_size32 1
		.amdhsa_uses_dynamic_stack 0
		.amdhsa_enable_private_segment 0
		.amdhsa_system_sgpr_workgroup_id_x 1
		.amdhsa_system_sgpr_workgroup_id_y 1
		.amdhsa_system_sgpr_workgroup_id_z 0
		.amdhsa_system_sgpr_workgroup_info 0
		.amdhsa_system_vgpr_workitem_id 0
		.amdhsa_next_free_vgpr 88
		.amdhsa_next_free_sgpr 70
		.amdhsa_reserve_vcc 1
		.amdhsa_float_round_mode_32 0
		.amdhsa_float_round_mode_16_64 0
		.amdhsa_float_denorm_mode_32 3
		.amdhsa_float_denorm_mode_16_64 3
		.amdhsa_dx10_clamp 1
		.amdhsa_ieee_mode 1
		.amdhsa_fp16_overflow 0
		.amdhsa_workgroup_processor_mode 1
		.amdhsa_memory_ordered 1
		.amdhsa_forward_progress 0
		.amdhsa_shared_vgpr_count 0
		.amdhsa_exception_fp_ieee_invalid_op 0
		.amdhsa_exception_fp_denorm_src 0
		.amdhsa_exception_fp_ieee_div_zero 0
		.amdhsa_exception_fp_ieee_overflow 0
		.amdhsa_exception_fp_ieee_underflow 0
		.amdhsa_exception_fp_ieee_inexact 0
		.amdhsa_exception_int_div_zero 0
	.end_amdhsa_kernel
	.section	.text._Z25selective_scan_fwd_kernelI32Selective_Scan_fwd_kernel_traitsILi64ELi8ELi1ELb1ELb1ELb1ELb0ELb0EN3c108BFloat16EffEEv13SSMParamsBase,"axG",@progbits,_Z25selective_scan_fwd_kernelI32Selective_Scan_fwd_kernel_traitsILi64ELi8ELi1ELb1ELb1ELb1ELb0ELb0EN3c108BFloat16EffEEv13SSMParamsBase,comdat
.Lfunc_end43:
	.size	_Z25selective_scan_fwd_kernelI32Selective_Scan_fwd_kernel_traitsILi64ELi8ELi1ELb1ELb1ELb1ELb0ELb0EN3c108BFloat16EffEEv13SSMParamsBase, .Lfunc_end43-_Z25selective_scan_fwd_kernelI32Selective_Scan_fwd_kernel_traitsILi64ELi8ELi1ELb1ELb1ELb1ELb0ELb0EN3c108BFloat16EffEEv13SSMParamsBase
                                        ; -- End function
	.section	.AMDGPU.csdata,"",@progbits
; Kernel info:
; codeLenInByte = 9900
; NumSgprs: 72
; NumVgprs: 88
; ScratchSize: 0
; MemoryBound: 0
; FloatMode: 240
; IeeeMode: 1
; LDSByteSize: 0 bytes/workgroup (compile time only)
; SGPRBlocks: 8
; VGPRBlocks: 10
; NumSGPRsForWavesPerEU: 72
; NumVGPRsForWavesPerEU: 88
; Occupancy: 16
; WaveLimiterHint : 0
; COMPUTE_PGM_RSRC2:SCRATCH_EN: 0
; COMPUTE_PGM_RSRC2:USER_SGPR: 14
; COMPUTE_PGM_RSRC2:TRAP_HANDLER: 0
; COMPUTE_PGM_RSRC2:TGID_X_EN: 1
; COMPUTE_PGM_RSRC2:TGID_Y_EN: 1
; COMPUTE_PGM_RSRC2:TGID_Z_EN: 0
; COMPUTE_PGM_RSRC2:TIDIG_COMP_CNT: 0
	.section	.text._Z25selective_scan_fwd_kernelI32Selective_Scan_fwd_kernel_traitsILi64ELi8ELi1ELb0ELb1ELb1ELb1ELb1EN3c108BFloat16EffEEv13SSMParamsBase,"axG",@progbits,_Z25selective_scan_fwd_kernelI32Selective_Scan_fwd_kernel_traitsILi64ELi8ELi1ELb0ELb1ELb1ELb1ELb1EN3c108BFloat16EffEEv13SSMParamsBase,comdat
	.protected	_Z25selective_scan_fwd_kernelI32Selective_Scan_fwd_kernel_traitsILi64ELi8ELi1ELb0ELb1ELb1ELb1ELb1EN3c108BFloat16EffEEv13SSMParamsBase ; -- Begin function _Z25selective_scan_fwd_kernelI32Selective_Scan_fwd_kernel_traitsILi64ELi8ELi1ELb0ELb1ELb1ELb1ELb1EN3c108BFloat16EffEEv13SSMParamsBase
	.globl	_Z25selective_scan_fwd_kernelI32Selective_Scan_fwd_kernel_traitsILi64ELi8ELi1ELb0ELb1ELb1ELb1ELb1EN3c108BFloat16EffEEv13SSMParamsBase
	.p2align	8
	.type	_Z25selective_scan_fwd_kernelI32Selective_Scan_fwd_kernel_traitsILi64ELi8ELi1ELb0ELb1ELb1ELb1ELb1EN3c108BFloat16EffEEv13SSMParamsBase,@function
_Z25selective_scan_fwd_kernelI32Selective_Scan_fwd_kernel_traitsILi64ELi8ELi1ELb0ELb1ELb1ELb1ELb1EN3c108BFloat16EffEEv13SSMParamsBase: ; @_Z25selective_scan_fwd_kernelI32Selective_Scan_fwd_kernel_traitsILi64ELi8ELi1ELb0ELb1ELb1ELb1ELb1EN3c108BFloat16EffEEv13SSMParamsBase
; %bb.0:
	s_clause 0x2
	s_load_b32 s11, s[0:1], 0x18
	s_load_b256 s[52:59], s[0:1], 0xc8
	s_load_b128 s[4:7], s[0:1], 0xe8
	s_mov_b32 s12, s15
	s_ashr_i32 s15, s14, 31
	s_mov_b32 s33, 0
	s_lshl_b64 s[8:9], s[14:15], 2
	s_waitcnt lgkmcnt(0)
	s_abs_i32 s10, s11
	s_add_u32 s2, s58, s8
	v_cvt_f32_u32_e32 v1, s10
	s_addc_u32 s3, s59, s9
	s_cmp_eq_u64 s[6:7], 0
	s_delay_alu instid0(VALU_DEP_1) | instskip(SKIP_2) | instid1(VALU_DEP_1)
	v_rcp_iflag_f32_e32 v1, v1
	s_waitcnt_depctr 0xfff
	v_mul_f32_e32 v1, 0x4f7ffffe, v1
	v_cvt_u32_f32_e32 v1, v1
	s_delay_alu instid0(VALU_DEP_1)
	v_readfirstlane_b32 s34, v1
	s_cbranch_scc1 .LBB44_2
; %bb.1:
	v_mov_b32_e32 v1, 0
	s_add_u32 s6, s6, s14
	s_addc_u32 s7, s7, s15
	global_load_u8 v1, v1, s[6:7]
	s_waitcnt vmcnt(0)
	v_and_b32_e32 v1, 1, v1
	s_delay_alu instid0(VALU_DEP_1)
	v_cmp_eq_u32_e64 s33, 1, v1
.LBB44_2:
	s_load_b64 s[6:7], s[0:1], 0x20
	s_cmp_eq_u64 s[4:5], 0
	s_cbranch_scc1 .LBB44_4
; %bb.3:
	s_add_u32 s4, s4, s8
	s_addc_u32 s5, s5, s9
	s_load_b32 s14, s[4:5], 0x0
	s_waitcnt lgkmcnt(0)
	s_ashr_i32 s15, s14, 31
.LBB44_4:
	s_waitcnt lgkmcnt(0)
	s_cmp_eq_u64 s[6:7], s[14:15]
	s_cbranch_scc1 .LBB44_172
; %bb.5:
	s_load_b512 s[16:31], s[0:1], 0x88
	s_load_b64 s[58:59], s[2:3], 0x0
	s_mov_b32 s60, 0
	s_mov_b32 s61, 0
	s_waitcnt lgkmcnt(0)
	s_cmp_eq_u64 s[22:23], 0
	s_cbranch_scc1 .LBB44_7
; %bb.6:
	s_ashr_i32 s13, s12, 31
	s_delay_alu instid0(SALU_CYCLE_1) | instskip(NEXT) | instid1(SALU_CYCLE_1)
	s_lshl_b64 s[2:3], s[12:13], 2
	s_add_u32 s2, s22, s2
	s_addc_u32 s3, s23, s3
	s_load_b32 s61, s[2:3], 0x0
.LBB44_7:
	s_cmp_eq_u64 s[28:29], 0
	s_cbranch_scc1 .LBB44_9
; %bb.8:
	s_ashr_i32 s13, s12, 31
	s_delay_alu instid0(SALU_CYCLE_1) | instskip(NEXT) | instid1(SALU_CYCLE_1)
	s_lshl_b64 s[2:3], s[12:13], 2
	s_add_u32 s2, s28, s2
	s_addc_u32 s3, s29, s3
	s_load_b32 s60, s[2:3], 0x0
.LBB44_9:
	s_sub_i32 s59, s59, s58
	s_delay_alu instid0(SALU_CYCLE_1)
	s_cmp_lt_i32 s59, 1
	s_cbranch_scc1 .LBB44_172
; %bb.10:
	s_sub_i32 s2, 0, s10
	s_load_b256 s[36:43], s[0:1], 0x4c
	s_mul_i32 s2, s2, s34
	s_abs_i32 s3, s12
	s_mul_hi_u32 s2, s34, s2
	s_ashr_i32 s5, s11, 31
	s_add_i32 s34, s34, s2
	s_ashr_i32 s2, s12, 31
	s_mul_hi_u32 s4, s3, s34
	s_xor_b32 s5, s2, s5
	s_mul_i32 s6, s4, s10
	s_load_b256 s[44:51], s[0:1], 0x2c
	s_sub_i32 s2, s3, s6
	s_add_i32 s3, s4, 1
	s_sub_i32 s6, s2, s10
	s_cmp_ge_u32 s2, s10
	s_mov_b32 s35, 0
	s_cselect_b32 s3, s3, s4
	s_cselect_b32 s2, s6, s2
	s_add_i32 s4, s3, 1
	s_cmp_ge_u32 s2, s10
	s_waitcnt lgkmcnt(0)
	s_mul_i32 s34, s58, s38
	s_cselect_b32 s4, s4, s3
	s_lshl_b64 s[2:3], s[34:35], 1
	s_xor_b32 s4, s4, s5
	s_mul_i32 s34, s39, s12
	s_sub_i32 s6, s4, s5
	s_add_u32 s4, s24, s2
	s_addc_u32 s5, s25, s3
	s_lshl_b64 s[2:3], s[34:35], 1
	s_mul_i32 s34, s58, s40
	s_add_u32 s47, s4, s2
	s_addc_u32 s51, s5, s3
	s_lshl_b64 s[2:3], s[34:35], 1
	s_mul_i32 s34, s41, s12
	;; [unrolled: 4-line block ×4, first 2 shown]
	s_add_u32 s63, s16, s2
	s_addc_u32 s64, s17, s3
	s_load_b64 s[2:3], s[0:1], 0x7c
	s_lshl_b64 s[4:5], s[34:35], 1
	s_mul_i32 s34, s6, s49
	s_add_u32 s7, s18, s4
	s_addc_u32 s8, s19, s5
	s_load_b128 s[16:19], s[0:1], 0x6c
	s_lshl_b64 s[4:5], s[34:35], 1
	s_mul_i32 s34, s58, s50
	s_add_u32 s46, s7, s4
	v_dual_mov_b32 v13, 0 :: v_dual_lshlrev_b32 v10, 3, v0
	s_addc_u32 s49, s8, s5
	s_lshl_b64 s[4:5], s[34:35], 1
	s_mul_i32 s34, s6, s37
	s_add_u32 s7, s20, s4
	s_addc_u32 s6, s21, s5
	s_lshl_b64 s[4:5], s[34:35], 1
	v_mbcnt_lo_u32_b32 v1, -1, 0
	v_and_b32_e32 v2, 0x100, v10
	s_add_u32 s50, s7, s4
	s_waitcnt lgkmcnt(0)
	s_mul_i32 s34, s14, s2
	s_addc_u32 s65, s6, s5
	s_lshl_b64 s[4:5], s[34:35], 2
	s_load_b32 s37, s[0:1], 0x84
	s_add_u32 s4, s52, s4
	s_clause 0x1
	s_load_b32 s52, s[0:1], 0xc
	s_load_b32 s0, s[0:1], 0x28
	v_or_b32_e32 v11, v1, v2
	s_mul_i32 s34, s3, s12
	s_addc_u32 s5, s53, s5
	s_lshl_b64 s[2:3], s[34:35], 2
	v_and_b32_e32 v6, 32, v0
	v_or_b32_e32 v12, 0x60, v11
	v_or_b32_e32 v17, 0xa0, v11
	;; [unrolled: 1-line block ×3, first 2 shown]
	s_add_u32 s53, s4, s2
	v_or_b32_e32 v15, 64, v11
	v_lshrrev_b32_e32 v3, 5, v12
	v_or_b32_e32 v16, 0x80, v11
	v_or_b32_e32 v18, 0xc0, v11
	v_lshrrev_b32_e32 v7, 5, v17
	v_lshrrev_b32_e32 v24, 5, v19
	v_and_b32_e32 v3, 10, v3
	s_addc_u32 s66, s5, s3
	s_add_i32 s1, s59, 0x7ff
	v_lshrrev_b32_e32 v4, 5, v2
	s_lshr_b32 s67, s1, 11
	s_waitcnt lgkmcnt(0)
	s_bitcmp1_b32 s0, 0
	v_lshrrev_b32_e32 v5, 5, v15
	v_add_lshl_u32 v3, v3, v11, 1
	v_lshrrev_b32_e32 v8, 5, v16
	v_or_b32_e32 v9, v1, v6
	v_and_b32_e32 v7, 12, v7
	v_lshrrev_b32_e32 v23, 5, v18
	v_and_b32_e32 v26, 14, v24
	s_cselect_b32 s68, -1, 0
	s_cmp_gt_i32 s52, 0
	v_add_lshl_u32 v4, v4, v11, 1
	s_cselect_b32 s69, -1, 0
	s_add_i32 s0, 0, 0x420
	v_add_lshl_u32 v5, v5, v11, 1
	v_add_nc_u32_e32 v22, 0, v3
	v_add_lshl_u32 v8, v8, v11, 1
	v_lshrrev_b32_e32 v25, 2, v9
	v_add_lshl_u32 v7, v7, v11, 1
	v_add_lshl_u32 v33, v23, v11, 1
	;; [unrolled: 1-line block ×3, first 2 shown]
	v_add_nc_u32_e32 v30, s0, v3
	v_and_b32_e32 v3, 15, v1
	s_and_b32 s1, s59, 0x1ff
	v_and_b32_e32 v27, 14, v25
	v_add_nc_u32_e32 v25, 0, v33
	v_add_nc_u32_e32 v26, 0, v34
	;; [unrolled: 1-line block ×7, first 2 shown]
	s_cmp_eq_u32 s1, 0
	v_add_nc_u32_e32 v34, s0, v34
	v_cmp_ne_u32_e64 s0, 0, v3
	v_cmp_lt_u32_e64 s1, 1, v3
	v_cmp_lt_u32_e64 s2, 3, v3
	v_cmp_lt_u32_e64 s3, 7, v3
	v_add_nc_u32_e32 v3, -1, v1
	v_add_nc_u32_e32 v20, 0, v4
	v_lshrrev_b32_e32 v4, 2, v0
	s_mul_i32 s34, s58, s16
	v_or_b32_e32 v6, 31, v6
	v_cmp_gt_i32_e32 vcc_lo, 0, v3
	s_cselect_b32 s70, -1, 0
	s_lshl_b64 s[14:15], s[34:35], 1
	v_and_b32_e32 v4, 8, v4
	s_add_i32 s71, s67, -1
	v_cndmask_b32_e32 v3, v3, v1, vcc_lo
	s_mul_i32 s34, s17, s12
	s_add_u32 s13, s30, s14
	s_addc_u32 s16, s31, s15
	s_lshl_b64 s[14:15], s[34:35], 1
	v_cmp_eq_u32_e64 s5, v6, v0
	v_cmp_gt_u32_e64 s6, 2, v0
	v_cmp_gt_u32_e64 s8, 32, v0
	v_cmp_lt_u32_e64 s9, 31, v0
	v_cmp_eq_u32_e64 s10, 0, v0
	s_mul_i32 s34, s58, s42
	v_lshlrev_b32_e32 v0, 1, v1
	s_add_u32 s13, s13, s14
	v_add_nc_u32_e32 v35, 0, v4
	v_and_b32_e32 v4, 1, v1
	s_addc_u32 s16, s16, s15
	s_lshl_b64 s[14:15], s[34:35], 1
	v_add_nc_u32_e32 v21, 0, v5
	v_and_b32_e32 v5, 16, v1
	s_mul_i32 s34, s43, s12
	s_add_u32 s17, s54, s14
	v_lshlrev_b32_e32 v37, 2, v3
	s_addc_u32 s20, s55, s15
	s_lshl_b64 s[14:15], s[34:35], 1
	v_add_co_u32 v3, s13, s13, v0
	s_mul_i32 s34, s58, s18
	v_cmp_eq_u32_e64 s7, 0, v4
	v_add_co_ci_u32_e64 v4, null, s16, 0, s13
	s_add_u32 s16, s17, s14
	v_cmp_ne_u32_e64 s4, 0, v5
	s_addc_u32 s17, s20, s15
	s_lshl_b64 s[14:15], s[34:35], 1
	v_lshlrev_b32_e32 v5, 1, v2
	s_mul_i32 s34, s19, s12
	s_add_u32 s14, s56, s14
	s_addc_u32 s15, s57, s15
	s_lshl_b64 s[12:13], s[34:35], 1
	v_add_co_u32 v38, vcc_lo, v3, v5
	s_add_u32 s12, s14, s12
	v_add_co_u32 v3, s14, s16, v0
	v_add_co_ci_u32_e32 v39, vcc_lo, 0, v4, vcc_lo
	v_add_co_ci_u32_e64 v4, null, s17, 0, s14
	s_addc_u32 s13, s15, s13
	v_add_co_u32 v0, s12, s12, v0
	v_lshl_add_u32 v9, v9, 3, v27
	v_add_co_ci_u32_e64 v6, null, s13, 0, s12
	v_add_co_u32 v40, vcc_lo, v3, v5
	v_add_co_ci_u32_e32 v41, vcc_lo, 0, v4, vcc_lo
	v_add_co_u32 v42, vcc_lo, v0, v5
	v_or_b32_e32 v14, 32, v11
	v_add_nc_u32_e32 v23, 0, v8
	v_add_nc_u32_e32 v24, 0, v7
	v_lshl_add_u32 v27, v9, 1, 0
	v_add_nc_u32_e32 v36, 0, v10
	v_cmp_eq_u32_e64 s11, 0, v1
	v_add_co_ci_u32_e32 v43, vcc_lo, 0, v6, vcc_lo
	v_or_b32_e32 v44, 1, v10
	v_or_b32_e32 v45, 2, v10
	;; [unrolled: 1-line block ×7, first 2 shown]
	v_lshlrev_b32_e32 v51, 1, v1
	v_lshlrev_b32_e32 v52, 1, v2
	s_mov_b32 s54, 0x3e9b6dac
	s_add_i32 s55, 0, 0x850
	s_mov_b32 s56, 0
	s_branch .LBB44_12
.LBB44_11:                              ;   in Loop: Header=BB44_12 Depth=1
	s_or_b32 exec_lo, exec_lo, s12
	s_add_u32 s62, s62, 0x400
	s_addc_u32 s44, s44, 0
	s_add_u32 s47, s47, 0x400
	s_addc_u32 s51, s51, 0
	;; [unrolled: 2-line block ×4, first 2 shown]
	s_add_i32 s56, s56, 1
	s_delay_alu instid0(SALU_CYCLE_1)
	s_cmp_lg_u32 s56, s67
	s_cbranch_scc0 .LBB44_172
.LBB44_12:                              ; =>This Loop Header: Depth=1
                                        ;     Child Loop BB44_61 Depth 2
	v_add_co_u32 v0, s12, s47, v51
	s_delay_alu instid0(VALU_DEP_1) | instskip(SKIP_1) | instid1(VALU_DEP_2)
	v_add_co_ci_u32_e64 v1, null, s51, 0, s12
	s_lshl_b32 s30, s56, 9
	v_add_co_u32 v0, vcc_lo, v0, v52
	s_sub_i32 s23, s59, s30
	s_delay_alu instid0(VALU_DEP_2)
	v_add_co_ci_u32_e32 v1, vcc_lo, 0, v1, vcc_lo
	v_cmp_gt_u32_e64 s12, s23, v11
	s_waitcnt lgkmcnt(0)
	v_mov_b32_e32 v2, 0
	s_waitcnt_vscnt null, 0x0
	s_barrier
	buffer_gl0_inv
	s_and_saveexec_b32 s13, s12
	s_cbranch_execz .LBB44_14
; %bb.13:                               ;   in Loop: Header=BB44_12 Depth=1
	global_load_u16 v2, v[0:1], off
.LBB44_14:                              ;   in Loop: Header=BB44_12 Depth=1
	s_or_b32 exec_lo, exec_lo, s13
	v_cmp_gt_u32_e64 s13, s23, v14
	v_dual_mov_b32 v3, 0 :: v_dual_mov_b32 v4, 0
	s_delay_alu instid0(VALU_DEP_2)
	s_and_saveexec_b32 s14, s13
	s_cbranch_execz .LBB44_16
; %bb.15:                               ;   in Loop: Header=BB44_12 Depth=1
	global_load_u16 v4, v[0:1], off offset:64
.LBB44_16:                              ;   in Loop: Header=BB44_12 Depth=1
	s_or_b32 exec_lo, exec_lo, s14
	v_cmp_gt_u32_e64 s14, s23, v15
	s_delay_alu instid0(VALU_DEP_1)
	s_and_saveexec_b32 s15, s14
	s_cbranch_execz .LBB44_18
; %bb.17:                               ;   in Loop: Header=BB44_12 Depth=1
	global_load_u16 v3, v[0:1], off offset:128
.LBB44_18:                              ;   in Loop: Header=BB44_12 Depth=1
	s_or_b32 exec_lo, exec_lo, s15
	v_cmp_gt_u32_e64 s15, s23, v12
	v_mov_b32_e32 v5, 0
	v_mov_b32_e32 v7, 0
	s_delay_alu instid0(VALU_DEP_3)
	s_and_saveexec_b32 s16, s15
	s_cbranch_execz .LBB44_20
; %bb.19:                               ;   in Loop: Header=BB44_12 Depth=1
	global_load_u16 v7, v[0:1], off offset:192
.LBB44_20:                              ;   in Loop: Header=BB44_12 Depth=1
	s_or_b32 exec_lo, exec_lo, s16
	v_cmp_gt_u32_e64 s16, s23, v16
	s_delay_alu instid0(VALU_DEP_1)
	s_and_saveexec_b32 s17, s16
	s_cbranch_execz .LBB44_22
; %bb.21:                               ;   in Loop: Header=BB44_12 Depth=1
	global_load_u16 v5, v[0:1], off offset:256
.LBB44_22:                              ;   in Loop: Header=BB44_12 Depth=1
	s_or_b32 exec_lo, exec_lo, s17
	v_cmp_gt_u32_e64 s17, s23, v17
	v_dual_mov_b32 v8, 0 :: v_dual_mov_b32 v9, 0
	s_delay_alu instid0(VALU_DEP_2)
	s_and_saveexec_b32 s18, s17
	s_cbranch_execz .LBB44_24
; %bb.23:                               ;   in Loop: Header=BB44_12 Depth=1
	global_load_u16 v9, v[0:1], off offset:320
.LBB44_24:                              ;   in Loop: Header=BB44_12 Depth=1
	s_or_b32 exec_lo, exec_lo, s18
	v_cmp_gt_u32_e64 s18, s23, v18
	s_delay_alu instid0(VALU_DEP_1)
	s_and_saveexec_b32 s19, s18
	s_cbranch_execz .LBB44_26
; %bb.25:                               ;   in Loop: Header=BB44_12 Depth=1
	global_load_u16 v8, v[0:1], off offset:384
.LBB44_26:                              ;   in Loop: Header=BB44_12 Depth=1
	s_or_b32 exec_lo, exec_lo, s19
	v_cmp_gt_u32_e64 s19, s23, v19
	v_dual_mov_b32 v6, 0 :: v_dual_mov_b32 v53, 0
	s_delay_alu instid0(VALU_DEP_2)
	s_and_saveexec_b32 s20, s19
	s_cbranch_execz .LBB44_28
; %bb.27:                               ;   in Loop: Header=BB44_12 Depth=1
	global_load_u16 v53, v[0:1], off offset:448
.LBB44_28:                              ;   in Loop: Header=BB44_12 Depth=1
	s_or_b32 exec_lo, exec_lo, s20
	s_waitcnt vmcnt(0)
	ds_store_b16 v20, v2
	ds_store_b16 v20, v4 offset:64
	ds_store_b16 v21, v3 offset:128
	;; [unrolled: 1-line block ×7, first 2 shown]
	; wave barrier
	ds_load_b128 v[0:3], v27
	v_add_co_u32 v4, s20, s62, v51
	s_delay_alu instid0(VALU_DEP_1) | instskip(SKIP_1) | instid1(VALU_DEP_2)
	v_add_co_ci_u32_e64 v5, null, s44, 0, s20
	s_waitcnt lgkmcnt(0)
	v_add_co_u32 v4, vcc_lo, v4, v52
	s_delay_alu instid0(VALU_DEP_2)
	v_add_co_ci_u32_e32 v5, vcc_lo, 0, v5, vcc_lo
	s_barrier
	buffer_gl0_inv
	s_and_saveexec_b32 s20, s12
	s_cbranch_execz .LBB44_30
; %bb.29:                               ;   in Loop: Header=BB44_12 Depth=1
	global_load_u16 v6, v[4:5], off
.LBB44_30:                              ;   in Loop: Header=BB44_12 Depth=1
	s_or_b32 exec_lo, exec_lo, s20
	v_dual_mov_b32 v7, 0 :: v_dual_mov_b32 v8, 0
	s_and_saveexec_b32 s20, s13
	s_cbranch_execz .LBB44_32
; %bb.31:                               ;   in Loop: Header=BB44_12 Depth=1
	global_load_u16 v8, v[4:5], off offset:64
.LBB44_32:                              ;   in Loop: Header=BB44_12 Depth=1
	s_or_b32 exec_lo, exec_lo, s20
	s_and_saveexec_b32 s20, s14
	s_cbranch_execz .LBB44_34
; %bb.33:                               ;   in Loop: Header=BB44_12 Depth=1
	global_load_u16 v7, v[4:5], off offset:128
.LBB44_34:                              ;   in Loop: Header=BB44_12 Depth=1
	s_or_b32 exec_lo, exec_lo, s20
	v_mov_b32_e32 v9, 0
	v_mov_b32_e32 v53, 0
	s_and_saveexec_b32 s20, s15
	s_cbranch_execz .LBB44_36
; %bb.35:                               ;   in Loop: Header=BB44_12 Depth=1
	global_load_u16 v53, v[4:5], off offset:192
.LBB44_36:                              ;   in Loop: Header=BB44_12 Depth=1
	s_or_b32 exec_lo, exec_lo, s20
	s_and_saveexec_b32 s20, s16
	s_cbranch_execz .LBB44_38
; %bb.37:                               ;   in Loop: Header=BB44_12 Depth=1
	global_load_u16 v9, v[4:5], off offset:256
.LBB44_38:                              ;   in Loop: Header=BB44_12 Depth=1
	s_or_b32 exec_lo, exec_lo, s20
	v_dual_mov_b32 v54, 0 :: v_dual_mov_b32 v55, 0
	s_and_saveexec_b32 s20, s17
	s_cbranch_execnz .LBB44_155
; %bb.39:                               ;   in Loop: Header=BB44_12 Depth=1
	s_or_b32 exec_lo, exec_lo, s20
	s_and_saveexec_b32 s20, s18
	s_cbranch_execnz .LBB44_156
.LBB44_40:                              ;   in Loop: Header=BB44_12 Depth=1
	s_or_b32 exec_lo, exec_lo, s20
	v_mov_b32_e32 v56, 0
	s_and_saveexec_b32 s20, s19
	s_cbranch_execz .LBB44_42
.LBB44_41:                              ;   in Loop: Header=BB44_12 Depth=1
	global_load_u16 v56, v[4:5], off offset:448
.LBB44_42:                              ;   in Loop: Header=BB44_12 Depth=1
	s_or_b32 exec_lo, exec_lo, s20
	s_waitcnt vmcnt(0)
	ds_store_b16 v20, v6
	ds_store_b16 v20, v8 offset:64
	ds_store_b16 v21, v7 offset:128
	;; [unrolled: 1-line block ×7, first 2 shown]
	; wave barrier
	ds_load_b128 v[4:7], v27
	s_waitcnt lgkmcnt(0)
	v_lshlrev_b32_e32 v8, 16, v4
	s_delay_alu instid0(VALU_DEP_1) | instskip(NEXT) | instid1(VALU_DEP_1)
	v_add_f32_e32 v53, s60, v8
	v_cmp_ge_f32_e32 vcc_lo, 0x41a00000, v53
	s_and_b32 s20, s68, vcc_lo
	s_delay_alu instid0(SALU_CYCLE_1)
	s_and_saveexec_b32 s21, s20
	s_cbranch_execz .LBB44_44
; %bb.43:                               ;   in Loop: Header=BB44_12 Depth=1
	v_mul_f32_e32 v8, 0x3fb8aa3b, v53
	v_cmp_ngt_f32_e32 vcc_lo, 0xc2ce8ed0, v53
	s_delay_alu instid0(VALU_DEP_2) | instskip(SKIP_1) | instid1(VALU_DEP_2)
	v_rndne_f32_e32 v9, v8
	v_fma_f32 v54, 0x3fb8aa3b, v53, -v8
	v_sub_f32_e32 v8, v8, v9
	s_delay_alu instid0(VALU_DEP_2) | instskip(SKIP_1) | instid1(VALU_DEP_2)
	v_fmac_f32_e32 v54, 0x32a5705f, v53
	v_cvt_i32_f32_e32 v9, v9
	v_add_f32_e32 v8, v8, v54
	s_delay_alu instid0(VALU_DEP_1) | instskip(SKIP_2) | instid1(VALU_DEP_1)
	v_exp_f32_e32 v8, v8
	s_waitcnt_depctr 0xfff
	v_ldexp_f32 v8, v8, v9
	v_cndmask_b32_e32 v8, 0, v8, vcc_lo
	v_cmp_nlt_f32_e32 vcc_lo, 0x42b17218, v53
	s_delay_alu instid0(VALU_DEP_2) | instskip(NEXT) | instid1(VALU_DEP_1)
	v_cndmask_b32_e32 v53, 0x7f800000, v8, vcc_lo
	v_add_f32_e32 v54, 1.0, v53
	s_delay_alu instid0(VALU_DEP_1) | instskip(NEXT) | instid1(VALU_DEP_1)
	v_cvt_f64_f32_e32 v[8:9], v54
	v_frexp_exp_i32_f64_e32 v8, v[8:9]
	v_frexp_mant_f32_e32 v9, v54
	s_delay_alu instid0(VALU_DEP_1) | instskip(SKIP_1) | instid1(VALU_DEP_1)
	v_cmp_gt_f32_e32 vcc_lo, 0x3f2aaaab, v9
	v_add_f32_e32 v9, -1.0, v54
	v_sub_f32_e32 v56, v9, v54
	v_sub_f32_e32 v9, v53, v9
	v_cmp_gt_f32_e64 s20, 0x33800000, v53
	s_delay_alu instid0(VALU_DEP_3) | instskip(NEXT) | instid1(VALU_DEP_1)
	v_add_f32_e32 v56, 1.0, v56
	v_add_f32_e32 v9, v9, v56
	v_subrev_co_ci_u32_e32 v8, vcc_lo, 0, v8, vcc_lo
	v_cmp_eq_f32_e32 vcc_lo, 0x7f800000, v53
	s_delay_alu instid0(VALU_DEP_2) | instskip(SKIP_2) | instid1(VALU_DEP_2)
	v_sub_nc_u32_e32 v55, 0, v8
	v_cvt_f32_i32_e32 v8, v8
	s_or_b32 vcc_lo, s20, vcc_lo
	v_ldexp_f32 v54, v54, v55
	v_ldexp_f32 v9, v9, v55
	s_delay_alu instid0(VALU_DEP_2) | instskip(NEXT) | instid1(VALU_DEP_1)
	v_add_f32_e32 v57, 1.0, v54
	v_dual_add_f32 v55, -1.0, v54 :: v_dual_add_f32 v56, -1.0, v57
	s_delay_alu instid0(VALU_DEP_1) | instskip(NEXT) | instid1(VALU_DEP_2)
	v_add_f32_e32 v58, 1.0, v55
	v_sub_f32_e32 v56, v54, v56
	s_delay_alu instid0(VALU_DEP_2) | instskip(NEXT) | instid1(VALU_DEP_2)
	v_sub_f32_e32 v54, v54, v58
	v_add_f32_e32 v56, v9, v56
	s_delay_alu instid0(VALU_DEP_2) | instskip(NEXT) | instid1(VALU_DEP_1)
	v_add_f32_e32 v9, v9, v54
	v_dual_add_f32 v59, v55, v9 :: v_dual_add_f32 v58, v57, v56
	s_delay_alu instid0(VALU_DEP_1) | instskip(NEXT) | instid1(VALU_DEP_2)
	v_sub_f32_e32 v55, v55, v59
	v_rcp_f32_e32 v54, v58
	v_sub_f32_e32 v57, v57, v58
	s_delay_alu instid0(VALU_DEP_1) | instskip(SKIP_2) | instid1(VALU_DEP_1)
	v_dual_add_f32 v9, v9, v55 :: v_dual_add_f32 v56, v56, v57
	s_waitcnt_depctr 0xfff
	v_mul_f32_e32 v60, v59, v54
	v_mul_f32_e32 v61, v58, v60
	s_delay_alu instid0(VALU_DEP_1) | instskip(NEXT) | instid1(VALU_DEP_1)
	v_fma_f32 v57, v60, v58, -v61
	v_fmac_f32_e32 v57, v60, v56
	s_delay_alu instid0(VALU_DEP_1) | instskip(NEXT) | instid1(VALU_DEP_1)
	v_add_f32_e32 v62, v61, v57
	v_sub_f32_e32 v63, v59, v62
	s_delay_alu instid0(VALU_DEP_1) | instskip(NEXT) | instid1(VALU_DEP_1)
	v_sub_f32_e32 v59, v59, v63
	v_sub_f32_e32 v59, v59, v62
	;; [unrolled: 1-line block ×3, first 2 shown]
	s_delay_alu instid0(VALU_DEP_2) | instskip(NEXT) | instid1(VALU_DEP_2)
	v_add_f32_e32 v9, v9, v59
	v_sub_f32_e32 v55, v55, v57
	s_delay_alu instid0(VALU_DEP_1) | instskip(NEXT) | instid1(VALU_DEP_1)
	v_add_f32_e32 v9, v55, v9
	v_add_f32_e32 v55, v63, v9
	s_delay_alu instid0(VALU_DEP_1) | instskip(NEXT) | instid1(VALU_DEP_1)
	v_mul_f32_e32 v57, v54, v55
	v_dual_sub_f32 v62, v63, v55 :: v_dual_mul_f32 v59, v58, v57
	s_delay_alu instid0(VALU_DEP_1) | instskip(NEXT) | instid1(VALU_DEP_2)
	v_add_f32_e32 v9, v9, v62
	v_fma_f32 v58, v57, v58, -v59
	s_delay_alu instid0(VALU_DEP_1) | instskip(NEXT) | instid1(VALU_DEP_1)
	v_fmac_f32_e32 v58, v57, v56
	v_add_f32_e32 v56, v59, v58
	s_delay_alu instid0(VALU_DEP_1) | instskip(NEXT) | instid1(VALU_DEP_1)
	v_sub_f32_e32 v61, v55, v56
	v_sub_f32_e32 v55, v55, v61
	s_delay_alu instid0(VALU_DEP_1) | instskip(NEXT) | instid1(VALU_DEP_1)
	v_sub_f32_e32 v55, v55, v56
	v_add_f32_e32 v9, v9, v55
	v_add_f32_e32 v55, v60, v57
	v_sub_f32_e32 v59, v56, v59
	s_delay_alu instid0(VALU_DEP_1) | instskip(NEXT) | instid1(VALU_DEP_1)
	v_sub_f32_e32 v56, v59, v58
	v_dual_add_f32 v9, v56, v9 :: v_dual_sub_f32 v56, v55, v60
	s_delay_alu instid0(VALU_DEP_1) | instskip(NEXT) | instid1(VALU_DEP_1)
	v_add_f32_e32 v9, v61, v9
	v_dual_sub_f32 v56, v57, v56 :: v_dual_mul_f32 v9, v54, v9
	s_delay_alu instid0(VALU_DEP_1) | instskip(NEXT) | instid1(VALU_DEP_1)
	v_add_f32_e32 v9, v56, v9
	v_add_f32_e32 v54, v55, v9
	s_delay_alu instid0(VALU_DEP_1) | instskip(NEXT) | instid1(VALU_DEP_1)
	v_mul_f32_e32 v56, v54, v54
	v_fmaak_f32 v57, s54, v56, 0x3ecc95a3
	v_mul_f32_e32 v58, v54, v56
	s_delay_alu instid0(VALU_DEP_2) | instskip(SKIP_2) | instid1(VALU_DEP_3)
	v_fmaak_f32 v56, v56, v57, 0x3f2aaada
	v_ldexp_f32 v57, v54, 1
	v_sub_f32_e32 v54, v54, v55
	v_mul_f32_e32 v56, v58, v56
	v_mul_f32_e32 v58, 0x3f317218, v8
	s_delay_alu instid0(VALU_DEP_2) | instskip(NEXT) | instid1(VALU_DEP_1)
	v_add_f32_e32 v55, v57, v56
	v_dual_sub_f32 v9, v9, v54 :: v_dual_sub_f32 v54, v55, v57
	s_delay_alu instid0(VALU_DEP_3) | instskip(NEXT) | instid1(VALU_DEP_2)
	v_fma_f32 v57, 0x3f317218, v8, -v58
	v_ldexp_f32 v9, v9, 1
	s_delay_alu instid0(VALU_DEP_2) | instskip(NEXT) | instid1(VALU_DEP_1)
	v_dual_sub_f32 v54, v56, v54 :: v_dual_fmac_f32 v57, 0xb102e308, v8
	v_dual_add_f32 v8, v9, v54 :: v_dual_add_f32 v9, v58, v57
	s_delay_alu instid0(VALU_DEP_1) | instskip(NEXT) | instid1(VALU_DEP_1)
	v_add_f32_e32 v54, v55, v8
	v_add_f32_e32 v56, v9, v54
	s_delay_alu instid0(VALU_DEP_1) | instskip(NEXT) | instid1(VALU_DEP_1)
	v_sub_f32_e32 v59, v56, v9
	v_sub_f32_e32 v60, v56, v59
	;; [unrolled: 1-line block ×4, first 2 shown]
	s_delay_alu instid0(VALU_DEP_2) | instskip(SKIP_1) | instid1(VALU_DEP_1)
	v_sub_f32_e32 v8, v8, v55
	v_sub_f32_e32 v58, v9, v58
	;; [unrolled: 1-line block ×3, first 2 shown]
	s_delay_alu instid0(VALU_DEP_1) | instskip(SKIP_1) | instid1(VALU_DEP_1)
	v_add_f32_e32 v55, v57, v8
	v_sub_f32_e32 v9, v9, v60
	v_add_f32_e32 v9, v54, v9
	s_delay_alu instid0(VALU_DEP_3) | instskip(NEXT) | instid1(VALU_DEP_1)
	v_sub_f32_e32 v54, v55, v57
	v_dual_sub_f32 v8, v8, v54 :: v_dual_add_f32 v9, v55, v9
	s_delay_alu instid0(VALU_DEP_1) | instskip(NEXT) | instid1(VALU_DEP_1)
	v_dual_sub_f32 v55, v55, v54 :: v_dual_add_f32 v58, v56, v9
	v_dual_sub_f32 v55, v57, v55 :: v_dual_sub_f32 v54, v58, v56
	s_delay_alu instid0(VALU_DEP_1) | instskip(NEXT) | instid1(VALU_DEP_1)
	v_dual_add_f32 v8, v8, v55 :: v_dual_sub_f32 v9, v9, v54
	v_add_f32_e32 v8, v8, v9
	s_delay_alu instid0(VALU_DEP_1) | instskip(NEXT) | instid1(VALU_DEP_1)
	v_add_f32_e32 v8, v58, v8
	v_cndmask_b32_e32 v53, v8, v53, vcc_lo
.LBB44_44:                              ;   in Loop: Header=BB44_12 Depth=1
	s_or_b32 exec_lo, exec_lo, s21
	v_and_b32_e32 v4, 0xffff0000, v4
	s_delay_alu instid0(VALU_DEP_1) | instskip(NEXT) | instid1(VALU_DEP_1)
	v_add_f32_e32 v54, s60, v4
	v_cmp_ge_f32_e32 vcc_lo, 0x41a00000, v54
	s_and_b32 s20, s68, vcc_lo
	s_delay_alu instid0(SALU_CYCLE_1)
	s_and_saveexec_b32 s21, s20
	s_cbranch_execz .LBB44_46
; %bb.45:                               ;   in Loop: Header=BB44_12 Depth=1
	v_mul_f32_e32 v4, 0x3fb8aa3b, v54
	v_cmp_ngt_f32_e32 vcc_lo, 0xc2ce8ed0, v54
	s_delay_alu instid0(VALU_DEP_2) | instskip(SKIP_1) | instid1(VALU_DEP_1)
	v_rndne_f32_e32 v8, v4
	v_fma_f32 v9, 0x3fb8aa3b, v54, -v4
	v_dual_sub_f32 v4, v4, v8 :: v_dual_fmac_f32 v9, 0x32a5705f, v54
	v_cvt_i32_f32_e32 v8, v8
	s_delay_alu instid0(VALU_DEP_2) | instskip(NEXT) | instid1(VALU_DEP_1)
	v_add_f32_e32 v4, v4, v9
	v_exp_f32_e32 v4, v4
	s_waitcnt_depctr 0xfff
	v_ldexp_f32 v4, v4, v8
	s_delay_alu instid0(VALU_DEP_1) | instskip(SKIP_1) | instid1(VALU_DEP_2)
	v_cndmask_b32_e32 v4, 0, v4, vcc_lo
	v_cmp_nlt_f32_e32 vcc_lo, 0x42b17218, v54
	v_cndmask_b32_e32 v4, 0x7f800000, v4, vcc_lo
	s_delay_alu instid0(VALU_DEP_1) | instskip(NEXT) | instid1(VALU_DEP_1)
	v_add_f32_e32 v54, 1.0, v4
	v_cvt_f64_f32_e32 v[8:9], v54
	s_delay_alu instid0(VALU_DEP_1) | instskip(SKIP_1) | instid1(VALU_DEP_1)
	v_frexp_exp_i32_f64_e32 v8, v[8:9]
	v_frexp_mant_f32_e32 v9, v54
	v_cmp_gt_f32_e32 vcc_lo, 0x3f2aaaab, v9
	v_add_f32_e32 v9, -1.0, v54
	s_delay_alu instid0(VALU_DEP_1) | instskip(NEXT) | instid1(VALU_DEP_1)
	v_dual_sub_f32 v56, v9, v54 :: v_dual_sub_f32 v9, v4, v9
	v_add_f32_e32 v56, 1.0, v56
	s_delay_alu instid0(VALU_DEP_1) | instskip(SKIP_1) | instid1(VALU_DEP_1)
	v_add_f32_e32 v9, v9, v56
	v_subrev_co_ci_u32_e32 v8, vcc_lo, 0, v8, vcc_lo
	v_sub_nc_u32_e32 v55, 0, v8
	v_cvt_f32_i32_e32 v8, v8
	s_delay_alu instid0(VALU_DEP_2) | instskip(SKIP_1) | instid1(VALU_DEP_2)
	v_ldexp_f32 v54, v54, v55
	v_ldexp_f32 v9, v9, v55
	v_add_f32_e32 v57, 1.0, v54
	v_add_f32_e32 v55, -1.0, v54
	v_cmp_eq_f32_e32 vcc_lo, 0x7f800000, v4
	v_cmp_gt_f32_e64 s20, 0x33800000, v4
	s_delay_alu instid0(VALU_DEP_4) | instskip(NEXT) | instid1(VALU_DEP_4)
	v_add_f32_e32 v56, -1.0, v57
	v_add_f32_e32 v58, 1.0, v55
	s_delay_alu instid0(VALU_DEP_3) | instskip(NEXT) | instid1(VALU_DEP_2)
	s_or_b32 vcc_lo, s20, vcc_lo
	v_sub_f32_e32 v56, v54, v56
	s_delay_alu instid0(VALU_DEP_2) | instskip(NEXT) | instid1(VALU_DEP_2)
	v_sub_f32_e32 v54, v54, v58
	v_add_f32_e32 v56, v9, v56
	s_delay_alu instid0(VALU_DEP_2) | instskip(NEXT) | instid1(VALU_DEP_1)
	v_add_f32_e32 v9, v9, v54
	v_add_f32_e32 v59, v55, v9
	s_delay_alu instid0(VALU_DEP_1) | instskip(NEXT) | instid1(VALU_DEP_1)
	v_dual_sub_f32 v55, v55, v59 :: v_dual_add_f32 v58, v57, v56
	v_add_f32_e32 v9, v9, v55
	s_delay_alu instid0(VALU_DEP_2) | instskip(SKIP_1) | instid1(VALU_DEP_1)
	v_rcp_f32_e32 v54, v58
	v_sub_f32_e32 v57, v57, v58
	v_add_f32_e32 v56, v56, v57
	s_waitcnt_depctr 0xfff
	v_mul_f32_e32 v60, v59, v54
	s_delay_alu instid0(VALU_DEP_1) | instskip(NEXT) | instid1(VALU_DEP_1)
	v_mul_f32_e32 v61, v58, v60
	v_fma_f32 v57, v60, v58, -v61
	s_delay_alu instid0(VALU_DEP_1) | instskip(NEXT) | instid1(VALU_DEP_1)
	v_fmac_f32_e32 v57, v60, v56
	v_add_f32_e32 v62, v61, v57
	s_delay_alu instid0(VALU_DEP_1) | instskip(SKIP_1) | instid1(VALU_DEP_2)
	v_sub_f32_e32 v63, v59, v62
	v_sub_f32_e32 v55, v62, v61
	;; [unrolled: 1-line block ×3, first 2 shown]
	s_delay_alu instid0(VALU_DEP_2) | instskip(NEXT) | instid1(VALU_DEP_2)
	v_sub_f32_e32 v55, v55, v57
	v_sub_f32_e32 v59, v59, v62
	s_delay_alu instid0(VALU_DEP_1) | instskip(NEXT) | instid1(VALU_DEP_1)
	v_add_f32_e32 v9, v9, v59
	v_add_f32_e32 v9, v55, v9
	s_delay_alu instid0(VALU_DEP_1) | instskip(NEXT) | instid1(VALU_DEP_1)
	v_add_f32_e32 v55, v63, v9
	v_mul_f32_e32 v57, v54, v55
	s_delay_alu instid0(VALU_DEP_1) | instskip(NEXT) | instid1(VALU_DEP_1)
	v_dual_sub_f32 v62, v63, v55 :: v_dual_mul_f32 v59, v58, v57
	v_add_f32_e32 v9, v9, v62
	s_delay_alu instid0(VALU_DEP_2) | instskip(NEXT) | instid1(VALU_DEP_1)
	v_fma_f32 v58, v57, v58, -v59
	v_fmac_f32_e32 v58, v57, v56
	s_delay_alu instid0(VALU_DEP_1) | instskip(NEXT) | instid1(VALU_DEP_1)
	v_add_f32_e32 v56, v59, v58
	v_sub_f32_e32 v61, v55, v56
	s_delay_alu instid0(VALU_DEP_1) | instskip(NEXT) | instid1(VALU_DEP_1)
	v_sub_f32_e32 v55, v55, v61
	v_sub_f32_e32 v55, v55, v56
	s_delay_alu instid0(VALU_DEP_1) | instskip(SKIP_2) | instid1(VALU_DEP_1)
	v_add_f32_e32 v9, v9, v55
	v_add_f32_e32 v55, v60, v57
	v_sub_f32_e32 v59, v56, v59
	v_sub_f32_e32 v56, v59, v58
	s_delay_alu instid0(VALU_DEP_1) | instskip(NEXT) | instid1(VALU_DEP_1)
	v_dual_add_f32 v9, v56, v9 :: v_dual_sub_f32 v56, v55, v60
	v_add_f32_e32 v9, v61, v9
	s_delay_alu instid0(VALU_DEP_1) | instskip(NEXT) | instid1(VALU_DEP_1)
	v_dual_sub_f32 v56, v57, v56 :: v_dual_mul_f32 v9, v54, v9
	v_add_f32_e32 v9, v56, v9
	s_delay_alu instid0(VALU_DEP_1) | instskip(NEXT) | instid1(VALU_DEP_1)
	v_add_f32_e32 v54, v55, v9
	v_mul_f32_e32 v56, v54, v54
	s_delay_alu instid0(VALU_DEP_1) | instskip(SKIP_1) | instid1(VALU_DEP_2)
	v_fmaak_f32 v57, s54, v56, 0x3ecc95a3
	v_mul_f32_e32 v58, v54, v56
	v_fmaak_f32 v56, v56, v57, 0x3f2aaada
	v_ldexp_f32 v57, v54, 1
	v_sub_f32_e32 v54, v54, v55
	s_delay_alu instid0(VALU_DEP_3) | instskip(SKIP_1) | instid1(VALU_DEP_2)
	v_mul_f32_e32 v56, v58, v56
	v_mul_f32_e32 v58, 0x3f317218, v8
	v_add_f32_e32 v55, v57, v56
	s_delay_alu instid0(VALU_DEP_1) | instskip(NEXT) | instid1(VALU_DEP_3)
	v_dual_sub_f32 v9, v9, v54 :: v_dual_sub_f32 v54, v55, v57
	v_fma_f32 v57, 0x3f317218, v8, -v58
	s_delay_alu instid0(VALU_DEP_2) | instskip(NEXT) | instid1(VALU_DEP_2)
	v_ldexp_f32 v9, v9, 1
	v_dual_sub_f32 v54, v56, v54 :: v_dual_fmac_f32 v57, 0xb102e308, v8
	s_delay_alu instid0(VALU_DEP_1) | instskip(NEXT) | instid1(VALU_DEP_1)
	v_dual_add_f32 v8, v9, v54 :: v_dual_add_f32 v9, v58, v57
	v_add_f32_e32 v54, v55, v8
	s_delay_alu instid0(VALU_DEP_1) | instskip(NEXT) | instid1(VALU_DEP_1)
	v_add_f32_e32 v56, v9, v54
	v_sub_f32_e32 v59, v56, v9
	s_delay_alu instid0(VALU_DEP_1) | instskip(SKIP_2) | instid1(VALU_DEP_2)
	v_sub_f32_e32 v60, v56, v59
	v_sub_f32_e32 v55, v54, v55
	;; [unrolled: 1-line block ×5, first 2 shown]
	s_delay_alu instid0(VALU_DEP_1) | instskip(NEXT) | instid1(VALU_DEP_1)
	v_sub_f32_e32 v57, v57, v58
	v_add_f32_e32 v55, v57, v8
	v_sub_f32_e32 v9, v9, v60
	s_delay_alu instid0(VALU_DEP_1) | instskip(NEXT) | instid1(VALU_DEP_3)
	v_add_f32_e32 v9, v54, v9
	v_sub_f32_e32 v54, v55, v57
	s_delay_alu instid0(VALU_DEP_1) | instskip(NEXT) | instid1(VALU_DEP_1)
	v_dual_sub_f32 v8, v8, v54 :: v_dual_add_f32 v9, v55, v9
	v_dual_sub_f32 v55, v55, v54 :: v_dual_add_f32 v58, v56, v9
	s_delay_alu instid0(VALU_DEP_1) | instskip(NEXT) | instid1(VALU_DEP_1)
	v_dual_sub_f32 v55, v57, v55 :: v_dual_sub_f32 v54, v58, v56
	v_dual_add_f32 v8, v8, v55 :: v_dual_sub_f32 v9, v9, v54
	s_delay_alu instid0(VALU_DEP_1) | instskip(NEXT) | instid1(VALU_DEP_1)
	v_add_f32_e32 v8, v8, v9
	v_add_f32_e32 v8, v58, v8
	s_delay_alu instid0(VALU_DEP_1)
	v_cndmask_b32_e32 v54, v8, v4, vcc_lo
.LBB44_46:                              ;   in Loop: Header=BB44_12 Depth=1
	s_or_b32 exec_lo, exec_lo, s21
	v_lshlrev_b32_e32 v4, 16, v5
	s_delay_alu instid0(VALU_DEP_1) | instskip(NEXT) | instid1(VALU_DEP_1)
	v_add_f32_e32 v55, s60, v4
	v_cmp_ge_f32_e32 vcc_lo, 0x41a00000, v55
	s_and_b32 s20, s68, vcc_lo
	s_delay_alu instid0(SALU_CYCLE_1)
	s_and_saveexec_b32 s21, s20
	s_cbranch_execz .LBB44_48
; %bb.47:                               ;   in Loop: Header=BB44_12 Depth=1
	v_mul_f32_e32 v4, 0x3fb8aa3b, v55
	v_cmp_ngt_f32_e32 vcc_lo, 0xc2ce8ed0, v55
	s_delay_alu instid0(VALU_DEP_2) | instskip(SKIP_1) | instid1(VALU_DEP_1)
	v_rndne_f32_e32 v8, v4
	v_fma_f32 v9, 0x3fb8aa3b, v55, -v4
	v_dual_sub_f32 v4, v4, v8 :: v_dual_fmac_f32 v9, 0x32a5705f, v55
	v_cvt_i32_f32_e32 v8, v8
	s_delay_alu instid0(VALU_DEP_2) | instskip(NEXT) | instid1(VALU_DEP_1)
	v_add_f32_e32 v4, v4, v9
	v_exp_f32_e32 v4, v4
	s_waitcnt_depctr 0xfff
	v_ldexp_f32 v4, v4, v8
	s_delay_alu instid0(VALU_DEP_1) | instskip(SKIP_1) | instid1(VALU_DEP_2)
	v_cndmask_b32_e32 v4, 0, v4, vcc_lo
	v_cmp_nlt_f32_e32 vcc_lo, 0x42b17218, v55
	v_cndmask_b32_e32 v4, 0x7f800000, v4, vcc_lo
	s_delay_alu instid0(VALU_DEP_1) | instskip(NEXT) | instid1(VALU_DEP_1)
	v_add_f32_e32 v55, 1.0, v4
	v_cvt_f64_f32_e32 v[8:9], v55
	s_delay_alu instid0(VALU_DEP_1) | instskip(SKIP_1) | instid1(VALU_DEP_1)
	v_frexp_exp_i32_f64_e32 v8, v[8:9]
	v_frexp_mant_f32_e32 v9, v55
	v_cmp_gt_f32_e32 vcc_lo, 0x3f2aaaab, v9
	v_add_f32_e32 v9, -1.0, v55
	s_delay_alu instid0(VALU_DEP_1) | instskip(NEXT) | instid1(VALU_DEP_1)
	v_sub_f32_e32 v57, v9, v55
	v_add_f32_e32 v57, 1.0, v57
	v_subrev_co_ci_u32_e32 v8, vcc_lo, 0, v8, vcc_lo
	s_delay_alu instid0(VALU_DEP_1) | instskip(SKIP_1) | instid1(VALU_DEP_2)
	v_sub_nc_u32_e32 v56, 0, v8
	v_cvt_f32_i32_e32 v8, v8
	v_ldexp_f32 v55, v55, v56
	s_delay_alu instid0(VALU_DEP_1) | instskip(NEXT) | instid1(VALU_DEP_1)
	v_dual_sub_f32 v9, v4, v9 :: v_dual_add_f32 v58, 1.0, v55
	v_add_f32_e32 v9, v9, v57
	v_cmp_eq_f32_e32 vcc_lo, 0x7f800000, v4
	v_cmp_gt_f32_e64 s20, 0x33800000, v4
	s_delay_alu instid0(VALU_DEP_4) | instskip(NEXT) | instid1(VALU_DEP_4)
	v_add_f32_e32 v57, -1.0, v58
	v_ldexp_f32 v9, v9, v56
	v_add_f32_e32 v56, -1.0, v55
	s_delay_alu instid0(VALU_DEP_4) | instskip(NEXT) | instid1(VALU_DEP_3)
	s_or_b32 vcc_lo, s20, vcc_lo
	v_sub_f32_e32 v57, v55, v57
	s_delay_alu instid0(VALU_DEP_2) | instskip(NEXT) | instid1(VALU_DEP_2)
	v_add_f32_e32 v59, 1.0, v56
	v_add_f32_e32 v57, v9, v57
	s_delay_alu instid0(VALU_DEP_2) | instskip(NEXT) | instid1(VALU_DEP_1)
	v_sub_f32_e32 v55, v55, v59
	v_add_f32_e32 v9, v9, v55
	s_delay_alu instid0(VALU_DEP_1) | instskip(NEXT) | instid1(VALU_DEP_1)
	v_add_f32_e32 v60, v56, v9
	v_dual_add_f32 v59, v58, v57 :: v_dual_sub_f32 v56, v56, v60
	s_delay_alu instid0(VALU_DEP_1) | instskip(SKIP_1) | instid1(VALU_DEP_1)
	v_rcp_f32_e32 v55, v59
	v_sub_f32_e32 v58, v58, v59
	v_add_f32_e32 v57, v57, v58
	s_waitcnt_depctr 0xfff
	v_mul_f32_e32 v61, v60, v55
	s_delay_alu instid0(VALU_DEP_1) | instskip(NEXT) | instid1(VALU_DEP_1)
	v_mul_f32_e32 v62, v59, v61
	v_fma_f32 v58, v61, v59, -v62
	s_delay_alu instid0(VALU_DEP_1) | instskip(SKIP_1) | instid1(VALU_DEP_2)
	v_fmac_f32_e32 v58, v61, v57
	v_add_f32_e32 v9, v9, v56
	v_add_f32_e32 v63, v62, v58
	s_delay_alu instid0(VALU_DEP_1) | instskip(SKIP_1) | instid1(VALU_DEP_2)
	v_sub_f32_e32 v64, v60, v63
	v_sub_f32_e32 v56, v63, v62
	;; [unrolled: 1-line block ×3, first 2 shown]
	s_delay_alu instid0(VALU_DEP_2) | instskip(NEXT) | instid1(VALU_DEP_2)
	v_sub_f32_e32 v56, v56, v58
	v_sub_f32_e32 v60, v60, v63
	s_delay_alu instid0(VALU_DEP_1) | instskip(NEXT) | instid1(VALU_DEP_1)
	v_add_f32_e32 v9, v9, v60
	v_add_f32_e32 v9, v56, v9
	s_delay_alu instid0(VALU_DEP_1) | instskip(NEXT) | instid1(VALU_DEP_1)
	v_add_f32_e32 v56, v64, v9
	v_mul_f32_e32 v58, v55, v56
	s_delay_alu instid0(VALU_DEP_1) | instskip(NEXT) | instid1(VALU_DEP_1)
	v_dual_sub_f32 v63, v64, v56 :: v_dual_mul_f32 v60, v59, v58
	v_add_f32_e32 v9, v9, v63
	s_delay_alu instid0(VALU_DEP_2) | instskip(NEXT) | instid1(VALU_DEP_1)
	v_fma_f32 v59, v58, v59, -v60
	v_fmac_f32_e32 v59, v58, v57
	s_delay_alu instid0(VALU_DEP_1) | instskip(NEXT) | instid1(VALU_DEP_1)
	v_add_f32_e32 v57, v60, v59
	v_sub_f32_e32 v62, v56, v57
	s_delay_alu instid0(VALU_DEP_1) | instskip(NEXT) | instid1(VALU_DEP_1)
	v_sub_f32_e32 v56, v56, v62
	v_sub_f32_e32 v56, v56, v57
	s_delay_alu instid0(VALU_DEP_1) | instskip(SKIP_2) | instid1(VALU_DEP_1)
	v_add_f32_e32 v9, v9, v56
	v_add_f32_e32 v56, v61, v58
	v_sub_f32_e32 v60, v57, v60
	v_sub_f32_e32 v57, v60, v59
	s_delay_alu instid0(VALU_DEP_1) | instskip(NEXT) | instid1(VALU_DEP_4)
	v_add_f32_e32 v9, v57, v9
	v_sub_f32_e32 v57, v56, v61
	s_delay_alu instid0(VALU_DEP_2) | instskip(NEXT) | instid1(VALU_DEP_2)
	v_add_f32_e32 v9, v62, v9
	v_sub_f32_e32 v57, v58, v57
	s_delay_alu instid0(VALU_DEP_2) | instskip(NEXT) | instid1(VALU_DEP_1)
	v_mul_f32_e32 v9, v55, v9
	v_add_f32_e32 v9, v57, v9
	s_delay_alu instid0(VALU_DEP_1) | instskip(NEXT) | instid1(VALU_DEP_1)
	v_add_f32_e32 v55, v56, v9
	v_mul_f32_e32 v57, v55, v55
	s_delay_alu instid0(VALU_DEP_1) | instskip(SKIP_1) | instid1(VALU_DEP_2)
	v_fmaak_f32 v58, s54, v57, 0x3ecc95a3
	v_mul_f32_e32 v59, v55, v57
	v_fmaak_f32 v57, v57, v58, 0x3f2aaada
	v_ldexp_f32 v58, v55, 1
	v_sub_f32_e32 v55, v55, v56
	s_delay_alu instid0(VALU_DEP_3) | instskip(SKIP_1) | instid1(VALU_DEP_2)
	v_mul_f32_e32 v57, v59, v57
	v_mul_f32_e32 v59, 0x3f317218, v8
	v_dual_sub_f32 v9, v9, v55 :: v_dual_add_f32 v56, v58, v57
	s_delay_alu instid0(VALU_DEP_1) | instskip(NEXT) | instid1(VALU_DEP_2)
	v_ldexp_f32 v9, v9, 1
	v_sub_f32_e32 v55, v56, v58
	s_delay_alu instid0(VALU_DEP_4) | instskip(NEXT) | instid1(VALU_DEP_1)
	v_fma_f32 v58, 0x3f317218, v8, -v59
	v_dual_sub_f32 v55, v57, v55 :: v_dual_fmac_f32 v58, 0xb102e308, v8
	s_delay_alu instid0(VALU_DEP_1) | instskip(NEXT) | instid1(VALU_DEP_1)
	v_dual_add_f32 v8, v9, v55 :: v_dual_add_f32 v9, v59, v58
	v_add_f32_e32 v55, v56, v8
	s_delay_alu instid0(VALU_DEP_2) | instskip(NEXT) | instid1(VALU_DEP_2)
	v_sub_f32_e32 v59, v9, v59
	v_dual_add_f32 v57, v9, v55 :: v_dual_sub_f32 v56, v55, v56
	s_delay_alu instid0(VALU_DEP_2) | instskip(NEXT) | instid1(VALU_DEP_2)
	v_sub_f32_e32 v58, v58, v59
	v_sub_f32_e32 v60, v57, v9
	s_delay_alu instid0(VALU_DEP_3) | instskip(NEXT) | instid1(VALU_DEP_2)
	v_sub_f32_e32 v8, v8, v56
	v_sub_f32_e32 v61, v57, v60
	;; [unrolled: 1-line block ×3, first 2 shown]
	s_delay_alu instid0(VALU_DEP_2) | instskip(NEXT) | instid1(VALU_DEP_1)
	v_dual_add_f32 v56, v58, v8 :: v_dual_sub_f32 v9, v9, v61
	v_add_f32_e32 v9, v55, v9
	s_delay_alu instid0(VALU_DEP_2) | instskip(NEXT) | instid1(VALU_DEP_2)
	v_sub_f32_e32 v55, v56, v58
	v_add_f32_e32 v9, v56, v9
	s_delay_alu instid0(VALU_DEP_2) | instskip(NEXT) | instid1(VALU_DEP_2)
	v_sub_f32_e32 v56, v56, v55
	v_dual_sub_f32 v8, v8, v55 :: v_dual_add_f32 v59, v57, v9
	s_delay_alu instid0(VALU_DEP_1) | instskip(NEXT) | instid1(VALU_DEP_1)
	v_dual_sub_f32 v56, v58, v56 :: v_dual_sub_f32 v55, v59, v57
	v_dual_add_f32 v8, v8, v56 :: v_dual_sub_f32 v9, v9, v55
	s_delay_alu instid0(VALU_DEP_1) | instskip(NEXT) | instid1(VALU_DEP_1)
	v_add_f32_e32 v8, v8, v9
	v_add_f32_e32 v8, v59, v8
	s_delay_alu instid0(VALU_DEP_1)
	v_cndmask_b32_e32 v55, v8, v4, vcc_lo
.LBB44_48:                              ;   in Loop: Header=BB44_12 Depth=1
	s_or_b32 exec_lo, exec_lo, s21
	v_and_b32_e32 v4, 0xffff0000, v5
	s_delay_alu instid0(VALU_DEP_1) | instskip(NEXT) | instid1(VALU_DEP_1)
	v_add_f32_e32 v58, s60, v4
	v_cmp_ge_f32_e32 vcc_lo, 0x41a00000, v58
	s_and_b32 s20, s68, vcc_lo
	s_delay_alu instid0(SALU_CYCLE_1)
	s_and_saveexec_b32 s21, s20
	s_cbranch_execz .LBB44_50
; %bb.49:                               ;   in Loop: Header=BB44_12 Depth=1
	v_mul_f32_e32 v4, 0x3fb8aa3b, v58
	v_cmp_ngt_f32_e32 vcc_lo, 0xc2ce8ed0, v58
	s_delay_alu instid0(VALU_DEP_2) | instskip(SKIP_1) | instid1(VALU_DEP_2)
	v_rndne_f32_e32 v5, v4
	v_fma_f32 v8, 0x3fb8aa3b, v58, -v4
	v_sub_f32_e32 v4, v4, v5
	s_delay_alu instid0(VALU_DEP_2) | instskip(SKIP_1) | instid1(VALU_DEP_2)
	v_fmac_f32_e32 v8, 0x32a5705f, v58
	v_cvt_i32_f32_e32 v5, v5
	v_add_f32_e32 v4, v4, v8
	s_delay_alu instid0(VALU_DEP_1) | instskip(SKIP_2) | instid1(VALU_DEP_1)
	v_exp_f32_e32 v4, v4
	s_waitcnt_depctr 0xfff
	v_ldexp_f32 v4, v4, v5
	v_cndmask_b32_e32 v4, 0, v4, vcc_lo
	v_cmp_nlt_f32_e32 vcc_lo, 0x42b17218, v58
	s_delay_alu instid0(VALU_DEP_2) | instskip(NEXT) | instid1(VALU_DEP_1)
	v_cndmask_b32_e32 v8, 0x7f800000, v4, vcc_lo
	v_add_f32_e32 v9, 1.0, v8
	s_delay_alu instid0(VALU_DEP_1) | instskip(NEXT) | instid1(VALU_DEP_1)
	v_cvt_f64_f32_e32 v[4:5], v9
	v_frexp_exp_i32_f64_e32 v4, v[4:5]
	v_frexp_mant_f32_e32 v5, v9
	s_delay_alu instid0(VALU_DEP_1) | instskip(SKIP_1) | instid1(VALU_DEP_1)
	v_cmp_gt_f32_e32 vcc_lo, 0x3f2aaaab, v5
	v_add_f32_e32 v5, -1.0, v9
	v_sub_f32_e32 v57, v5, v9
	s_delay_alu instid0(VALU_DEP_1) | instskip(SKIP_2) | instid1(VALU_DEP_2)
	v_add_f32_e32 v57, 1.0, v57
	v_sub_f32_e32 v5, v8, v5
	v_cmp_gt_f32_e64 s20, 0x33800000, v8
	v_add_f32_e32 v5, v5, v57
	v_subrev_co_ci_u32_e32 v4, vcc_lo, 0, v4, vcc_lo
	v_cmp_eq_f32_e32 vcc_lo, 0x7f800000, v8
	s_delay_alu instid0(VALU_DEP_2) | instskip(SKIP_2) | instid1(VALU_DEP_2)
	v_sub_nc_u32_e32 v56, 0, v4
	v_cvt_f32_i32_e32 v4, v4
	s_or_b32 vcc_lo, s20, vcc_lo
	v_ldexp_f32 v9, v9, v56
	v_ldexp_f32 v5, v5, v56
	s_delay_alu instid0(VALU_DEP_2) | instskip(NEXT) | instid1(VALU_DEP_1)
	v_add_f32_e32 v56, -1.0, v9
	v_dual_add_f32 v58, 1.0, v9 :: v_dual_add_f32 v59, 1.0, v56
	s_delay_alu instid0(VALU_DEP_1) | instskip(NEXT) | instid1(VALU_DEP_1)
	v_add_f32_e32 v57, -1.0, v58
	v_sub_f32_e32 v57, v9, v57
	s_delay_alu instid0(VALU_DEP_3) | instskip(NEXT) | instid1(VALU_DEP_2)
	v_sub_f32_e32 v9, v9, v59
	v_add_f32_e32 v57, v5, v57
	s_delay_alu instid0(VALU_DEP_2) | instskip(NEXT) | instid1(VALU_DEP_1)
	v_add_f32_e32 v5, v5, v9
	v_add_f32_e32 v60, v56, v5
	s_delay_alu instid0(VALU_DEP_1) | instskip(NEXT) | instid1(VALU_DEP_1)
	v_dual_sub_f32 v56, v56, v60 :: v_dual_add_f32 v59, v58, v57
	v_add_f32_e32 v5, v5, v56
	s_delay_alu instid0(VALU_DEP_2) | instskip(SKIP_1) | instid1(VALU_DEP_1)
	v_rcp_f32_e32 v9, v59
	v_sub_f32_e32 v58, v58, v59
	v_add_f32_e32 v57, v57, v58
	s_waitcnt_depctr 0xfff
	v_mul_f32_e32 v61, v60, v9
	s_delay_alu instid0(VALU_DEP_1) | instskip(NEXT) | instid1(VALU_DEP_1)
	v_mul_f32_e32 v62, v59, v61
	v_fma_f32 v58, v61, v59, -v62
	s_delay_alu instid0(VALU_DEP_1) | instskip(NEXT) | instid1(VALU_DEP_1)
	v_fmac_f32_e32 v58, v61, v57
	v_add_f32_e32 v63, v62, v58
	s_delay_alu instid0(VALU_DEP_1) | instskip(SKIP_1) | instid1(VALU_DEP_2)
	v_sub_f32_e32 v64, v60, v63
	v_sub_f32_e32 v56, v63, v62
	;; [unrolled: 1-line block ×3, first 2 shown]
	s_delay_alu instid0(VALU_DEP_1) | instskip(NEXT) | instid1(VALU_DEP_1)
	v_sub_f32_e32 v60, v60, v63
	v_dual_sub_f32 v56, v56, v58 :: v_dual_add_f32 v5, v5, v60
	s_delay_alu instid0(VALU_DEP_1) | instskip(NEXT) | instid1(VALU_DEP_1)
	v_add_f32_e32 v5, v56, v5
	v_add_f32_e32 v56, v64, v5
	s_delay_alu instid0(VALU_DEP_1) | instskip(NEXT) | instid1(VALU_DEP_1)
	v_mul_f32_e32 v58, v9, v56
	v_dual_sub_f32 v63, v64, v56 :: v_dual_mul_f32 v60, v59, v58
	s_delay_alu instid0(VALU_DEP_1) | instskip(NEXT) | instid1(VALU_DEP_2)
	v_add_f32_e32 v5, v5, v63
	v_fma_f32 v59, v58, v59, -v60
	s_delay_alu instid0(VALU_DEP_1) | instskip(NEXT) | instid1(VALU_DEP_1)
	v_fmac_f32_e32 v59, v58, v57
	v_add_f32_e32 v57, v60, v59
	s_delay_alu instid0(VALU_DEP_1) | instskip(NEXT) | instid1(VALU_DEP_1)
	v_sub_f32_e32 v62, v56, v57
	v_sub_f32_e32 v56, v56, v62
	s_delay_alu instid0(VALU_DEP_1) | instskip(NEXT) | instid1(VALU_DEP_1)
	v_sub_f32_e32 v56, v56, v57
	v_add_f32_e32 v5, v5, v56
	v_add_f32_e32 v56, v61, v58
	v_sub_f32_e32 v60, v57, v60
	s_delay_alu instid0(VALU_DEP_1) | instskip(NEXT) | instid1(VALU_DEP_1)
	v_sub_f32_e32 v57, v60, v59
	v_add_f32_e32 v5, v57, v5
	s_delay_alu instid0(VALU_DEP_4) | instskip(NEXT) | instid1(VALU_DEP_2)
	v_sub_f32_e32 v57, v56, v61
	v_add_f32_e32 v5, v62, v5
	s_delay_alu instid0(VALU_DEP_2) | instskip(NEXT) | instid1(VALU_DEP_2)
	v_sub_f32_e32 v57, v58, v57
	v_mul_f32_e32 v5, v9, v5
	s_delay_alu instid0(VALU_DEP_1) | instskip(NEXT) | instid1(VALU_DEP_1)
	v_add_f32_e32 v5, v57, v5
	v_add_f32_e32 v9, v56, v5
	s_delay_alu instid0(VALU_DEP_1) | instskip(NEXT) | instid1(VALU_DEP_1)
	v_mul_f32_e32 v57, v9, v9
	v_fmaak_f32 v58, s54, v57, 0x3ecc95a3
	v_mul_f32_e32 v59, v9, v57
	s_delay_alu instid0(VALU_DEP_2) | instskip(SKIP_1) | instid1(VALU_DEP_2)
	v_fmaak_f32 v57, v57, v58, 0x3f2aaada
	v_ldexp_f32 v58, v9, 1
	v_mul_f32_e32 v57, v59, v57
	s_delay_alu instid0(VALU_DEP_1) | instskip(NEXT) | instid1(VALU_DEP_1)
	v_dual_sub_f32 v9, v9, v56 :: v_dual_add_f32 v56, v58, v57
	v_sub_f32_e32 v5, v5, v9
	s_delay_alu instid0(VALU_DEP_2) | instskip(NEXT) | instid1(VALU_DEP_2)
	v_sub_f32_e32 v9, v56, v58
	v_ldexp_f32 v5, v5, 1
	s_delay_alu instid0(VALU_DEP_2) | instskip(SKIP_1) | instid1(VALU_DEP_1)
	v_sub_f32_e32 v9, v57, v9
	v_mul_f32_e32 v59, 0x3f317218, v4
	v_fma_f32 v58, 0x3f317218, v4, -v59
	s_delay_alu instid0(VALU_DEP_1) | instskip(NEXT) | instid1(VALU_DEP_1)
	v_fmac_f32_e32 v58, 0xb102e308, v4
	v_dual_add_f32 v4, v5, v9 :: v_dual_add_f32 v5, v59, v58
	s_delay_alu instid0(VALU_DEP_1) | instskip(NEXT) | instid1(VALU_DEP_1)
	v_add_f32_e32 v9, v56, v4
	v_add_f32_e32 v57, v5, v9
	v_sub_f32_e32 v56, v9, v56
	s_delay_alu instid0(VALU_DEP_2) | instskip(NEXT) | instid1(VALU_DEP_2)
	v_sub_f32_e32 v60, v57, v5
	v_dual_sub_f32 v4, v4, v56 :: v_dual_sub_f32 v59, v5, v59
	s_delay_alu instid0(VALU_DEP_2) | instskip(NEXT) | instid1(VALU_DEP_2)
	v_sub_f32_e32 v61, v57, v60
	v_dual_sub_f32 v9, v9, v60 :: v_dual_sub_f32 v58, v58, v59
	s_delay_alu instid0(VALU_DEP_1) | instskip(NEXT) | instid1(VALU_DEP_1)
	v_dual_sub_f32 v5, v5, v61 :: v_dual_add_f32 v56, v58, v4
	v_add_f32_e32 v5, v9, v5
	s_delay_alu instid0(VALU_DEP_2) | instskip(NEXT) | instid1(VALU_DEP_2)
	v_sub_f32_e32 v9, v56, v58
	v_add_f32_e32 v5, v56, v5
	s_delay_alu instid0(VALU_DEP_2) | instskip(SKIP_1) | instid1(VALU_DEP_2)
	v_sub_f32_e32 v56, v56, v9
	v_sub_f32_e32 v4, v4, v9
	v_dual_add_f32 v59, v57, v5 :: v_dual_sub_f32 v56, v58, v56
	s_delay_alu instid0(VALU_DEP_1) | instskip(NEXT) | instid1(VALU_DEP_1)
	v_dual_sub_f32 v9, v59, v57 :: v_dual_add_f32 v4, v4, v56
	v_sub_f32_e32 v5, v5, v9
	s_delay_alu instid0(VALU_DEP_1) | instskip(NEXT) | instid1(VALU_DEP_1)
	v_add_f32_e32 v4, v4, v5
	v_add_f32_e32 v4, v59, v4
	s_delay_alu instid0(VALU_DEP_1)
	v_cndmask_b32_e32 v58, v4, v8, vcc_lo
.LBB44_50:                              ;   in Loop: Header=BB44_12 Depth=1
	s_or_b32 exec_lo, exec_lo, s21
	v_lshlrev_b32_e32 v4, 16, v6
	s_delay_alu instid0(VALU_DEP_1) | instskip(NEXT) | instid1(VALU_DEP_1)
	v_add_f32_e32 v65, s60, v4
	v_cmp_ge_f32_e32 vcc_lo, 0x41a00000, v65
	s_and_b32 s20, s68, vcc_lo
	s_delay_alu instid0(SALU_CYCLE_1)
	s_and_saveexec_b32 s21, s20
	s_cbranch_execz .LBB44_52
; %bb.51:                               ;   in Loop: Header=BB44_12 Depth=1
	v_mul_f32_e32 v4, 0x3fb8aa3b, v65
	v_cmp_ngt_f32_e32 vcc_lo, 0xc2ce8ed0, v65
	s_delay_alu instid0(VALU_DEP_2) | instskip(SKIP_1) | instid1(VALU_DEP_2)
	v_rndne_f32_e32 v5, v4
	v_fma_f32 v8, 0x3fb8aa3b, v65, -v4
	v_sub_f32_e32 v4, v4, v5
	s_delay_alu instid0(VALU_DEP_2) | instskip(SKIP_1) | instid1(VALU_DEP_2)
	v_fmac_f32_e32 v8, 0x32a5705f, v65
	v_cvt_i32_f32_e32 v5, v5
	v_add_f32_e32 v4, v4, v8
	s_delay_alu instid0(VALU_DEP_1) | instskip(SKIP_2) | instid1(VALU_DEP_1)
	v_exp_f32_e32 v4, v4
	s_waitcnt_depctr 0xfff
	v_ldexp_f32 v4, v4, v5
	v_cndmask_b32_e32 v4, 0, v4, vcc_lo
	v_cmp_nlt_f32_e32 vcc_lo, 0x42b17218, v65
	s_delay_alu instid0(VALU_DEP_2) | instskip(NEXT) | instid1(VALU_DEP_1)
	v_cndmask_b32_e32 v8, 0x7f800000, v4, vcc_lo
	v_add_f32_e32 v9, 1.0, v8
	s_delay_alu instid0(VALU_DEP_1) | instskip(NEXT) | instid1(VALU_DEP_1)
	v_cvt_f64_f32_e32 v[4:5], v9
	v_frexp_exp_i32_f64_e32 v4, v[4:5]
	v_frexp_mant_f32_e32 v5, v9
	s_delay_alu instid0(VALU_DEP_1) | instskip(SKIP_1) | instid1(VALU_DEP_1)
	v_cmp_gt_f32_e32 vcc_lo, 0x3f2aaaab, v5
	v_add_f32_e32 v5, -1.0, v9
	v_sub_f32_e32 v57, v5, v9
	s_delay_alu instid0(VALU_DEP_1) | instskip(SKIP_2) | instid1(VALU_DEP_2)
	v_add_f32_e32 v57, 1.0, v57
	v_sub_f32_e32 v5, v8, v5
	v_cmp_gt_f32_e64 s20, 0x33800000, v8
	v_add_f32_e32 v5, v5, v57
	v_subrev_co_ci_u32_e32 v4, vcc_lo, 0, v4, vcc_lo
	v_cmp_eq_f32_e32 vcc_lo, 0x7f800000, v8
	s_delay_alu instid0(VALU_DEP_2) | instskip(SKIP_2) | instid1(VALU_DEP_2)
	v_sub_nc_u32_e32 v56, 0, v4
	v_cvt_f32_i32_e32 v4, v4
	s_or_b32 vcc_lo, s20, vcc_lo
	v_ldexp_f32 v9, v9, v56
	v_ldexp_f32 v5, v5, v56
	s_delay_alu instid0(VALU_DEP_2) | instskip(NEXT) | instid1(VALU_DEP_1)
	v_add_f32_e32 v59, 1.0, v9
	v_dual_add_f32 v56, -1.0, v9 :: v_dual_add_f32 v57, -1.0, v59
	s_delay_alu instid0(VALU_DEP_1) | instskip(NEXT) | instid1(VALU_DEP_1)
	v_dual_add_f32 v60, 1.0, v56 :: v_dual_sub_f32 v57, v9, v57
	v_sub_f32_e32 v9, v9, v60
	s_delay_alu instid0(VALU_DEP_2) | instskip(NEXT) | instid1(VALU_DEP_2)
	v_add_f32_e32 v57, v5, v57
	v_add_f32_e32 v5, v5, v9
	s_delay_alu instid0(VALU_DEP_2) | instskip(NEXT) | instid1(VALU_DEP_1)
	v_add_f32_e32 v60, v59, v57
	v_sub_f32_e32 v59, v59, v60
	s_delay_alu instid0(VALU_DEP_3) | instskip(NEXT) | instid1(VALU_DEP_2)
	v_add_f32_e32 v61, v56, v5
	v_add_f32_e32 v57, v57, v59
	v_rcp_f32_e32 v9, v60
	s_delay_alu instid0(VALU_DEP_2) | instskip(NEXT) | instid1(VALU_DEP_1)
	v_sub_f32_e32 v56, v56, v61
	v_add_f32_e32 v5, v5, v56
	s_waitcnt_depctr 0xfff
	v_mul_f32_e32 v62, v61, v9
	s_delay_alu instid0(VALU_DEP_1) | instskip(NEXT) | instid1(VALU_DEP_1)
	v_mul_f32_e32 v63, v60, v62
	v_fma_f32 v59, v62, v60, -v63
	s_delay_alu instid0(VALU_DEP_1) | instskip(NEXT) | instid1(VALU_DEP_1)
	v_fmac_f32_e32 v59, v62, v57
	v_add_f32_e32 v64, v63, v59
	s_delay_alu instid0(VALU_DEP_1) | instskip(NEXT) | instid1(VALU_DEP_1)
	v_dual_sub_f32 v65, v61, v64 :: v_dual_sub_f32 v56, v64, v63
	v_dual_sub_f32 v61, v61, v65 :: v_dual_sub_f32 v56, v56, v59
	s_delay_alu instid0(VALU_DEP_1) | instskip(NEXT) | instid1(VALU_DEP_1)
	v_sub_f32_e32 v61, v61, v64
	v_add_f32_e32 v5, v5, v61
	s_delay_alu instid0(VALU_DEP_1) | instskip(NEXT) | instid1(VALU_DEP_1)
	v_add_f32_e32 v5, v56, v5
	v_add_f32_e32 v56, v65, v5
	s_delay_alu instid0(VALU_DEP_1) | instskip(NEXT) | instid1(VALU_DEP_1)
	v_mul_f32_e32 v59, v9, v56
	v_dual_sub_f32 v64, v65, v56 :: v_dual_mul_f32 v61, v60, v59
	s_delay_alu instid0(VALU_DEP_1) | instskip(NEXT) | instid1(VALU_DEP_2)
	v_add_f32_e32 v5, v5, v64
	v_fma_f32 v60, v59, v60, -v61
	s_delay_alu instid0(VALU_DEP_1) | instskip(NEXT) | instid1(VALU_DEP_1)
	v_fmac_f32_e32 v60, v59, v57
	v_add_f32_e32 v57, v61, v60
	s_delay_alu instid0(VALU_DEP_1) | instskip(NEXT) | instid1(VALU_DEP_1)
	v_sub_f32_e32 v63, v56, v57
	v_dual_sub_f32 v61, v57, v61 :: v_dual_sub_f32 v56, v56, v63
	s_delay_alu instid0(VALU_DEP_1) | instskip(NEXT) | instid1(VALU_DEP_1)
	v_dual_sub_f32 v56, v56, v57 :: v_dual_sub_f32 v57, v61, v60
	v_dual_add_f32 v5, v5, v56 :: v_dual_add_f32 v56, v62, v59
	s_delay_alu instid0(VALU_DEP_1) | instskip(NEXT) | instid1(VALU_DEP_2)
	v_add_f32_e32 v5, v57, v5
	v_sub_f32_e32 v57, v56, v62
	s_delay_alu instid0(VALU_DEP_2) | instskip(NEXT) | instid1(VALU_DEP_2)
	v_add_f32_e32 v5, v63, v5
	v_sub_f32_e32 v57, v59, v57
	s_delay_alu instid0(VALU_DEP_2) | instskip(NEXT) | instid1(VALU_DEP_1)
	v_mul_f32_e32 v5, v9, v5
	v_add_f32_e32 v5, v57, v5
	s_delay_alu instid0(VALU_DEP_1) | instskip(NEXT) | instid1(VALU_DEP_1)
	v_add_f32_e32 v9, v56, v5
	v_mul_f32_e32 v57, v9, v9
	s_delay_alu instid0(VALU_DEP_1) | instskip(SKIP_1) | instid1(VALU_DEP_2)
	v_fmaak_f32 v59, s54, v57, 0x3ecc95a3
	v_mul_f32_e32 v60, v9, v57
	v_fmaak_f32 v57, v57, v59, 0x3f2aaada
	v_ldexp_f32 v59, v9, 1
	v_sub_f32_e32 v9, v9, v56
	s_delay_alu instid0(VALU_DEP_3) | instskip(NEXT) | instid1(VALU_DEP_2)
	v_dual_mul_f32 v57, v60, v57 :: v_dual_mul_f32 v60, 0x3f317218, v4
	v_sub_f32_e32 v5, v5, v9
	s_delay_alu instid0(VALU_DEP_2) | instskip(NEXT) | instid1(VALU_DEP_2)
	v_add_f32_e32 v56, v59, v57
	v_ldexp_f32 v5, v5, 1
	s_delay_alu instid0(VALU_DEP_2) | instskip(SKIP_1) | instid1(VALU_DEP_2)
	v_sub_f32_e32 v9, v56, v59
	v_fma_f32 v59, 0x3f317218, v4, -v60
	v_sub_f32_e32 v9, v57, v9
	s_delay_alu instid0(VALU_DEP_1) | instskip(NEXT) | instid1(VALU_DEP_1)
	v_dual_fmac_f32 v59, 0xb102e308, v4 :: v_dual_add_f32 v4, v5, v9
	v_add_f32_e32 v5, v60, v59
	s_delay_alu instid0(VALU_DEP_2) | instskip(NEXT) | instid1(VALU_DEP_2)
	v_add_f32_e32 v9, v56, v4
	v_sub_f32_e32 v60, v5, v60
	s_delay_alu instid0(VALU_DEP_2) | instskip(SKIP_1) | instid1(VALU_DEP_1)
	v_add_f32_e32 v57, v5, v9
	v_sub_f32_e32 v56, v9, v56
	v_dual_sub_f32 v61, v57, v5 :: v_dual_sub_f32 v4, v4, v56
	s_delay_alu instid0(VALU_DEP_1) | instskip(SKIP_1) | instid1(VALU_DEP_2)
	v_dual_sub_f32 v62, v57, v61 :: v_dual_sub_f32 v59, v59, v60
	v_sub_f32_e32 v9, v9, v61
	v_dual_sub_f32 v5, v5, v62 :: v_dual_add_f32 v56, v59, v4
	s_delay_alu instid0(VALU_DEP_1) | instskip(NEXT) | instid1(VALU_DEP_2)
	v_add_f32_e32 v5, v9, v5
	v_sub_f32_e32 v9, v56, v59
	s_delay_alu instid0(VALU_DEP_2) | instskip(NEXT) | instid1(VALU_DEP_2)
	v_add_f32_e32 v5, v56, v5
	v_sub_f32_e32 v56, v56, v9
	v_sub_f32_e32 v4, v4, v9
	s_delay_alu instid0(VALU_DEP_3) | instskip(NEXT) | instid1(VALU_DEP_1)
	v_add_f32_e32 v60, v57, v5
	v_dual_sub_f32 v56, v59, v56 :: v_dual_sub_f32 v9, v60, v57
	s_delay_alu instid0(VALU_DEP_1) | instskip(NEXT) | instid1(VALU_DEP_1)
	v_dual_add_f32 v4, v4, v56 :: v_dual_sub_f32 v5, v5, v9
	v_add_f32_e32 v4, v4, v5
	s_delay_alu instid0(VALU_DEP_1) | instskip(NEXT) | instid1(VALU_DEP_1)
	v_add_f32_e32 v4, v60, v4
	v_cndmask_b32_e32 v65, v4, v8, vcc_lo
.LBB44_52:                              ;   in Loop: Header=BB44_12 Depth=1
	s_or_b32 exec_lo, exec_lo, s21
	v_and_b32_e32 v4, 0xffff0000, v6
	s_delay_alu instid0(VALU_DEP_1) | instskip(NEXT) | instid1(VALU_DEP_1)
	v_add_f32_e32 v66, s60, v4
	v_cmp_ge_f32_e32 vcc_lo, 0x41a00000, v66
	s_and_b32 s20, s68, vcc_lo
	s_delay_alu instid0(SALU_CYCLE_1)
	s_and_saveexec_b32 s21, s20
	s_cbranch_execz .LBB44_54
; %bb.53:                               ;   in Loop: Header=BB44_12 Depth=1
	v_mul_f32_e32 v4, 0x3fb8aa3b, v66
	v_cmp_ngt_f32_e32 vcc_lo, 0xc2ce8ed0, v66
	s_delay_alu instid0(VALU_DEP_2) | instskip(SKIP_1) | instid1(VALU_DEP_2)
	v_rndne_f32_e32 v5, v4
	v_fma_f32 v6, 0x3fb8aa3b, v66, -v4
	v_sub_f32_e32 v4, v4, v5
	s_delay_alu instid0(VALU_DEP_2) | instskip(SKIP_1) | instid1(VALU_DEP_2)
	v_fmac_f32_e32 v6, 0x32a5705f, v66
	v_cvt_i32_f32_e32 v5, v5
	v_add_f32_e32 v4, v4, v6
	s_delay_alu instid0(VALU_DEP_1) | instskip(SKIP_2) | instid1(VALU_DEP_1)
	v_exp_f32_e32 v4, v4
	s_waitcnt_depctr 0xfff
	v_ldexp_f32 v4, v4, v5
	v_cndmask_b32_e32 v4, 0, v4, vcc_lo
	v_cmp_nlt_f32_e32 vcc_lo, 0x42b17218, v66
	s_delay_alu instid0(VALU_DEP_2) | instskip(NEXT) | instid1(VALU_DEP_1)
	v_cndmask_b32_e32 v6, 0x7f800000, v4, vcc_lo
	v_add_f32_e32 v8, 1.0, v6
	s_delay_alu instid0(VALU_DEP_1) | instskip(NEXT) | instid1(VALU_DEP_1)
	v_cvt_f64_f32_e32 v[4:5], v8
	v_frexp_exp_i32_f64_e32 v4, v[4:5]
	v_frexp_mant_f32_e32 v5, v8
	s_delay_alu instid0(VALU_DEP_1) | instskip(SKIP_1) | instid1(VALU_DEP_1)
	v_cmp_gt_f32_e32 vcc_lo, 0x3f2aaaab, v5
	v_add_f32_e32 v5, -1.0, v8
	v_dual_sub_f32 v56, v5, v8 :: v_dual_sub_f32 v5, v6, v5
	s_delay_alu instid0(VALU_DEP_1) | instskip(NEXT) | instid1(VALU_DEP_1)
	v_add_f32_e32 v56, 1.0, v56
	v_add_f32_e32 v5, v5, v56
	v_subrev_co_ci_u32_e32 v4, vcc_lo, 0, v4, vcc_lo
	s_delay_alu instid0(VALU_DEP_1) | instskip(SKIP_1) | instid1(VALU_DEP_2)
	v_sub_nc_u32_e32 v9, 0, v4
	v_cvt_f32_i32_e32 v4, v4
	v_ldexp_f32 v8, v8, v9
	v_ldexp_f32 v5, v5, v9
	s_delay_alu instid0(VALU_DEP_2) | instskip(NEXT) | instid1(VALU_DEP_1)
	v_add_f32_e32 v57, 1.0, v8
	v_dual_add_f32 v9, -1.0, v8 :: v_dual_add_f32 v56, -1.0, v57
	s_delay_alu instid0(VALU_DEP_1) | instskip(NEXT) | instid1(VALU_DEP_1)
	v_dual_add_f32 v59, 1.0, v9 :: v_dual_sub_f32 v56, v8, v56
	v_sub_f32_e32 v8, v8, v59
	s_delay_alu instid0(VALU_DEP_2) | instskip(NEXT) | instid1(VALU_DEP_1)
	v_add_f32_e32 v56, v5, v56
	v_add_f32_e32 v59, v57, v56
	s_delay_alu instid0(VALU_DEP_3) | instskip(NEXT) | instid1(VALU_DEP_2)
	v_add_f32_e32 v5, v5, v8
	v_rcp_f32_e32 v8, v59
	s_delay_alu instid0(VALU_DEP_1) | instskip(SKIP_3) | instid1(VALU_DEP_3)
	v_add_f32_e32 v60, v9, v5
	v_sub_f32_e32 v57, v57, v59
	v_cmp_eq_f32_e32 vcc_lo, 0x7f800000, v6
	v_cmp_gt_f32_e64 s20, 0x33800000, v6
	v_dual_sub_f32 v9, v9, v60 :: v_dual_add_f32 v56, v56, v57
	s_delay_alu instid0(VALU_DEP_2) | instskip(SKIP_2) | instid1(VALU_DEP_1)
	s_or_b32 vcc_lo, s20, vcc_lo
	s_waitcnt_depctr 0xfff
	v_mul_f32_e32 v61, v60, v8
	v_mul_f32_e32 v62, v59, v61
	v_add_f32_e32 v5, v5, v9
	s_delay_alu instid0(VALU_DEP_2) | instskip(NEXT) | instid1(VALU_DEP_1)
	v_fma_f32 v57, v61, v59, -v62
	v_fmac_f32_e32 v57, v61, v56
	s_delay_alu instid0(VALU_DEP_1) | instskip(NEXT) | instid1(VALU_DEP_1)
	v_add_f32_e32 v63, v62, v57
	v_dual_sub_f32 v9, v63, v62 :: v_dual_sub_f32 v64, v60, v63
	s_delay_alu instid0(VALU_DEP_1) | instskip(NEXT) | instid1(VALU_DEP_1)
	v_dual_sub_f32 v9, v9, v57 :: v_dual_sub_f32 v60, v60, v64
	v_sub_f32_e32 v60, v60, v63
	s_delay_alu instid0(VALU_DEP_1) | instskip(NEXT) | instid1(VALU_DEP_1)
	v_add_f32_e32 v5, v5, v60
	v_add_f32_e32 v5, v9, v5
	s_delay_alu instid0(VALU_DEP_1) | instskip(NEXT) | instid1(VALU_DEP_1)
	v_add_f32_e32 v9, v64, v5
	v_mul_f32_e32 v57, v8, v9
	s_delay_alu instid0(VALU_DEP_1) | instskip(NEXT) | instid1(VALU_DEP_1)
	v_mul_f32_e32 v60, v59, v57
	v_fma_f32 v59, v57, v59, -v60
	s_delay_alu instid0(VALU_DEP_1) | instskip(NEXT) | instid1(VALU_DEP_1)
	v_fmac_f32_e32 v59, v57, v56
	v_add_f32_e32 v56, v60, v59
	s_delay_alu instid0(VALU_DEP_1) | instskip(NEXT) | instid1(VALU_DEP_1)
	v_dual_sub_f32 v62, v9, v56 :: v_dual_sub_f32 v63, v64, v9
	v_dual_sub_f32 v60, v56, v60 :: v_dual_sub_f32 v9, v9, v62
	s_delay_alu instid0(VALU_DEP_2) | instskip(NEXT) | instid1(VALU_DEP_2)
	v_add_f32_e32 v5, v5, v63
	v_dual_sub_f32 v9, v9, v56 :: v_dual_sub_f32 v56, v60, v59
	s_delay_alu instid0(VALU_DEP_1) | instskip(SKIP_1) | instid1(VALU_DEP_2)
	v_add_f32_e32 v5, v5, v9
	v_add_f32_e32 v9, v61, v57
	;; [unrolled: 1-line block ×3, first 2 shown]
	s_delay_alu instid0(VALU_DEP_2) | instskip(NEXT) | instid1(VALU_DEP_1)
	v_sub_f32_e32 v56, v9, v61
	v_dual_add_f32 v5, v62, v5 :: v_dual_sub_f32 v56, v57, v56
	s_delay_alu instid0(VALU_DEP_1) | instskip(NEXT) | instid1(VALU_DEP_1)
	v_mul_f32_e32 v5, v8, v5
	v_add_f32_e32 v5, v56, v5
	s_delay_alu instid0(VALU_DEP_1) | instskip(NEXT) | instid1(VALU_DEP_1)
	v_add_f32_e32 v8, v9, v5
	v_mul_f32_e32 v56, v8, v8
	s_delay_alu instid0(VALU_DEP_1) | instskip(SKIP_1) | instid1(VALU_DEP_2)
	v_fmaak_f32 v57, s54, v56, 0x3ecc95a3
	v_mul_f32_e32 v59, v8, v56
	v_fmaak_f32 v56, v56, v57, 0x3f2aaada
	v_ldexp_f32 v57, v8, 1
	v_sub_f32_e32 v8, v8, v9
	s_delay_alu instid0(VALU_DEP_1) | instskip(NEXT) | instid1(VALU_DEP_4)
	v_sub_f32_e32 v5, v5, v8
	v_mul_f32_e32 v56, v59, v56
	v_mul_f32_e32 v59, 0x3f317218, v4
	s_delay_alu instid0(VALU_DEP_3) | instskip(NEXT) | instid1(VALU_DEP_3)
	v_ldexp_f32 v5, v5, 1
	v_add_f32_e32 v9, v57, v56
	s_delay_alu instid0(VALU_DEP_1) | instskip(NEXT) | instid1(VALU_DEP_4)
	v_sub_f32_e32 v8, v9, v57
	v_fma_f32 v57, 0x3f317218, v4, -v59
	s_delay_alu instid0(VALU_DEP_2) | instskip(NEXT) | instid1(VALU_DEP_2)
	v_sub_f32_e32 v8, v56, v8
	v_fmac_f32_e32 v57, 0xb102e308, v4
	s_delay_alu instid0(VALU_DEP_1) | instskip(NEXT) | instid1(VALU_DEP_1)
	v_dual_add_f32 v4, v5, v8 :: v_dual_add_f32 v5, v59, v57
	v_add_f32_e32 v8, v9, v4
	s_delay_alu instid0(VALU_DEP_2) | instskip(NEXT) | instid1(VALU_DEP_2)
	v_sub_f32_e32 v59, v5, v59
	v_dual_add_f32 v56, v5, v8 :: v_dual_sub_f32 v9, v8, v9
	s_delay_alu instid0(VALU_DEP_1) | instskip(NEXT) | instid1(VALU_DEP_2)
	v_dual_sub_f32 v57, v57, v59 :: v_dual_sub_f32 v60, v56, v5
	v_sub_f32_e32 v4, v4, v9
	s_delay_alu instid0(VALU_DEP_2) | instskip(NEXT) | instid1(VALU_DEP_2)
	v_sub_f32_e32 v8, v8, v60
	v_add_f32_e32 v9, v57, v4
	v_sub_f32_e32 v61, v56, v60
	s_delay_alu instid0(VALU_DEP_1) | instskip(NEXT) | instid1(VALU_DEP_1)
	v_sub_f32_e32 v5, v5, v61
	v_add_f32_e32 v5, v8, v5
	s_delay_alu instid0(VALU_DEP_4) | instskip(NEXT) | instid1(VALU_DEP_2)
	v_sub_f32_e32 v8, v9, v57
	v_add_f32_e32 v5, v9, v5
	s_delay_alu instid0(VALU_DEP_2) | instskip(SKIP_1) | instid1(VALU_DEP_3)
	v_sub_f32_e32 v9, v9, v8
	v_sub_f32_e32 v4, v4, v8
	v_add_f32_e32 v59, v56, v5
	s_delay_alu instid0(VALU_DEP_1) | instskip(NEXT) | instid1(VALU_DEP_1)
	v_dual_sub_f32 v9, v57, v9 :: v_dual_sub_f32 v8, v59, v56
	v_dual_add_f32 v4, v4, v9 :: v_dual_sub_f32 v5, v5, v8
	s_delay_alu instid0(VALU_DEP_1) | instskip(NEXT) | instid1(VALU_DEP_1)
	v_add_f32_e32 v4, v4, v5
	v_add_f32_e32 v4, v59, v4
	s_delay_alu instid0(VALU_DEP_1)
	v_cndmask_b32_e32 v66, v4, v6, vcc_lo
.LBB44_54:                              ;   in Loop: Header=BB44_12 Depth=1
	s_or_b32 exec_lo, exec_lo, s21
	v_lshlrev_b32_e32 v4, 16, v7
	s_delay_alu instid0(VALU_DEP_1) | instskip(NEXT) | instid1(VALU_DEP_1)
	v_add_f32_e32 v67, s60, v4
	v_cmp_ge_f32_e32 vcc_lo, 0x41a00000, v67
	s_and_b32 s20, s68, vcc_lo
	s_delay_alu instid0(SALU_CYCLE_1)
	s_and_saveexec_b32 s21, s20
	s_cbranch_execz .LBB44_56
; %bb.55:                               ;   in Loop: Header=BB44_12 Depth=1
	v_mul_f32_e32 v4, 0x3fb8aa3b, v67
	v_cmp_ngt_f32_e32 vcc_lo, 0xc2ce8ed0, v67
	s_delay_alu instid0(VALU_DEP_2) | instskip(SKIP_1) | instid1(VALU_DEP_2)
	v_rndne_f32_e32 v5, v4
	v_fma_f32 v6, 0x3fb8aa3b, v67, -v4
	v_sub_f32_e32 v4, v4, v5
	s_delay_alu instid0(VALU_DEP_2) | instskip(SKIP_1) | instid1(VALU_DEP_2)
	v_fmac_f32_e32 v6, 0x32a5705f, v67
	v_cvt_i32_f32_e32 v5, v5
	v_add_f32_e32 v4, v4, v6
	s_delay_alu instid0(VALU_DEP_1) | instskip(SKIP_2) | instid1(VALU_DEP_1)
	v_exp_f32_e32 v4, v4
	s_waitcnt_depctr 0xfff
	v_ldexp_f32 v4, v4, v5
	v_cndmask_b32_e32 v4, 0, v4, vcc_lo
	v_cmp_nlt_f32_e32 vcc_lo, 0x42b17218, v67
	s_delay_alu instid0(VALU_DEP_2) | instskip(NEXT) | instid1(VALU_DEP_1)
	v_cndmask_b32_e32 v6, 0x7f800000, v4, vcc_lo
	v_add_f32_e32 v8, 1.0, v6
	s_delay_alu instid0(VALU_DEP_1) | instskip(NEXT) | instid1(VALU_DEP_1)
	v_cvt_f64_f32_e32 v[4:5], v8
	v_frexp_exp_i32_f64_e32 v4, v[4:5]
	v_frexp_mant_f32_e32 v5, v8
	s_delay_alu instid0(VALU_DEP_1) | instskip(SKIP_1) | instid1(VALU_DEP_1)
	v_cmp_gt_f32_e32 vcc_lo, 0x3f2aaaab, v5
	v_add_f32_e32 v5, -1.0, v8
	v_dual_sub_f32 v56, v5, v8 :: v_dual_sub_f32 v5, v6, v5
	s_delay_alu instid0(VALU_DEP_1) | instskip(NEXT) | instid1(VALU_DEP_1)
	v_add_f32_e32 v56, 1.0, v56
	v_add_f32_e32 v5, v5, v56
	v_subrev_co_ci_u32_e32 v4, vcc_lo, 0, v4, vcc_lo
	s_delay_alu instid0(VALU_DEP_1) | instskip(SKIP_1) | instid1(VALU_DEP_2)
	v_sub_nc_u32_e32 v9, 0, v4
	v_cvt_f32_i32_e32 v4, v4
	v_ldexp_f32 v8, v8, v9
	v_ldexp_f32 v5, v5, v9
	s_delay_alu instid0(VALU_DEP_2) | instskip(NEXT) | instid1(VALU_DEP_1)
	v_add_f32_e32 v57, 1.0, v8
	v_dual_add_f32 v9, -1.0, v8 :: v_dual_add_f32 v56, -1.0, v57
	s_delay_alu instid0(VALU_DEP_1) | instskip(NEXT) | instid1(VALU_DEP_1)
	v_dual_add_f32 v59, 1.0, v9 :: v_dual_sub_f32 v56, v8, v56
	v_sub_f32_e32 v8, v8, v59
	s_delay_alu instid0(VALU_DEP_2) | instskip(NEXT) | instid1(VALU_DEP_1)
	v_add_f32_e32 v56, v5, v56
	v_add_f32_e32 v59, v57, v56
	s_delay_alu instid0(VALU_DEP_3) | instskip(NEXT) | instid1(VALU_DEP_2)
	v_add_f32_e32 v5, v5, v8
	v_rcp_f32_e32 v8, v59
	s_delay_alu instid0(VALU_DEP_1) | instskip(SKIP_3) | instid1(VALU_DEP_3)
	v_add_f32_e32 v60, v9, v5
	v_sub_f32_e32 v57, v57, v59
	v_cmp_eq_f32_e32 vcc_lo, 0x7f800000, v6
	v_cmp_gt_f32_e64 s20, 0x33800000, v6
	v_dual_sub_f32 v9, v9, v60 :: v_dual_add_f32 v56, v56, v57
	s_delay_alu instid0(VALU_DEP_2) | instskip(SKIP_2) | instid1(VALU_DEP_1)
	s_or_b32 vcc_lo, s20, vcc_lo
	s_waitcnt_depctr 0xfff
	v_mul_f32_e32 v61, v60, v8
	v_mul_f32_e32 v62, v59, v61
	v_add_f32_e32 v5, v5, v9
	s_delay_alu instid0(VALU_DEP_2) | instskip(NEXT) | instid1(VALU_DEP_1)
	v_fma_f32 v57, v61, v59, -v62
	v_fmac_f32_e32 v57, v61, v56
	s_delay_alu instid0(VALU_DEP_1) | instskip(NEXT) | instid1(VALU_DEP_1)
	v_add_f32_e32 v63, v62, v57
	v_dual_sub_f32 v9, v63, v62 :: v_dual_sub_f32 v64, v60, v63
	s_delay_alu instid0(VALU_DEP_1) | instskip(NEXT) | instid1(VALU_DEP_1)
	v_dual_sub_f32 v9, v9, v57 :: v_dual_sub_f32 v60, v60, v64
	v_sub_f32_e32 v60, v60, v63
	s_delay_alu instid0(VALU_DEP_1) | instskip(NEXT) | instid1(VALU_DEP_1)
	v_add_f32_e32 v5, v5, v60
	v_add_f32_e32 v5, v9, v5
	s_delay_alu instid0(VALU_DEP_1) | instskip(NEXT) | instid1(VALU_DEP_1)
	v_add_f32_e32 v9, v64, v5
	v_mul_f32_e32 v57, v8, v9
	s_delay_alu instid0(VALU_DEP_1) | instskip(NEXT) | instid1(VALU_DEP_1)
	v_mul_f32_e32 v60, v59, v57
	v_fma_f32 v59, v57, v59, -v60
	s_delay_alu instid0(VALU_DEP_1) | instskip(NEXT) | instid1(VALU_DEP_1)
	v_fmac_f32_e32 v59, v57, v56
	v_add_f32_e32 v56, v60, v59
	s_delay_alu instid0(VALU_DEP_1) | instskip(NEXT) | instid1(VALU_DEP_1)
	v_dual_sub_f32 v62, v9, v56 :: v_dual_sub_f32 v63, v64, v9
	v_dual_sub_f32 v60, v56, v60 :: v_dual_sub_f32 v9, v9, v62
	s_delay_alu instid0(VALU_DEP_2) | instskip(NEXT) | instid1(VALU_DEP_2)
	v_add_f32_e32 v5, v5, v63
	v_dual_sub_f32 v9, v9, v56 :: v_dual_sub_f32 v56, v60, v59
	s_delay_alu instid0(VALU_DEP_1) | instskip(SKIP_1) | instid1(VALU_DEP_2)
	v_add_f32_e32 v5, v5, v9
	v_add_f32_e32 v9, v61, v57
	;; [unrolled: 1-line block ×3, first 2 shown]
	s_delay_alu instid0(VALU_DEP_2) | instskip(NEXT) | instid1(VALU_DEP_1)
	v_sub_f32_e32 v56, v9, v61
	v_dual_add_f32 v5, v62, v5 :: v_dual_sub_f32 v56, v57, v56
	s_delay_alu instid0(VALU_DEP_1) | instskip(NEXT) | instid1(VALU_DEP_1)
	v_mul_f32_e32 v5, v8, v5
	v_add_f32_e32 v5, v56, v5
	s_delay_alu instid0(VALU_DEP_1) | instskip(NEXT) | instid1(VALU_DEP_1)
	v_add_f32_e32 v8, v9, v5
	v_mul_f32_e32 v56, v8, v8
	s_delay_alu instid0(VALU_DEP_1) | instskip(SKIP_1) | instid1(VALU_DEP_2)
	v_fmaak_f32 v57, s54, v56, 0x3ecc95a3
	v_mul_f32_e32 v59, v8, v56
	v_fmaak_f32 v56, v56, v57, 0x3f2aaada
	v_ldexp_f32 v57, v8, 1
	v_sub_f32_e32 v8, v8, v9
	s_delay_alu instid0(VALU_DEP_1) | instskip(NEXT) | instid1(VALU_DEP_4)
	v_sub_f32_e32 v5, v5, v8
	v_mul_f32_e32 v56, v59, v56
	v_mul_f32_e32 v59, 0x3f317218, v4
	s_delay_alu instid0(VALU_DEP_3) | instskip(NEXT) | instid1(VALU_DEP_3)
	v_ldexp_f32 v5, v5, 1
	v_add_f32_e32 v9, v57, v56
	s_delay_alu instid0(VALU_DEP_1) | instskip(NEXT) | instid1(VALU_DEP_4)
	v_sub_f32_e32 v8, v9, v57
	v_fma_f32 v57, 0x3f317218, v4, -v59
	s_delay_alu instid0(VALU_DEP_2) | instskip(NEXT) | instid1(VALU_DEP_2)
	v_sub_f32_e32 v8, v56, v8
	v_fmac_f32_e32 v57, 0xb102e308, v4
	s_delay_alu instid0(VALU_DEP_1) | instskip(NEXT) | instid1(VALU_DEP_1)
	v_dual_add_f32 v4, v5, v8 :: v_dual_add_f32 v5, v59, v57
	v_add_f32_e32 v8, v9, v4
	s_delay_alu instid0(VALU_DEP_2) | instskip(NEXT) | instid1(VALU_DEP_2)
	v_sub_f32_e32 v59, v5, v59
	v_dual_add_f32 v56, v5, v8 :: v_dual_sub_f32 v9, v8, v9
	s_delay_alu instid0(VALU_DEP_1) | instskip(NEXT) | instid1(VALU_DEP_2)
	v_dual_sub_f32 v57, v57, v59 :: v_dual_sub_f32 v60, v56, v5
	v_sub_f32_e32 v4, v4, v9
	s_delay_alu instid0(VALU_DEP_2) | instskip(NEXT) | instid1(VALU_DEP_2)
	v_sub_f32_e32 v8, v8, v60
	v_add_f32_e32 v9, v57, v4
	v_sub_f32_e32 v61, v56, v60
	s_delay_alu instid0(VALU_DEP_1) | instskip(NEXT) | instid1(VALU_DEP_1)
	v_sub_f32_e32 v5, v5, v61
	v_add_f32_e32 v5, v8, v5
	s_delay_alu instid0(VALU_DEP_4) | instskip(NEXT) | instid1(VALU_DEP_1)
	v_sub_f32_e32 v8, v9, v57
	v_dual_add_f32 v5, v9, v5 :: v_dual_sub_f32 v4, v4, v8
	v_sub_f32_e32 v9, v9, v8
	s_delay_alu instid0(VALU_DEP_2) | instskip(NEXT) | instid1(VALU_DEP_1)
	v_add_f32_e32 v59, v56, v5
	v_dual_sub_f32 v9, v57, v9 :: v_dual_sub_f32 v8, v59, v56
	s_delay_alu instid0(VALU_DEP_1) | instskip(NEXT) | instid1(VALU_DEP_1)
	v_dual_add_f32 v4, v4, v9 :: v_dual_sub_f32 v5, v5, v8
	v_add_f32_e32 v4, v4, v5
	s_delay_alu instid0(VALU_DEP_1) | instskip(NEXT) | instid1(VALU_DEP_1)
	v_add_f32_e32 v4, v59, v4
	v_cndmask_b32_e32 v67, v4, v6, vcc_lo
.LBB44_56:                              ;   in Loop: Header=BB44_12 Depth=1
	s_or_b32 exec_lo, exec_lo, s21
	v_and_b32_e32 v4, 0xffff0000, v7
	s_delay_alu instid0(VALU_DEP_1) | instskip(NEXT) | instid1(VALU_DEP_1)
	v_add_f32_e32 v68, s60, v4
	v_cmp_ge_f32_e32 vcc_lo, 0x41a00000, v68
	s_and_b32 s20, s68, vcc_lo
	s_delay_alu instid0(SALU_CYCLE_1)
	s_and_saveexec_b32 s21, s20
	s_cbranch_execz .LBB44_58
; %bb.57:                               ;   in Loop: Header=BB44_12 Depth=1
	v_mul_f32_e32 v4, 0x3fb8aa3b, v68
	v_cmp_ngt_f32_e32 vcc_lo, 0xc2ce8ed0, v68
	s_delay_alu instid0(VALU_DEP_2) | instskip(SKIP_1) | instid1(VALU_DEP_2)
	v_rndne_f32_e32 v5, v4
	v_fma_f32 v6, 0x3fb8aa3b, v68, -v4
	v_sub_f32_e32 v4, v4, v5
	s_delay_alu instid0(VALU_DEP_2) | instskip(SKIP_1) | instid1(VALU_DEP_2)
	v_fmac_f32_e32 v6, 0x32a5705f, v68
	v_cvt_i32_f32_e32 v5, v5
	v_add_f32_e32 v4, v4, v6
	s_delay_alu instid0(VALU_DEP_1) | instskip(SKIP_2) | instid1(VALU_DEP_1)
	v_exp_f32_e32 v4, v4
	s_waitcnt_depctr 0xfff
	v_ldexp_f32 v4, v4, v5
	v_cndmask_b32_e32 v4, 0, v4, vcc_lo
	v_cmp_nlt_f32_e32 vcc_lo, 0x42b17218, v68
	s_delay_alu instid0(VALU_DEP_2) | instskip(NEXT) | instid1(VALU_DEP_1)
	v_cndmask_b32_e32 v6, 0x7f800000, v4, vcc_lo
	v_add_f32_e32 v7, 1.0, v6
	s_delay_alu instid0(VALU_DEP_1) | instskip(NEXT) | instid1(VALU_DEP_1)
	v_cvt_f64_f32_e32 v[4:5], v7
	v_frexp_exp_i32_f64_e32 v4, v[4:5]
	v_frexp_mant_f32_e32 v5, v7
	s_delay_alu instid0(VALU_DEP_1) | instskip(SKIP_1) | instid1(VALU_DEP_1)
	v_cmp_gt_f32_e32 vcc_lo, 0x3f2aaaab, v5
	v_add_f32_e32 v5, -1.0, v7
	v_sub_f32_e32 v9, v5, v7
	v_sub_f32_e32 v5, v6, v5
	s_delay_alu instid0(VALU_DEP_2) | instskip(NEXT) | instid1(VALU_DEP_1)
	v_add_f32_e32 v9, 1.0, v9
	v_add_f32_e32 v5, v5, v9
	v_cmp_gt_f32_e64 s20, 0x33800000, v6
	v_subrev_co_ci_u32_e32 v4, vcc_lo, 0, v4, vcc_lo
	v_cmp_eq_f32_e32 vcc_lo, 0x7f800000, v6
	s_delay_alu instid0(VALU_DEP_2) | instskip(SKIP_2) | instid1(VALU_DEP_2)
	v_sub_nc_u32_e32 v8, 0, v4
	v_cvt_f32_i32_e32 v4, v4
	s_or_b32 vcc_lo, s20, vcc_lo
	v_ldexp_f32 v7, v7, v8
	v_ldexp_f32 v5, v5, v8
	s_delay_alu instid0(VALU_DEP_2) | instskip(NEXT) | instid1(VALU_DEP_1)
	v_add_f32_e32 v56, 1.0, v7
	v_dual_add_f32 v8, -1.0, v7 :: v_dual_add_f32 v9, -1.0, v56
	s_delay_alu instid0(VALU_DEP_1) | instskip(NEXT) | instid1(VALU_DEP_2)
	v_add_f32_e32 v57, 1.0, v8
	v_sub_f32_e32 v9, v7, v9
	s_delay_alu instid0(VALU_DEP_2) | instskip(NEXT) | instid1(VALU_DEP_2)
	v_sub_f32_e32 v7, v7, v57
	v_add_f32_e32 v9, v5, v9
	s_delay_alu instid0(VALU_DEP_2) | instskip(NEXT) | instid1(VALU_DEP_1)
	v_add_f32_e32 v5, v5, v7
	v_add_f32_e32 v59, v8, v5
	s_delay_alu instid0(VALU_DEP_1) | instskip(NEXT) | instid1(VALU_DEP_4)
	v_sub_f32_e32 v8, v8, v59
	v_add_f32_e32 v57, v56, v9
	s_delay_alu instid0(VALU_DEP_1) | instskip(NEXT) | instid1(VALU_DEP_2)
	v_rcp_f32_e32 v7, v57
	v_dual_sub_f32 v56, v56, v57 :: v_dual_add_f32 v5, v5, v8
	s_waitcnt_depctr 0xfff
	v_dual_add_f32 v9, v9, v56 :: v_dual_mul_f32 v60, v59, v7
	s_delay_alu instid0(VALU_DEP_1) | instskip(NEXT) | instid1(VALU_DEP_1)
	v_mul_f32_e32 v61, v57, v60
	v_fma_f32 v56, v60, v57, -v61
	s_delay_alu instid0(VALU_DEP_1) | instskip(NEXT) | instid1(VALU_DEP_1)
	v_fmac_f32_e32 v56, v60, v9
	v_add_f32_e32 v62, v61, v56
	s_delay_alu instid0(VALU_DEP_1) | instskip(NEXT) | instid1(VALU_DEP_1)
	v_dual_sub_f32 v8, v62, v61 :: v_dual_sub_f32 v63, v59, v62
	v_dual_sub_f32 v8, v8, v56 :: v_dual_sub_f32 v59, v59, v63
	s_delay_alu instid0(VALU_DEP_1) | instskip(NEXT) | instid1(VALU_DEP_1)
	v_sub_f32_e32 v59, v59, v62
	v_add_f32_e32 v5, v5, v59
	s_delay_alu instid0(VALU_DEP_1) | instskip(NEXT) | instid1(VALU_DEP_1)
	v_add_f32_e32 v5, v8, v5
	v_add_f32_e32 v8, v63, v5
	s_delay_alu instid0(VALU_DEP_1) | instskip(NEXT) | instid1(VALU_DEP_1)
	v_mul_f32_e32 v56, v7, v8
	v_mul_f32_e32 v59, v57, v56
	v_sub_f32_e32 v62, v63, v8
	s_delay_alu instid0(VALU_DEP_2) | instskip(NEXT) | instid1(VALU_DEP_2)
	v_fma_f32 v57, v56, v57, -v59
	v_add_f32_e32 v5, v5, v62
	s_delay_alu instid0(VALU_DEP_2) | instskip(NEXT) | instid1(VALU_DEP_1)
	v_fmac_f32_e32 v57, v56, v9
	v_add_f32_e32 v9, v59, v57
	s_delay_alu instid0(VALU_DEP_1) | instskip(NEXT) | instid1(VALU_DEP_1)
	v_sub_f32_e32 v61, v8, v9
	v_dual_sub_f32 v59, v9, v59 :: v_dual_sub_f32 v8, v8, v61
	s_delay_alu instid0(VALU_DEP_1) | instskip(NEXT) | instid1(VALU_DEP_2)
	v_sub_f32_e32 v8, v8, v9
	v_sub_f32_e32 v9, v59, v57
	s_delay_alu instid0(VALU_DEP_2) | instskip(NEXT) | instid1(VALU_DEP_1)
	v_add_f32_e32 v5, v5, v8
	v_dual_add_f32 v8, v60, v56 :: v_dual_add_f32 v5, v9, v5
	s_delay_alu instid0(VALU_DEP_1) | instskip(NEXT) | instid1(VALU_DEP_2)
	v_sub_f32_e32 v9, v8, v60
	v_add_f32_e32 v5, v61, v5
	s_delay_alu instid0(VALU_DEP_2) | instskip(NEXT) | instid1(VALU_DEP_2)
	v_sub_f32_e32 v9, v56, v9
	v_mul_f32_e32 v5, v7, v5
	s_delay_alu instid0(VALU_DEP_1) | instskip(NEXT) | instid1(VALU_DEP_1)
	v_add_f32_e32 v5, v9, v5
	v_add_f32_e32 v7, v8, v5
	s_delay_alu instid0(VALU_DEP_1) | instskip(NEXT) | instid1(VALU_DEP_1)
	v_mul_f32_e32 v9, v7, v7
	v_fmaak_f32 v56, s54, v9, 0x3ecc95a3
	v_mul_f32_e32 v57, v7, v9
	s_delay_alu instid0(VALU_DEP_2) | instskip(SKIP_2) | instid1(VALU_DEP_3)
	v_fmaak_f32 v9, v9, v56, 0x3f2aaada
	v_ldexp_f32 v56, v7, 1
	v_sub_f32_e32 v7, v7, v8
	v_mul_f32_e32 v9, v57, v9
	v_mul_f32_e32 v57, 0x3f317218, v4
	s_delay_alu instid0(VALU_DEP_2) | instskip(NEXT) | instid1(VALU_DEP_1)
	v_dual_sub_f32 v5, v5, v7 :: v_dual_add_f32 v8, v56, v9
	v_ldexp_f32 v5, v5, 1
	s_delay_alu instid0(VALU_DEP_2) | instskip(NEXT) | instid1(VALU_DEP_4)
	v_sub_f32_e32 v7, v8, v56
	v_fma_f32 v56, 0x3f317218, v4, -v57
	s_delay_alu instid0(VALU_DEP_1) | instskip(NEXT) | instid1(VALU_DEP_1)
	v_dual_sub_f32 v7, v9, v7 :: v_dual_fmac_f32 v56, 0xb102e308, v4
	v_add_f32_e32 v4, v5, v7
	s_delay_alu instid0(VALU_DEP_2) | instskip(NEXT) | instid1(VALU_DEP_2)
	v_add_f32_e32 v5, v57, v56
	v_add_f32_e32 v7, v8, v4
	s_delay_alu instid0(VALU_DEP_2) | instskip(NEXT) | instid1(VALU_DEP_2)
	v_sub_f32_e32 v57, v5, v57
	v_dual_add_f32 v9, v5, v7 :: v_dual_sub_f32 v8, v7, v8
	s_delay_alu instid0(VALU_DEP_2) | instskip(NEXT) | instid1(VALU_DEP_2)
	v_sub_f32_e32 v56, v56, v57
	v_dual_sub_f32 v59, v9, v5 :: v_dual_sub_f32 v4, v4, v8
	s_delay_alu instid0(VALU_DEP_1) | instskip(NEXT) | instid1(VALU_DEP_2)
	v_sub_f32_e32 v60, v9, v59
	v_dual_sub_f32 v7, v7, v59 :: v_dual_add_f32 v8, v56, v4
	s_delay_alu instid0(VALU_DEP_2) | instskip(NEXT) | instid1(VALU_DEP_1)
	v_sub_f32_e32 v5, v5, v60
	v_add_f32_e32 v5, v7, v5
	s_delay_alu instid0(VALU_DEP_3) | instskip(NEXT) | instid1(VALU_DEP_2)
	v_sub_f32_e32 v7, v8, v56
	v_add_f32_e32 v5, v8, v5
	s_delay_alu instid0(VALU_DEP_2) | instskip(NEXT) | instid1(VALU_DEP_2)
	v_sub_f32_e32 v8, v8, v7
	v_dual_sub_f32 v4, v4, v7 :: v_dual_add_f32 v57, v9, v5
	s_delay_alu instid0(VALU_DEP_1) | instskip(NEXT) | instid1(VALU_DEP_1)
	v_dual_sub_f32 v8, v56, v8 :: v_dual_sub_f32 v7, v57, v9
	v_dual_add_f32 v4, v4, v8 :: v_dual_sub_f32 v5, v5, v7
	s_delay_alu instid0(VALU_DEP_1) | instskip(NEXT) | instid1(VALU_DEP_1)
	v_add_f32_e32 v4, v4, v5
	v_add_f32_e32 v4, v57, v4
	s_delay_alu instid0(VALU_DEP_1)
	v_cndmask_b32_e32 v68, v4, v6, vcc_lo
.LBB44_58:                              ;   in Loop: Header=BB44_12 Depth=1
	s_or_b32 exec_lo, exec_lo, s21
	v_and_b32_e32 v6, 0xffff0000, v0
	v_and_b32_e32 v5, 0xffff0000, v2
	v_lshlrev_b32_e32 v4, 16, v3
	v_and_b32_e32 v7, 0xffff0000, v3
	v_lshlrev_b32_e32 v0, 16, v0
	v_dual_mul_f32 v64, s61, v6 :: v_dual_and_b32 v3, 0xffff0000, v1
	s_delay_alu instid0(VALU_DEP_3) | instskip(SKIP_1) | instid1(VALU_DEP_3)
	v_dual_mul_f32 v57, s61, v5 :: v_dual_mul_f32 v60, s61, v7
	v_dual_mul_f32 v56, s61, v4 :: v_dual_lshlrev_b32 v1, 16, v1
	v_mul_f32_e32 v62, s61, v3
	v_dual_mul_f32 v63, s61, v0 :: v_dual_lshlrev_b32 v2, 16, v2
	s_delay_alu instid0(VALU_DEP_3) | instskip(SKIP_1) | instid1(VALU_DEP_2)
	v_mul_f32_e32 v61, s61, v1
	s_and_b32 vcc_lo, exec_lo, s69
	v_mul_f32_e32 v59, s61, v2
	s_barrier
	buffer_gl0_inv
	s_cbranch_vccz .LBB44_122
; %bb.59:                               ;   in Loop: Header=BB44_12 Depth=1
	v_dual_mul_f32 v69, v68, v7 :: v_dual_mul_f32 v74, v67, v4
	v_add_co_u32 v7, s20, s46, v51
	s_delay_alu instid0(VALU_DEP_1) | instskip(SKIP_1) | instid1(VALU_DEP_1)
	v_add_co_ci_u32_e64 v8, null, s49, 0, s20
	v_add_co_u32 v9, s20, s50, v51
	v_add_co_ci_u32_e64 v73, null, s65, 0, s20
	s_delay_alu instid0(VALU_DEP_4) | instskip(NEXT) | instid1(VALU_DEP_4)
	v_add_co_u32 v70, vcc_lo, v7, v52
	v_add_co_ci_u32_e32 v71, vcc_lo, 0, v8, vcc_lo
	s_delay_alu instid0(VALU_DEP_4) | instskip(NEXT) | instid1(VALU_DEP_4)
	v_add_co_u32 v72, vcc_lo, v9, v52
	v_add_co_ci_u32_e32 v73, vcc_lo, 0, v73, vcc_lo
	v_cmp_gt_u32_e32 vcc_lo, s23, v10
	s_cmp_lg_u32 s56, 0
	v_cmp_gt_u32_e64 s21, s23, v44
	s_cselect_b32 s31, -1, 0
	s_cmp_eq_u32 s56, s71
	v_cmp_gt_u32_e64 s22, s23, v45
	s_cselect_b32 s57, -1, 0
	s_or_b32 s20, s70, vcc_lo
	v_cmp_gt_u32_e32 vcc_lo, s23, v46
	v_cmp_gt_u32_e64 s24, s23, v47
	v_cmp_gt_u32_e64 s25, s23, v48
	;; [unrolled: 1-line block ×4, first 2 shown]
	v_dual_mul_f32 v75, v66, v5 :: v_dual_mul_f32 v76, v65, v2
	v_dual_mul_f32 v77, v58, v3 :: v_dual_mul_f32 v78, v55, v1
	;; [unrolled: 1-line block ×3, first 2 shown]
	s_mov_b32 s34, 0
	s_or_b32 s21, s70, s21
	s_or_b32 s22, s70, s22
	s_or_b32 s23, s70, vcc_lo
	s_or_b32 s24, s70, s24
	s_or_b32 s25, s70, s25
	s_or_b32 s26, s70, s26
	s_or_b32 s27, s70, s27
	s_mov_b32 s38, s34
	s_mov_b32 s40, s34
	;; [unrolled: 1-line block ×5, first 2 shown]
	s_branch .LBB44_61
.LBB44_60:                              ;   in Loop: Header=BB44_61 Depth=2
	s_or_b32 exec_lo, exec_lo, s28
	v_cndmask_b32_e64 v5, v98, v7, s11
	v_cndmask_b32_e64 v6, v97, v6, s11
	s_add_i32 s58, s58, -1
	s_add_i32 s72, s72, 8
	s_add_i32 s42, s42, s37
	v_fma_f32 v5, v5, v86, v84
	v_mul_f32_e32 v6, v6, v86
	s_add_i32 s40, s40, s36
	s_add_i32 s38, s38, s48
	;; [unrolled: 1-line block ×3, first 2 shown]
	v_cndmask_b32_e64 v5, v5, v84, s10
	v_cndmask_b32_e64 v6, v6, v86, s10
	s_cmp_eq_u32 s58, 0
	s_waitcnt lgkmcnt(0)
	s_delay_alu instid0(VALU_DEP_1) | instskip(NEXT) | instid1(VALU_DEP_1)
	v_dual_fmac_f32 v5, v4, v6 :: v_dual_and_b32 v4, 0xffff0000, v0
	v_fmac_f32_e32 v81, v5, v87
	s_delay_alu instid0(VALU_DEP_1) | instskip(SKIP_1) | instid1(VALU_DEP_1)
	v_dual_fmac_f32 v64, v81, v4 :: v_dual_and_b32 v7, 0xffff0000, v2
	v_fmac_f32_e32 v82, v81, v89
	v_dual_fmac_f32 v83, v82, v90 :: v_dual_and_b32 v6, 0xffff0000, v1
	s_delay_alu instid0(VALU_DEP_1) | instskip(NEXT) | instid1(VALU_DEP_2)
	v_fmac_f32_e32 v85, v83, v92
	v_dual_fmac_f32 v62, v83, v6 :: v_dual_lshlrev_b32 v1, 16, v1
	s_delay_alu instid0(VALU_DEP_2) | instskip(SKIP_1) | instid1(VALU_DEP_3)
	v_fmac_f32_e32 v88, v85, v96
	v_lshlrev_b32_e32 v0, 16, v0
	v_dual_fmac_f32 v61, v82, v1 :: v_dual_and_b32 v8, 0xffff0000, v3
	v_lshlrev_b32_e32 v3, 16, v3
	s_delay_alu instid0(VALU_DEP_4) | instskip(NEXT) | instid1(VALU_DEP_4)
	v_fmac_f32_e32 v91, v88, v94
	v_dual_fmac_f32 v63, v5, v0 :: v_dual_lshlrev_b32 v2, 16, v2
	s_delay_alu instid0(VALU_DEP_2) | instskip(NEXT) | instid1(VALU_DEP_2)
	v_fmac_f32_e32 v93, v91, v95
	v_dual_fmac_f32 v59, v85, v2 :: v_dual_fmac_f32 v56, v91, v3
	s_delay_alu instid0(VALU_DEP_2)
	v_dual_fmac_f32 v57, v88, v7 :: v_dual_fmac_f32 v60, v93, v8
	s_cbranch_scc1 .LBB44_122
.LBB44_61:                              ;   Parent Loop BB44_12 Depth=1
                                        ; =>  This Inner Loop Header: Depth=2
	s_lshl_b64 s[28:29], s[34:35], 2
	s_mov_b32 s39, s35
	s_add_u32 s28, s63, s28
	s_addc_u32 s29, s64, s29
	v_dual_mov_b32 v2, 0 :: v_dual_mov_b32 v3, 0
	global_load_b32 v81, v13, s[28:29]
	s_lshl_b64 s[28:29], s[38:39], 1
	s_delay_alu instid0(SALU_CYCLE_1)
	v_add_co_u32 v0, vcc_lo, v70, s28
	v_add_co_ci_u32_e32 v1, vcc_lo, s29, v71, vcc_lo
	s_and_saveexec_b32 s28, s12
	s_cbranch_execz .LBB44_63
; %bb.62:                               ;   in Loop: Header=BB44_61 Depth=2
	global_load_u16 v3, v[0:1], off
.LBB44_63:                              ;   in Loop: Header=BB44_61 Depth=2
	s_or_b32 exec_lo, exec_lo, s28
	s_and_saveexec_b32 s28, s13
	s_cbranch_execz .LBB44_65
; %bb.64:                               ;   in Loop: Header=BB44_61 Depth=2
	global_load_u16 v2, v[0:1], off offset:64
.LBB44_65:                              ;   in Loop: Header=BB44_61 Depth=2
	s_or_b32 exec_lo, exec_lo, s28
	v_dual_mov_b32 v4, 0 :: v_dual_mov_b32 v5, 0
	s_and_saveexec_b32 s28, s14
	s_cbranch_execz .LBB44_67
; %bb.66:                               ;   in Loop: Header=BB44_61 Depth=2
	global_load_u16 v5, v[0:1], off offset:128
.LBB44_67:                              ;   in Loop: Header=BB44_61 Depth=2
	s_or_b32 exec_lo, exec_lo, s28
	s_and_saveexec_b32 s28, s15
	s_cbranch_execz .LBB44_69
; %bb.68:                               ;   in Loop: Header=BB44_61 Depth=2
	global_load_u16 v4, v[0:1], off offset:192
.LBB44_69:                              ;   in Loop: Header=BB44_61 Depth=2
	s_or_b32 exec_lo, exec_lo, s28
	v_dual_mov_b32 v6, 0 :: v_dual_mov_b32 v7, 0
	s_and_saveexec_b32 s28, s16
	s_cbranch_execz .LBB44_71
; %bb.70:                               ;   in Loop: Header=BB44_61 Depth=2
	global_load_u16 v7, v[0:1], off offset:256
.LBB44_71:                              ;   in Loop: Header=BB44_61 Depth=2
	;; [unrolled: 13-line block ×3, first 2 shown]
	s_or_b32 exec_lo, exec_lo, s28
	s_and_saveexec_b32 s28, s19
	s_cbranch_execz .LBB44_77
; %bb.76:                               ;   in Loop: Header=BB44_61 Depth=2
	global_load_u16 v8, v[0:1], off offset:448
.LBB44_77:                              ;   in Loop: Header=BB44_61 Depth=2
	s_or_b32 exec_lo, exec_lo, s28
	s_waitcnt vmcnt(0)
	ds_store_b16 v20, v3
	ds_store_b16 v20, v2 offset:64
	ds_store_b16 v21, v5 offset:128
	;; [unrolled: 1-line block ×7, first 2 shown]
	; wave barrier
	ds_load_b128 v[4:7], v27
	s_mov_b32 s41, s35
	v_dual_mov_b32 v2, 0 :: v_dual_mov_b32 v3, 0
	s_lshl_b64 s[28:29], s[40:41], 1
	s_delay_alu instid0(SALU_CYCLE_1)
	v_add_co_u32 v0, vcc_lo, v72, s28
	v_add_co_ci_u32_e32 v1, vcc_lo, s29, v73, vcc_lo
	s_and_saveexec_b32 s28, s12
	s_cbranch_execz .LBB44_79
; %bb.78:                               ;   in Loop: Header=BB44_61 Depth=2
	global_load_u16 v3, v[0:1], off
.LBB44_79:                              ;   in Loop: Header=BB44_61 Depth=2
	s_or_b32 exec_lo, exec_lo, s28
	s_and_saveexec_b32 s28, s13
	s_cbranch_execz .LBB44_81
; %bb.80:                               ;   in Loop: Header=BB44_61 Depth=2
	global_load_u16 v2, v[0:1], off offset:64
.LBB44_81:                              ;   in Loop: Header=BB44_61 Depth=2
	s_or_b32 exec_lo, exec_lo, s28
	v_dual_mov_b32 v8, 0 :: v_dual_mov_b32 v9, 0
	s_and_saveexec_b32 s28, s14
	s_cbranch_execz .LBB44_83
; %bb.82:                               ;   in Loop: Header=BB44_61 Depth=2
	global_load_u16 v9, v[0:1], off offset:128
.LBB44_83:                              ;   in Loop: Header=BB44_61 Depth=2
	s_or_b32 exec_lo, exec_lo, s28
	s_and_saveexec_b32 s28, s15
	s_cbranch_execz .LBB44_85
; %bb.84:                               ;   in Loop: Header=BB44_61 Depth=2
	global_load_u16 v8, v[0:1], off offset:192
.LBB44_85:                              ;   in Loop: Header=BB44_61 Depth=2
	s_or_b32 exec_lo, exec_lo, s28
	v_dual_mov_b32 v82, 0 :: v_dual_mov_b32 v83, 0
	s_and_saveexec_b32 s28, s16
	s_cbranch_execz .LBB44_87
; %bb.86:                               ;   in Loop: Header=BB44_61 Depth=2
	global_load_u16 v83, v[0:1], off offset:256
.LBB44_87:                              ;   in Loop: Header=BB44_61 Depth=2
	;; [unrolled: 13-line block ×3, first 2 shown]
	s_or_b32 exec_lo, exec_lo, s28
	s_and_saveexec_b32 s28, s19
	s_cbranch_execz .LBB44_93
; %bb.92:                               ;   in Loop: Header=BB44_61 Depth=2
	global_load_u16 v84, v[0:1], off offset:448
.LBB44_93:                              ;   in Loop: Header=BB44_61 Depth=2
	s_or_b32 exec_lo, exec_lo, s28
	s_waitcnt vmcnt(0)
	ds_store_b16 v20, v3 offset:1056
	ds_store_b16 v28, v2 offset:64
	;; [unrolled: 1-line block ×8, first 2 shown]
	; wave barrier
	ds_load_b128 v[0:3], v27 offset:1056
	s_and_not1_b32 vcc_lo, exec_lo, s31
	s_cbranch_vccnz .LBB44_95
; %bb.94:                               ;   in Loop: Header=BB44_61 Depth=2
	v_mov_b32_e32 v8, s72
	ds_load_b64 v[8:9], v8
	s_cbranch_execz .LBB44_96
	s_branch .LBB44_99
.LBB44_95:                              ;   in Loop: Header=BB44_61 Depth=2
                                        ; implicit-def: $vgpr8
.LBB44_96:                              ;   in Loop: Header=BB44_61 Depth=2
	s_waitcnt lgkmcnt(0)
	v_mov_b32_e32 v9, 0
	s_and_not1_b32 vcc_lo, exec_lo, s33
	s_cbranch_vccnz .LBB44_98
; %bb.97:                               ;   in Loop: Header=BB44_61 Depth=2
	s_mov_b32 s43, s35
	s_delay_alu instid0(SALU_CYCLE_1) | instskip(NEXT) | instid1(SALU_CYCLE_1)
	s_lshl_b64 s[28:29], s[42:43], 2
	s_add_u32 s28, s53, s28
	s_addc_u32 s29, s66, s29
	global_load_b32 v9, v13, s[28:29]
.LBB44_98:                              ;   in Loop: Header=BB44_61 Depth=2
	v_mov_b32_e32 v8, 1.0
.LBB44_99:                              ;   in Loop: Header=BB44_61 Depth=2
	v_mul_f32_e32 v91, 0x3fb8aa3b, v81
	s_waitcnt lgkmcnt(9)
	v_lshlrev_b32_e32 v81, 16, v4
	v_and_b32_e32 v4, 0xffff0000, v4
	s_delay_alu instid0(VALU_DEP_1) | instskip(SKIP_1) | instid1(VALU_DEP_4)
	v_mul_f32_e32 v4, v79, v4
	v_mul_f32_e32 v82, v91, v53
	;; [unrolled: 1-line block ×3, first 2 shown]
	v_dual_mul_f32 v84, v91, v54 :: v_dual_lshlrev_b32 v83, 16, v5
	v_mul_f32_e32 v86, v91, v55
	s_delay_alu instid0(VALU_DEP_4) | instskip(SKIP_1) | instid1(VALU_DEP_4)
	v_cmp_gt_f32_e32 vcc_lo, 0xc2fc0000, v82
	v_dual_mul_f32 v88, v91, v58 :: v_dual_lshlrev_b32 v93, 16, v7
	v_cmp_gt_f32_e64 s28, 0xc2fc0000, v84
	s_delay_alu instid0(VALU_DEP_4)
	v_cmp_gt_f32_e64 s29, 0xc2fc0000, v86
	v_cndmask_b32_e64 v82, 0, 0x42800000, vcc_lo
	v_lshlrev_b32_e32 v85, 16, v6
	v_cndmask_b32_e64 v89, 1.0, 0x1f800000, vcc_lo
	v_cndmask_b32_e64 v84, 0, 0x42800000, s28
	v_and_b32_e32 v5, 0xffff0000, v5
	v_fmac_f32_e32 v82, v91, v53
	v_cndmask_b32_e64 v86, 0, 0x42800000, s29
	v_cndmask_b32_e64 v90, 1.0, 0x1f800000, s28
	v_fmac_f32_e32 v84, v91, v54
	v_cmp_gt_f32_e32 vcc_lo, 0xc2fc0000, v88
	v_exp_f32_e32 v82, v82
	v_and_b32_e32 v7, 0xffff0000, v7
	v_dual_fmac_f32 v86, v91, v55 :: v_dual_mul_f32 v5, v77, v5
	v_exp_f32_e32 v87, v84
	v_cndmask_b32_e64 v84, 0, v81, s20
	v_cndmask_b32_e64 v81, 0, v4, s21
	v_cndmask_b32_e64 v88, 0, 0x42800000, vcc_lo
	v_dual_mul_f32 v83, v78, v83 :: v_dual_and_b32 v6, 0xffff0000, v6
	s_delay_alu instid0(TRANS32_DEP_2) | instskip(SKIP_1) | instid1(VALU_DEP_3)
	v_mul_f32_e32 v4, v82, v89
	v_exp_f32_e32 v89, v86
	v_dual_fmac_f32 v88, v91, v58 :: v_dual_mul_f32 v93, v74, v93
	s_delay_alu instid0(TRANS32_DEP_2) | instskip(NEXT) | instid1(VALU_DEP_3)
	v_dual_mul_f32 v82, v87, v90 :: v_dual_mul_f32 v85, v76, v85
	v_cndmask_b32_e64 v86, 1.0, v4, s20
	v_dual_mul_f32 v4, v91, v65 :: v_dual_mul_f32 v7, v69, v7
	s_delay_alu instid0(VALU_DEP_3) | instskip(SKIP_2) | instid1(VALU_DEP_4)
	v_cndmask_b32_e64 v87, 1.0, v82, s21
	v_cndmask_b32_e64 v82, 1.0, 0x1f800000, s29
	v_mul_f32_e32 v90, v91, v66
	v_cmp_gt_f32_e64 s28, 0xc2fc0000, v4
	v_exp_f32_e32 v88, v88
	v_mul_f32_e32 v95, v91, v68
	v_mul_f32_e32 v89, v89, v82
	v_cndmask_b32_e64 v82, 0, v83, s22
	v_cndmask_b32_e64 v4, 0, 0x42800000, s28
	v_cndmask_b32_e64 v83, 1.0, 0x1f800000, vcc_lo
	v_cmp_gt_f32_e32 vcc_lo, 0xc2fc0000, v90
	v_mul_f32_e32 v6, v75, v6
	v_cndmask_b32_e64 v89, 1.0, v89, s22
	v_fmac_f32_e32 v4, v91, v65
	v_mul_f32_e32 v88, v88, v83
	v_cndmask_b32_e64 v92, 0, 0x42800000, vcc_lo
	v_cndmask_b32_e64 v83, 0, v5, s23
	v_cndmask_b32_e64 v5, 1.0, 0x1f800000, s28
	v_exp_f32_e32 v4, v4
	v_cndmask_b32_e64 v90, 1.0, v88, s23
	v_fmac_f32_e32 v92, v91, v66
	v_cmp_gt_f32_e64 s28, 0xc2fc0000, v95
	v_fma_f32 v95, v87, v84, v81
	v_cndmask_b32_e64 v85, 0, v85, s24
	s_delay_alu instid0(VALU_DEP_4) | instskip(SKIP_1) | instid1(TRANS32_DEP_2)
	v_exp_f32_e32 v88, v92
	v_mul_f32_e32 v92, v91, v67
	v_mul_f32_e32 v4, v4, v5
	v_cndmask_b32_e64 v5, 1.0, 0x1f800000, vcc_lo
	s_delay_alu instid0(VALU_DEP_3) | instskip(NEXT) | instid1(VALU_DEP_3)
	v_cmp_gt_f32_e32 vcc_lo, 0xc2fc0000, v92
	v_cndmask_b32_e64 v92, 1.0, v4, s24
	s_waitcnt_depctr 0xfff
	v_mul_f32_e32 v4, v88, v5
	v_cndmask_b32_e64 v94, 0, 0x42800000, vcc_lo
	v_cndmask_b32_e64 v88, 0, v6, s25
	v_cndmask_b32_e64 v5, 0, 0x42800000, s28
	v_mul_f32_e32 v6, v87, v86
	v_cndmask_b32_e64 v96, 1.0, v4, s25
	v_fmac_f32_e32 v94, v91, v67
	s_delay_alu instid0(VALU_DEP_3) | instskip(SKIP_1) | instid1(VALU_DEP_3)
	v_dual_fmac_f32 v5, v91, v68 :: v_dual_mul_f32 v4, v6, v89
	v_fma_f32 v6, v95, v89, v82
	v_exp_f32_e32 v94, v94
	v_cndmask_b32_e64 v91, 1.0, 0x1f800000, vcc_lo
	s_delay_alu instid0(VALU_DEP_3) | instskip(SKIP_2) | instid1(VALU_DEP_2)
	v_exp_f32_e32 v5, v5
	v_mul_f32_e32 v4, v4, v90
	v_fma_f32 v6, v6, v90, v83
	v_mul_f32_e32 v4, v4, v92
	s_delay_alu instid0(VALU_DEP_2) | instskip(NEXT) | instid1(TRANS32_DEP_2)
	v_fma_f32 v6, v6, v92, v85
	v_mul_f32_e32 v94, v94, v91
	v_cndmask_b32_e64 v91, 0, v93, s26
	v_cndmask_b32_e64 v93, 1.0, 0x1f800000, s28
	v_mul_f32_e32 v4, v4, v96
	v_fma_f32 v6, v6, v96, v88
	v_cndmask_b32_e64 v94, 1.0, v94, s26
	s_delay_alu instid0(VALU_DEP_4) | instskip(SKIP_1) | instid1(VALU_DEP_3)
	v_mul_f32_e32 v5, v5, v93
	v_cndmask_b32_e64 v93, 0, v7, s27
	v_mul_f32_e32 v4, v4, v94
	s_delay_alu instid0(VALU_DEP_3) | instskip(SKIP_1) | instid1(VALU_DEP_2)
	v_cndmask_b32_e64 v95, 1.0, v5, s27
	v_fma_f32 v5, v6, v94, v91
	v_mul_f32_e32 v4, v4, v95
	s_delay_alu instid0(VALU_DEP_2) | instskip(NEXT) | instid1(VALU_DEP_2)
	v_fma_f32 v5, v5, v95, v93
	v_mov_b32_dpp v7, v4 row_shr:1 row_mask:0xf bank_mask:0xf
	s_delay_alu instid0(VALU_DEP_2)
	v_mov_b32_dpp v6, v5 row_shr:1 row_mask:0xf bank_mask:0xf
	s_and_saveexec_b32 s28, s0
; %bb.100:                              ;   in Loop: Header=BB44_61 Depth=2
	s_delay_alu instid0(VALU_DEP_2) | instskip(NEXT) | instid1(VALU_DEP_1)
	v_mul_f32_e32 v7, v4, v7
	v_dual_fmac_f32 v5, v4, v6 :: v_dual_mov_b32 v4, v7
; %bb.101:                              ;   in Loop: Header=BB44_61 Depth=2
	s_or_b32 exec_lo, exec_lo, s28
	s_delay_alu instid0(VALU_DEP_1) | instskip(NEXT) | instid1(VALU_DEP_2)
	v_mov_b32_dpp v6, v4 row_shr:2 row_mask:0xf bank_mask:0xf
	v_mov_b32_dpp v7, v5 row_shr:2 row_mask:0xf bank_mask:0xf
	s_and_saveexec_b32 s28, s1
; %bb.102:                              ;   in Loop: Header=BB44_61 Depth=2
	s_delay_alu instid0(VALU_DEP_1) | instskip(NEXT) | instid1(VALU_DEP_3)
	v_fmac_f32_e32 v5, v4, v7
	v_mul_f32_e32 v4, v4, v6
; %bb.103:                              ;   in Loop: Header=BB44_61 Depth=2
	s_or_b32 exec_lo, exec_lo, s28
	s_delay_alu instid0(VALU_DEP_1) | instskip(NEXT) | instid1(VALU_DEP_3)
	v_mov_b32_dpp v6, v4 row_shr:4 row_mask:0xf bank_mask:0xf
	v_mov_b32_dpp v7, v5 row_shr:4 row_mask:0xf bank_mask:0xf
	s_and_saveexec_b32 s28, s2
; %bb.104:                              ;   in Loop: Header=BB44_61 Depth=2
	s_delay_alu instid0(VALU_DEP_1) | instskip(NEXT) | instid1(VALU_DEP_3)
	v_fmac_f32_e32 v5, v4, v7
	v_mul_f32_e32 v4, v4, v6
; %bb.105:                              ;   in Loop: Header=BB44_61 Depth=2
	s_or_b32 exec_lo, exec_lo, s28
	s_delay_alu instid0(VALU_DEP_1) | instskip(NEXT) | instid1(VALU_DEP_3)
	v_mov_b32_dpp v6, v4 row_shr:8 row_mask:0xf bank_mask:0xf
	v_mov_b32_dpp v7, v5 row_shr:8 row_mask:0xf bank_mask:0xf
	s_and_saveexec_b32 s28, s3
; %bb.106:                              ;   in Loop: Header=BB44_61 Depth=2
	s_delay_alu instid0(VALU_DEP_1) | instskip(NEXT) | instid1(VALU_DEP_3)
	v_fmac_f32_e32 v5, v4, v7
	v_mul_f32_e32 v4, v4, v6
; %bb.107:                              ;   in Loop: Header=BB44_61 Depth=2
	s_or_b32 exec_lo, exec_lo, s28
	ds_swizzle_b32 v7, v4 offset:swizzle(BROADCAST,32,15)
	ds_swizzle_b32 v6, v5 offset:swizzle(BROADCAST,32,15)
	s_and_saveexec_b32 s28, s4
	s_cbranch_execz .LBB44_109
; %bb.108:                              ;   in Loop: Header=BB44_61 Depth=2
	s_waitcnt lgkmcnt(1)
	v_mul_f32_e32 v7, v4, v7
	s_waitcnt lgkmcnt(0)
	s_delay_alu instid0(VALU_DEP_1)
	v_dual_fmac_f32 v5, v4, v6 :: v_dual_mov_b32 v4, v7
.LBB44_109:                             ;   in Loop: Header=BB44_61 Depth=2
	s_or_b32 exec_lo, exec_lo, s28
	s_and_saveexec_b32 s28, s5
	s_cbranch_execz .LBB44_111
; %bb.110:                              ;   in Loop: Header=BB44_61 Depth=2
	ds_store_b64 v35, v[4:5] offset:2112
.LBB44_111:                             ;   in Loop: Header=BB44_61 Depth=2
	s_or_b32 exec_lo, exec_lo, s28
	s_waitcnt vmcnt(0) lgkmcnt(0)
	s_waitcnt_vscnt null, 0x0
	s_barrier
	buffer_gl0_inv
	s_and_saveexec_b32 s28, s6
	s_cbranch_execz .LBB44_113
; %bb.112:                              ;   in Loop: Header=BB44_61 Depth=2
	ds_load_b64 v[6:7], v36 offset:2112
	s_waitcnt lgkmcnt(0)
	v_mov_b32_dpp v97, v6 row_shr:1 row_mask:0xf bank_mask:0xf
	v_mov_b32_dpp v98, v7 row_shr:1 row_mask:0xf bank_mask:0xf
	s_delay_alu instid0(VALU_DEP_2) | instskip(NEXT) | instid1(VALU_DEP_2)
	v_mul_f32_e32 v97, v6, v97
	v_fma_f32 v98, v6, v98, v7
	s_delay_alu instid0(VALU_DEP_2) | instskip(NEXT) | instid1(VALU_DEP_2)
	v_cndmask_b32_e64 v6, v97, v6, s7
	v_cndmask_b32_e64 v7, v98, v7, s7
	ds_store_b64 v36, v[6:7] offset:2112
.LBB44_113:                             ;   in Loop: Header=BB44_61 Depth=2
	s_or_b32 exec_lo, exec_lo, s28
	s_waitcnt lgkmcnt(0)
	s_barrier
	buffer_gl0_inv
                                        ; implicit-def: $vgpr7
	s_and_saveexec_b32 s28, s9
	s_cbranch_execz .LBB44_115
; %bb.114:                              ;   in Loop: Header=BB44_61 Depth=2
	ds_load_b64 v[6:7], v35 offset:2104
	s_waitcnt lgkmcnt(0)
	v_mul_f32_e32 v97, v4, v6
	s_delay_alu instid0(VALU_DEP_1)
	v_dual_fmac_f32 v5, v4, v7 :: v_dual_mov_b32 v4, v97
.LBB44_115:                             ;   in Loop: Header=BB44_61 Depth=2
	s_or_b32 exec_lo, exec_lo, s28
	ds_bpermute_b32 v97, v37, v4
	ds_bpermute_b32 v98, v37, v5
	s_and_saveexec_b32 s28, s8
	s_cbranch_execz .LBB44_119
; %bb.116:                              ;   in Loop: Header=BB44_61 Depth=2
	ds_load_b64 v[4:5], v13 offset:2120
	s_and_saveexec_b32 s29, s10
	s_cbranch_execz .LBB44_118
; %bb.117:                              ;   in Loop: Header=BB44_61 Depth=2
	ds_store_b64 v13, v[8:9] offset:2120
.LBB44_118:                             ;   in Loop: Header=BB44_61 Depth=2
	s_or_b32 exec_lo, exec_lo, s29
	s_waitcnt lgkmcnt(0)
	v_fmac_f32_e32 v5, v9, v4
	s_delay_alu instid0(VALU_DEP_1)
	v_dual_mul_f32 v8, v8, v4 :: v_dual_mov_b32 v9, v5
.LBB44_119:                             ;   in Loop: Header=BB44_61 Depth=2
	s_or_b32 exec_lo, exec_lo, s28
	s_waitcnt lgkmcnt(0)
	s_barrier
	buffer_gl0_inv
	ds_load_b32 v4, v13 offset:2124
	s_and_saveexec_b32 s28, s10
	s_cbranch_execz .LBB44_60
; %bb.120:                              ;   in Loop: Header=BB44_61 Depth=2
	v_mov_b32_e32 v5, s72
	s_and_not1_b32 vcc_lo, exec_lo, s57
	ds_store_b64 v5, v[8:9]
	s_cbranch_vccnz .LBB44_60
; %bb.121:                              ;   in Loop: Header=BB44_61 Depth=2
	s_mov_b32 s43, s35
	s_delay_alu instid0(SALU_CYCLE_1) | instskip(NEXT) | instid1(SALU_CYCLE_1)
	s_lshl_b64 s[74:75], s[42:43], 2
	s_add_u32 s74, s53, s74
	s_addc_u32 s75, s66, s75
	global_store_b32 v13, v9, s[74:75]
	s_branch .LBB44_60
.LBB44_122:                             ;   in Loop: Header=BB44_12 Depth=1
	v_bfe_u32 v0, v63, 16, 1
	v_bfe_u32 v2, v61, 16, 1
	;; [unrolled: 1-line block ×3, first 2 shown]
	v_cmp_o_f32_e32 vcc_lo, v63, v63
	v_bfe_u32 v4, v59, 16, 1
	v_add3_u32 v0, v63, v0, 0x7fff
	v_add3_u32 v2, v61, v2, 0x7fff
	;; [unrolled: 1-line block ×3, first 2 shown]
	v_bfe_u32 v5, v57, 16, 1
	v_bfe_u32 v6, v56, 16, 1
	v_lshrrev_b32_e32 v0, 16, v0
	v_lshrrev_b32_e32 v2, 16, v2
	;; [unrolled: 1-line block ×3, first 2 shown]
	v_bfe_u32 v7, v60, 16, 1
	v_add3_u32 v4, v59, v4, 0x7fff
	v_cndmask_b32_e32 v0, 0x7fc0, v0, vcc_lo
	v_cmp_o_f32_e32 vcc_lo, v61, v61
	v_add3_u32 v6, v56, v6, 0x7fff
	v_bfe_u32 v1, v64, 16, 1
	s_waitcnt_vscnt null, 0x0
	s_barrier
	v_cndmask_b32_e32 v8, 0x7fc0, v2, vcc_lo
	v_cmp_o_f32_e32 vcc_lo, v62, v62
	v_add3_u32 v2, v57, v5, 0x7fff
	v_add3_u32 v5, v60, v7, 0x7fff
	;; [unrolled: 1-line block ×3, first 2 shown]
	buffer_gl0_inv
	v_cndmask_b32_e32 v7, 0x7fc0, v3, vcc_lo
	v_lshrrev_b32_e32 v3, 16, v4
	v_cmp_o_f32_e32 vcc_lo, v59, v59
	v_lshrrev_b32_e32 v4, 16, v6
	v_lshrrev_b32_e32 v5, 16, v5
	;; [unrolled: 1-line block ×4, first 2 shown]
	v_cndmask_b32_e32 v6, 0x7fc0, v3, vcc_lo
	v_cmp_o_f32_e32 vcc_lo, v56, v56
	s_mov_b32 s31, s35
	s_delay_alu instid0(SALU_CYCLE_1) | instskip(SKIP_4) | instid1(VALU_DEP_2)
	s_lshl_b64 s[24:25], s[30:31], 1
	v_cndmask_b32_e32 v3, 0x7fc0, v4, vcc_lo
	v_cmp_o_f32_e32 vcc_lo, v60, v60
	v_cndmask_b32_e32 v4, 0x7fc0, v5, vcc_lo
	v_cmp_o_f32_e32 vcc_lo, v57, v57
	v_perm_b32 v3, v4, v3, 0x5040100
	v_cndmask_b32_e32 v2, 0x7fc0, v2, vcc_lo
	v_cmp_o_f32_e32 vcc_lo, v64, v64
	s_delay_alu instid0(VALU_DEP_2) | instskip(SKIP_2) | instid1(VALU_DEP_2)
	v_perm_b32 v2, v2, v6, 0x5040100
	v_cndmask_b32_e32 v5, 0x7fc0, v1, vcc_lo
	v_perm_b32 v1, v7, v8, 0x5040100
	v_perm_b32 v0, v5, v0, 0x5040100
	ds_store_b128 v27, v[0:3]
	; wave barrier
	ds_load_u16 v8, v20 offset:64
	ds_load_u16 v7, v21 offset:128
	;; [unrolled: 1-line block ×7, first 2 shown]
	v_add_co_u32 v0, vcc_lo, v38, s24
	v_add_co_ci_u32_e32 v1, vcc_lo, s25, v39, vcc_lo
	s_and_saveexec_b32 s20, s12
	s_cbranch_execnz .LBB44_157
; %bb.123:                              ;   in Loop: Header=BB44_12 Depth=1
	s_or_b32 exec_lo, exec_lo, s20
	s_and_saveexec_b32 s20, s13
	s_cbranch_execnz .LBB44_158
.LBB44_124:                             ;   in Loop: Header=BB44_12 Depth=1
	s_or_b32 exec_lo, exec_lo, s20
	s_and_saveexec_b32 s20, s14
	s_cbranch_execnz .LBB44_159
.LBB44_125:                             ;   in Loop: Header=BB44_12 Depth=1
	s_or_b32 exec_lo, exec_lo, s20
	s_and_saveexec_b32 s20, s15
	s_cbranch_execnz .LBB44_160
.LBB44_126:                             ;   in Loop: Header=BB44_12 Depth=1
	s_or_b32 exec_lo, exec_lo, s20
	s_and_saveexec_b32 s20, s16
	s_cbranch_execnz .LBB44_161
.LBB44_127:                             ;   in Loop: Header=BB44_12 Depth=1
	s_or_b32 exec_lo, exec_lo, s20
	s_and_saveexec_b32 s20, s17
	s_cbranch_execnz .LBB44_162
.LBB44_128:                             ;   in Loop: Header=BB44_12 Depth=1
	s_or_b32 exec_lo, exec_lo, s20
	s_and_saveexec_b32 s20, s18
	s_cbranch_execnz .LBB44_163
.LBB44_129:                             ;   in Loop: Header=BB44_12 Depth=1
	s_or_b32 exec_lo, exec_lo, s20
	s_and_saveexec_b32 s20, s19
	s_cbranch_execz .LBB44_131
.LBB44_130:                             ;   in Loop: Header=BB44_12 Depth=1
	s_waitcnt lgkmcnt(0)
	global_store_b16 v[0:1], v2, off offset:448
.LBB44_131:                             ;   in Loop: Header=BB44_12 Depth=1
	s_or_b32 exec_lo, exec_lo, s20
	v_add_co_u32 v0, vcc_lo, v40, s24
	v_add_co_ci_u32_e32 v1, vcc_lo, s25, v41, vcc_lo
	s_waitcnt lgkmcnt(0)
	v_dual_mov_b32 v2, 0 :: v_dual_mov_b32 v3, 0
	s_waitcnt_vscnt null, 0x0
	s_barrier
	buffer_gl0_inv
	s_and_saveexec_b32 s20, s12
	s_cbranch_execz .LBB44_133
; %bb.132:                              ;   in Loop: Header=BB44_12 Depth=1
	global_load_u16 v3, v[0:1], off
.LBB44_133:                             ;   in Loop: Header=BB44_12 Depth=1
	s_or_b32 exec_lo, exec_lo, s20
	s_and_saveexec_b32 s20, s13
	s_cbranch_execz .LBB44_135
; %bb.134:                              ;   in Loop: Header=BB44_12 Depth=1
	global_load_u16 v2, v[0:1], off offset:64
.LBB44_135:                             ;   in Loop: Header=BB44_12 Depth=1
	s_or_b32 exec_lo, exec_lo, s20
	v_dual_mov_b32 v4, 0 :: v_dual_mov_b32 v5, 0
	s_and_saveexec_b32 s20, s14
	s_cbranch_execz .LBB44_137
; %bb.136:                              ;   in Loop: Header=BB44_12 Depth=1
	global_load_u16 v5, v[0:1], off offset:128
.LBB44_137:                             ;   in Loop: Header=BB44_12 Depth=1
	s_or_b32 exec_lo, exec_lo, s20
	s_and_saveexec_b32 s20, s15
	s_cbranch_execz .LBB44_139
; %bb.138:                              ;   in Loop: Header=BB44_12 Depth=1
	global_load_u16 v4, v[0:1], off offset:192
.LBB44_139:                             ;   in Loop: Header=BB44_12 Depth=1
	s_or_b32 exec_lo, exec_lo, s20
	v_dual_mov_b32 v6, 0 :: v_dual_mov_b32 v7, 0
	s_and_saveexec_b32 s20, s16
	s_cbranch_execz .LBB44_141
; %bb.140:                              ;   in Loop: Header=BB44_12 Depth=1
	global_load_u16 v7, v[0:1], off offset:256
.LBB44_141:                             ;   in Loop: Header=BB44_12 Depth=1
	s_or_b32 exec_lo, exec_lo, s20
	s_and_saveexec_b32 s20, s17
	s_cbranch_execz .LBB44_143
; %bb.142:                              ;   in Loop: Header=BB44_12 Depth=1
	global_load_u16 v6, v[0:1], off offset:320
.LBB44_143:                             ;   in Loop: Header=BB44_12 Depth=1
	s_or_b32 exec_lo, exec_lo, s20
	v_dual_mov_b32 v8, 0 :: v_dual_mov_b32 v9, 0
	s_and_saveexec_b32 s20, s18
	s_cbranch_execz .LBB44_145
; %bb.144:                              ;   in Loop: Header=BB44_12 Depth=1
	global_load_u16 v9, v[0:1], off offset:384
.LBB44_145:                             ;   in Loop: Header=BB44_12 Depth=1
	s_or_b32 exec_lo, exec_lo, s20
	s_and_saveexec_b32 s20, s19
	s_cbranch_execz .LBB44_147
; %bb.146:                              ;   in Loop: Header=BB44_12 Depth=1
	global_load_u16 v8, v[0:1], off offset:448
.LBB44_147:                             ;   in Loop: Header=BB44_12 Depth=1
	s_or_b32 exec_lo, exec_lo, s20
	s_waitcnt vmcnt(0)
	ds_store_b16 v20, v3
	ds_store_b16 v20, v2 offset:64
	ds_store_b16 v21, v5 offset:128
	;; [unrolled: 1-line block ×7, first 2 shown]
	; wave barrier
	ds_load_b128 v[0:3], v27
	s_waitcnt lgkmcnt(0)
	s_barrier
	buffer_gl0_inv
	v_and_b32_e32 v4, 0xffff0000, v0
	v_and_b32_e32 v5, 0xffff0000, v1
	v_lshlrev_b32_e32 v1, 16, v1
	s_delay_alu instid0(VALU_DEP_1) | instskip(NEXT) | instid1(VALU_DEP_1)
	v_dual_mul_f32 v9, 0xbfb8aa3b, v1 :: v_dual_lshlrev_b32 v0, 16, v0
	v_mul_f32_e32 v7, 0xbfb8aa3b, v0
	s_delay_alu instid0(VALU_DEP_2) | instskip(NEXT) | instid1(VALU_DEP_2)
	v_rndne_f32_e32 v67, v9
	v_rndne_f32_e32 v55, v7
	v_fma_f32 v58, 0xbfb8aa3b, v0, -v7
	s_delay_alu instid0(VALU_DEP_2) | instskip(SKIP_3) | instid1(VALU_DEP_4)
	v_dual_sub_f32 v7, v7, v55 :: v_dual_mul_f32 v6, 0xbfb8aa3b, v4
	v_fma_f32 v68, 0xbfb8aa3b, v1, -v9
	v_cvt_i32_f32_e32 v55, v55
	v_cmp_nlt_f32_e32 vcc_lo, 0x42ce8ed0, v4
	v_rndne_f32_e32 v54, v6
	v_fma_f32 v53, 0xbfb8aa3b, v4, -v6
	s_delay_alu instid0(VALU_DEP_2) | instskip(SKIP_2) | instid1(VALU_DEP_2)
	v_sub_f32_e32 v6, v6, v54
	v_mul_f32_e32 v8, 0xbfb8aa3b, v5
	v_cvt_i32_f32_e32 v54, v54
	v_rndne_f32_e32 v66, v8
	v_fmac_f32_e32 v53, 0xb2a5705f, v4
	v_fma_f32 v65, 0xbfb8aa3b, v5, -v8
	v_fmac_f32_e32 v58, 0xb2a5705f, v0
	s_delay_alu instid0(VALU_DEP_4) | instskip(NEXT) | instid1(VALU_DEP_4)
	v_dual_sub_f32 v8, v8, v66 :: v_dual_sub_f32 v9, v9, v67
	v_add_f32_e32 v6, v6, v53
	s_delay_alu instid0(VALU_DEP_4) | instskip(NEXT) | instid1(VALU_DEP_4)
	v_fmac_f32_e32 v65, 0xb2a5705f, v5
	v_dual_fmac_f32 v68, 0xb2a5705f, v1 :: v_dual_add_f32 v7, v7, v58
	v_cvt_i32_f32_e32 v58, v66
	s_delay_alu instid0(VALU_DEP_4) | instskip(NEXT) | instid1(VALU_DEP_2)
	v_exp_f32_e32 v6, v6
	v_dual_add_f32 v8, v8, v65 :: v_dual_add_f32 v9, v9, v68
	s_delay_alu instid0(VALU_DEP_3) | instskip(NEXT) | instid1(VALU_DEP_1)
	v_exp_f32_e32 v7, v7
	v_exp_f32_e32 v8, v8
	s_delay_alu instid0(VALU_DEP_1) | instskip(SKIP_2) | instid1(TRANS32_DEP_3)
	v_exp_f32_e32 v9, v9
	v_ldexp_f32 v6, v6, v54
	v_cvt_i32_f32_e32 v54, v67
	v_ldexp_f32 v7, v7, v55
	s_delay_alu instid0(VALU_DEP_3) | instskip(SKIP_1) | instid1(TRANS32_DEP_2)
	v_cndmask_b32_e32 v6, 0, v6, vcc_lo
	v_cmp_nlt_f32_e32 vcc_lo, 0x42ce8ed0, v0
	v_ldexp_f32 v8, v8, v58
	s_delay_alu instid0(TRANS32_DEP_1) | instskip(SKIP_4) | instid1(VALU_DEP_4)
	v_ldexp_f32 v9, v9, v54
	v_cndmask_b32_e32 v7, 0, v7, vcc_lo
	v_cmp_ngt_f32_e32 vcc_lo, 0xc2b17218, v4
	v_cndmask_b32_e32 v6, 0x7f800000, v6, vcc_lo
	v_cmp_ngt_f32_e32 vcc_lo, 0xc2b17218, v0
	v_cndmask_b32_e32 v7, 0x7f800000, v7, vcc_lo
	v_cmp_nlt_f32_e32 vcc_lo, 0x42ce8ed0, v5
	v_and_b32_e32 v53, 0xffff0000, v2
	s_delay_alu instid0(VALU_DEP_3) | instskip(SKIP_3) | instid1(VALU_DEP_4)
	v_dual_add_f32 v7, 1.0, v7 :: v_dual_cndmask_b32 v8, 0, v8
	v_add_f32_e32 v6, 1.0, v6
	v_cmp_nlt_f32_e32 vcc_lo, 0x42ce8ed0, v1
	v_lshlrev_b32_e32 v2, 16, v2
	v_div_scale_f32 v55, null, v7, v7, v0
	s_delay_alu instid0(VALU_DEP_4) | instskip(SKIP_2) | instid1(VALU_DEP_4)
	v_div_scale_f32 v54, null, v6, v6, v4
	v_cndmask_b32_e32 v9, 0, v9, vcc_lo
	v_cmp_ngt_f32_e32 vcc_lo, 0xc2b17218, v5
	v_rcp_f32_e32 v66, v55
	s_delay_alu instid0(VALU_DEP_3)
	v_rcp_f32_e32 v65, v54
	v_div_scale_f32 v72, s20, v0, v7, v0
	v_cndmask_b32_e32 v8, 0x7f800000, v8, vcc_lo
	v_cmp_ngt_f32_e32 vcc_lo, 0xc2b17218, v1
	v_cndmask_b32_e32 v9, 0x7f800000, v9, vcc_lo
	s_waitcnt_depctr 0xfff
	v_fma_f32 v70, -v54, v65, 1.0
	v_fma_f32 v71, -v55, v66, 1.0
	v_div_scale_f32 v67, vcc_lo, v4, v6, v4
	v_dual_add_f32 v9, 1.0, v9 :: v_dual_add_f32 v8, 1.0, v8
	s_delay_alu instid0(VALU_DEP_3) | instskip(SKIP_1) | instid1(VALU_DEP_3)
	v_dual_fmac_f32 v65, v70, v65 :: v_dual_fmac_f32 v66, v71, v66
	v_mul_f32_e32 v58, 0xbfb8aa3b, v53
	v_div_scale_f32 v69, null, v9, v9, v1
	s_delay_alu instid0(VALU_DEP_4) | instskip(NEXT) | instid1(VALU_DEP_4)
	v_div_scale_f32 v68, null, v8, v8, v5
	v_mul_f32_e32 v77, v72, v66
	s_delay_alu instid0(VALU_DEP_3) | instskip(SKIP_1) | instid1(VALU_DEP_3)
	v_rcp_f32_e32 v74, v69
	v_fma_f32 v71, 0xbfb8aa3b, v53, -v58
	v_rcp_f32_e32 v73, v68
	v_div_scale_f32 v78, s21, v5, v8, v5
	v_fma_f32 v82, -v55, v77, v72
	v_mul_f32_e32 v76, v67, v65
	v_div_scale_f32 v83, s22, v1, v9, v1
	v_fmac_f32_e32 v71, 0xb2a5705f, v53
	s_delay_alu instid0(VALU_DEP_4) | instskip(NEXT) | instid1(VALU_DEP_4)
	v_fmac_f32_e32 v77, v82, v66
	v_fma_f32 v81, -v54, v76, v67
	s_delay_alu instid0(TRANS32_DEP_1)
	v_fma_f32 v79, -v68, v73, 1.0
	v_mul_f32_e32 v70, 0xbfb8aa3b, v2
	v_fma_f32 v80, -v69, v74, 1.0
	v_fma_f32 v55, -v55, v77, v72
	v_fmac_f32_e32 v76, v81, v65
	v_fmac_f32_e32 v73, v79, v73
	v_rndne_f32_e32 v75, v58
	v_fmac_f32_e32 v74, v80, v74
	s_delay_alu instid0(VALU_DEP_4) | instskip(NEXT) | instid1(VALU_DEP_4)
	v_fma_f32 v54, -v54, v76, v67
	v_mul_f32_e32 v79, v78, v73
	v_rndne_f32_e32 v67, v70
	s_delay_alu instid0(VALU_DEP_4) | instskip(NEXT) | instid1(VALU_DEP_4)
	v_mul_f32_e32 v80, v83, v74
	v_div_fmas_f32 v54, v54, v65, v76
	s_mov_b32 vcc_lo, s20
	v_fma_f32 v65, 0xbfb8aa3b, v2, -v70
	v_div_fmas_f32 v55, v55, v66, v77
	s_mov_b32 vcc_lo, s21
	v_div_fixup_f32 v4, v54, v6, v4
	v_fma_f32 v54, -v68, v79, v78
	v_and_b32_e32 v72, 0xffff0000, v3
	v_div_fixup_f32 v0, v55, v7, v0
	v_fma_f32 v66, -v69, v80, v83
	v_lshlrev_b32_e32 v3, 16, v3
	s_delay_alu instid0(VALU_DEP_4) | instskip(NEXT) | instid1(VALU_DEP_4)
	v_dual_fmac_f32 v79, v54, v73 :: v_dual_mul_f32 v76, 0xbfb8aa3b, v72
	v_mul_f32_e32 v0, v63, v0
	v_mul_f32_e32 v4, v64, v4
	v_sub_f32_e32 v58, v58, v75
	s_delay_alu instid0(VALU_DEP_4) | instskip(SKIP_2) | instid1(VALU_DEP_4)
	v_fma_f32 v55, -v68, v79, v78
	v_fmac_f32_e32 v65, 0xb2a5705f, v2
	v_bfe_u32 v63, v0, 16, 1
	v_add_f32_e32 v54, v58, v71
	s_delay_alu instid0(VALU_DEP_4) | instskip(SKIP_1) | instid1(VALU_DEP_3)
	v_div_fmas_f32 v55, v55, v73, v79
	s_mov_b32 vcc_lo, s22
	v_add3_u32 v63, v0, v63, 0x7fff
	s_delay_alu instid0(VALU_DEP_2) | instskip(SKIP_1) | instid1(VALU_DEP_3)
	v_div_fixup_f32 v5, v55, v8, v5
	v_rndne_f32_e32 v55, v76
	v_lshrrev_b32_e32 v8, 16, v63
	v_mul_f32_e32 v63, 0xbfb8aa3b, v3
	v_bfe_u32 v7, v4, 16, 1
	s_delay_alu instid0(VALU_DEP_4) | instskip(SKIP_1) | instid1(VALU_DEP_4)
	v_dual_mul_f32 v5, v62, v5 :: v_dual_sub_f32 v64, v76, v55
	v_fmac_f32_e32 v80, v66, v74
	v_fma_f32 v68, 0xbfb8aa3b, v3, -v63
	s_delay_alu instid0(VALU_DEP_4)
	v_add3_u32 v7, v4, v7, 0x7fff
	v_cvt_i32_f32_e32 v66, v67
	v_cvt_i32_f32_e32 v55, v55
	v_fma_f32 v58, -v69, v80, v83
	v_fmac_f32_e32 v68, 0xb2a5705f, v3
	v_lshrrev_b32_e32 v7, 16, v7
	v_sub_f32_e32 v6, v70, v67
	v_rndne_f32_e32 v67, v63
	v_div_fmas_f32 v58, v58, v74, v80
	v_cmp_o_f32_e32 vcc_lo, v4, v4
	v_bfe_u32 v73, v5, 16, 1
	s_delay_alu instid0(VALU_DEP_3)
	v_div_fixup_f32 v1, v58, v9, v1
	v_cndmask_b32_e32 v4, 0x7fc0, v7, vcc_lo
	v_fma_f32 v7, 0xbfb8aa3b, v72, -v76
	v_cmp_nlt_f32_e32 vcc_lo, 0x42ce8ed0, v53
	v_sub_f32_e32 v63, v63, v67
	v_mul_f32_e32 v1, v61, v1
	v_exp_f32_e32 v54, v54
	v_fmac_f32_e32 v7, 0xb2a5705f, v72
	v_add3_u32 v73, v5, v73, 0x7fff
	v_dual_add_f32 v63, v63, v68 :: v_dual_add_f32 v6, v6, v65
	v_cvt_i32_f32_e32 v65, v75
	s_delay_alu instid0(VALU_DEP_4) | instskip(SKIP_1) | instid1(VALU_DEP_4)
	v_add_f32_e32 v7, v64, v7
	v_bfe_u32 v77, v1, 16, 1
	v_exp_f32_e32 v63, v63
	v_exp_f32_e32 v6, v6
	s_delay_alu instid0(TRANS32_DEP_3) | instskip(SKIP_1) | instid1(VALU_DEP_1)
	v_ldexp_f32 v54, v54, v65
	v_exp_f32_e32 v7, v7
	v_cndmask_b32_e32 v54, 0, v54, vcc_lo
	v_cmp_nlt_f32_e32 vcc_lo, 0x42ce8ed0, v2
	s_waitcnt_depctr 0xfff
	v_ldexp_f32 v6, v6, v66
	v_ldexp_f32 v7, v7, v55
	v_cvt_i32_f32_e32 v55, v67
	s_delay_alu instid0(VALU_DEP_1) | instskip(NEXT) | instid1(VALU_DEP_4)
	v_ldexp_f32 v55, v63, v55
	v_cndmask_b32_e32 v6, 0, v6, vcc_lo
	v_cmp_ngt_f32_e32 vcc_lo, 0xc2b17218, v53
	v_cndmask_b32_e32 v54, 0x7f800000, v54, vcc_lo
	v_cmp_ngt_f32_e32 vcc_lo, 0xc2b17218, v2
	s_delay_alu instid0(VALU_DEP_4) | instskip(SKIP_3) | instid1(VALU_DEP_2)
	v_cndmask_b32_e32 v6, 0x7f800000, v6, vcc_lo
	v_cmp_nlt_f32_e32 vcc_lo, 0x42ce8ed0, v72
	v_cndmask_b32_e32 v7, 0, v7, vcc_lo
	v_cmp_ngt_f32_e32 vcc_lo, 0xc2b17218, v72
	v_cndmask_b32_e32 v7, 0x7f800000, v7, vcc_lo
	v_cmp_nlt_f32_e32 vcc_lo, 0x42ce8ed0, v3
	s_delay_alu instid0(VALU_DEP_2) | instskip(SKIP_3) | instid1(VALU_DEP_4)
	v_add_f32_e32 v7, 1.0, v7
	v_cndmask_b32_e32 v55, 0, v55, vcc_lo
	v_cmp_ngt_f32_e32 vcc_lo, 0xc2b17218, v3
	v_add_f32_e32 v54, 1.0, v54
	v_div_scale_f32 v66, null, v7, v7, v72
	s_delay_alu instid0(VALU_DEP_4) | instskip(NEXT) | instid1(VALU_DEP_3)
	v_cndmask_b32_e32 v55, 0x7f800000, v55, vcc_lo
	v_div_scale_f32 v64, null, v54, v54, v53
	s_delay_alu instid0(VALU_DEP_3) | instskip(NEXT) | instid1(VALU_DEP_2)
	v_rcp_f32_e32 v67, v66
	v_add_f32_e32 v55, 1.0, v55
	s_delay_alu instid0(VALU_DEP_2) | instskip(NEXT) | instid1(VALU_DEP_1)
	v_rcp_f32_e32 v63, v64
	v_div_scale_f32 v62, null, v55, v55, v3
	s_waitcnt_depctr 0xfff
	v_fma_f32 v61, -v66, v67, 1.0
	v_rcp_f32_e32 v69, v62
	v_fma_f32 v58, -v64, v63, 1.0
	s_delay_alu instid0(VALU_DEP_1) | instskip(NEXT) | instid1(VALU_DEP_1)
	v_dual_add_f32 v6, 1.0, v6 :: v_dual_fmac_f32 v63, v58, v63
	v_div_scale_f32 v65, null, v6, v6, v2
	v_div_scale_f32 v58, vcc_lo, v53, v54, v53
	s_waitcnt_depctr 0xfff
	v_fma_f32 v71, -v62, v69, 1.0
	v_rcp_f32_e32 v9, v65
	s_delay_alu instid0(VALU_DEP_1) | instskip(SKIP_4) | instid1(VALU_DEP_2)
	v_fmac_f32_e32 v69, v71, v69
	v_div_scale_f32 v71, s22, v3, v55, v3
	s_waitcnt_depctr 0xfff
	v_fma_f32 v68, -v65, v9, 1.0
	v_dual_mul_f32 v70, v58, v63 :: v_dual_mul_f32 v79, v71, v69
	v_fmac_f32_e32 v9, v68, v9
	v_div_scale_f32 v68, s20, v2, v6, v2
	s_delay_alu instid0(VALU_DEP_3) | instskip(NEXT) | instid1(VALU_DEP_1)
	v_fma_f32 v74, -v64, v70, v58
	v_dual_mul_f32 v75, v68, v9 :: v_dual_fmac_f32 v70, v74, v63
	s_delay_alu instid0(VALU_DEP_1) | instskip(NEXT) | instid1(VALU_DEP_2)
	v_fma_f32 v74, -v65, v75, v68
	v_fma_f32 v58, -v64, v70, v58
	v_fma_f32 v64, -v62, v79, v71
	s_delay_alu instid0(VALU_DEP_3) | instskip(NEXT) | instid1(VALU_DEP_2)
	v_fmac_f32_e32 v75, v74, v9
	v_fmac_f32_e32 v79, v64, v69
	s_delay_alu instid0(VALU_DEP_4) | instskip(NEXT) | instid1(VALU_DEP_3)
	v_div_fmas_f32 v58, v58, v63, v70
	v_fma_f32 v63, -v65, v75, v68
	s_mov_b32 vcc_lo, s20
	s_delay_alu instid0(VALU_DEP_3) | instskip(NEXT) | instid1(VALU_DEP_3)
	v_fma_f32 v62, -v62, v79, v71
	v_div_fixup_f32 v53, v58, v54, v53
	s_delay_alu instid0(VALU_DEP_3) | instskip(SKIP_1) | instid1(VALU_DEP_2)
	v_div_fmas_f32 v9, v63, v9, v75
	v_add3_u32 v63, v1, v77, 0x7fff
	v_div_fixup_f32 v2, v9, v6, v2
	v_fmac_f32_e32 v67, v61, v67
	v_div_scale_f32 v61, s21, v72, v7, v72
	s_delay_alu instid0(VALU_DEP_3) | instskip(SKIP_1) | instid1(VALU_DEP_2)
	v_dual_mul_f32 v9, v57, v53 :: v_dual_mul_f32 v2, v59, v2
	s_mov_b32 vcc_lo, s21
	v_mul_f32_e32 v76, v61, v67
	v_lshrrev_b32_e32 v53, 16, v63
	s_delay_alu instid0(VALU_DEP_3) | instskip(NEXT) | instid1(VALU_DEP_3)
	v_bfe_u32 v54, v9, 16, 1
	v_fma_f32 v78, -v66, v76, v61
	s_delay_alu instid0(VALU_DEP_1) | instskip(NEXT) | instid1(VALU_DEP_1)
	v_fmac_f32_e32 v76, v78, v67
	v_fma_f32 v61, -v66, v76, v61
	s_delay_alu instid0(VALU_DEP_1) | instskip(SKIP_3) | instid1(VALU_DEP_3)
	v_div_fmas_f32 v61, v61, v67, v76
	s_mov_b32 vcc_lo, s22
	v_div_fmas_f32 v62, v62, v69, v79
	v_cmp_o_f32_e32 vcc_lo, v5, v5
	v_div_fixup_f32 v6, v61, v7, v72
	v_lshrrev_b32_e32 v7, 16, v73
	s_delay_alu instid0(VALU_DEP_4) | instskip(SKIP_1) | instid1(VALU_DEP_3)
	v_div_fixup_f32 v3, v62, v55, v3
	v_bfe_u32 v55, v2, 16, 1
	v_dual_mul_f32 v6, v60, v6 :: v_dual_cndmask_b32 v5, 0x7fc0, v7
	v_add3_u32 v7, v9, v54, 0x7fff
	v_cmp_o_f32_e32 vcc_lo, v1, v1
	s_delay_alu instid0(VALU_DEP_4) | instskip(NEXT) | instid1(VALU_DEP_3)
	v_add3_u32 v54, v2, v55, 0x7fff
	v_lshrrev_b32_e32 v7, 16, v7
	v_cndmask_b32_e32 v1, 0x7fc0, v53, vcc_lo
	v_cmp_o_f32_e32 vcc_lo, v9, v9
	s_delay_alu instid0(VALU_DEP_4) | instskip(NEXT) | instid1(VALU_DEP_3)
	v_lshrrev_b32_e32 v53, 16, v54
	v_perm_b32 v1, v5, v1, 0x5040100
	v_cndmask_b32_e32 v7, 0x7fc0, v7, vcc_lo
	v_cmp_o_f32_e32 vcc_lo, v6, v6
	v_mul_f32_e32 v3, v56, v3
	v_bfe_u32 v56, v6, 16, 1
	s_delay_alu instid0(VALU_DEP_1) | instskip(NEXT) | instid1(VALU_DEP_1)
	v_add3_u32 v55, v6, v56, 0x7fff
	v_lshrrev_b32_e32 v54, 16, v55
	s_delay_alu instid0(VALU_DEP_1) | instskip(SKIP_2) | instid1(VALU_DEP_2)
	v_cndmask_b32_e32 v6, 0x7fc0, v54, vcc_lo
	v_bfe_u32 v57, v3, 16, 1
	v_cmp_o_f32_e32 vcc_lo, v3, v3
	v_add3_u32 v56, v3, v57, 0x7fff
	s_delay_alu instid0(VALU_DEP_1) | instskip(NEXT) | instid1(VALU_DEP_1)
	v_lshrrev_b32_e32 v55, 16, v56
	v_cndmask_b32_e32 v3, 0x7fc0, v55, vcc_lo
	v_cmp_o_f32_e32 vcc_lo, v2, v2
	s_delay_alu instid0(VALU_DEP_2) | instskip(SKIP_2) | instid1(VALU_DEP_2)
	v_perm_b32 v3, v6, v3, 0x5040100
	v_cndmask_b32_e32 v2, 0x7fc0, v53, vcc_lo
	v_cmp_o_f32_e32 vcc_lo, v0, v0
	v_perm_b32 v2, v7, v2, 0x5040100
	v_cndmask_b32_e32 v0, 0x7fc0, v8, vcc_lo
	s_delay_alu instid0(VALU_DEP_1)
	v_perm_b32 v0, v4, v0, 0x5040100
	ds_store_b128 v27, v[0:3]
	; wave barrier
	ds_load_u16 v8, v20 offset:64
	ds_load_u16 v7, v21 offset:128
	;; [unrolled: 1-line block ×7, first 2 shown]
	v_add_co_u32 v0, vcc_lo, v42, s24
	v_add_co_ci_u32_e32 v1, vcc_lo, s25, v43, vcc_lo
	s_and_saveexec_b32 s20, s12
	s_cbranch_execnz .LBB44_164
; %bb.148:                              ;   in Loop: Header=BB44_12 Depth=1
	s_or_b32 exec_lo, exec_lo, s20
	s_and_saveexec_b32 s12, s13
	s_cbranch_execnz .LBB44_165
.LBB44_149:                             ;   in Loop: Header=BB44_12 Depth=1
	s_or_b32 exec_lo, exec_lo, s12
	s_and_saveexec_b32 s12, s14
	s_cbranch_execnz .LBB44_166
.LBB44_150:                             ;   in Loop: Header=BB44_12 Depth=1
	s_or_b32 exec_lo, exec_lo, s12
	s_and_saveexec_b32 s12, s15
	s_cbranch_execnz .LBB44_167
.LBB44_151:                             ;   in Loop: Header=BB44_12 Depth=1
	s_or_b32 exec_lo, exec_lo, s12
	s_and_saveexec_b32 s12, s16
	s_cbranch_execnz .LBB44_168
.LBB44_152:                             ;   in Loop: Header=BB44_12 Depth=1
	s_or_b32 exec_lo, exec_lo, s12
	s_and_saveexec_b32 s12, s17
	s_cbranch_execnz .LBB44_169
.LBB44_153:                             ;   in Loop: Header=BB44_12 Depth=1
	s_or_b32 exec_lo, exec_lo, s12
	s_and_saveexec_b32 s12, s18
	s_cbranch_execnz .LBB44_170
.LBB44_154:                             ;   in Loop: Header=BB44_12 Depth=1
	s_or_b32 exec_lo, exec_lo, s12
	s_and_saveexec_b32 s12, s19
	s_cbranch_execz .LBB44_11
	s_branch .LBB44_171
.LBB44_155:                             ;   in Loop: Header=BB44_12 Depth=1
	global_load_u16 v55, v[4:5], off offset:320
	s_or_b32 exec_lo, exec_lo, s20
	s_and_saveexec_b32 s20, s18
	s_cbranch_execz .LBB44_40
.LBB44_156:                             ;   in Loop: Header=BB44_12 Depth=1
	global_load_u16 v54, v[4:5], off offset:384
	s_or_b32 exec_lo, exec_lo, s20
	v_mov_b32_e32 v56, 0
	s_and_saveexec_b32 s20, s19
	s_cbranch_execnz .LBB44_41
	s_branch .LBB44_42
.LBB44_157:                             ;   in Loop: Header=BB44_12 Depth=1
	ds_load_u16 v9, v20
	s_waitcnt lgkmcnt(0)
	global_store_b16 v[0:1], v9, off
	s_or_b32 exec_lo, exec_lo, s20
	s_and_saveexec_b32 s20, s13
	s_cbranch_execz .LBB44_124
.LBB44_158:                             ;   in Loop: Header=BB44_12 Depth=1
	s_waitcnt lgkmcnt(6)
	global_store_b16 v[0:1], v8, off offset:64
	s_or_b32 exec_lo, exec_lo, s20
	s_and_saveexec_b32 s20, s14
	s_cbranch_execz .LBB44_125
.LBB44_159:                             ;   in Loop: Header=BB44_12 Depth=1
	s_waitcnt lgkmcnt(5)
	global_store_b16 v[0:1], v7, off offset:128
	s_or_b32 exec_lo, exec_lo, s20
	s_and_saveexec_b32 s20, s15
	s_cbranch_execz .LBB44_126
.LBB44_160:                             ;   in Loop: Header=BB44_12 Depth=1
	s_waitcnt lgkmcnt(4)
	global_store_b16 v[0:1], v6, off offset:192
	s_or_b32 exec_lo, exec_lo, s20
	s_and_saveexec_b32 s20, s16
	s_cbranch_execz .LBB44_127
.LBB44_161:                             ;   in Loop: Header=BB44_12 Depth=1
	s_waitcnt lgkmcnt(3)
	global_store_b16 v[0:1], v5, off offset:256
	s_or_b32 exec_lo, exec_lo, s20
	s_and_saveexec_b32 s20, s17
	s_cbranch_execz .LBB44_128
.LBB44_162:                             ;   in Loop: Header=BB44_12 Depth=1
	s_waitcnt lgkmcnt(2)
	global_store_b16 v[0:1], v4, off offset:320
	s_or_b32 exec_lo, exec_lo, s20
	s_and_saveexec_b32 s20, s18
	s_cbranch_execz .LBB44_129
.LBB44_163:                             ;   in Loop: Header=BB44_12 Depth=1
	s_waitcnt lgkmcnt(1)
	global_store_b16 v[0:1], v3, off offset:384
	s_or_b32 exec_lo, exec_lo, s20
	s_and_saveexec_b32 s20, s19
	s_cbranch_execnz .LBB44_130
	s_branch .LBB44_131
.LBB44_164:                             ;   in Loop: Header=BB44_12 Depth=1
	ds_load_u16 v9, v20
	s_waitcnt lgkmcnt(0)
	global_store_b16 v[0:1], v9, off
	s_or_b32 exec_lo, exec_lo, s20
	s_and_saveexec_b32 s12, s13
	s_cbranch_execz .LBB44_149
.LBB44_165:                             ;   in Loop: Header=BB44_12 Depth=1
	s_waitcnt lgkmcnt(6)
	global_store_b16 v[0:1], v8, off offset:64
	s_or_b32 exec_lo, exec_lo, s12
	s_and_saveexec_b32 s12, s14
	s_cbranch_execz .LBB44_150
.LBB44_166:                             ;   in Loop: Header=BB44_12 Depth=1
	s_waitcnt lgkmcnt(5)
	global_store_b16 v[0:1], v7, off offset:128
	s_or_b32 exec_lo, exec_lo, s12
	s_and_saveexec_b32 s12, s15
	s_cbranch_execz .LBB44_151
.LBB44_167:                             ;   in Loop: Header=BB44_12 Depth=1
	s_waitcnt lgkmcnt(4)
	global_store_b16 v[0:1], v6, off offset:192
	s_or_b32 exec_lo, exec_lo, s12
	s_and_saveexec_b32 s12, s16
	s_cbranch_execz .LBB44_152
.LBB44_168:                             ;   in Loop: Header=BB44_12 Depth=1
	s_waitcnt lgkmcnt(3)
	global_store_b16 v[0:1], v5, off offset:256
	s_or_b32 exec_lo, exec_lo, s12
	s_and_saveexec_b32 s12, s17
	s_cbranch_execz .LBB44_153
.LBB44_169:                             ;   in Loop: Header=BB44_12 Depth=1
	s_waitcnt lgkmcnt(2)
	global_store_b16 v[0:1], v4, off offset:320
	s_or_b32 exec_lo, exec_lo, s12
	s_and_saveexec_b32 s12, s18
	s_cbranch_execz .LBB44_154
.LBB44_170:                             ;   in Loop: Header=BB44_12 Depth=1
	s_waitcnt lgkmcnt(1)
	global_store_b16 v[0:1], v3, off offset:384
	s_or_b32 exec_lo, exec_lo, s12
	s_and_saveexec_b32 s12, s19
	s_cbranch_execz .LBB44_11
.LBB44_171:                             ;   in Loop: Header=BB44_12 Depth=1
	s_waitcnt lgkmcnt(0)
	global_store_b16 v[0:1], v2, off offset:448
	s_branch .LBB44_11
.LBB44_172:
	s_nop 0
	s_sendmsg sendmsg(MSG_DEALLOC_VGPRS)
	s_endpgm
	.section	.rodata,"a",@progbits
	.p2align	6, 0x0
	.amdhsa_kernel _Z25selective_scan_fwd_kernelI32Selective_Scan_fwd_kernel_traitsILi64ELi8ELi1ELb0ELb1ELb1ELb1ELb1EN3c108BFloat16EffEEv13SSMParamsBase
		.amdhsa_group_segment_fixed_size 0
		.amdhsa_private_segment_fixed_size 0
		.amdhsa_kernarg_size 248
		.amdhsa_user_sgpr_count 14
		.amdhsa_user_sgpr_dispatch_ptr 0
		.amdhsa_user_sgpr_queue_ptr 0
		.amdhsa_user_sgpr_kernarg_segment_ptr 1
		.amdhsa_user_sgpr_dispatch_id 0
		.amdhsa_user_sgpr_private_segment_size 0
		.amdhsa_wavefront_size32 1
		.amdhsa_uses_dynamic_stack 0
		.amdhsa_enable_private_segment 0
		.amdhsa_system_sgpr_workgroup_id_x 1
		.amdhsa_system_sgpr_workgroup_id_y 1
		.amdhsa_system_sgpr_workgroup_id_z 0
		.amdhsa_system_sgpr_workgroup_info 0
		.amdhsa_system_vgpr_workitem_id 0
		.amdhsa_next_free_vgpr 99
		.amdhsa_next_free_sgpr 76
		.amdhsa_reserve_vcc 1
		.amdhsa_float_round_mode_32 0
		.amdhsa_float_round_mode_16_64 0
		.amdhsa_float_denorm_mode_32 3
		.amdhsa_float_denorm_mode_16_64 3
		.amdhsa_dx10_clamp 1
		.amdhsa_ieee_mode 1
		.amdhsa_fp16_overflow 0
		.amdhsa_workgroup_processor_mode 1
		.amdhsa_memory_ordered 1
		.amdhsa_forward_progress 0
		.amdhsa_shared_vgpr_count 0
		.amdhsa_exception_fp_ieee_invalid_op 0
		.amdhsa_exception_fp_denorm_src 0
		.amdhsa_exception_fp_ieee_div_zero 0
		.amdhsa_exception_fp_ieee_overflow 0
		.amdhsa_exception_fp_ieee_underflow 0
		.amdhsa_exception_fp_ieee_inexact 0
		.amdhsa_exception_int_div_zero 0
	.end_amdhsa_kernel
	.section	.text._Z25selective_scan_fwd_kernelI32Selective_Scan_fwd_kernel_traitsILi64ELi8ELi1ELb0ELb1ELb1ELb1ELb1EN3c108BFloat16EffEEv13SSMParamsBase,"axG",@progbits,_Z25selective_scan_fwd_kernelI32Selective_Scan_fwd_kernel_traitsILi64ELi8ELi1ELb0ELb1ELb1ELb1ELb1EN3c108BFloat16EffEEv13SSMParamsBase,comdat
.Lfunc_end44:
	.size	_Z25selective_scan_fwd_kernelI32Selective_Scan_fwd_kernel_traitsILi64ELi8ELi1ELb0ELb1ELb1ELb1ELb1EN3c108BFloat16EffEEv13SSMParamsBase, .Lfunc_end44-_Z25selective_scan_fwd_kernelI32Selective_Scan_fwd_kernel_traitsILi64ELi8ELi1ELb0ELb1ELb1ELb1ELb1EN3c108BFloat16EffEEv13SSMParamsBase
                                        ; -- End function
	.section	.AMDGPU.csdata,"",@progbits
; Kernel info:
; codeLenInByte = 14532
; NumSgprs: 78
; NumVgprs: 99
; ScratchSize: 0
; MemoryBound: 0
; FloatMode: 240
; IeeeMode: 1
; LDSByteSize: 0 bytes/workgroup (compile time only)
; SGPRBlocks: 9
; VGPRBlocks: 12
; NumSGPRsForWavesPerEU: 78
; NumVGPRsForWavesPerEU: 99
; Occupancy: 12
; WaveLimiterHint : 1
; COMPUTE_PGM_RSRC2:SCRATCH_EN: 0
; COMPUTE_PGM_RSRC2:USER_SGPR: 14
; COMPUTE_PGM_RSRC2:TRAP_HANDLER: 0
; COMPUTE_PGM_RSRC2:TGID_X_EN: 1
; COMPUTE_PGM_RSRC2:TGID_Y_EN: 1
; COMPUTE_PGM_RSRC2:TGID_Z_EN: 0
; COMPUTE_PGM_RSRC2:TIDIG_COMP_CNT: 0
	.section	.text._Z25selective_scan_fwd_kernelI32Selective_Scan_fwd_kernel_traitsILi64ELi8ELi1ELb0ELb1ELb1ELb1ELb0EN3c108BFloat16EffEEv13SSMParamsBase,"axG",@progbits,_Z25selective_scan_fwd_kernelI32Selective_Scan_fwd_kernel_traitsILi64ELi8ELi1ELb0ELb1ELb1ELb1ELb0EN3c108BFloat16EffEEv13SSMParamsBase,comdat
	.protected	_Z25selective_scan_fwd_kernelI32Selective_Scan_fwd_kernel_traitsILi64ELi8ELi1ELb0ELb1ELb1ELb1ELb0EN3c108BFloat16EffEEv13SSMParamsBase ; -- Begin function _Z25selective_scan_fwd_kernelI32Selective_Scan_fwd_kernel_traitsILi64ELi8ELi1ELb0ELb1ELb1ELb1ELb0EN3c108BFloat16EffEEv13SSMParamsBase
	.globl	_Z25selective_scan_fwd_kernelI32Selective_Scan_fwd_kernel_traitsILi64ELi8ELi1ELb0ELb1ELb1ELb1ELb0EN3c108BFloat16EffEEv13SSMParamsBase
	.p2align	8
	.type	_Z25selective_scan_fwd_kernelI32Selective_Scan_fwd_kernel_traitsILi64ELi8ELi1ELb0ELb1ELb1ELb1ELb0EN3c108BFloat16EffEEv13SSMParamsBase,@function
_Z25selective_scan_fwd_kernelI32Selective_Scan_fwd_kernel_traitsILi64ELi8ELi1ELb0ELb1ELb1ELb1ELb0EN3c108BFloat16EffEEv13SSMParamsBase: ; @_Z25selective_scan_fwd_kernelI32Selective_Scan_fwd_kernel_traitsILi64ELi8ELi1ELb0ELb1ELb1ELb1ELb0EN3c108BFloat16EffEEv13SSMParamsBase
; %bb.0:
	s_clause 0x1
	s_load_b32 s9, s[0:1], 0x18
	s_load_b128 s[4:7], s[0:1], 0xe8
	s_mov_b32 s12, s15
	s_mov_b32 s33, 0
	s_waitcnt lgkmcnt(0)
	s_abs_i32 s8, s9
	s_cmp_eq_u64 s[6:7], 0
	v_cvt_f32_u32_e32 v1, s8
	s_delay_alu instid0(VALU_DEP_1) | instskip(SKIP_2) | instid1(VALU_DEP_1)
	v_rcp_iflag_f32_e32 v1, v1
	s_waitcnt_depctr 0xfff
	v_mul_f32_e32 v1, 0x4f7ffffe, v1
	v_cvt_u32_f32_e32 v1, v1
	s_delay_alu instid0(VALU_DEP_1)
	v_readfirstlane_b32 s10, v1
	s_cbranch_scc1 .LBB45_2
; %bb.1:
	v_mov_b32_e32 v1, 0
	s_ashr_i32 s3, s14, 31
	s_add_u32 s2, s6, s14
	s_addc_u32 s3, s7, s3
	global_load_u8 v1, v1, s[2:3]
	s_waitcnt vmcnt(0)
	v_and_b32_e32 v1, 1, v1
	s_delay_alu instid0(VALU_DEP_1)
	v_cmp_eq_u32_e64 s33, 1, v1
.LBB45_2:
	s_load_b64 s[6:7], s[0:1], 0x20
	s_cmp_eq_u64 s[4:5], 0
	s_cbranch_scc1 .LBB45_4
; %bb.3:
	s_ashr_i32 s15, s14, 31
	s_delay_alu instid0(SALU_CYCLE_1) | instskip(NEXT) | instid1(SALU_CYCLE_1)
	s_lshl_b64 s[2:3], s[14:15], 2
	s_add_u32 s2, s4, s2
	s_addc_u32 s3, s5, s3
	s_load_b32 s2, s[2:3], 0x0
	s_waitcnt lgkmcnt(0)
	s_ashr_i32 s3, s2, 31
	s_delay_alu instid0(SALU_CYCLE_1)
	s_cmp_eq_u64 s[6:7], s[2:3]
	s_cbranch_scc0 .LBB45_5
	s_branch .LBB45_172
.LBB45_4:
	s_mov_b32 s2, s14
	s_delay_alu instid0(SALU_CYCLE_1)
	s_ashr_i32 s3, s2, 31
	s_waitcnt lgkmcnt(0)
	s_cmp_eq_u64 s[6:7], s[2:3]
	s_cbranch_scc1 .LBB45_172
.LBB45_5:
	s_clause 0x1
	s_load_b512 s[16:31], s[0:1], 0x88
	s_load_b64 s[34:35], s[0:1], 0x8
	s_mov_b32 s54, 0
	s_mov_b32 s55, 0
	s_waitcnt lgkmcnt(0)
	s_cmp_eq_u64 s[22:23], 0
	s_cbranch_scc1 .LBB45_7
; %bb.6:
	s_ashr_i32 s13, s12, 31
	s_delay_alu instid0(SALU_CYCLE_1) | instskip(NEXT) | instid1(SALU_CYCLE_1)
	s_lshl_b64 s[4:5], s[12:13], 2
	s_add_u32 s4, s22, s4
	s_addc_u32 s5, s23, s5
	s_load_b32 s55, s[4:5], 0x0
.LBB45_7:
	s_cmp_eq_u64 s[28:29], 0
	s_cbranch_scc1 .LBB45_9
; %bb.8:
	s_ashr_i32 s13, s12, 31
	s_delay_alu instid0(SALU_CYCLE_1) | instskip(NEXT) | instid1(SALU_CYCLE_1)
	s_lshl_b64 s[4:5], s[12:13], 2
	s_add_u32 s4, s28, s4
	s_addc_u32 s5, s29, s5
	s_load_b32 s54, s[4:5], 0x0
.LBB45_9:
	s_cmp_lt_i32 s34, 1
	s_cbranch_scc1 .LBB45_172
; %bb.10:
	s_sub_i32 s3, 0, s8
	s_load_b256 s[36:43], s[0:1], 0x4c
	s_mul_i32 s3, s3, s10
	s_abs_i32 s4, s12
	s_mul_hi_u32 s3, s10, s3
	s_ashr_i32 s6, s9, 31
	s_add_i32 s10, s10, s3
	s_ashr_i32 s3, s12, 31
	s_mul_hi_u32 s5, s4, s10
	s_xor_b32 s3, s3, s6
	s_mul_i32 s7, s5, s8
	s_add_i32 s6, s5, 1
	s_sub_i32 s4, s4, s7
	s_load_b256 s[44:51], s[0:1], 0x2c
	s_sub_i32 s7, s4, s8
	s_cmp_ge_u32 s4, s8
	s_mov_b32 s53, 0
	s_cselect_b32 s5, s6, s5
	s_cselect_b32 s4, s7, s4
	s_add_i32 s6, s5, 1
	s_cmp_ge_u32 s4, s8
	s_waitcnt lgkmcnt(0)
	s_mul_i32 s52, s38, s14
	s_cselect_b32 s6, s6, s5
	s_lshl_b64 s[4:5], s[52:53], 1
	s_xor_b32 s6, s6, s3
	s_mul_i32 s52, s39, s12
	s_sub_i32 s3, s6, s3
	s_add_u32 s6, s24, s4
	s_addc_u32 s7, s25, s5
	s_lshl_b64 s[4:5], s[52:53], 1
	s_mul_i32 s52, s40, s14
	s_add_u32 s47, s6, s4
	s_addc_u32 s51, s7, s5
	s_lshl_b64 s[4:5], s[52:53], 1
	s_mul_i32 s52, s41, s12
	;; [unrolled: 4-line block ×3, first 2 shown]
	s_add_u32 s56, s6, s4
	s_addc_u32 s44, s7, s5
	s_lshl_b64 s[4:5], s[52:53], 2
	v_dual_mov_b32 v13, 0 :: v_dual_lshlrev_b32 v10, 3, v0
	s_add_u32 s57, s16, s4
	s_addc_u32 s58, s17, s5
	s_load_b64 s[4:5], s[0:1], 0x7c
	s_mul_i32 s52, s46, s14
	s_load_b128 s[24:27], s[0:1], 0xc8
	s_lshl_b64 s[6:7], s[52:53], 1
	s_mul_i32 s52, s3, s49
	s_add_u32 s8, s18, s6
	v_mbcnt_lo_u32_b32 v1, -1, 0
	v_and_b32_e32 v2, 0x100, v10
	s_addc_u32 s9, s19, s7
	s_lshl_b64 s[6:7], s[52:53], 1
	s_mul_i32 s52, s50, s14
	s_add_u32 s46, s8, s6
	s_load_b128 s[16:19], s[0:1], 0x6c
	s_addc_u32 s49, s9, s7
	s_lshl_b64 s[6:7], s[52:53], 1
	s_load_b64 s[22:23], s[0:1], 0xd8
	s_mul_i32 s52, s3, s37
	s_clause 0x1
	s_load_b32 s37, s[0:1], 0x84
	s_load_b32 s0, s[0:1], 0x28
	v_or_b32_e32 v11, v1, v2
	s_add_u32 s8, s20, s6
	s_addc_u32 s3, s21, s7
	s_lshl_b64 s[6:7], s[52:53], 1
	s_waitcnt lgkmcnt(0)
	s_mul_i32 s52, s2, s4
	v_or_b32_e32 v12, 0x60, v11
	s_add_u32 s50, s8, s6
	s_addc_u32 s59, s3, s7
	s_lshl_b64 s[2:3], s[52:53], 2
	v_or_b32_e32 v17, 0xa0, v11
	v_lshrrev_b32_e32 v3, 5, v12
	v_or_b32_e32 v19, 0xe0, v11
	s_mul_i32 s52, s5, s12
	s_add_u32 s4, s24, s2
	s_addc_u32 s5, s25, s3
	s_lshl_b64 s[2:3], s[52:53], 2
	v_or_b32_e32 v15, 64, v11
	s_add_u32 s60, s4, s2
	v_or_b32_e32 v16, 0x80, v11
	v_and_b32_e32 v3, 10, v3
	v_or_b32_e32 v18, 0xc0, v11
	v_and_b32_e32 v6, 32, v0
	v_lshrrev_b32_e32 v7, 5, v17
	v_lshrrev_b32_e32 v24, 5, v19
	s_addc_u32 s61, s5, s3
	s_add_i32 s1, s34, 0x7ff
	v_lshrrev_b32_e32 v4, 5, v2
	s_lshr_b32 s62, s1, 11
	s_bitcmp1_b32 s0, 0
	v_lshrrev_b32_e32 v5, 5, v15
	v_add_lshl_u32 v3, v3, v11, 1
	v_lshrrev_b32_e32 v8, 5, v16
	v_or_b32_e32 v9, v1, v6
	v_and_b32_e32 v7, 12, v7
	v_lshrrev_b32_e32 v23, 5, v18
	v_and_b32_e32 v26, 14, v24
	s_cselect_b32 s63, -1, 0
	s_cmp_gt_i32 s35, 0
	v_add_lshl_u32 v4, v4, v11, 1
	s_cselect_b32 s64, -1, 0
	s_add_i32 s0, 0, 0x420
	v_add_lshl_u32 v5, v5, v11, 1
	v_add_nc_u32_e32 v22, 0, v3
	v_add_lshl_u32 v8, v8, v11, 1
	v_lshrrev_b32_e32 v25, 2, v9
	v_add_lshl_u32 v7, v7, v11, 1
	v_add_lshl_u32 v33, v23, v11, 1
	;; [unrolled: 1-line block ×3, first 2 shown]
	v_add_nc_u32_e32 v30, s0, v3
	v_and_b32_e32 v3, 15, v1
	s_and_b32 s1, s34, 0x1ff
	v_and_b32_e32 v27, 14, v25
	v_add_nc_u32_e32 v25, 0, v33
	v_add_nc_u32_e32 v26, 0, v34
	;; [unrolled: 1-line block ×7, first 2 shown]
	s_cmp_eq_u32 s1, 0
	v_add_nc_u32_e32 v34, s0, v34
	v_cmp_ne_u32_e64 s0, 0, v3
	v_cmp_lt_u32_e64 s1, 1, v3
	v_cmp_lt_u32_e64 s2, 3, v3
	;; [unrolled: 1-line block ×3, first 2 shown]
	v_add_nc_u32_e32 v3, -1, v1
	v_add_nc_u32_e32 v20, 0, v4
	v_lshrrev_b32_e32 v4, 2, v0
	s_mul_i32 s52, s16, s14
	s_cselect_b32 s65, -1, 0
	v_or_b32_e32 v6, 31, v6
	v_cmp_gt_i32_e32 vcc_lo, 0, v3
	s_lshl_b64 s[20:21], s[52:53], 1
	s_add_i32 s66, s62, -1
	s_mul_i32 s52, s17, s12
	v_dual_cndmask_b32 v3, v3, v1 :: v_dual_and_b32 v4, 8, v4
	s_add_u32 s13, s30, s20
	s_addc_u32 s15, s31, s21
	s_lshl_b64 s[16:17], s[52:53], 1
	s_mul_i32 s52, s42, s14
	v_cmp_eq_u32_e64 s5, v6, v0
	v_cmp_gt_u32_e64 s6, 2, v0
	v_cmp_gt_u32_e64 s8, 32, v0
	v_cmp_lt_u32_e64 s9, 31, v0
	v_cmp_eq_u32_e64 s10, 0, v0
	s_add_u32 s13, s13, s16
	v_lshlrev_b32_e32 v0, 1, v1
	s_addc_u32 s15, s15, s17
	s_lshl_b64 s[16:17], s[52:53], 1
	v_add_nc_u32_e32 v21, 0, v5
	v_and_b32_e32 v5, 16, v1
	v_add_nc_u32_e32 v35, 0, v4
	v_and_b32_e32 v4, 1, v1
	s_mul_i32 s52, s43, s12
	s_add_u32 s20, s26, s16
	s_addc_u32 s21, s27, s17
	s_lshl_b64 s[16:17], s[52:53], 1
	v_lshlrev_b32_e32 v37, 2, v3
	v_add_co_u32 v3, s13, s13, v0
	s_mul_i32 s52, s18, s14
	s_add_u32 s16, s20, s16
	v_cmp_ne_u32_e64 s4, 0, v5
	v_cmp_eq_u32_e64 s7, 0, v4
	v_add_co_ci_u32_e64 v4, null, s15, 0, s13
	s_addc_u32 s17, s21, s17
	s_lshl_b64 s[14:15], s[52:53], 1
	v_lshlrev_b32_e32 v5, 1, v2
	s_mul_i32 s52, s19, s12
	s_add_u32 s14, s22, s14
	s_addc_u32 s15, s23, s15
	s_lshl_b64 s[12:13], s[52:53], 1
	v_add_co_u32 v38, vcc_lo, v3, v5
	s_add_u32 s12, s14, s12
	v_add_co_u32 v3, s14, s16, v0
	v_add_co_ci_u32_e32 v39, vcc_lo, 0, v4, vcc_lo
	v_add_co_ci_u32_e64 v4, null, s17, 0, s14
	s_addc_u32 s13, s15, s13
	v_add_co_u32 v0, s12, s12, v0
	v_lshl_add_u32 v9, v9, 3, v27
	v_add_co_ci_u32_e64 v6, null, s13, 0, s12
	v_add_co_u32 v40, vcc_lo, v3, v5
	v_add_co_ci_u32_e32 v41, vcc_lo, 0, v4, vcc_lo
	v_add_co_u32 v42, vcc_lo, v0, v5
	v_or_b32_e32 v14, 32, v11
	v_add_nc_u32_e32 v23, 0, v8
	v_add_nc_u32_e32 v24, 0, v7
	v_lshl_add_u32 v27, v9, 1, 0
	v_add_nc_u32_e32 v36, 0, v10
	v_cmp_eq_u32_e64 s11, 0, v1
	v_add_co_ci_u32_e32 v43, vcc_lo, 0, v6, vcc_lo
	v_or_b32_e32 v44, 1, v10
	v_or_b32_e32 v45, 2, v10
	;; [unrolled: 1-line block ×7, first 2 shown]
	v_lshlrev_b32_e32 v51, 1, v1
	v_lshlrev_b32_e32 v52, 1, v2
	s_mov_b32 s67, 0x3e9b6dac
	s_add_i32 s68, 0, 0x850
	s_mov_b32 s69, 0
	s_branch .LBB45_12
.LBB45_11:                              ;   in Loop: Header=BB45_12 Depth=1
	s_or_b32 exec_lo, exec_lo, s12
	s_add_u32 s56, s56, 0x400
	s_addc_u32 s44, s44, 0
	s_add_u32 s47, s47, 0x400
	s_addc_u32 s51, s51, 0
	;; [unrolled: 2-line block ×4, first 2 shown]
	s_add_i32 s69, s69, 1
	s_delay_alu instid0(SALU_CYCLE_1)
	s_cmp_lg_u32 s69, s62
	s_cbranch_scc0 .LBB45_172
.LBB45_12:                              ; =>This Loop Header: Depth=1
                                        ;     Child Loop BB45_61 Depth 2
	v_add_co_u32 v0, s12, s47, v51
	s_delay_alu instid0(VALU_DEP_1) | instskip(SKIP_1) | instid1(VALU_DEP_2)
	v_add_co_ci_u32_e64 v1, null, s51, 0, s12
	s_lshl_b32 s30, s69, 9
	v_add_co_u32 v0, vcc_lo, v0, v52
	s_sub_i32 s23, s34, s30
	s_delay_alu instid0(VALU_DEP_2)
	v_add_co_ci_u32_e32 v1, vcc_lo, 0, v1, vcc_lo
	v_cmp_gt_u32_e64 s12, s23, v11
	s_waitcnt lgkmcnt(0)
	v_mov_b32_e32 v2, 0
	s_waitcnt_vscnt null, 0x0
	s_barrier
	buffer_gl0_inv
	s_and_saveexec_b32 s13, s12
	s_cbranch_execz .LBB45_14
; %bb.13:                               ;   in Loop: Header=BB45_12 Depth=1
	global_load_u16 v2, v[0:1], off
.LBB45_14:                              ;   in Loop: Header=BB45_12 Depth=1
	s_or_b32 exec_lo, exec_lo, s13
	v_cmp_gt_u32_e64 s13, s23, v14
	v_dual_mov_b32 v3, 0 :: v_dual_mov_b32 v4, 0
	s_delay_alu instid0(VALU_DEP_2)
	s_and_saveexec_b32 s14, s13
	s_cbranch_execz .LBB45_16
; %bb.15:                               ;   in Loop: Header=BB45_12 Depth=1
	global_load_u16 v4, v[0:1], off offset:64
.LBB45_16:                              ;   in Loop: Header=BB45_12 Depth=1
	s_or_b32 exec_lo, exec_lo, s14
	v_cmp_gt_u32_e64 s14, s23, v15
	s_delay_alu instid0(VALU_DEP_1)
	s_and_saveexec_b32 s15, s14
	s_cbranch_execz .LBB45_18
; %bb.17:                               ;   in Loop: Header=BB45_12 Depth=1
	global_load_u16 v3, v[0:1], off offset:128
.LBB45_18:                              ;   in Loop: Header=BB45_12 Depth=1
	s_or_b32 exec_lo, exec_lo, s15
	v_cmp_gt_u32_e64 s15, s23, v12
	v_mov_b32_e32 v5, 0
	v_mov_b32_e32 v7, 0
	s_delay_alu instid0(VALU_DEP_3)
	s_and_saveexec_b32 s16, s15
	s_cbranch_execz .LBB45_20
; %bb.19:                               ;   in Loop: Header=BB45_12 Depth=1
	global_load_u16 v7, v[0:1], off offset:192
.LBB45_20:                              ;   in Loop: Header=BB45_12 Depth=1
	s_or_b32 exec_lo, exec_lo, s16
	v_cmp_gt_u32_e64 s16, s23, v16
	s_delay_alu instid0(VALU_DEP_1)
	s_and_saveexec_b32 s17, s16
	s_cbranch_execz .LBB45_22
; %bb.21:                               ;   in Loop: Header=BB45_12 Depth=1
	global_load_u16 v5, v[0:1], off offset:256
.LBB45_22:                              ;   in Loop: Header=BB45_12 Depth=1
	s_or_b32 exec_lo, exec_lo, s17
	v_cmp_gt_u32_e64 s17, s23, v17
	v_dual_mov_b32 v8, 0 :: v_dual_mov_b32 v9, 0
	s_delay_alu instid0(VALU_DEP_2)
	s_and_saveexec_b32 s18, s17
	s_cbranch_execz .LBB45_24
; %bb.23:                               ;   in Loop: Header=BB45_12 Depth=1
	global_load_u16 v9, v[0:1], off offset:320
.LBB45_24:                              ;   in Loop: Header=BB45_12 Depth=1
	s_or_b32 exec_lo, exec_lo, s18
	v_cmp_gt_u32_e64 s18, s23, v18
	s_delay_alu instid0(VALU_DEP_1)
	s_and_saveexec_b32 s19, s18
	s_cbranch_execz .LBB45_26
; %bb.25:                               ;   in Loop: Header=BB45_12 Depth=1
	global_load_u16 v8, v[0:1], off offset:384
.LBB45_26:                              ;   in Loop: Header=BB45_12 Depth=1
	s_or_b32 exec_lo, exec_lo, s19
	v_cmp_gt_u32_e64 s19, s23, v19
	v_dual_mov_b32 v6, 0 :: v_dual_mov_b32 v53, 0
	s_delay_alu instid0(VALU_DEP_2)
	s_and_saveexec_b32 s20, s19
	s_cbranch_execz .LBB45_28
; %bb.27:                               ;   in Loop: Header=BB45_12 Depth=1
	global_load_u16 v53, v[0:1], off offset:448
.LBB45_28:                              ;   in Loop: Header=BB45_12 Depth=1
	s_or_b32 exec_lo, exec_lo, s20
	s_waitcnt vmcnt(0)
	ds_store_b16 v20, v2
	ds_store_b16 v20, v4 offset:64
	ds_store_b16 v21, v3 offset:128
	;; [unrolled: 1-line block ×7, first 2 shown]
	; wave barrier
	ds_load_b128 v[0:3], v27
	v_add_co_u32 v4, s20, s56, v51
	s_delay_alu instid0(VALU_DEP_1) | instskip(SKIP_1) | instid1(VALU_DEP_2)
	v_add_co_ci_u32_e64 v5, null, s44, 0, s20
	s_waitcnt lgkmcnt(0)
	v_add_co_u32 v4, vcc_lo, v4, v52
	s_delay_alu instid0(VALU_DEP_2)
	v_add_co_ci_u32_e32 v5, vcc_lo, 0, v5, vcc_lo
	s_barrier
	buffer_gl0_inv
	s_and_saveexec_b32 s20, s12
	s_cbranch_execz .LBB45_30
; %bb.29:                               ;   in Loop: Header=BB45_12 Depth=1
	global_load_u16 v6, v[4:5], off
.LBB45_30:                              ;   in Loop: Header=BB45_12 Depth=1
	s_or_b32 exec_lo, exec_lo, s20
	v_dual_mov_b32 v7, 0 :: v_dual_mov_b32 v8, 0
	s_and_saveexec_b32 s20, s13
	s_cbranch_execz .LBB45_32
; %bb.31:                               ;   in Loop: Header=BB45_12 Depth=1
	global_load_u16 v8, v[4:5], off offset:64
.LBB45_32:                              ;   in Loop: Header=BB45_12 Depth=1
	s_or_b32 exec_lo, exec_lo, s20
	s_and_saveexec_b32 s20, s14
	s_cbranch_execz .LBB45_34
; %bb.33:                               ;   in Loop: Header=BB45_12 Depth=1
	global_load_u16 v7, v[4:5], off offset:128
.LBB45_34:                              ;   in Loop: Header=BB45_12 Depth=1
	s_or_b32 exec_lo, exec_lo, s20
	v_mov_b32_e32 v9, 0
	v_mov_b32_e32 v53, 0
	s_and_saveexec_b32 s20, s15
	s_cbranch_execz .LBB45_36
; %bb.35:                               ;   in Loop: Header=BB45_12 Depth=1
	global_load_u16 v53, v[4:5], off offset:192
.LBB45_36:                              ;   in Loop: Header=BB45_12 Depth=1
	s_or_b32 exec_lo, exec_lo, s20
	s_and_saveexec_b32 s20, s16
	s_cbranch_execz .LBB45_38
; %bb.37:                               ;   in Loop: Header=BB45_12 Depth=1
	global_load_u16 v9, v[4:5], off offset:256
.LBB45_38:                              ;   in Loop: Header=BB45_12 Depth=1
	s_or_b32 exec_lo, exec_lo, s20
	v_dual_mov_b32 v54, 0 :: v_dual_mov_b32 v55, 0
	s_and_saveexec_b32 s20, s17
	s_cbranch_execnz .LBB45_155
; %bb.39:                               ;   in Loop: Header=BB45_12 Depth=1
	s_or_b32 exec_lo, exec_lo, s20
	s_and_saveexec_b32 s20, s18
	s_cbranch_execnz .LBB45_156
.LBB45_40:                              ;   in Loop: Header=BB45_12 Depth=1
	s_or_b32 exec_lo, exec_lo, s20
	v_mov_b32_e32 v56, 0
	s_and_saveexec_b32 s20, s19
	s_cbranch_execz .LBB45_42
.LBB45_41:                              ;   in Loop: Header=BB45_12 Depth=1
	global_load_u16 v56, v[4:5], off offset:448
.LBB45_42:                              ;   in Loop: Header=BB45_12 Depth=1
	s_or_b32 exec_lo, exec_lo, s20
	s_waitcnt vmcnt(0)
	ds_store_b16 v20, v6
	ds_store_b16 v20, v8 offset:64
	ds_store_b16 v21, v7 offset:128
	;; [unrolled: 1-line block ×7, first 2 shown]
	; wave barrier
	ds_load_b128 v[4:7], v27
	s_waitcnt lgkmcnt(0)
	v_lshlrev_b32_e32 v8, 16, v4
	s_delay_alu instid0(VALU_DEP_1) | instskip(NEXT) | instid1(VALU_DEP_1)
	v_add_f32_e32 v53, s54, v8
	v_cmp_ge_f32_e32 vcc_lo, 0x41a00000, v53
	s_and_b32 s20, s63, vcc_lo
	s_delay_alu instid0(SALU_CYCLE_1)
	s_and_saveexec_b32 s21, s20
	s_cbranch_execz .LBB45_44
; %bb.43:                               ;   in Loop: Header=BB45_12 Depth=1
	v_mul_f32_e32 v8, 0x3fb8aa3b, v53
	v_cmp_ngt_f32_e32 vcc_lo, 0xc2ce8ed0, v53
	s_delay_alu instid0(VALU_DEP_2) | instskip(SKIP_1) | instid1(VALU_DEP_2)
	v_rndne_f32_e32 v9, v8
	v_fma_f32 v54, 0x3fb8aa3b, v53, -v8
	v_sub_f32_e32 v8, v8, v9
	s_delay_alu instid0(VALU_DEP_2) | instskip(SKIP_1) | instid1(VALU_DEP_2)
	v_fmac_f32_e32 v54, 0x32a5705f, v53
	v_cvt_i32_f32_e32 v9, v9
	v_add_f32_e32 v8, v8, v54
	s_delay_alu instid0(VALU_DEP_1) | instskip(SKIP_2) | instid1(VALU_DEP_1)
	v_exp_f32_e32 v8, v8
	s_waitcnt_depctr 0xfff
	v_ldexp_f32 v8, v8, v9
	v_cndmask_b32_e32 v8, 0, v8, vcc_lo
	v_cmp_nlt_f32_e32 vcc_lo, 0x42b17218, v53
	s_delay_alu instid0(VALU_DEP_2) | instskip(NEXT) | instid1(VALU_DEP_1)
	v_cndmask_b32_e32 v53, 0x7f800000, v8, vcc_lo
	v_add_f32_e32 v54, 1.0, v53
	s_delay_alu instid0(VALU_DEP_1) | instskip(NEXT) | instid1(VALU_DEP_1)
	v_cvt_f64_f32_e32 v[8:9], v54
	v_frexp_exp_i32_f64_e32 v8, v[8:9]
	v_frexp_mant_f32_e32 v9, v54
	s_delay_alu instid0(VALU_DEP_1) | instskip(SKIP_1) | instid1(VALU_DEP_1)
	v_cmp_gt_f32_e32 vcc_lo, 0x3f2aaaab, v9
	v_add_f32_e32 v9, -1.0, v54
	v_sub_f32_e32 v56, v9, v54
	v_sub_f32_e32 v9, v53, v9
	v_cmp_gt_f32_e64 s20, 0x33800000, v53
	s_delay_alu instid0(VALU_DEP_3) | instskip(NEXT) | instid1(VALU_DEP_1)
	v_add_f32_e32 v56, 1.0, v56
	v_add_f32_e32 v9, v9, v56
	v_subrev_co_ci_u32_e32 v8, vcc_lo, 0, v8, vcc_lo
	v_cmp_eq_f32_e32 vcc_lo, 0x7f800000, v53
	s_delay_alu instid0(VALU_DEP_2) | instskip(SKIP_2) | instid1(VALU_DEP_2)
	v_sub_nc_u32_e32 v55, 0, v8
	v_cvt_f32_i32_e32 v8, v8
	s_or_b32 vcc_lo, s20, vcc_lo
	v_ldexp_f32 v54, v54, v55
	v_ldexp_f32 v9, v9, v55
	s_delay_alu instid0(VALU_DEP_2) | instskip(NEXT) | instid1(VALU_DEP_1)
	v_add_f32_e32 v57, 1.0, v54
	v_dual_add_f32 v55, -1.0, v54 :: v_dual_add_f32 v56, -1.0, v57
	s_delay_alu instid0(VALU_DEP_1) | instskip(NEXT) | instid1(VALU_DEP_2)
	v_add_f32_e32 v58, 1.0, v55
	v_sub_f32_e32 v56, v54, v56
	s_delay_alu instid0(VALU_DEP_2) | instskip(NEXT) | instid1(VALU_DEP_2)
	v_sub_f32_e32 v54, v54, v58
	v_add_f32_e32 v56, v9, v56
	s_delay_alu instid0(VALU_DEP_2) | instskip(NEXT) | instid1(VALU_DEP_1)
	v_add_f32_e32 v9, v9, v54
	v_dual_add_f32 v59, v55, v9 :: v_dual_add_f32 v58, v57, v56
	s_delay_alu instid0(VALU_DEP_1) | instskip(NEXT) | instid1(VALU_DEP_2)
	v_sub_f32_e32 v55, v55, v59
	v_rcp_f32_e32 v54, v58
	v_sub_f32_e32 v57, v57, v58
	s_delay_alu instid0(VALU_DEP_1) | instskip(SKIP_2) | instid1(VALU_DEP_1)
	v_dual_add_f32 v9, v9, v55 :: v_dual_add_f32 v56, v56, v57
	s_waitcnt_depctr 0xfff
	v_mul_f32_e32 v60, v59, v54
	v_mul_f32_e32 v61, v58, v60
	s_delay_alu instid0(VALU_DEP_1) | instskip(NEXT) | instid1(VALU_DEP_1)
	v_fma_f32 v57, v60, v58, -v61
	v_fmac_f32_e32 v57, v60, v56
	s_delay_alu instid0(VALU_DEP_1) | instskip(NEXT) | instid1(VALU_DEP_1)
	v_add_f32_e32 v62, v61, v57
	v_sub_f32_e32 v63, v59, v62
	s_delay_alu instid0(VALU_DEP_1) | instskip(NEXT) | instid1(VALU_DEP_1)
	v_sub_f32_e32 v59, v59, v63
	v_sub_f32_e32 v59, v59, v62
	;; [unrolled: 1-line block ×3, first 2 shown]
	s_delay_alu instid0(VALU_DEP_2) | instskip(NEXT) | instid1(VALU_DEP_2)
	v_add_f32_e32 v9, v9, v59
	v_sub_f32_e32 v55, v55, v57
	s_delay_alu instid0(VALU_DEP_1) | instskip(NEXT) | instid1(VALU_DEP_1)
	v_add_f32_e32 v9, v55, v9
	v_add_f32_e32 v55, v63, v9
	s_delay_alu instid0(VALU_DEP_1) | instskip(NEXT) | instid1(VALU_DEP_1)
	v_mul_f32_e32 v57, v54, v55
	v_dual_sub_f32 v62, v63, v55 :: v_dual_mul_f32 v59, v58, v57
	s_delay_alu instid0(VALU_DEP_1) | instskip(NEXT) | instid1(VALU_DEP_2)
	v_add_f32_e32 v9, v9, v62
	v_fma_f32 v58, v57, v58, -v59
	s_delay_alu instid0(VALU_DEP_1) | instskip(NEXT) | instid1(VALU_DEP_1)
	v_fmac_f32_e32 v58, v57, v56
	v_add_f32_e32 v56, v59, v58
	s_delay_alu instid0(VALU_DEP_1) | instskip(NEXT) | instid1(VALU_DEP_1)
	v_sub_f32_e32 v61, v55, v56
	v_sub_f32_e32 v55, v55, v61
	s_delay_alu instid0(VALU_DEP_1) | instskip(NEXT) | instid1(VALU_DEP_1)
	v_sub_f32_e32 v55, v55, v56
	v_add_f32_e32 v9, v9, v55
	v_add_f32_e32 v55, v60, v57
	v_sub_f32_e32 v59, v56, v59
	s_delay_alu instid0(VALU_DEP_1) | instskip(NEXT) | instid1(VALU_DEP_1)
	v_sub_f32_e32 v56, v59, v58
	v_dual_add_f32 v9, v56, v9 :: v_dual_sub_f32 v56, v55, v60
	s_delay_alu instid0(VALU_DEP_1) | instskip(NEXT) | instid1(VALU_DEP_1)
	v_add_f32_e32 v9, v61, v9
	v_dual_sub_f32 v56, v57, v56 :: v_dual_mul_f32 v9, v54, v9
	s_delay_alu instid0(VALU_DEP_1) | instskip(NEXT) | instid1(VALU_DEP_1)
	v_add_f32_e32 v9, v56, v9
	v_add_f32_e32 v54, v55, v9
	s_delay_alu instid0(VALU_DEP_1) | instskip(NEXT) | instid1(VALU_DEP_1)
	v_mul_f32_e32 v56, v54, v54
	v_fmaak_f32 v57, s67, v56, 0x3ecc95a3
	v_mul_f32_e32 v58, v54, v56
	s_delay_alu instid0(VALU_DEP_2) | instskip(SKIP_2) | instid1(VALU_DEP_3)
	v_fmaak_f32 v56, v56, v57, 0x3f2aaada
	v_ldexp_f32 v57, v54, 1
	v_sub_f32_e32 v54, v54, v55
	v_mul_f32_e32 v56, v58, v56
	v_mul_f32_e32 v58, 0x3f317218, v8
	s_delay_alu instid0(VALU_DEP_2) | instskip(NEXT) | instid1(VALU_DEP_1)
	v_add_f32_e32 v55, v57, v56
	v_dual_sub_f32 v9, v9, v54 :: v_dual_sub_f32 v54, v55, v57
	s_delay_alu instid0(VALU_DEP_3) | instskip(NEXT) | instid1(VALU_DEP_2)
	v_fma_f32 v57, 0x3f317218, v8, -v58
	v_ldexp_f32 v9, v9, 1
	s_delay_alu instid0(VALU_DEP_2) | instskip(NEXT) | instid1(VALU_DEP_1)
	v_dual_sub_f32 v54, v56, v54 :: v_dual_fmac_f32 v57, 0xb102e308, v8
	v_dual_add_f32 v8, v9, v54 :: v_dual_add_f32 v9, v58, v57
	s_delay_alu instid0(VALU_DEP_1) | instskip(NEXT) | instid1(VALU_DEP_1)
	v_add_f32_e32 v54, v55, v8
	v_add_f32_e32 v56, v9, v54
	s_delay_alu instid0(VALU_DEP_1) | instskip(NEXT) | instid1(VALU_DEP_1)
	v_sub_f32_e32 v59, v56, v9
	v_sub_f32_e32 v60, v56, v59
	;; [unrolled: 1-line block ×4, first 2 shown]
	s_delay_alu instid0(VALU_DEP_2) | instskip(SKIP_1) | instid1(VALU_DEP_1)
	v_sub_f32_e32 v8, v8, v55
	v_sub_f32_e32 v58, v9, v58
	;; [unrolled: 1-line block ×3, first 2 shown]
	s_delay_alu instid0(VALU_DEP_1) | instskip(SKIP_1) | instid1(VALU_DEP_1)
	v_add_f32_e32 v55, v57, v8
	v_sub_f32_e32 v9, v9, v60
	v_add_f32_e32 v9, v54, v9
	s_delay_alu instid0(VALU_DEP_3) | instskip(NEXT) | instid1(VALU_DEP_1)
	v_sub_f32_e32 v54, v55, v57
	v_dual_sub_f32 v8, v8, v54 :: v_dual_add_f32 v9, v55, v9
	s_delay_alu instid0(VALU_DEP_1) | instskip(NEXT) | instid1(VALU_DEP_1)
	v_dual_sub_f32 v55, v55, v54 :: v_dual_add_f32 v58, v56, v9
	v_dual_sub_f32 v55, v57, v55 :: v_dual_sub_f32 v54, v58, v56
	s_delay_alu instid0(VALU_DEP_1) | instskip(NEXT) | instid1(VALU_DEP_1)
	v_dual_add_f32 v8, v8, v55 :: v_dual_sub_f32 v9, v9, v54
	v_add_f32_e32 v8, v8, v9
	s_delay_alu instid0(VALU_DEP_1) | instskip(NEXT) | instid1(VALU_DEP_1)
	v_add_f32_e32 v8, v58, v8
	v_cndmask_b32_e32 v53, v8, v53, vcc_lo
.LBB45_44:                              ;   in Loop: Header=BB45_12 Depth=1
	s_or_b32 exec_lo, exec_lo, s21
	v_and_b32_e32 v4, 0xffff0000, v4
	s_delay_alu instid0(VALU_DEP_1) | instskip(NEXT) | instid1(VALU_DEP_1)
	v_add_f32_e32 v54, s54, v4
	v_cmp_ge_f32_e32 vcc_lo, 0x41a00000, v54
	s_and_b32 s20, s63, vcc_lo
	s_delay_alu instid0(SALU_CYCLE_1)
	s_and_saveexec_b32 s21, s20
	s_cbranch_execz .LBB45_46
; %bb.45:                               ;   in Loop: Header=BB45_12 Depth=1
	v_mul_f32_e32 v4, 0x3fb8aa3b, v54
	v_cmp_ngt_f32_e32 vcc_lo, 0xc2ce8ed0, v54
	s_delay_alu instid0(VALU_DEP_2) | instskip(SKIP_1) | instid1(VALU_DEP_1)
	v_rndne_f32_e32 v8, v4
	v_fma_f32 v9, 0x3fb8aa3b, v54, -v4
	v_dual_sub_f32 v4, v4, v8 :: v_dual_fmac_f32 v9, 0x32a5705f, v54
	v_cvt_i32_f32_e32 v8, v8
	s_delay_alu instid0(VALU_DEP_2) | instskip(NEXT) | instid1(VALU_DEP_1)
	v_add_f32_e32 v4, v4, v9
	v_exp_f32_e32 v4, v4
	s_waitcnt_depctr 0xfff
	v_ldexp_f32 v4, v4, v8
	s_delay_alu instid0(VALU_DEP_1) | instskip(SKIP_1) | instid1(VALU_DEP_2)
	v_cndmask_b32_e32 v4, 0, v4, vcc_lo
	v_cmp_nlt_f32_e32 vcc_lo, 0x42b17218, v54
	v_cndmask_b32_e32 v4, 0x7f800000, v4, vcc_lo
	s_delay_alu instid0(VALU_DEP_1) | instskip(NEXT) | instid1(VALU_DEP_1)
	v_add_f32_e32 v54, 1.0, v4
	v_cvt_f64_f32_e32 v[8:9], v54
	s_delay_alu instid0(VALU_DEP_1) | instskip(SKIP_1) | instid1(VALU_DEP_1)
	v_frexp_exp_i32_f64_e32 v8, v[8:9]
	v_frexp_mant_f32_e32 v9, v54
	v_cmp_gt_f32_e32 vcc_lo, 0x3f2aaaab, v9
	v_add_f32_e32 v9, -1.0, v54
	s_delay_alu instid0(VALU_DEP_1) | instskip(NEXT) | instid1(VALU_DEP_1)
	v_dual_sub_f32 v56, v9, v54 :: v_dual_sub_f32 v9, v4, v9
	v_add_f32_e32 v56, 1.0, v56
	s_delay_alu instid0(VALU_DEP_1) | instskip(SKIP_1) | instid1(VALU_DEP_1)
	v_add_f32_e32 v9, v9, v56
	v_subrev_co_ci_u32_e32 v8, vcc_lo, 0, v8, vcc_lo
	v_sub_nc_u32_e32 v55, 0, v8
	v_cvt_f32_i32_e32 v8, v8
	s_delay_alu instid0(VALU_DEP_2) | instskip(SKIP_1) | instid1(VALU_DEP_2)
	v_ldexp_f32 v54, v54, v55
	v_ldexp_f32 v9, v9, v55
	v_add_f32_e32 v57, 1.0, v54
	v_add_f32_e32 v55, -1.0, v54
	v_cmp_eq_f32_e32 vcc_lo, 0x7f800000, v4
	v_cmp_gt_f32_e64 s20, 0x33800000, v4
	s_delay_alu instid0(VALU_DEP_4) | instskip(NEXT) | instid1(VALU_DEP_4)
	v_add_f32_e32 v56, -1.0, v57
	v_add_f32_e32 v58, 1.0, v55
	s_delay_alu instid0(VALU_DEP_3) | instskip(NEXT) | instid1(VALU_DEP_2)
	s_or_b32 vcc_lo, s20, vcc_lo
	v_sub_f32_e32 v56, v54, v56
	s_delay_alu instid0(VALU_DEP_2) | instskip(NEXT) | instid1(VALU_DEP_2)
	v_sub_f32_e32 v54, v54, v58
	v_add_f32_e32 v56, v9, v56
	s_delay_alu instid0(VALU_DEP_2) | instskip(NEXT) | instid1(VALU_DEP_1)
	v_add_f32_e32 v9, v9, v54
	v_add_f32_e32 v59, v55, v9
	s_delay_alu instid0(VALU_DEP_1) | instskip(NEXT) | instid1(VALU_DEP_1)
	v_dual_sub_f32 v55, v55, v59 :: v_dual_add_f32 v58, v57, v56
	v_add_f32_e32 v9, v9, v55
	s_delay_alu instid0(VALU_DEP_2) | instskip(SKIP_1) | instid1(VALU_DEP_1)
	v_rcp_f32_e32 v54, v58
	v_sub_f32_e32 v57, v57, v58
	v_add_f32_e32 v56, v56, v57
	s_waitcnt_depctr 0xfff
	v_mul_f32_e32 v60, v59, v54
	s_delay_alu instid0(VALU_DEP_1) | instskip(NEXT) | instid1(VALU_DEP_1)
	v_mul_f32_e32 v61, v58, v60
	v_fma_f32 v57, v60, v58, -v61
	s_delay_alu instid0(VALU_DEP_1) | instskip(NEXT) | instid1(VALU_DEP_1)
	v_fmac_f32_e32 v57, v60, v56
	v_add_f32_e32 v62, v61, v57
	s_delay_alu instid0(VALU_DEP_1) | instskip(SKIP_1) | instid1(VALU_DEP_2)
	v_sub_f32_e32 v63, v59, v62
	v_sub_f32_e32 v55, v62, v61
	;; [unrolled: 1-line block ×3, first 2 shown]
	s_delay_alu instid0(VALU_DEP_2) | instskip(NEXT) | instid1(VALU_DEP_2)
	v_sub_f32_e32 v55, v55, v57
	v_sub_f32_e32 v59, v59, v62
	s_delay_alu instid0(VALU_DEP_1) | instskip(NEXT) | instid1(VALU_DEP_1)
	v_add_f32_e32 v9, v9, v59
	v_add_f32_e32 v9, v55, v9
	s_delay_alu instid0(VALU_DEP_1) | instskip(NEXT) | instid1(VALU_DEP_1)
	v_add_f32_e32 v55, v63, v9
	v_mul_f32_e32 v57, v54, v55
	s_delay_alu instid0(VALU_DEP_1) | instskip(NEXT) | instid1(VALU_DEP_1)
	v_dual_sub_f32 v62, v63, v55 :: v_dual_mul_f32 v59, v58, v57
	v_add_f32_e32 v9, v9, v62
	s_delay_alu instid0(VALU_DEP_2) | instskip(NEXT) | instid1(VALU_DEP_1)
	v_fma_f32 v58, v57, v58, -v59
	v_fmac_f32_e32 v58, v57, v56
	s_delay_alu instid0(VALU_DEP_1) | instskip(NEXT) | instid1(VALU_DEP_1)
	v_add_f32_e32 v56, v59, v58
	v_sub_f32_e32 v61, v55, v56
	s_delay_alu instid0(VALU_DEP_1) | instskip(NEXT) | instid1(VALU_DEP_1)
	v_sub_f32_e32 v55, v55, v61
	v_sub_f32_e32 v55, v55, v56
	s_delay_alu instid0(VALU_DEP_1) | instskip(SKIP_2) | instid1(VALU_DEP_1)
	v_add_f32_e32 v9, v9, v55
	v_add_f32_e32 v55, v60, v57
	v_sub_f32_e32 v59, v56, v59
	v_sub_f32_e32 v56, v59, v58
	s_delay_alu instid0(VALU_DEP_1) | instskip(NEXT) | instid1(VALU_DEP_1)
	v_dual_add_f32 v9, v56, v9 :: v_dual_sub_f32 v56, v55, v60
	v_add_f32_e32 v9, v61, v9
	s_delay_alu instid0(VALU_DEP_1) | instskip(NEXT) | instid1(VALU_DEP_1)
	v_dual_sub_f32 v56, v57, v56 :: v_dual_mul_f32 v9, v54, v9
	v_add_f32_e32 v9, v56, v9
	s_delay_alu instid0(VALU_DEP_1) | instskip(NEXT) | instid1(VALU_DEP_1)
	v_add_f32_e32 v54, v55, v9
	v_mul_f32_e32 v56, v54, v54
	s_delay_alu instid0(VALU_DEP_1) | instskip(SKIP_1) | instid1(VALU_DEP_2)
	v_fmaak_f32 v57, s67, v56, 0x3ecc95a3
	v_mul_f32_e32 v58, v54, v56
	v_fmaak_f32 v56, v56, v57, 0x3f2aaada
	v_ldexp_f32 v57, v54, 1
	v_sub_f32_e32 v54, v54, v55
	s_delay_alu instid0(VALU_DEP_3) | instskip(SKIP_1) | instid1(VALU_DEP_2)
	v_mul_f32_e32 v56, v58, v56
	v_mul_f32_e32 v58, 0x3f317218, v8
	v_add_f32_e32 v55, v57, v56
	s_delay_alu instid0(VALU_DEP_1) | instskip(NEXT) | instid1(VALU_DEP_3)
	v_dual_sub_f32 v9, v9, v54 :: v_dual_sub_f32 v54, v55, v57
	v_fma_f32 v57, 0x3f317218, v8, -v58
	s_delay_alu instid0(VALU_DEP_2) | instskip(NEXT) | instid1(VALU_DEP_2)
	v_ldexp_f32 v9, v9, 1
	v_dual_sub_f32 v54, v56, v54 :: v_dual_fmac_f32 v57, 0xb102e308, v8
	s_delay_alu instid0(VALU_DEP_1) | instskip(NEXT) | instid1(VALU_DEP_1)
	v_dual_add_f32 v8, v9, v54 :: v_dual_add_f32 v9, v58, v57
	v_add_f32_e32 v54, v55, v8
	s_delay_alu instid0(VALU_DEP_1) | instskip(NEXT) | instid1(VALU_DEP_1)
	v_add_f32_e32 v56, v9, v54
	v_sub_f32_e32 v59, v56, v9
	s_delay_alu instid0(VALU_DEP_1) | instskip(SKIP_2) | instid1(VALU_DEP_2)
	v_sub_f32_e32 v60, v56, v59
	v_sub_f32_e32 v55, v54, v55
	;; [unrolled: 1-line block ×5, first 2 shown]
	s_delay_alu instid0(VALU_DEP_1) | instskip(NEXT) | instid1(VALU_DEP_1)
	v_sub_f32_e32 v57, v57, v58
	v_add_f32_e32 v55, v57, v8
	v_sub_f32_e32 v9, v9, v60
	s_delay_alu instid0(VALU_DEP_1) | instskip(NEXT) | instid1(VALU_DEP_3)
	v_add_f32_e32 v9, v54, v9
	v_sub_f32_e32 v54, v55, v57
	s_delay_alu instid0(VALU_DEP_1) | instskip(NEXT) | instid1(VALU_DEP_1)
	v_dual_sub_f32 v8, v8, v54 :: v_dual_add_f32 v9, v55, v9
	v_dual_sub_f32 v55, v55, v54 :: v_dual_add_f32 v58, v56, v9
	s_delay_alu instid0(VALU_DEP_1) | instskip(NEXT) | instid1(VALU_DEP_1)
	v_dual_sub_f32 v55, v57, v55 :: v_dual_sub_f32 v54, v58, v56
	v_dual_add_f32 v8, v8, v55 :: v_dual_sub_f32 v9, v9, v54
	s_delay_alu instid0(VALU_DEP_1) | instskip(NEXT) | instid1(VALU_DEP_1)
	v_add_f32_e32 v8, v8, v9
	v_add_f32_e32 v8, v58, v8
	s_delay_alu instid0(VALU_DEP_1)
	v_cndmask_b32_e32 v54, v8, v4, vcc_lo
.LBB45_46:                              ;   in Loop: Header=BB45_12 Depth=1
	s_or_b32 exec_lo, exec_lo, s21
	v_lshlrev_b32_e32 v4, 16, v5
	s_delay_alu instid0(VALU_DEP_1) | instskip(NEXT) | instid1(VALU_DEP_1)
	v_add_f32_e32 v55, s54, v4
	v_cmp_ge_f32_e32 vcc_lo, 0x41a00000, v55
	s_and_b32 s20, s63, vcc_lo
	s_delay_alu instid0(SALU_CYCLE_1)
	s_and_saveexec_b32 s21, s20
	s_cbranch_execz .LBB45_48
; %bb.47:                               ;   in Loop: Header=BB45_12 Depth=1
	v_mul_f32_e32 v4, 0x3fb8aa3b, v55
	v_cmp_ngt_f32_e32 vcc_lo, 0xc2ce8ed0, v55
	s_delay_alu instid0(VALU_DEP_2) | instskip(SKIP_1) | instid1(VALU_DEP_1)
	v_rndne_f32_e32 v8, v4
	v_fma_f32 v9, 0x3fb8aa3b, v55, -v4
	v_dual_sub_f32 v4, v4, v8 :: v_dual_fmac_f32 v9, 0x32a5705f, v55
	v_cvt_i32_f32_e32 v8, v8
	s_delay_alu instid0(VALU_DEP_2) | instskip(NEXT) | instid1(VALU_DEP_1)
	v_add_f32_e32 v4, v4, v9
	v_exp_f32_e32 v4, v4
	s_waitcnt_depctr 0xfff
	v_ldexp_f32 v4, v4, v8
	s_delay_alu instid0(VALU_DEP_1) | instskip(SKIP_1) | instid1(VALU_DEP_2)
	v_cndmask_b32_e32 v4, 0, v4, vcc_lo
	v_cmp_nlt_f32_e32 vcc_lo, 0x42b17218, v55
	v_cndmask_b32_e32 v4, 0x7f800000, v4, vcc_lo
	s_delay_alu instid0(VALU_DEP_1) | instskip(NEXT) | instid1(VALU_DEP_1)
	v_add_f32_e32 v55, 1.0, v4
	v_cvt_f64_f32_e32 v[8:9], v55
	s_delay_alu instid0(VALU_DEP_1) | instskip(SKIP_1) | instid1(VALU_DEP_1)
	v_frexp_exp_i32_f64_e32 v8, v[8:9]
	v_frexp_mant_f32_e32 v9, v55
	v_cmp_gt_f32_e32 vcc_lo, 0x3f2aaaab, v9
	v_add_f32_e32 v9, -1.0, v55
	s_delay_alu instid0(VALU_DEP_1) | instskip(NEXT) | instid1(VALU_DEP_1)
	v_sub_f32_e32 v57, v9, v55
	v_add_f32_e32 v57, 1.0, v57
	v_subrev_co_ci_u32_e32 v8, vcc_lo, 0, v8, vcc_lo
	s_delay_alu instid0(VALU_DEP_1) | instskip(SKIP_1) | instid1(VALU_DEP_2)
	v_sub_nc_u32_e32 v56, 0, v8
	v_cvt_f32_i32_e32 v8, v8
	v_ldexp_f32 v55, v55, v56
	s_delay_alu instid0(VALU_DEP_1) | instskip(NEXT) | instid1(VALU_DEP_1)
	v_dual_sub_f32 v9, v4, v9 :: v_dual_add_f32 v58, 1.0, v55
	v_add_f32_e32 v9, v9, v57
	v_cmp_eq_f32_e32 vcc_lo, 0x7f800000, v4
	v_cmp_gt_f32_e64 s20, 0x33800000, v4
	s_delay_alu instid0(VALU_DEP_4) | instskip(NEXT) | instid1(VALU_DEP_4)
	v_add_f32_e32 v57, -1.0, v58
	v_ldexp_f32 v9, v9, v56
	v_add_f32_e32 v56, -1.0, v55
	s_delay_alu instid0(VALU_DEP_4) | instskip(NEXT) | instid1(VALU_DEP_3)
	s_or_b32 vcc_lo, s20, vcc_lo
	v_sub_f32_e32 v57, v55, v57
	s_delay_alu instid0(VALU_DEP_2) | instskip(NEXT) | instid1(VALU_DEP_2)
	v_add_f32_e32 v59, 1.0, v56
	v_add_f32_e32 v57, v9, v57
	s_delay_alu instid0(VALU_DEP_2) | instskip(NEXT) | instid1(VALU_DEP_1)
	v_sub_f32_e32 v55, v55, v59
	v_add_f32_e32 v9, v9, v55
	s_delay_alu instid0(VALU_DEP_1) | instskip(NEXT) | instid1(VALU_DEP_1)
	v_add_f32_e32 v60, v56, v9
	v_dual_add_f32 v59, v58, v57 :: v_dual_sub_f32 v56, v56, v60
	s_delay_alu instid0(VALU_DEP_1) | instskip(SKIP_1) | instid1(VALU_DEP_1)
	v_rcp_f32_e32 v55, v59
	v_sub_f32_e32 v58, v58, v59
	v_add_f32_e32 v57, v57, v58
	s_waitcnt_depctr 0xfff
	v_mul_f32_e32 v61, v60, v55
	s_delay_alu instid0(VALU_DEP_1) | instskip(NEXT) | instid1(VALU_DEP_1)
	v_mul_f32_e32 v62, v59, v61
	v_fma_f32 v58, v61, v59, -v62
	s_delay_alu instid0(VALU_DEP_1) | instskip(SKIP_1) | instid1(VALU_DEP_2)
	v_fmac_f32_e32 v58, v61, v57
	v_add_f32_e32 v9, v9, v56
	v_add_f32_e32 v63, v62, v58
	s_delay_alu instid0(VALU_DEP_1) | instskip(SKIP_1) | instid1(VALU_DEP_2)
	v_sub_f32_e32 v64, v60, v63
	v_sub_f32_e32 v56, v63, v62
	;; [unrolled: 1-line block ×3, first 2 shown]
	s_delay_alu instid0(VALU_DEP_2) | instskip(NEXT) | instid1(VALU_DEP_2)
	v_sub_f32_e32 v56, v56, v58
	v_sub_f32_e32 v60, v60, v63
	s_delay_alu instid0(VALU_DEP_1) | instskip(NEXT) | instid1(VALU_DEP_1)
	v_add_f32_e32 v9, v9, v60
	v_add_f32_e32 v9, v56, v9
	s_delay_alu instid0(VALU_DEP_1) | instskip(NEXT) | instid1(VALU_DEP_1)
	v_add_f32_e32 v56, v64, v9
	v_mul_f32_e32 v58, v55, v56
	s_delay_alu instid0(VALU_DEP_1) | instskip(NEXT) | instid1(VALU_DEP_1)
	v_dual_sub_f32 v63, v64, v56 :: v_dual_mul_f32 v60, v59, v58
	v_add_f32_e32 v9, v9, v63
	s_delay_alu instid0(VALU_DEP_2) | instskip(NEXT) | instid1(VALU_DEP_1)
	v_fma_f32 v59, v58, v59, -v60
	v_fmac_f32_e32 v59, v58, v57
	s_delay_alu instid0(VALU_DEP_1) | instskip(NEXT) | instid1(VALU_DEP_1)
	v_add_f32_e32 v57, v60, v59
	v_sub_f32_e32 v62, v56, v57
	s_delay_alu instid0(VALU_DEP_1) | instskip(NEXT) | instid1(VALU_DEP_1)
	v_sub_f32_e32 v56, v56, v62
	v_sub_f32_e32 v56, v56, v57
	s_delay_alu instid0(VALU_DEP_1) | instskip(SKIP_2) | instid1(VALU_DEP_1)
	v_add_f32_e32 v9, v9, v56
	v_add_f32_e32 v56, v61, v58
	v_sub_f32_e32 v60, v57, v60
	v_sub_f32_e32 v57, v60, v59
	s_delay_alu instid0(VALU_DEP_1) | instskip(NEXT) | instid1(VALU_DEP_4)
	v_add_f32_e32 v9, v57, v9
	v_sub_f32_e32 v57, v56, v61
	s_delay_alu instid0(VALU_DEP_2) | instskip(NEXT) | instid1(VALU_DEP_2)
	v_add_f32_e32 v9, v62, v9
	v_sub_f32_e32 v57, v58, v57
	s_delay_alu instid0(VALU_DEP_2) | instskip(NEXT) | instid1(VALU_DEP_1)
	v_mul_f32_e32 v9, v55, v9
	v_add_f32_e32 v9, v57, v9
	s_delay_alu instid0(VALU_DEP_1) | instskip(NEXT) | instid1(VALU_DEP_1)
	v_add_f32_e32 v55, v56, v9
	v_mul_f32_e32 v57, v55, v55
	s_delay_alu instid0(VALU_DEP_1) | instskip(SKIP_1) | instid1(VALU_DEP_2)
	v_fmaak_f32 v58, s67, v57, 0x3ecc95a3
	v_mul_f32_e32 v59, v55, v57
	v_fmaak_f32 v57, v57, v58, 0x3f2aaada
	v_ldexp_f32 v58, v55, 1
	v_sub_f32_e32 v55, v55, v56
	s_delay_alu instid0(VALU_DEP_3) | instskip(SKIP_1) | instid1(VALU_DEP_2)
	v_mul_f32_e32 v57, v59, v57
	v_mul_f32_e32 v59, 0x3f317218, v8
	v_dual_sub_f32 v9, v9, v55 :: v_dual_add_f32 v56, v58, v57
	s_delay_alu instid0(VALU_DEP_1) | instskip(NEXT) | instid1(VALU_DEP_2)
	v_ldexp_f32 v9, v9, 1
	v_sub_f32_e32 v55, v56, v58
	s_delay_alu instid0(VALU_DEP_4) | instskip(NEXT) | instid1(VALU_DEP_1)
	v_fma_f32 v58, 0x3f317218, v8, -v59
	v_dual_sub_f32 v55, v57, v55 :: v_dual_fmac_f32 v58, 0xb102e308, v8
	s_delay_alu instid0(VALU_DEP_1) | instskip(NEXT) | instid1(VALU_DEP_1)
	v_dual_add_f32 v8, v9, v55 :: v_dual_add_f32 v9, v59, v58
	v_add_f32_e32 v55, v56, v8
	s_delay_alu instid0(VALU_DEP_2) | instskip(NEXT) | instid1(VALU_DEP_2)
	v_sub_f32_e32 v59, v9, v59
	v_dual_add_f32 v57, v9, v55 :: v_dual_sub_f32 v56, v55, v56
	s_delay_alu instid0(VALU_DEP_2) | instskip(NEXT) | instid1(VALU_DEP_2)
	v_sub_f32_e32 v58, v58, v59
	v_sub_f32_e32 v60, v57, v9
	s_delay_alu instid0(VALU_DEP_3) | instskip(NEXT) | instid1(VALU_DEP_2)
	v_sub_f32_e32 v8, v8, v56
	v_sub_f32_e32 v61, v57, v60
	;; [unrolled: 1-line block ×3, first 2 shown]
	s_delay_alu instid0(VALU_DEP_2) | instskip(NEXT) | instid1(VALU_DEP_1)
	v_dual_add_f32 v56, v58, v8 :: v_dual_sub_f32 v9, v9, v61
	v_add_f32_e32 v9, v55, v9
	s_delay_alu instid0(VALU_DEP_2) | instskip(NEXT) | instid1(VALU_DEP_2)
	v_sub_f32_e32 v55, v56, v58
	v_add_f32_e32 v9, v56, v9
	s_delay_alu instid0(VALU_DEP_2) | instskip(NEXT) | instid1(VALU_DEP_2)
	v_sub_f32_e32 v56, v56, v55
	v_dual_sub_f32 v8, v8, v55 :: v_dual_add_f32 v59, v57, v9
	s_delay_alu instid0(VALU_DEP_1) | instskip(NEXT) | instid1(VALU_DEP_1)
	v_dual_sub_f32 v56, v58, v56 :: v_dual_sub_f32 v55, v59, v57
	v_dual_add_f32 v8, v8, v56 :: v_dual_sub_f32 v9, v9, v55
	s_delay_alu instid0(VALU_DEP_1) | instskip(NEXT) | instid1(VALU_DEP_1)
	v_add_f32_e32 v8, v8, v9
	v_add_f32_e32 v8, v59, v8
	s_delay_alu instid0(VALU_DEP_1)
	v_cndmask_b32_e32 v55, v8, v4, vcc_lo
.LBB45_48:                              ;   in Loop: Header=BB45_12 Depth=1
	s_or_b32 exec_lo, exec_lo, s21
	v_and_b32_e32 v4, 0xffff0000, v5
	s_delay_alu instid0(VALU_DEP_1) | instskip(NEXT) | instid1(VALU_DEP_1)
	v_add_f32_e32 v58, s54, v4
	v_cmp_ge_f32_e32 vcc_lo, 0x41a00000, v58
	s_and_b32 s20, s63, vcc_lo
	s_delay_alu instid0(SALU_CYCLE_1)
	s_and_saveexec_b32 s21, s20
	s_cbranch_execz .LBB45_50
; %bb.49:                               ;   in Loop: Header=BB45_12 Depth=1
	v_mul_f32_e32 v4, 0x3fb8aa3b, v58
	v_cmp_ngt_f32_e32 vcc_lo, 0xc2ce8ed0, v58
	s_delay_alu instid0(VALU_DEP_2) | instskip(SKIP_1) | instid1(VALU_DEP_2)
	v_rndne_f32_e32 v5, v4
	v_fma_f32 v8, 0x3fb8aa3b, v58, -v4
	v_sub_f32_e32 v4, v4, v5
	s_delay_alu instid0(VALU_DEP_2) | instskip(SKIP_1) | instid1(VALU_DEP_2)
	v_fmac_f32_e32 v8, 0x32a5705f, v58
	v_cvt_i32_f32_e32 v5, v5
	v_add_f32_e32 v4, v4, v8
	s_delay_alu instid0(VALU_DEP_1) | instskip(SKIP_2) | instid1(VALU_DEP_1)
	v_exp_f32_e32 v4, v4
	s_waitcnt_depctr 0xfff
	v_ldexp_f32 v4, v4, v5
	v_cndmask_b32_e32 v4, 0, v4, vcc_lo
	v_cmp_nlt_f32_e32 vcc_lo, 0x42b17218, v58
	s_delay_alu instid0(VALU_DEP_2) | instskip(NEXT) | instid1(VALU_DEP_1)
	v_cndmask_b32_e32 v8, 0x7f800000, v4, vcc_lo
	v_add_f32_e32 v9, 1.0, v8
	s_delay_alu instid0(VALU_DEP_1) | instskip(NEXT) | instid1(VALU_DEP_1)
	v_cvt_f64_f32_e32 v[4:5], v9
	v_frexp_exp_i32_f64_e32 v4, v[4:5]
	v_frexp_mant_f32_e32 v5, v9
	s_delay_alu instid0(VALU_DEP_1) | instskip(SKIP_1) | instid1(VALU_DEP_1)
	v_cmp_gt_f32_e32 vcc_lo, 0x3f2aaaab, v5
	v_add_f32_e32 v5, -1.0, v9
	v_sub_f32_e32 v57, v5, v9
	s_delay_alu instid0(VALU_DEP_1) | instskip(SKIP_2) | instid1(VALU_DEP_2)
	v_add_f32_e32 v57, 1.0, v57
	v_sub_f32_e32 v5, v8, v5
	v_cmp_gt_f32_e64 s20, 0x33800000, v8
	v_add_f32_e32 v5, v5, v57
	v_subrev_co_ci_u32_e32 v4, vcc_lo, 0, v4, vcc_lo
	v_cmp_eq_f32_e32 vcc_lo, 0x7f800000, v8
	s_delay_alu instid0(VALU_DEP_2) | instskip(SKIP_2) | instid1(VALU_DEP_2)
	v_sub_nc_u32_e32 v56, 0, v4
	v_cvt_f32_i32_e32 v4, v4
	s_or_b32 vcc_lo, s20, vcc_lo
	v_ldexp_f32 v9, v9, v56
	v_ldexp_f32 v5, v5, v56
	s_delay_alu instid0(VALU_DEP_2) | instskip(NEXT) | instid1(VALU_DEP_1)
	v_add_f32_e32 v56, -1.0, v9
	v_dual_add_f32 v58, 1.0, v9 :: v_dual_add_f32 v59, 1.0, v56
	s_delay_alu instid0(VALU_DEP_1) | instskip(NEXT) | instid1(VALU_DEP_1)
	v_add_f32_e32 v57, -1.0, v58
	v_sub_f32_e32 v57, v9, v57
	s_delay_alu instid0(VALU_DEP_3) | instskip(NEXT) | instid1(VALU_DEP_2)
	v_sub_f32_e32 v9, v9, v59
	v_add_f32_e32 v57, v5, v57
	s_delay_alu instid0(VALU_DEP_2) | instskip(NEXT) | instid1(VALU_DEP_1)
	v_add_f32_e32 v5, v5, v9
	v_add_f32_e32 v60, v56, v5
	s_delay_alu instid0(VALU_DEP_1) | instskip(NEXT) | instid1(VALU_DEP_1)
	v_dual_sub_f32 v56, v56, v60 :: v_dual_add_f32 v59, v58, v57
	v_add_f32_e32 v5, v5, v56
	s_delay_alu instid0(VALU_DEP_2) | instskip(SKIP_1) | instid1(VALU_DEP_1)
	v_rcp_f32_e32 v9, v59
	v_sub_f32_e32 v58, v58, v59
	v_add_f32_e32 v57, v57, v58
	s_waitcnt_depctr 0xfff
	v_mul_f32_e32 v61, v60, v9
	s_delay_alu instid0(VALU_DEP_1) | instskip(NEXT) | instid1(VALU_DEP_1)
	v_mul_f32_e32 v62, v59, v61
	v_fma_f32 v58, v61, v59, -v62
	s_delay_alu instid0(VALU_DEP_1) | instskip(NEXT) | instid1(VALU_DEP_1)
	v_fmac_f32_e32 v58, v61, v57
	v_add_f32_e32 v63, v62, v58
	s_delay_alu instid0(VALU_DEP_1) | instskip(SKIP_1) | instid1(VALU_DEP_2)
	v_sub_f32_e32 v64, v60, v63
	v_sub_f32_e32 v56, v63, v62
	;; [unrolled: 1-line block ×3, first 2 shown]
	s_delay_alu instid0(VALU_DEP_1) | instskip(NEXT) | instid1(VALU_DEP_1)
	v_sub_f32_e32 v60, v60, v63
	v_dual_sub_f32 v56, v56, v58 :: v_dual_add_f32 v5, v5, v60
	s_delay_alu instid0(VALU_DEP_1) | instskip(NEXT) | instid1(VALU_DEP_1)
	v_add_f32_e32 v5, v56, v5
	v_add_f32_e32 v56, v64, v5
	s_delay_alu instid0(VALU_DEP_1) | instskip(NEXT) | instid1(VALU_DEP_1)
	v_mul_f32_e32 v58, v9, v56
	v_dual_sub_f32 v63, v64, v56 :: v_dual_mul_f32 v60, v59, v58
	s_delay_alu instid0(VALU_DEP_1) | instskip(NEXT) | instid1(VALU_DEP_2)
	v_add_f32_e32 v5, v5, v63
	v_fma_f32 v59, v58, v59, -v60
	s_delay_alu instid0(VALU_DEP_1) | instskip(NEXT) | instid1(VALU_DEP_1)
	v_fmac_f32_e32 v59, v58, v57
	v_add_f32_e32 v57, v60, v59
	s_delay_alu instid0(VALU_DEP_1) | instskip(NEXT) | instid1(VALU_DEP_1)
	v_sub_f32_e32 v62, v56, v57
	v_sub_f32_e32 v56, v56, v62
	s_delay_alu instid0(VALU_DEP_1) | instskip(NEXT) | instid1(VALU_DEP_1)
	v_sub_f32_e32 v56, v56, v57
	v_add_f32_e32 v5, v5, v56
	v_add_f32_e32 v56, v61, v58
	v_sub_f32_e32 v60, v57, v60
	s_delay_alu instid0(VALU_DEP_1) | instskip(NEXT) | instid1(VALU_DEP_1)
	v_sub_f32_e32 v57, v60, v59
	v_add_f32_e32 v5, v57, v5
	s_delay_alu instid0(VALU_DEP_4) | instskip(NEXT) | instid1(VALU_DEP_2)
	v_sub_f32_e32 v57, v56, v61
	v_add_f32_e32 v5, v62, v5
	s_delay_alu instid0(VALU_DEP_2) | instskip(NEXT) | instid1(VALU_DEP_2)
	v_sub_f32_e32 v57, v58, v57
	v_mul_f32_e32 v5, v9, v5
	s_delay_alu instid0(VALU_DEP_1) | instskip(NEXT) | instid1(VALU_DEP_1)
	v_add_f32_e32 v5, v57, v5
	v_add_f32_e32 v9, v56, v5
	s_delay_alu instid0(VALU_DEP_1) | instskip(NEXT) | instid1(VALU_DEP_1)
	v_mul_f32_e32 v57, v9, v9
	v_fmaak_f32 v58, s67, v57, 0x3ecc95a3
	v_mul_f32_e32 v59, v9, v57
	s_delay_alu instid0(VALU_DEP_2) | instskip(SKIP_1) | instid1(VALU_DEP_2)
	v_fmaak_f32 v57, v57, v58, 0x3f2aaada
	v_ldexp_f32 v58, v9, 1
	v_mul_f32_e32 v57, v59, v57
	s_delay_alu instid0(VALU_DEP_1) | instskip(NEXT) | instid1(VALU_DEP_1)
	v_dual_sub_f32 v9, v9, v56 :: v_dual_add_f32 v56, v58, v57
	v_sub_f32_e32 v5, v5, v9
	s_delay_alu instid0(VALU_DEP_2) | instskip(NEXT) | instid1(VALU_DEP_2)
	v_sub_f32_e32 v9, v56, v58
	v_ldexp_f32 v5, v5, 1
	s_delay_alu instid0(VALU_DEP_2) | instskip(SKIP_1) | instid1(VALU_DEP_1)
	v_sub_f32_e32 v9, v57, v9
	v_mul_f32_e32 v59, 0x3f317218, v4
	v_fma_f32 v58, 0x3f317218, v4, -v59
	s_delay_alu instid0(VALU_DEP_1) | instskip(NEXT) | instid1(VALU_DEP_1)
	v_fmac_f32_e32 v58, 0xb102e308, v4
	v_dual_add_f32 v4, v5, v9 :: v_dual_add_f32 v5, v59, v58
	s_delay_alu instid0(VALU_DEP_1) | instskip(NEXT) | instid1(VALU_DEP_1)
	v_add_f32_e32 v9, v56, v4
	v_add_f32_e32 v57, v5, v9
	v_sub_f32_e32 v56, v9, v56
	s_delay_alu instid0(VALU_DEP_2) | instskip(NEXT) | instid1(VALU_DEP_2)
	v_sub_f32_e32 v60, v57, v5
	v_dual_sub_f32 v4, v4, v56 :: v_dual_sub_f32 v59, v5, v59
	s_delay_alu instid0(VALU_DEP_2) | instskip(NEXT) | instid1(VALU_DEP_2)
	v_sub_f32_e32 v61, v57, v60
	v_dual_sub_f32 v9, v9, v60 :: v_dual_sub_f32 v58, v58, v59
	s_delay_alu instid0(VALU_DEP_1) | instskip(NEXT) | instid1(VALU_DEP_1)
	v_dual_sub_f32 v5, v5, v61 :: v_dual_add_f32 v56, v58, v4
	v_add_f32_e32 v5, v9, v5
	s_delay_alu instid0(VALU_DEP_2) | instskip(NEXT) | instid1(VALU_DEP_2)
	v_sub_f32_e32 v9, v56, v58
	v_add_f32_e32 v5, v56, v5
	s_delay_alu instid0(VALU_DEP_2) | instskip(SKIP_1) | instid1(VALU_DEP_2)
	v_sub_f32_e32 v56, v56, v9
	v_sub_f32_e32 v4, v4, v9
	v_dual_add_f32 v59, v57, v5 :: v_dual_sub_f32 v56, v58, v56
	s_delay_alu instid0(VALU_DEP_1) | instskip(NEXT) | instid1(VALU_DEP_1)
	v_dual_sub_f32 v9, v59, v57 :: v_dual_add_f32 v4, v4, v56
	v_sub_f32_e32 v5, v5, v9
	s_delay_alu instid0(VALU_DEP_1) | instskip(NEXT) | instid1(VALU_DEP_1)
	v_add_f32_e32 v4, v4, v5
	v_add_f32_e32 v4, v59, v4
	s_delay_alu instid0(VALU_DEP_1)
	v_cndmask_b32_e32 v58, v4, v8, vcc_lo
.LBB45_50:                              ;   in Loop: Header=BB45_12 Depth=1
	s_or_b32 exec_lo, exec_lo, s21
	v_lshlrev_b32_e32 v4, 16, v6
	s_delay_alu instid0(VALU_DEP_1) | instskip(NEXT) | instid1(VALU_DEP_1)
	v_add_f32_e32 v65, s54, v4
	v_cmp_ge_f32_e32 vcc_lo, 0x41a00000, v65
	s_and_b32 s20, s63, vcc_lo
	s_delay_alu instid0(SALU_CYCLE_1)
	s_and_saveexec_b32 s21, s20
	s_cbranch_execz .LBB45_52
; %bb.51:                               ;   in Loop: Header=BB45_12 Depth=1
	v_mul_f32_e32 v4, 0x3fb8aa3b, v65
	v_cmp_ngt_f32_e32 vcc_lo, 0xc2ce8ed0, v65
	s_delay_alu instid0(VALU_DEP_2) | instskip(SKIP_1) | instid1(VALU_DEP_2)
	v_rndne_f32_e32 v5, v4
	v_fma_f32 v8, 0x3fb8aa3b, v65, -v4
	v_sub_f32_e32 v4, v4, v5
	s_delay_alu instid0(VALU_DEP_2) | instskip(SKIP_1) | instid1(VALU_DEP_2)
	v_fmac_f32_e32 v8, 0x32a5705f, v65
	v_cvt_i32_f32_e32 v5, v5
	v_add_f32_e32 v4, v4, v8
	s_delay_alu instid0(VALU_DEP_1) | instskip(SKIP_2) | instid1(VALU_DEP_1)
	v_exp_f32_e32 v4, v4
	s_waitcnt_depctr 0xfff
	v_ldexp_f32 v4, v4, v5
	v_cndmask_b32_e32 v4, 0, v4, vcc_lo
	v_cmp_nlt_f32_e32 vcc_lo, 0x42b17218, v65
	s_delay_alu instid0(VALU_DEP_2) | instskip(NEXT) | instid1(VALU_DEP_1)
	v_cndmask_b32_e32 v8, 0x7f800000, v4, vcc_lo
	v_add_f32_e32 v9, 1.0, v8
	s_delay_alu instid0(VALU_DEP_1) | instskip(NEXT) | instid1(VALU_DEP_1)
	v_cvt_f64_f32_e32 v[4:5], v9
	v_frexp_exp_i32_f64_e32 v4, v[4:5]
	v_frexp_mant_f32_e32 v5, v9
	s_delay_alu instid0(VALU_DEP_1) | instskip(SKIP_1) | instid1(VALU_DEP_1)
	v_cmp_gt_f32_e32 vcc_lo, 0x3f2aaaab, v5
	v_add_f32_e32 v5, -1.0, v9
	v_sub_f32_e32 v57, v5, v9
	s_delay_alu instid0(VALU_DEP_1) | instskip(SKIP_2) | instid1(VALU_DEP_2)
	v_add_f32_e32 v57, 1.0, v57
	v_sub_f32_e32 v5, v8, v5
	v_cmp_gt_f32_e64 s20, 0x33800000, v8
	v_add_f32_e32 v5, v5, v57
	v_subrev_co_ci_u32_e32 v4, vcc_lo, 0, v4, vcc_lo
	v_cmp_eq_f32_e32 vcc_lo, 0x7f800000, v8
	s_delay_alu instid0(VALU_DEP_2) | instskip(SKIP_2) | instid1(VALU_DEP_2)
	v_sub_nc_u32_e32 v56, 0, v4
	v_cvt_f32_i32_e32 v4, v4
	s_or_b32 vcc_lo, s20, vcc_lo
	v_ldexp_f32 v9, v9, v56
	v_ldexp_f32 v5, v5, v56
	s_delay_alu instid0(VALU_DEP_2) | instskip(NEXT) | instid1(VALU_DEP_1)
	v_add_f32_e32 v59, 1.0, v9
	v_dual_add_f32 v56, -1.0, v9 :: v_dual_add_f32 v57, -1.0, v59
	s_delay_alu instid0(VALU_DEP_1) | instskip(NEXT) | instid1(VALU_DEP_1)
	v_dual_add_f32 v60, 1.0, v56 :: v_dual_sub_f32 v57, v9, v57
	v_sub_f32_e32 v9, v9, v60
	s_delay_alu instid0(VALU_DEP_2) | instskip(NEXT) | instid1(VALU_DEP_2)
	v_add_f32_e32 v57, v5, v57
	v_add_f32_e32 v5, v5, v9
	s_delay_alu instid0(VALU_DEP_2) | instskip(NEXT) | instid1(VALU_DEP_1)
	v_add_f32_e32 v60, v59, v57
	v_sub_f32_e32 v59, v59, v60
	s_delay_alu instid0(VALU_DEP_3) | instskip(NEXT) | instid1(VALU_DEP_2)
	v_add_f32_e32 v61, v56, v5
	v_add_f32_e32 v57, v57, v59
	v_rcp_f32_e32 v9, v60
	s_delay_alu instid0(VALU_DEP_2) | instskip(NEXT) | instid1(VALU_DEP_1)
	v_sub_f32_e32 v56, v56, v61
	v_add_f32_e32 v5, v5, v56
	s_waitcnt_depctr 0xfff
	v_mul_f32_e32 v62, v61, v9
	s_delay_alu instid0(VALU_DEP_1) | instskip(NEXT) | instid1(VALU_DEP_1)
	v_mul_f32_e32 v63, v60, v62
	v_fma_f32 v59, v62, v60, -v63
	s_delay_alu instid0(VALU_DEP_1) | instskip(NEXT) | instid1(VALU_DEP_1)
	v_fmac_f32_e32 v59, v62, v57
	v_add_f32_e32 v64, v63, v59
	s_delay_alu instid0(VALU_DEP_1) | instskip(NEXT) | instid1(VALU_DEP_1)
	v_dual_sub_f32 v65, v61, v64 :: v_dual_sub_f32 v56, v64, v63
	v_dual_sub_f32 v61, v61, v65 :: v_dual_sub_f32 v56, v56, v59
	s_delay_alu instid0(VALU_DEP_1) | instskip(NEXT) | instid1(VALU_DEP_1)
	v_sub_f32_e32 v61, v61, v64
	v_add_f32_e32 v5, v5, v61
	s_delay_alu instid0(VALU_DEP_1) | instskip(NEXT) | instid1(VALU_DEP_1)
	v_add_f32_e32 v5, v56, v5
	v_add_f32_e32 v56, v65, v5
	s_delay_alu instid0(VALU_DEP_1) | instskip(NEXT) | instid1(VALU_DEP_1)
	v_mul_f32_e32 v59, v9, v56
	v_dual_sub_f32 v64, v65, v56 :: v_dual_mul_f32 v61, v60, v59
	s_delay_alu instid0(VALU_DEP_1) | instskip(NEXT) | instid1(VALU_DEP_2)
	v_add_f32_e32 v5, v5, v64
	v_fma_f32 v60, v59, v60, -v61
	s_delay_alu instid0(VALU_DEP_1) | instskip(NEXT) | instid1(VALU_DEP_1)
	v_fmac_f32_e32 v60, v59, v57
	v_add_f32_e32 v57, v61, v60
	s_delay_alu instid0(VALU_DEP_1) | instskip(NEXT) | instid1(VALU_DEP_1)
	v_sub_f32_e32 v63, v56, v57
	v_dual_sub_f32 v61, v57, v61 :: v_dual_sub_f32 v56, v56, v63
	s_delay_alu instid0(VALU_DEP_1) | instskip(NEXT) | instid1(VALU_DEP_1)
	v_dual_sub_f32 v56, v56, v57 :: v_dual_sub_f32 v57, v61, v60
	v_dual_add_f32 v5, v5, v56 :: v_dual_add_f32 v56, v62, v59
	s_delay_alu instid0(VALU_DEP_1) | instskip(NEXT) | instid1(VALU_DEP_2)
	v_add_f32_e32 v5, v57, v5
	v_sub_f32_e32 v57, v56, v62
	s_delay_alu instid0(VALU_DEP_2) | instskip(NEXT) | instid1(VALU_DEP_2)
	v_add_f32_e32 v5, v63, v5
	v_sub_f32_e32 v57, v59, v57
	s_delay_alu instid0(VALU_DEP_2) | instskip(NEXT) | instid1(VALU_DEP_1)
	v_mul_f32_e32 v5, v9, v5
	v_add_f32_e32 v5, v57, v5
	s_delay_alu instid0(VALU_DEP_1) | instskip(NEXT) | instid1(VALU_DEP_1)
	v_add_f32_e32 v9, v56, v5
	v_mul_f32_e32 v57, v9, v9
	s_delay_alu instid0(VALU_DEP_1) | instskip(SKIP_1) | instid1(VALU_DEP_2)
	v_fmaak_f32 v59, s67, v57, 0x3ecc95a3
	v_mul_f32_e32 v60, v9, v57
	v_fmaak_f32 v57, v57, v59, 0x3f2aaada
	v_ldexp_f32 v59, v9, 1
	v_sub_f32_e32 v9, v9, v56
	s_delay_alu instid0(VALU_DEP_3) | instskip(NEXT) | instid1(VALU_DEP_2)
	v_dual_mul_f32 v57, v60, v57 :: v_dual_mul_f32 v60, 0x3f317218, v4
	v_sub_f32_e32 v5, v5, v9
	s_delay_alu instid0(VALU_DEP_2) | instskip(NEXT) | instid1(VALU_DEP_2)
	v_add_f32_e32 v56, v59, v57
	v_ldexp_f32 v5, v5, 1
	s_delay_alu instid0(VALU_DEP_2) | instskip(SKIP_1) | instid1(VALU_DEP_2)
	v_sub_f32_e32 v9, v56, v59
	v_fma_f32 v59, 0x3f317218, v4, -v60
	v_sub_f32_e32 v9, v57, v9
	s_delay_alu instid0(VALU_DEP_1) | instskip(NEXT) | instid1(VALU_DEP_1)
	v_dual_fmac_f32 v59, 0xb102e308, v4 :: v_dual_add_f32 v4, v5, v9
	v_add_f32_e32 v5, v60, v59
	s_delay_alu instid0(VALU_DEP_2) | instskip(NEXT) | instid1(VALU_DEP_2)
	v_add_f32_e32 v9, v56, v4
	v_sub_f32_e32 v60, v5, v60
	s_delay_alu instid0(VALU_DEP_2) | instskip(SKIP_1) | instid1(VALU_DEP_1)
	v_add_f32_e32 v57, v5, v9
	v_sub_f32_e32 v56, v9, v56
	v_dual_sub_f32 v61, v57, v5 :: v_dual_sub_f32 v4, v4, v56
	s_delay_alu instid0(VALU_DEP_1) | instskip(SKIP_1) | instid1(VALU_DEP_2)
	v_dual_sub_f32 v62, v57, v61 :: v_dual_sub_f32 v59, v59, v60
	v_sub_f32_e32 v9, v9, v61
	v_dual_sub_f32 v5, v5, v62 :: v_dual_add_f32 v56, v59, v4
	s_delay_alu instid0(VALU_DEP_1) | instskip(NEXT) | instid1(VALU_DEP_2)
	v_add_f32_e32 v5, v9, v5
	v_sub_f32_e32 v9, v56, v59
	s_delay_alu instid0(VALU_DEP_2) | instskip(NEXT) | instid1(VALU_DEP_2)
	v_add_f32_e32 v5, v56, v5
	v_sub_f32_e32 v56, v56, v9
	v_sub_f32_e32 v4, v4, v9
	s_delay_alu instid0(VALU_DEP_3) | instskip(NEXT) | instid1(VALU_DEP_1)
	v_add_f32_e32 v60, v57, v5
	v_dual_sub_f32 v56, v59, v56 :: v_dual_sub_f32 v9, v60, v57
	s_delay_alu instid0(VALU_DEP_1) | instskip(NEXT) | instid1(VALU_DEP_1)
	v_dual_add_f32 v4, v4, v56 :: v_dual_sub_f32 v5, v5, v9
	v_add_f32_e32 v4, v4, v5
	s_delay_alu instid0(VALU_DEP_1) | instskip(NEXT) | instid1(VALU_DEP_1)
	v_add_f32_e32 v4, v60, v4
	v_cndmask_b32_e32 v65, v4, v8, vcc_lo
.LBB45_52:                              ;   in Loop: Header=BB45_12 Depth=1
	s_or_b32 exec_lo, exec_lo, s21
	v_and_b32_e32 v4, 0xffff0000, v6
	s_delay_alu instid0(VALU_DEP_1) | instskip(NEXT) | instid1(VALU_DEP_1)
	v_add_f32_e32 v66, s54, v4
	v_cmp_ge_f32_e32 vcc_lo, 0x41a00000, v66
	s_and_b32 s20, s63, vcc_lo
	s_delay_alu instid0(SALU_CYCLE_1)
	s_and_saveexec_b32 s21, s20
	s_cbranch_execz .LBB45_54
; %bb.53:                               ;   in Loop: Header=BB45_12 Depth=1
	v_mul_f32_e32 v4, 0x3fb8aa3b, v66
	v_cmp_ngt_f32_e32 vcc_lo, 0xc2ce8ed0, v66
	s_delay_alu instid0(VALU_DEP_2) | instskip(SKIP_1) | instid1(VALU_DEP_2)
	v_rndne_f32_e32 v5, v4
	v_fma_f32 v6, 0x3fb8aa3b, v66, -v4
	v_sub_f32_e32 v4, v4, v5
	s_delay_alu instid0(VALU_DEP_2) | instskip(SKIP_1) | instid1(VALU_DEP_2)
	v_fmac_f32_e32 v6, 0x32a5705f, v66
	v_cvt_i32_f32_e32 v5, v5
	v_add_f32_e32 v4, v4, v6
	s_delay_alu instid0(VALU_DEP_1) | instskip(SKIP_2) | instid1(VALU_DEP_1)
	v_exp_f32_e32 v4, v4
	s_waitcnt_depctr 0xfff
	v_ldexp_f32 v4, v4, v5
	v_cndmask_b32_e32 v4, 0, v4, vcc_lo
	v_cmp_nlt_f32_e32 vcc_lo, 0x42b17218, v66
	s_delay_alu instid0(VALU_DEP_2) | instskip(NEXT) | instid1(VALU_DEP_1)
	v_cndmask_b32_e32 v6, 0x7f800000, v4, vcc_lo
	v_add_f32_e32 v8, 1.0, v6
	s_delay_alu instid0(VALU_DEP_1) | instskip(NEXT) | instid1(VALU_DEP_1)
	v_cvt_f64_f32_e32 v[4:5], v8
	v_frexp_exp_i32_f64_e32 v4, v[4:5]
	v_frexp_mant_f32_e32 v5, v8
	s_delay_alu instid0(VALU_DEP_1) | instskip(SKIP_1) | instid1(VALU_DEP_1)
	v_cmp_gt_f32_e32 vcc_lo, 0x3f2aaaab, v5
	v_add_f32_e32 v5, -1.0, v8
	v_dual_sub_f32 v56, v5, v8 :: v_dual_sub_f32 v5, v6, v5
	s_delay_alu instid0(VALU_DEP_1) | instskip(NEXT) | instid1(VALU_DEP_1)
	v_add_f32_e32 v56, 1.0, v56
	v_add_f32_e32 v5, v5, v56
	v_subrev_co_ci_u32_e32 v4, vcc_lo, 0, v4, vcc_lo
	s_delay_alu instid0(VALU_DEP_1) | instskip(SKIP_1) | instid1(VALU_DEP_2)
	v_sub_nc_u32_e32 v9, 0, v4
	v_cvt_f32_i32_e32 v4, v4
	v_ldexp_f32 v8, v8, v9
	v_ldexp_f32 v5, v5, v9
	s_delay_alu instid0(VALU_DEP_2) | instskip(NEXT) | instid1(VALU_DEP_1)
	v_add_f32_e32 v57, 1.0, v8
	v_dual_add_f32 v9, -1.0, v8 :: v_dual_add_f32 v56, -1.0, v57
	s_delay_alu instid0(VALU_DEP_1) | instskip(NEXT) | instid1(VALU_DEP_1)
	v_dual_add_f32 v59, 1.0, v9 :: v_dual_sub_f32 v56, v8, v56
	v_sub_f32_e32 v8, v8, v59
	s_delay_alu instid0(VALU_DEP_2) | instskip(NEXT) | instid1(VALU_DEP_1)
	v_add_f32_e32 v56, v5, v56
	v_add_f32_e32 v59, v57, v56
	s_delay_alu instid0(VALU_DEP_3) | instskip(NEXT) | instid1(VALU_DEP_2)
	v_add_f32_e32 v5, v5, v8
	v_rcp_f32_e32 v8, v59
	s_delay_alu instid0(VALU_DEP_1) | instskip(SKIP_3) | instid1(VALU_DEP_3)
	v_add_f32_e32 v60, v9, v5
	v_sub_f32_e32 v57, v57, v59
	v_cmp_eq_f32_e32 vcc_lo, 0x7f800000, v6
	v_cmp_gt_f32_e64 s20, 0x33800000, v6
	v_dual_sub_f32 v9, v9, v60 :: v_dual_add_f32 v56, v56, v57
	s_delay_alu instid0(VALU_DEP_2) | instskip(SKIP_2) | instid1(VALU_DEP_1)
	s_or_b32 vcc_lo, s20, vcc_lo
	s_waitcnt_depctr 0xfff
	v_mul_f32_e32 v61, v60, v8
	v_mul_f32_e32 v62, v59, v61
	v_add_f32_e32 v5, v5, v9
	s_delay_alu instid0(VALU_DEP_2) | instskip(NEXT) | instid1(VALU_DEP_1)
	v_fma_f32 v57, v61, v59, -v62
	v_fmac_f32_e32 v57, v61, v56
	s_delay_alu instid0(VALU_DEP_1) | instskip(NEXT) | instid1(VALU_DEP_1)
	v_add_f32_e32 v63, v62, v57
	v_dual_sub_f32 v9, v63, v62 :: v_dual_sub_f32 v64, v60, v63
	s_delay_alu instid0(VALU_DEP_1) | instskip(NEXT) | instid1(VALU_DEP_1)
	v_dual_sub_f32 v9, v9, v57 :: v_dual_sub_f32 v60, v60, v64
	v_sub_f32_e32 v60, v60, v63
	s_delay_alu instid0(VALU_DEP_1) | instskip(NEXT) | instid1(VALU_DEP_1)
	v_add_f32_e32 v5, v5, v60
	v_add_f32_e32 v5, v9, v5
	s_delay_alu instid0(VALU_DEP_1) | instskip(NEXT) | instid1(VALU_DEP_1)
	v_add_f32_e32 v9, v64, v5
	v_mul_f32_e32 v57, v8, v9
	s_delay_alu instid0(VALU_DEP_1) | instskip(NEXT) | instid1(VALU_DEP_1)
	v_mul_f32_e32 v60, v59, v57
	v_fma_f32 v59, v57, v59, -v60
	s_delay_alu instid0(VALU_DEP_1) | instskip(NEXT) | instid1(VALU_DEP_1)
	v_fmac_f32_e32 v59, v57, v56
	v_add_f32_e32 v56, v60, v59
	s_delay_alu instid0(VALU_DEP_1) | instskip(NEXT) | instid1(VALU_DEP_1)
	v_dual_sub_f32 v62, v9, v56 :: v_dual_sub_f32 v63, v64, v9
	v_dual_sub_f32 v60, v56, v60 :: v_dual_sub_f32 v9, v9, v62
	s_delay_alu instid0(VALU_DEP_2) | instskip(NEXT) | instid1(VALU_DEP_2)
	v_add_f32_e32 v5, v5, v63
	v_dual_sub_f32 v9, v9, v56 :: v_dual_sub_f32 v56, v60, v59
	s_delay_alu instid0(VALU_DEP_1) | instskip(SKIP_1) | instid1(VALU_DEP_2)
	v_add_f32_e32 v5, v5, v9
	v_add_f32_e32 v9, v61, v57
	;; [unrolled: 1-line block ×3, first 2 shown]
	s_delay_alu instid0(VALU_DEP_2) | instskip(NEXT) | instid1(VALU_DEP_1)
	v_sub_f32_e32 v56, v9, v61
	v_dual_add_f32 v5, v62, v5 :: v_dual_sub_f32 v56, v57, v56
	s_delay_alu instid0(VALU_DEP_1) | instskip(NEXT) | instid1(VALU_DEP_1)
	v_mul_f32_e32 v5, v8, v5
	v_add_f32_e32 v5, v56, v5
	s_delay_alu instid0(VALU_DEP_1) | instskip(NEXT) | instid1(VALU_DEP_1)
	v_add_f32_e32 v8, v9, v5
	v_mul_f32_e32 v56, v8, v8
	s_delay_alu instid0(VALU_DEP_1) | instskip(SKIP_1) | instid1(VALU_DEP_2)
	v_fmaak_f32 v57, s67, v56, 0x3ecc95a3
	v_mul_f32_e32 v59, v8, v56
	v_fmaak_f32 v56, v56, v57, 0x3f2aaada
	v_ldexp_f32 v57, v8, 1
	v_sub_f32_e32 v8, v8, v9
	s_delay_alu instid0(VALU_DEP_1) | instskip(NEXT) | instid1(VALU_DEP_4)
	v_sub_f32_e32 v5, v5, v8
	v_mul_f32_e32 v56, v59, v56
	v_mul_f32_e32 v59, 0x3f317218, v4
	s_delay_alu instid0(VALU_DEP_3) | instskip(NEXT) | instid1(VALU_DEP_3)
	v_ldexp_f32 v5, v5, 1
	v_add_f32_e32 v9, v57, v56
	s_delay_alu instid0(VALU_DEP_1) | instskip(NEXT) | instid1(VALU_DEP_4)
	v_sub_f32_e32 v8, v9, v57
	v_fma_f32 v57, 0x3f317218, v4, -v59
	s_delay_alu instid0(VALU_DEP_2) | instskip(NEXT) | instid1(VALU_DEP_2)
	v_sub_f32_e32 v8, v56, v8
	v_fmac_f32_e32 v57, 0xb102e308, v4
	s_delay_alu instid0(VALU_DEP_1) | instskip(NEXT) | instid1(VALU_DEP_1)
	v_dual_add_f32 v4, v5, v8 :: v_dual_add_f32 v5, v59, v57
	v_add_f32_e32 v8, v9, v4
	s_delay_alu instid0(VALU_DEP_2) | instskip(NEXT) | instid1(VALU_DEP_2)
	v_sub_f32_e32 v59, v5, v59
	v_dual_add_f32 v56, v5, v8 :: v_dual_sub_f32 v9, v8, v9
	s_delay_alu instid0(VALU_DEP_1) | instskip(NEXT) | instid1(VALU_DEP_2)
	v_dual_sub_f32 v57, v57, v59 :: v_dual_sub_f32 v60, v56, v5
	v_sub_f32_e32 v4, v4, v9
	s_delay_alu instid0(VALU_DEP_2) | instskip(NEXT) | instid1(VALU_DEP_2)
	v_sub_f32_e32 v8, v8, v60
	v_add_f32_e32 v9, v57, v4
	v_sub_f32_e32 v61, v56, v60
	s_delay_alu instid0(VALU_DEP_1) | instskip(NEXT) | instid1(VALU_DEP_1)
	v_sub_f32_e32 v5, v5, v61
	v_add_f32_e32 v5, v8, v5
	s_delay_alu instid0(VALU_DEP_4) | instskip(NEXT) | instid1(VALU_DEP_2)
	v_sub_f32_e32 v8, v9, v57
	v_add_f32_e32 v5, v9, v5
	s_delay_alu instid0(VALU_DEP_2) | instskip(SKIP_1) | instid1(VALU_DEP_3)
	v_sub_f32_e32 v9, v9, v8
	v_sub_f32_e32 v4, v4, v8
	v_add_f32_e32 v59, v56, v5
	s_delay_alu instid0(VALU_DEP_1) | instskip(NEXT) | instid1(VALU_DEP_1)
	v_dual_sub_f32 v9, v57, v9 :: v_dual_sub_f32 v8, v59, v56
	v_dual_add_f32 v4, v4, v9 :: v_dual_sub_f32 v5, v5, v8
	s_delay_alu instid0(VALU_DEP_1) | instskip(NEXT) | instid1(VALU_DEP_1)
	v_add_f32_e32 v4, v4, v5
	v_add_f32_e32 v4, v59, v4
	s_delay_alu instid0(VALU_DEP_1)
	v_cndmask_b32_e32 v66, v4, v6, vcc_lo
.LBB45_54:                              ;   in Loop: Header=BB45_12 Depth=1
	s_or_b32 exec_lo, exec_lo, s21
	v_lshlrev_b32_e32 v4, 16, v7
	s_delay_alu instid0(VALU_DEP_1) | instskip(NEXT) | instid1(VALU_DEP_1)
	v_add_f32_e32 v67, s54, v4
	v_cmp_ge_f32_e32 vcc_lo, 0x41a00000, v67
	s_and_b32 s20, s63, vcc_lo
	s_delay_alu instid0(SALU_CYCLE_1)
	s_and_saveexec_b32 s21, s20
	s_cbranch_execz .LBB45_56
; %bb.55:                               ;   in Loop: Header=BB45_12 Depth=1
	v_mul_f32_e32 v4, 0x3fb8aa3b, v67
	v_cmp_ngt_f32_e32 vcc_lo, 0xc2ce8ed0, v67
	s_delay_alu instid0(VALU_DEP_2) | instskip(SKIP_1) | instid1(VALU_DEP_2)
	v_rndne_f32_e32 v5, v4
	v_fma_f32 v6, 0x3fb8aa3b, v67, -v4
	v_sub_f32_e32 v4, v4, v5
	s_delay_alu instid0(VALU_DEP_2) | instskip(SKIP_1) | instid1(VALU_DEP_2)
	v_fmac_f32_e32 v6, 0x32a5705f, v67
	v_cvt_i32_f32_e32 v5, v5
	v_add_f32_e32 v4, v4, v6
	s_delay_alu instid0(VALU_DEP_1) | instskip(SKIP_2) | instid1(VALU_DEP_1)
	v_exp_f32_e32 v4, v4
	s_waitcnt_depctr 0xfff
	v_ldexp_f32 v4, v4, v5
	v_cndmask_b32_e32 v4, 0, v4, vcc_lo
	v_cmp_nlt_f32_e32 vcc_lo, 0x42b17218, v67
	s_delay_alu instid0(VALU_DEP_2) | instskip(NEXT) | instid1(VALU_DEP_1)
	v_cndmask_b32_e32 v6, 0x7f800000, v4, vcc_lo
	v_add_f32_e32 v8, 1.0, v6
	s_delay_alu instid0(VALU_DEP_1) | instskip(NEXT) | instid1(VALU_DEP_1)
	v_cvt_f64_f32_e32 v[4:5], v8
	v_frexp_exp_i32_f64_e32 v4, v[4:5]
	v_frexp_mant_f32_e32 v5, v8
	s_delay_alu instid0(VALU_DEP_1) | instskip(SKIP_1) | instid1(VALU_DEP_1)
	v_cmp_gt_f32_e32 vcc_lo, 0x3f2aaaab, v5
	v_add_f32_e32 v5, -1.0, v8
	v_dual_sub_f32 v56, v5, v8 :: v_dual_sub_f32 v5, v6, v5
	s_delay_alu instid0(VALU_DEP_1) | instskip(NEXT) | instid1(VALU_DEP_1)
	v_add_f32_e32 v56, 1.0, v56
	v_add_f32_e32 v5, v5, v56
	v_subrev_co_ci_u32_e32 v4, vcc_lo, 0, v4, vcc_lo
	s_delay_alu instid0(VALU_DEP_1) | instskip(SKIP_1) | instid1(VALU_DEP_2)
	v_sub_nc_u32_e32 v9, 0, v4
	v_cvt_f32_i32_e32 v4, v4
	v_ldexp_f32 v8, v8, v9
	v_ldexp_f32 v5, v5, v9
	s_delay_alu instid0(VALU_DEP_2) | instskip(NEXT) | instid1(VALU_DEP_1)
	v_add_f32_e32 v57, 1.0, v8
	v_dual_add_f32 v9, -1.0, v8 :: v_dual_add_f32 v56, -1.0, v57
	s_delay_alu instid0(VALU_DEP_1) | instskip(NEXT) | instid1(VALU_DEP_1)
	v_dual_add_f32 v59, 1.0, v9 :: v_dual_sub_f32 v56, v8, v56
	v_sub_f32_e32 v8, v8, v59
	s_delay_alu instid0(VALU_DEP_2) | instskip(NEXT) | instid1(VALU_DEP_1)
	v_add_f32_e32 v56, v5, v56
	v_add_f32_e32 v59, v57, v56
	s_delay_alu instid0(VALU_DEP_3) | instskip(NEXT) | instid1(VALU_DEP_2)
	v_add_f32_e32 v5, v5, v8
	v_rcp_f32_e32 v8, v59
	s_delay_alu instid0(VALU_DEP_1) | instskip(SKIP_3) | instid1(VALU_DEP_3)
	v_add_f32_e32 v60, v9, v5
	v_sub_f32_e32 v57, v57, v59
	v_cmp_eq_f32_e32 vcc_lo, 0x7f800000, v6
	v_cmp_gt_f32_e64 s20, 0x33800000, v6
	v_dual_sub_f32 v9, v9, v60 :: v_dual_add_f32 v56, v56, v57
	s_delay_alu instid0(VALU_DEP_2) | instskip(SKIP_2) | instid1(VALU_DEP_1)
	s_or_b32 vcc_lo, s20, vcc_lo
	s_waitcnt_depctr 0xfff
	v_mul_f32_e32 v61, v60, v8
	v_mul_f32_e32 v62, v59, v61
	v_add_f32_e32 v5, v5, v9
	s_delay_alu instid0(VALU_DEP_2) | instskip(NEXT) | instid1(VALU_DEP_1)
	v_fma_f32 v57, v61, v59, -v62
	v_fmac_f32_e32 v57, v61, v56
	s_delay_alu instid0(VALU_DEP_1) | instskip(NEXT) | instid1(VALU_DEP_1)
	v_add_f32_e32 v63, v62, v57
	v_dual_sub_f32 v9, v63, v62 :: v_dual_sub_f32 v64, v60, v63
	s_delay_alu instid0(VALU_DEP_1) | instskip(NEXT) | instid1(VALU_DEP_1)
	v_dual_sub_f32 v9, v9, v57 :: v_dual_sub_f32 v60, v60, v64
	v_sub_f32_e32 v60, v60, v63
	s_delay_alu instid0(VALU_DEP_1) | instskip(NEXT) | instid1(VALU_DEP_1)
	v_add_f32_e32 v5, v5, v60
	v_add_f32_e32 v5, v9, v5
	s_delay_alu instid0(VALU_DEP_1) | instskip(NEXT) | instid1(VALU_DEP_1)
	v_add_f32_e32 v9, v64, v5
	v_mul_f32_e32 v57, v8, v9
	s_delay_alu instid0(VALU_DEP_1) | instskip(NEXT) | instid1(VALU_DEP_1)
	v_mul_f32_e32 v60, v59, v57
	v_fma_f32 v59, v57, v59, -v60
	s_delay_alu instid0(VALU_DEP_1) | instskip(NEXT) | instid1(VALU_DEP_1)
	v_fmac_f32_e32 v59, v57, v56
	v_add_f32_e32 v56, v60, v59
	s_delay_alu instid0(VALU_DEP_1) | instskip(NEXT) | instid1(VALU_DEP_1)
	v_dual_sub_f32 v62, v9, v56 :: v_dual_sub_f32 v63, v64, v9
	v_dual_sub_f32 v60, v56, v60 :: v_dual_sub_f32 v9, v9, v62
	s_delay_alu instid0(VALU_DEP_2) | instskip(NEXT) | instid1(VALU_DEP_2)
	v_add_f32_e32 v5, v5, v63
	v_dual_sub_f32 v9, v9, v56 :: v_dual_sub_f32 v56, v60, v59
	s_delay_alu instid0(VALU_DEP_1) | instskip(SKIP_1) | instid1(VALU_DEP_2)
	v_add_f32_e32 v5, v5, v9
	v_add_f32_e32 v9, v61, v57
	;; [unrolled: 1-line block ×3, first 2 shown]
	s_delay_alu instid0(VALU_DEP_2) | instskip(NEXT) | instid1(VALU_DEP_1)
	v_sub_f32_e32 v56, v9, v61
	v_dual_add_f32 v5, v62, v5 :: v_dual_sub_f32 v56, v57, v56
	s_delay_alu instid0(VALU_DEP_1) | instskip(NEXT) | instid1(VALU_DEP_1)
	v_mul_f32_e32 v5, v8, v5
	v_add_f32_e32 v5, v56, v5
	s_delay_alu instid0(VALU_DEP_1) | instskip(NEXT) | instid1(VALU_DEP_1)
	v_add_f32_e32 v8, v9, v5
	v_mul_f32_e32 v56, v8, v8
	s_delay_alu instid0(VALU_DEP_1) | instskip(SKIP_1) | instid1(VALU_DEP_2)
	v_fmaak_f32 v57, s67, v56, 0x3ecc95a3
	v_mul_f32_e32 v59, v8, v56
	v_fmaak_f32 v56, v56, v57, 0x3f2aaada
	v_ldexp_f32 v57, v8, 1
	v_sub_f32_e32 v8, v8, v9
	s_delay_alu instid0(VALU_DEP_1) | instskip(NEXT) | instid1(VALU_DEP_4)
	v_sub_f32_e32 v5, v5, v8
	v_mul_f32_e32 v56, v59, v56
	v_mul_f32_e32 v59, 0x3f317218, v4
	s_delay_alu instid0(VALU_DEP_3) | instskip(NEXT) | instid1(VALU_DEP_3)
	v_ldexp_f32 v5, v5, 1
	v_add_f32_e32 v9, v57, v56
	s_delay_alu instid0(VALU_DEP_1) | instskip(NEXT) | instid1(VALU_DEP_4)
	v_sub_f32_e32 v8, v9, v57
	v_fma_f32 v57, 0x3f317218, v4, -v59
	s_delay_alu instid0(VALU_DEP_2) | instskip(NEXT) | instid1(VALU_DEP_2)
	v_sub_f32_e32 v8, v56, v8
	v_fmac_f32_e32 v57, 0xb102e308, v4
	s_delay_alu instid0(VALU_DEP_1) | instskip(NEXT) | instid1(VALU_DEP_1)
	v_dual_add_f32 v4, v5, v8 :: v_dual_add_f32 v5, v59, v57
	v_add_f32_e32 v8, v9, v4
	s_delay_alu instid0(VALU_DEP_2) | instskip(NEXT) | instid1(VALU_DEP_2)
	v_sub_f32_e32 v59, v5, v59
	v_dual_add_f32 v56, v5, v8 :: v_dual_sub_f32 v9, v8, v9
	s_delay_alu instid0(VALU_DEP_1) | instskip(NEXT) | instid1(VALU_DEP_2)
	v_dual_sub_f32 v57, v57, v59 :: v_dual_sub_f32 v60, v56, v5
	v_sub_f32_e32 v4, v4, v9
	s_delay_alu instid0(VALU_DEP_2) | instskip(NEXT) | instid1(VALU_DEP_2)
	v_sub_f32_e32 v8, v8, v60
	v_add_f32_e32 v9, v57, v4
	v_sub_f32_e32 v61, v56, v60
	s_delay_alu instid0(VALU_DEP_1) | instskip(NEXT) | instid1(VALU_DEP_1)
	v_sub_f32_e32 v5, v5, v61
	v_add_f32_e32 v5, v8, v5
	s_delay_alu instid0(VALU_DEP_4) | instskip(NEXT) | instid1(VALU_DEP_1)
	v_sub_f32_e32 v8, v9, v57
	v_dual_add_f32 v5, v9, v5 :: v_dual_sub_f32 v4, v4, v8
	v_sub_f32_e32 v9, v9, v8
	s_delay_alu instid0(VALU_DEP_2) | instskip(NEXT) | instid1(VALU_DEP_1)
	v_add_f32_e32 v59, v56, v5
	v_dual_sub_f32 v9, v57, v9 :: v_dual_sub_f32 v8, v59, v56
	s_delay_alu instid0(VALU_DEP_1) | instskip(NEXT) | instid1(VALU_DEP_1)
	v_dual_add_f32 v4, v4, v9 :: v_dual_sub_f32 v5, v5, v8
	v_add_f32_e32 v4, v4, v5
	s_delay_alu instid0(VALU_DEP_1) | instskip(NEXT) | instid1(VALU_DEP_1)
	v_add_f32_e32 v4, v59, v4
	v_cndmask_b32_e32 v67, v4, v6, vcc_lo
.LBB45_56:                              ;   in Loop: Header=BB45_12 Depth=1
	s_or_b32 exec_lo, exec_lo, s21
	v_and_b32_e32 v4, 0xffff0000, v7
	s_delay_alu instid0(VALU_DEP_1) | instskip(NEXT) | instid1(VALU_DEP_1)
	v_add_f32_e32 v68, s54, v4
	v_cmp_ge_f32_e32 vcc_lo, 0x41a00000, v68
	s_and_b32 s20, s63, vcc_lo
	s_delay_alu instid0(SALU_CYCLE_1)
	s_and_saveexec_b32 s21, s20
	s_cbranch_execz .LBB45_58
; %bb.57:                               ;   in Loop: Header=BB45_12 Depth=1
	v_mul_f32_e32 v4, 0x3fb8aa3b, v68
	v_cmp_ngt_f32_e32 vcc_lo, 0xc2ce8ed0, v68
	s_delay_alu instid0(VALU_DEP_2) | instskip(SKIP_1) | instid1(VALU_DEP_2)
	v_rndne_f32_e32 v5, v4
	v_fma_f32 v6, 0x3fb8aa3b, v68, -v4
	v_sub_f32_e32 v4, v4, v5
	s_delay_alu instid0(VALU_DEP_2) | instskip(SKIP_1) | instid1(VALU_DEP_2)
	v_fmac_f32_e32 v6, 0x32a5705f, v68
	v_cvt_i32_f32_e32 v5, v5
	v_add_f32_e32 v4, v4, v6
	s_delay_alu instid0(VALU_DEP_1) | instskip(SKIP_2) | instid1(VALU_DEP_1)
	v_exp_f32_e32 v4, v4
	s_waitcnt_depctr 0xfff
	v_ldexp_f32 v4, v4, v5
	v_cndmask_b32_e32 v4, 0, v4, vcc_lo
	v_cmp_nlt_f32_e32 vcc_lo, 0x42b17218, v68
	s_delay_alu instid0(VALU_DEP_2) | instskip(NEXT) | instid1(VALU_DEP_1)
	v_cndmask_b32_e32 v6, 0x7f800000, v4, vcc_lo
	v_add_f32_e32 v7, 1.0, v6
	s_delay_alu instid0(VALU_DEP_1) | instskip(NEXT) | instid1(VALU_DEP_1)
	v_cvt_f64_f32_e32 v[4:5], v7
	v_frexp_exp_i32_f64_e32 v4, v[4:5]
	v_frexp_mant_f32_e32 v5, v7
	s_delay_alu instid0(VALU_DEP_1) | instskip(SKIP_1) | instid1(VALU_DEP_1)
	v_cmp_gt_f32_e32 vcc_lo, 0x3f2aaaab, v5
	v_add_f32_e32 v5, -1.0, v7
	v_sub_f32_e32 v9, v5, v7
	v_sub_f32_e32 v5, v6, v5
	s_delay_alu instid0(VALU_DEP_2) | instskip(NEXT) | instid1(VALU_DEP_1)
	v_add_f32_e32 v9, 1.0, v9
	v_add_f32_e32 v5, v5, v9
	v_cmp_gt_f32_e64 s20, 0x33800000, v6
	v_subrev_co_ci_u32_e32 v4, vcc_lo, 0, v4, vcc_lo
	v_cmp_eq_f32_e32 vcc_lo, 0x7f800000, v6
	s_delay_alu instid0(VALU_DEP_2) | instskip(SKIP_2) | instid1(VALU_DEP_2)
	v_sub_nc_u32_e32 v8, 0, v4
	v_cvt_f32_i32_e32 v4, v4
	s_or_b32 vcc_lo, s20, vcc_lo
	v_ldexp_f32 v7, v7, v8
	v_ldexp_f32 v5, v5, v8
	s_delay_alu instid0(VALU_DEP_2) | instskip(NEXT) | instid1(VALU_DEP_1)
	v_add_f32_e32 v56, 1.0, v7
	v_dual_add_f32 v8, -1.0, v7 :: v_dual_add_f32 v9, -1.0, v56
	s_delay_alu instid0(VALU_DEP_1) | instskip(NEXT) | instid1(VALU_DEP_2)
	v_add_f32_e32 v57, 1.0, v8
	v_sub_f32_e32 v9, v7, v9
	s_delay_alu instid0(VALU_DEP_2) | instskip(NEXT) | instid1(VALU_DEP_2)
	v_sub_f32_e32 v7, v7, v57
	v_add_f32_e32 v9, v5, v9
	s_delay_alu instid0(VALU_DEP_2) | instskip(NEXT) | instid1(VALU_DEP_1)
	v_add_f32_e32 v5, v5, v7
	v_add_f32_e32 v59, v8, v5
	s_delay_alu instid0(VALU_DEP_1) | instskip(NEXT) | instid1(VALU_DEP_4)
	v_sub_f32_e32 v8, v8, v59
	v_add_f32_e32 v57, v56, v9
	s_delay_alu instid0(VALU_DEP_1) | instskip(NEXT) | instid1(VALU_DEP_2)
	v_rcp_f32_e32 v7, v57
	v_dual_sub_f32 v56, v56, v57 :: v_dual_add_f32 v5, v5, v8
	s_waitcnt_depctr 0xfff
	v_dual_add_f32 v9, v9, v56 :: v_dual_mul_f32 v60, v59, v7
	s_delay_alu instid0(VALU_DEP_1) | instskip(NEXT) | instid1(VALU_DEP_1)
	v_mul_f32_e32 v61, v57, v60
	v_fma_f32 v56, v60, v57, -v61
	s_delay_alu instid0(VALU_DEP_1) | instskip(NEXT) | instid1(VALU_DEP_1)
	v_fmac_f32_e32 v56, v60, v9
	v_add_f32_e32 v62, v61, v56
	s_delay_alu instid0(VALU_DEP_1) | instskip(NEXT) | instid1(VALU_DEP_1)
	v_dual_sub_f32 v8, v62, v61 :: v_dual_sub_f32 v63, v59, v62
	v_dual_sub_f32 v8, v8, v56 :: v_dual_sub_f32 v59, v59, v63
	s_delay_alu instid0(VALU_DEP_1) | instskip(NEXT) | instid1(VALU_DEP_1)
	v_sub_f32_e32 v59, v59, v62
	v_add_f32_e32 v5, v5, v59
	s_delay_alu instid0(VALU_DEP_1) | instskip(NEXT) | instid1(VALU_DEP_1)
	v_add_f32_e32 v5, v8, v5
	v_add_f32_e32 v8, v63, v5
	s_delay_alu instid0(VALU_DEP_1) | instskip(NEXT) | instid1(VALU_DEP_1)
	v_mul_f32_e32 v56, v7, v8
	v_mul_f32_e32 v59, v57, v56
	v_sub_f32_e32 v62, v63, v8
	s_delay_alu instid0(VALU_DEP_2) | instskip(NEXT) | instid1(VALU_DEP_2)
	v_fma_f32 v57, v56, v57, -v59
	v_add_f32_e32 v5, v5, v62
	s_delay_alu instid0(VALU_DEP_2) | instskip(NEXT) | instid1(VALU_DEP_1)
	v_fmac_f32_e32 v57, v56, v9
	v_add_f32_e32 v9, v59, v57
	s_delay_alu instid0(VALU_DEP_1) | instskip(NEXT) | instid1(VALU_DEP_1)
	v_sub_f32_e32 v61, v8, v9
	v_dual_sub_f32 v59, v9, v59 :: v_dual_sub_f32 v8, v8, v61
	s_delay_alu instid0(VALU_DEP_1) | instskip(NEXT) | instid1(VALU_DEP_2)
	v_sub_f32_e32 v8, v8, v9
	v_sub_f32_e32 v9, v59, v57
	s_delay_alu instid0(VALU_DEP_2) | instskip(NEXT) | instid1(VALU_DEP_1)
	v_add_f32_e32 v5, v5, v8
	v_dual_add_f32 v8, v60, v56 :: v_dual_add_f32 v5, v9, v5
	s_delay_alu instid0(VALU_DEP_1) | instskip(NEXT) | instid1(VALU_DEP_2)
	v_sub_f32_e32 v9, v8, v60
	v_add_f32_e32 v5, v61, v5
	s_delay_alu instid0(VALU_DEP_2) | instskip(NEXT) | instid1(VALU_DEP_2)
	v_sub_f32_e32 v9, v56, v9
	v_mul_f32_e32 v5, v7, v5
	s_delay_alu instid0(VALU_DEP_1) | instskip(NEXT) | instid1(VALU_DEP_1)
	v_add_f32_e32 v5, v9, v5
	v_add_f32_e32 v7, v8, v5
	s_delay_alu instid0(VALU_DEP_1) | instskip(NEXT) | instid1(VALU_DEP_1)
	v_mul_f32_e32 v9, v7, v7
	v_fmaak_f32 v56, s67, v9, 0x3ecc95a3
	v_mul_f32_e32 v57, v7, v9
	s_delay_alu instid0(VALU_DEP_2) | instskip(SKIP_2) | instid1(VALU_DEP_3)
	v_fmaak_f32 v9, v9, v56, 0x3f2aaada
	v_ldexp_f32 v56, v7, 1
	v_sub_f32_e32 v7, v7, v8
	v_mul_f32_e32 v9, v57, v9
	v_mul_f32_e32 v57, 0x3f317218, v4
	s_delay_alu instid0(VALU_DEP_2) | instskip(NEXT) | instid1(VALU_DEP_1)
	v_dual_sub_f32 v5, v5, v7 :: v_dual_add_f32 v8, v56, v9
	v_ldexp_f32 v5, v5, 1
	s_delay_alu instid0(VALU_DEP_2) | instskip(NEXT) | instid1(VALU_DEP_4)
	v_sub_f32_e32 v7, v8, v56
	v_fma_f32 v56, 0x3f317218, v4, -v57
	s_delay_alu instid0(VALU_DEP_1) | instskip(NEXT) | instid1(VALU_DEP_1)
	v_dual_sub_f32 v7, v9, v7 :: v_dual_fmac_f32 v56, 0xb102e308, v4
	v_add_f32_e32 v4, v5, v7
	s_delay_alu instid0(VALU_DEP_2) | instskip(NEXT) | instid1(VALU_DEP_2)
	v_add_f32_e32 v5, v57, v56
	v_add_f32_e32 v7, v8, v4
	s_delay_alu instid0(VALU_DEP_2) | instskip(NEXT) | instid1(VALU_DEP_2)
	v_sub_f32_e32 v57, v5, v57
	v_dual_add_f32 v9, v5, v7 :: v_dual_sub_f32 v8, v7, v8
	s_delay_alu instid0(VALU_DEP_2) | instskip(NEXT) | instid1(VALU_DEP_2)
	v_sub_f32_e32 v56, v56, v57
	v_dual_sub_f32 v59, v9, v5 :: v_dual_sub_f32 v4, v4, v8
	s_delay_alu instid0(VALU_DEP_1) | instskip(NEXT) | instid1(VALU_DEP_2)
	v_sub_f32_e32 v60, v9, v59
	v_dual_sub_f32 v7, v7, v59 :: v_dual_add_f32 v8, v56, v4
	s_delay_alu instid0(VALU_DEP_2) | instskip(NEXT) | instid1(VALU_DEP_1)
	v_sub_f32_e32 v5, v5, v60
	v_add_f32_e32 v5, v7, v5
	s_delay_alu instid0(VALU_DEP_3) | instskip(NEXT) | instid1(VALU_DEP_2)
	v_sub_f32_e32 v7, v8, v56
	v_add_f32_e32 v5, v8, v5
	s_delay_alu instid0(VALU_DEP_2) | instskip(NEXT) | instid1(VALU_DEP_2)
	v_sub_f32_e32 v8, v8, v7
	v_dual_sub_f32 v4, v4, v7 :: v_dual_add_f32 v57, v9, v5
	s_delay_alu instid0(VALU_DEP_1) | instskip(NEXT) | instid1(VALU_DEP_1)
	v_dual_sub_f32 v8, v56, v8 :: v_dual_sub_f32 v7, v57, v9
	v_dual_add_f32 v4, v4, v8 :: v_dual_sub_f32 v5, v5, v7
	s_delay_alu instid0(VALU_DEP_1) | instskip(NEXT) | instid1(VALU_DEP_1)
	v_add_f32_e32 v4, v4, v5
	v_add_f32_e32 v4, v57, v4
	s_delay_alu instid0(VALU_DEP_1)
	v_cndmask_b32_e32 v68, v4, v6, vcc_lo
.LBB45_58:                              ;   in Loop: Header=BB45_12 Depth=1
	s_or_b32 exec_lo, exec_lo, s21
	v_and_b32_e32 v6, 0xffff0000, v0
	v_and_b32_e32 v5, 0xffff0000, v2
	v_lshlrev_b32_e32 v4, 16, v3
	v_and_b32_e32 v7, 0xffff0000, v3
	v_lshlrev_b32_e32 v0, 16, v0
	v_dual_mul_f32 v64, s55, v6 :: v_dual_and_b32 v3, 0xffff0000, v1
	s_delay_alu instid0(VALU_DEP_3) | instskip(SKIP_1) | instid1(VALU_DEP_3)
	v_dual_mul_f32 v57, s55, v5 :: v_dual_mul_f32 v60, s55, v7
	v_dual_mul_f32 v56, s55, v4 :: v_dual_lshlrev_b32 v1, 16, v1
	v_mul_f32_e32 v62, s55, v3
	v_dual_mul_f32 v63, s55, v0 :: v_dual_lshlrev_b32 v2, 16, v2
	s_delay_alu instid0(VALU_DEP_3) | instskip(SKIP_1) | instid1(VALU_DEP_2)
	v_mul_f32_e32 v61, s55, v1
	s_and_b32 vcc_lo, exec_lo, s64
	v_mul_f32_e32 v59, s55, v2
	s_barrier
	buffer_gl0_inv
	s_cbranch_vccz .LBB45_122
; %bb.59:                               ;   in Loop: Header=BB45_12 Depth=1
	v_dual_mul_f32 v69, v68, v7 :: v_dual_mul_f32 v74, v67, v4
	v_add_co_u32 v7, s20, s46, v51
	s_delay_alu instid0(VALU_DEP_1) | instskip(SKIP_1) | instid1(VALU_DEP_1)
	v_add_co_ci_u32_e64 v8, null, s49, 0, s20
	v_add_co_u32 v9, s20, s50, v51
	v_add_co_ci_u32_e64 v73, null, s59, 0, s20
	s_delay_alu instid0(VALU_DEP_4) | instskip(NEXT) | instid1(VALU_DEP_4)
	v_add_co_u32 v70, vcc_lo, v7, v52
	v_add_co_ci_u32_e32 v71, vcc_lo, 0, v8, vcc_lo
	s_delay_alu instid0(VALU_DEP_4) | instskip(NEXT) | instid1(VALU_DEP_4)
	v_add_co_u32 v72, vcc_lo, v9, v52
	v_add_co_ci_u32_e32 v73, vcc_lo, 0, v73, vcc_lo
	v_cmp_gt_u32_e32 vcc_lo, s23, v10
	s_cmp_lg_u32 s69, 0
	v_cmp_gt_u32_e64 s21, s23, v44
	s_cselect_b32 s31, -1, 0
	s_cmp_eq_u32 s69, s66
	v_cmp_gt_u32_e64 s22, s23, v45
	s_cselect_b32 s70, -1, 0
	s_or_b32 s20, s65, vcc_lo
	v_cmp_gt_u32_e32 vcc_lo, s23, v46
	v_cmp_gt_u32_e64 s24, s23, v47
	v_cmp_gt_u32_e64 s25, s23, v48
	;; [unrolled: 1-line block ×4, first 2 shown]
	v_dual_mul_f32 v75, v66, v5 :: v_dual_mul_f32 v76, v65, v2
	v_dual_mul_f32 v77, v58, v3 :: v_dual_mul_f32 v78, v55, v1
	;; [unrolled: 1-line block ×3, first 2 shown]
	s_mov_b32 s52, 0
	s_or_b32 s21, s65, s21
	s_or_b32 s22, s65, s22
	s_or_b32 s23, s65, vcc_lo
	s_or_b32 s24, s65, s24
	s_or_b32 s25, s65, s25
	;; [unrolled: 1-line block ×4, first 2 shown]
	s_mov_b32 s38, s52
	s_mov_b32 s40, s52
	s_mov_b32 s42, s52
	s_mov_b32 s71, s35
	s_mov_b32 s72, s68
	s_branch .LBB45_61
.LBB45_60:                              ;   in Loop: Header=BB45_61 Depth=2
	s_or_b32 exec_lo, exec_lo, s28
	v_cndmask_b32_e64 v5, v98, v7, s11
	v_cndmask_b32_e64 v6, v97, v6, s11
	s_add_i32 s71, s71, -1
	s_add_i32 s72, s72, 8
	s_add_i32 s42, s42, s37
	v_fma_f32 v5, v5, v86, v84
	v_mul_f32_e32 v6, v6, v86
	s_add_i32 s40, s40, s36
	s_add_i32 s38, s38, s48
	;; [unrolled: 1-line block ×3, first 2 shown]
	v_cndmask_b32_e64 v5, v5, v84, s10
	v_cndmask_b32_e64 v6, v6, v86, s10
	s_cmp_eq_u32 s71, 0
	s_waitcnt lgkmcnt(0)
	s_delay_alu instid0(VALU_DEP_1) | instskip(NEXT) | instid1(VALU_DEP_1)
	v_dual_fmac_f32 v5, v4, v6 :: v_dual_and_b32 v4, 0xffff0000, v0
	v_fmac_f32_e32 v81, v5, v87
	s_delay_alu instid0(VALU_DEP_1) | instskip(SKIP_1) | instid1(VALU_DEP_1)
	v_dual_fmac_f32 v64, v81, v4 :: v_dual_and_b32 v7, 0xffff0000, v2
	v_fmac_f32_e32 v82, v81, v89
	v_dual_fmac_f32 v83, v82, v90 :: v_dual_and_b32 v6, 0xffff0000, v1
	s_delay_alu instid0(VALU_DEP_1) | instskip(NEXT) | instid1(VALU_DEP_2)
	v_fmac_f32_e32 v85, v83, v92
	v_dual_fmac_f32 v62, v83, v6 :: v_dual_lshlrev_b32 v1, 16, v1
	s_delay_alu instid0(VALU_DEP_2) | instskip(SKIP_1) | instid1(VALU_DEP_3)
	v_fmac_f32_e32 v88, v85, v96
	v_lshlrev_b32_e32 v0, 16, v0
	v_dual_fmac_f32 v61, v82, v1 :: v_dual_and_b32 v8, 0xffff0000, v3
	v_lshlrev_b32_e32 v3, 16, v3
	s_delay_alu instid0(VALU_DEP_4) | instskip(NEXT) | instid1(VALU_DEP_4)
	v_fmac_f32_e32 v91, v88, v94
	v_dual_fmac_f32 v63, v5, v0 :: v_dual_lshlrev_b32 v2, 16, v2
	s_delay_alu instid0(VALU_DEP_2) | instskip(NEXT) | instid1(VALU_DEP_2)
	v_fmac_f32_e32 v93, v91, v95
	v_dual_fmac_f32 v59, v85, v2 :: v_dual_fmac_f32 v56, v91, v3
	s_delay_alu instid0(VALU_DEP_2)
	v_dual_fmac_f32 v57, v88, v7 :: v_dual_fmac_f32 v60, v93, v8
	s_cbranch_scc1 .LBB45_122
.LBB45_61:                              ;   Parent Loop BB45_12 Depth=1
                                        ; =>  This Inner Loop Header: Depth=2
	s_lshl_b64 s[28:29], s[52:53], 2
	s_mov_b32 s39, s53
	s_add_u32 s28, s57, s28
	s_addc_u32 s29, s58, s29
	v_dual_mov_b32 v2, 0 :: v_dual_mov_b32 v3, 0
	global_load_b32 v81, v13, s[28:29]
	s_lshl_b64 s[28:29], s[38:39], 1
	s_delay_alu instid0(SALU_CYCLE_1)
	v_add_co_u32 v0, vcc_lo, v70, s28
	v_add_co_ci_u32_e32 v1, vcc_lo, s29, v71, vcc_lo
	s_and_saveexec_b32 s28, s12
	s_cbranch_execz .LBB45_63
; %bb.62:                               ;   in Loop: Header=BB45_61 Depth=2
	global_load_u16 v3, v[0:1], off
.LBB45_63:                              ;   in Loop: Header=BB45_61 Depth=2
	s_or_b32 exec_lo, exec_lo, s28
	s_and_saveexec_b32 s28, s13
	s_cbranch_execz .LBB45_65
; %bb.64:                               ;   in Loop: Header=BB45_61 Depth=2
	global_load_u16 v2, v[0:1], off offset:64
.LBB45_65:                              ;   in Loop: Header=BB45_61 Depth=2
	s_or_b32 exec_lo, exec_lo, s28
	v_dual_mov_b32 v4, 0 :: v_dual_mov_b32 v5, 0
	s_and_saveexec_b32 s28, s14
	s_cbranch_execz .LBB45_67
; %bb.66:                               ;   in Loop: Header=BB45_61 Depth=2
	global_load_u16 v5, v[0:1], off offset:128
.LBB45_67:                              ;   in Loop: Header=BB45_61 Depth=2
	s_or_b32 exec_lo, exec_lo, s28
	s_and_saveexec_b32 s28, s15
	s_cbranch_execz .LBB45_69
; %bb.68:                               ;   in Loop: Header=BB45_61 Depth=2
	global_load_u16 v4, v[0:1], off offset:192
.LBB45_69:                              ;   in Loop: Header=BB45_61 Depth=2
	s_or_b32 exec_lo, exec_lo, s28
	v_dual_mov_b32 v6, 0 :: v_dual_mov_b32 v7, 0
	s_and_saveexec_b32 s28, s16
	s_cbranch_execz .LBB45_71
; %bb.70:                               ;   in Loop: Header=BB45_61 Depth=2
	global_load_u16 v7, v[0:1], off offset:256
.LBB45_71:                              ;   in Loop: Header=BB45_61 Depth=2
	;; [unrolled: 13-line block ×3, first 2 shown]
	s_or_b32 exec_lo, exec_lo, s28
	s_and_saveexec_b32 s28, s19
	s_cbranch_execz .LBB45_77
; %bb.76:                               ;   in Loop: Header=BB45_61 Depth=2
	global_load_u16 v8, v[0:1], off offset:448
.LBB45_77:                              ;   in Loop: Header=BB45_61 Depth=2
	s_or_b32 exec_lo, exec_lo, s28
	s_waitcnt vmcnt(0)
	ds_store_b16 v20, v3
	ds_store_b16 v20, v2 offset:64
	ds_store_b16 v21, v5 offset:128
	;; [unrolled: 1-line block ×7, first 2 shown]
	; wave barrier
	ds_load_b128 v[4:7], v27
	s_mov_b32 s41, s53
	v_dual_mov_b32 v2, 0 :: v_dual_mov_b32 v3, 0
	s_lshl_b64 s[28:29], s[40:41], 1
	s_delay_alu instid0(SALU_CYCLE_1)
	v_add_co_u32 v0, vcc_lo, v72, s28
	v_add_co_ci_u32_e32 v1, vcc_lo, s29, v73, vcc_lo
	s_and_saveexec_b32 s28, s12
	s_cbranch_execz .LBB45_79
; %bb.78:                               ;   in Loop: Header=BB45_61 Depth=2
	global_load_u16 v3, v[0:1], off
.LBB45_79:                              ;   in Loop: Header=BB45_61 Depth=2
	s_or_b32 exec_lo, exec_lo, s28
	s_and_saveexec_b32 s28, s13
	s_cbranch_execz .LBB45_81
; %bb.80:                               ;   in Loop: Header=BB45_61 Depth=2
	global_load_u16 v2, v[0:1], off offset:64
.LBB45_81:                              ;   in Loop: Header=BB45_61 Depth=2
	s_or_b32 exec_lo, exec_lo, s28
	v_dual_mov_b32 v8, 0 :: v_dual_mov_b32 v9, 0
	s_and_saveexec_b32 s28, s14
	s_cbranch_execz .LBB45_83
; %bb.82:                               ;   in Loop: Header=BB45_61 Depth=2
	global_load_u16 v9, v[0:1], off offset:128
.LBB45_83:                              ;   in Loop: Header=BB45_61 Depth=2
	s_or_b32 exec_lo, exec_lo, s28
	s_and_saveexec_b32 s28, s15
	s_cbranch_execz .LBB45_85
; %bb.84:                               ;   in Loop: Header=BB45_61 Depth=2
	global_load_u16 v8, v[0:1], off offset:192
.LBB45_85:                              ;   in Loop: Header=BB45_61 Depth=2
	s_or_b32 exec_lo, exec_lo, s28
	v_dual_mov_b32 v82, 0 :: v_dual_mov_b32 v83, 0
	s_and_saveexec_b32 s28, s16
	s_cbranch_execz .LBB45_87
; %bb.86:                               ;   in Loop: Header=BB45_61 Depth=2
	global_load_u16 v83, v[0:1], off offset:256
.LBB45_87:                              ;   in Loop: Header=BB45_61 Depth=2
	;; [unrolled: 13-line block ×3, first 2 shown]
	s_or_b32 exec_lo, exec_lo, s28
	s_and_saveexec_b32 s28, s19
	s_cbranch_execz .LBB45_93
; %bb.92:                               ;   in Loop: Header=BB45_61 Depth=2
	global_load_u16 v84, v[0:1], off offset:448
.LBB45_93:                              ;   in Loop: Header=BB45_61 Depth=2
	s_or_b32 exec_lo, exec_lo, s28
	s_waitcnt vmcnt(0)
	ds_store_b16 v20, v3 offset:1056
	ds_store_b16 v28, v2 offset:64
	ds_store_b16 v29, v9 offset:128
	ds_store_b16 v30, v8 offset:192
	ds_store_b16 v31, v83 offset:256
	ds_store_b16 v32, v82 offset:320
	ds_store_b16 v33, v85 offset:384
	ds_store_b16 v34, v84 offset:448
	; wave barrier
	ds_load_b128 v[0:3], v27 offset:1056
	s_and_not1_b32 vcc_lo, exec_lo, s31
	s_cbranch_vccnz .LBB45_95
; %bb.94:                               ;   in Loop: Header=BB45_61 Depth=2
	v_mov_b32_e32 v8, s72
	ds_load_b64 v[8:9], v8
	s_cbranch_execz .LBB45_96
	s_branch .LBB45_99
.LBB45_95:                              ;   in Loop: Header=BB45_61 Depth=2
                                        ; implicit-def: $vgpr8
.LBB45_96:                              ;   in Loop: Header=BB45_61 Depth=2
	s_waitcnt lgkmcnt(0)
	v_mov_b32_e32 v9, 0
	s_and_not1_b32 vcc_lo, exec_lo, s33
	s_cbranch_vccnz .LBB45_98
; %bb.97:                               ;   in Loop: Header=BB45_61 Depth=2
	s_mov_b32 s43, s53
	s_delay_alu instid0(SALU_CYCLE_1) | instskip(NEXT) | instid1(SALU_CYCLE_1)
	s_lshl_b64 s[28:29], s[42:43], 2
	s_add_u32 s28, s60, s28
	s_addc_u32 s29, s61, s29
	global_load_b32 v9, v13, s[28:29]
.LBB45_98:                              ;   in Loop: Header=BB45_61 Depth=2
	v_mov_b32_e32 v8, 1.0
.LBB45_99:                              ;   in Loop: Header=BB45_61 Depth=2
	v_mul_f32_e32 v91, 0x3fb8aa3b, v81
	s_waitcnt lgkmcnt(9)
	v_lshlrev_b32_e32 v81, 16, v4
	v_and_b32_e32 v4, 0xffff0000, v4
	s_delay_alu instid0(VALU_DEP_1) | instskip(SKIP_1) | instid1(VALU_DEP_4)
	v_mul_f32_e32 v4, v79, v4
	v_mul_f32_e32 v82, v91, v53
	;; [unrolled: 1-line block ×3, first 2 shown]
	v_dual_mul_f32 v84, v91, v54 :: v_dual_lshlrev_b32 v83, 16, v5
	v_mul_f32_e32 v86, v91, v55
	s_delay_alu instid0(VALU_DEP_4) | instskip(SKIP_1) | instid1(VALU_DEP_4)
	v_cmp_gt_f32_e32 vcc_lo, 0xc2fc0000, v82
	v_dual_mul_f32 v88, v91, v58 :: v_dual_lshlrev_b32 v93, 16, v7
	v_cmp_gt_f32_e64 s28, 0xc2fc0000, v84
	s_delay_alu instid0(VALU_DEP_4)
	v_cmp_gt_f32_e64 s29, 0xc2fc0000, v86
	v_cndmask_b32_e64 v82, 0, 0x42800000, vcc_lo
	v_lshlrev_b32_e32 v85, 16, v6
	v_cndmask_b32_e64 v89, 1.0, 0x1f800000, vcc_lo
	v_cndmask_b32_e64 v84, 0, 0x42800000, s28
	v_and_b32_e32 v5, 0xffff0000, v5
	v_fmac_f32_e32 v82, v91, v53
	v_cndmask_b32_e64 v86, 0, 0x42800000, s29
	v_cndmask_b32_e64 v90, 1.0, 0x1f800000, s28
	v_fmac_f32_e32 v84, v91, v54
	v_cmp_gt_f32_e32 vcc_lo, 0xc2fc0000, v88
	v_exp_f32_e32 v82, v82
	v_and_b32_e32 v7, 0xffff0000, v7
	v_dual_fmac_f32 v86, v91, v55 :: v_dual_mul_f32 v5, v77, v5
	v_exp_f32_e32 v87, v84
	v_cndmask_b32_e64 v84, 0, v81, s20
	v_cndmask_b32_e64 v81, 0, v4, s21
	v_cndmask_b32_e64 v88, 0, 0x42800000, vcc_lo
	v_dual_mul_f32 v83, v78, v83 :: v_dual_and_b32 v6, 0xffff0000, v6
	s_delay_alu instid0(TRANS32_DEP_2) | instskip(SKIP_1) | instid1(VALU_DEP_3)
	v_mul_f32_e32 v4, v82, v89
	v_exp_f32_e32 v89, v86
	v_dual_fmac_f32 v88, v91, v58 :: v_dual_mul_f32 v93, v74, v93
	s_delay_alu instid0(TRANS32_DEP_2) | instskip(NEXT) | instid1(VALU_DEP_3)
	v_dual_mul_f32 v82, v87, v90 :: v_dual_mul_f32 v85, v76, v85
	v_cndmask_b32_e64 v86, 1.0, v4, s20
	v_dual_mul_f32 v4, v91, v65 :: v_dual_mul_f32 v7, v69, v7
	s_delay_alu instid0(VALU_DEP_3) | instskip(SKIP_2) | instid1(VALU_DEP_4)
	v_cndmask_b32_e64 v87, 1.0, v82, s21
	v_cndmask_b32_e64 v82, 1.0, 0x1f800000, s29
	v_mul_f32_e32 v90, v91, v66
	v_cmp_gt_f32_e64 s28, 0xc2fc0000, v4
	v_exp_f32_e32 v88, v88
	v_mul_f32_e32 v95, v91, v68
	v_mul_f32_e32 v89, v89, v82
	v_cndmask_b32_e64 v82, 0, v83, s22
	v_cndmask_b32_e64 v4, 0, 0x42800000, s28
	v_cndmask_b32_e64 v83, 1.0, 0x1f800000, vcc_lo
	v_cmp_gt_f32_e32 vcc_lo, 0xc2fc0000, v90
	v_mul_f32_e32 v6, v75, v6
	v_cndmask_b32_e64 v89, 1.0, v89, s22
	v_fmac_f32_e32 v4, v91, v65
	v_mul_f32_e32 v88, v88, v83
	v_cndmask_b32_e64 v92, 0, 0x42800000, vcc_lo
	v_cndmask_b32_e64 v83, 0, v5, s23
	v_cndmask_b32_e64 v5, 1.0, 0x1f800000, s28
	v_exp_f32_e32 v4, v4
	v_cndmask_b32_e64 v90, 1.0, v88, s23
	v_fmac_f32_e32 v92, v91, v66
	v_cmp_gt_f32_e64 s28, 0xc2fc0000, v95
	v_fma_f32 v95, v87, v84, v81
	v_cndmask_b32_e64 v85, 0, v85, s24
	s_delay_alu instid0(VALU_DEP_4) | instskip(SKIP_1) | instid1(TRANS32_DEP_2)
	v_exp_f32_e32 v88, v92
	v_mul_f32_e32 v92, v91, v67
	v_mul_f32_e32 v4, v4, v5
	v_cndmask_b32_e64 v5, 1.0, 0x1f800000, vcc_lo
	s_delay_alu instid0(VALU_DEP_3) | instskip(NEXT) | instid1(VALU_DEP_3)
	v_cmp_gt_f32_e32 vcc_lo, 0xc2fc0000, v92
	v_cndmask_b32_e64 v92, 1.0, v4, s24
	s_waitcnt_depctr 0xfff
	v_mul_f32_e32 v4, v88, v5
	v_cndmask_b32_e64 v94, 0, 0x42800000, vcc_lo
	v_cndmask_b32_e64 v88, 0, v6, s25
	v_cndmask_b32_e64 v5, 0, 0x42800000, s28
	v_mul_f32_e32 v6, v87, v86
	v_cndmask_b32_e64 v96, 1.0, v4, s25
	v_fmac_f32_e32 v94, v91, v67
	s_delay_alu instid0(VALU_DEP_3) | instskip(SKIP_1) | instid1(VALU_DEP_3)
	v_dual_fmac_f32 v5, v91, v68 :: v_dual_mul_f32 v4, v6, v89
	v_fma_f32 v6, v95, v89, v82
	v_exp_f32_e32 v94, v94
	v_cndmask_b32_e64 v91, 1.0, 0x1f800000, vcc_lo
	s_delay_alu instid0(VALU_DEP_3) | instskip(SKIP_2) | instid1(VALU_DEP_2)
	v_exp_f32_e32 v5, v5
	v_mul_f32_e32 v4, v4, v90
	v_fma_f32 v6, v6, v90, v83
	v_mul_f32_e32 v4, v4, v92
	s_delay_alu instid0(VALU_DEP_2) | instskip(NEXT) | instid1(TRANS32_DEP_2)
	v_fma_f32 v6, v6, v92, v85
	v_mul_f32_e32 v94, v94, v91
	v_cndmask_b32_e64 v91, 0, v93, s26
	v_cndmask_b32_e64 v93, 1.0, 0x1f800000, s28
	v_mul_f32_e32 v4, v4, v96
	v_fma_f32 v6, v6, v96, v88
	v_cndmask_b32_e64 v94, 1.0, v94, s26
	s_delay_alu instid0(VALU_DEP_4) | instskip(SKIP_1) | instid1(VALU_DEP_3)
	v_mul_f32_e32 v5, v5, v93
	v_cndmask_b32_e64 v93, 0, v7, s27
	v_mul_f32_e32 v4, v4, v94
	s_delay_alu instid0(VALU_DEP_3) | instskip(SKIP_1) | instid1(VALU_DEP_2)
	v_cndmask_b32_e64 v95, 1.0, v5, s27
	v_fma_f32 v5, v6, v94, v91
	v_mul_f32_e32 v4, v4, v95
	s_delay_alu instid0(VALU_DEP_2) | instskip(NEXT) | instid1(VALU_DEP_2)
	v_fma_f32 v5, v5, v95, v93
	v_mov_b32_dpp v7, v4 row_shr:1 row_mask:0xf bank_mask:0xf
	s_delay_alu instid0(VALU_DEP_2)
	v_mov_b32_dpp v6, v5 row_shr:1 row_mask:0xf bank_mask:0xf
	s_and_saveexec_b32 s28, s0
; %bb.100:                              ;   in Loop: Header=BB45_61 Depth=2
	s_delay_alu instid0(VALU_DEP_2) | instskip(NEXT) | instid1(VALU_DEP_1)
	v_mul_f32_e32 v7, v4, v7
	v_dual_fmac_f32 v5, v4, v6 :: v_dual_mov_b32 v4, v7
; %bb.101:                              ;   in Loop: Header=BB45_61 Depth=2
	s_or_b32 exec_lo, exec_lo, s28
	s_delay_alu instid0(VALU_DEP_1) | instskip(NEXT) | instid1(VALU_DEP_2)
	v_mov_b32_dpp v6, v4 row_shr:2 row_mask:0xf bank_mask:0xf
	v_mov_b32_dpp v7, v5 row_shr:2 row_mask:0xf bank_mask:0xf
	s_and_saveexec_b32 s28, s1
; %bb.102:                              ;   in Loop: Header=BB45_61 Depth=2
	s_delay_alu instid0(VALU_DEP_1) | instskip(NEXT) | instid1(VALU_DEP_3)
	v_fmac_f32_e32 v5, v4, v7
	v_mul_f32_e32 v4, v4, v6
; %bb.103:                              ;   in Loop: Header=BB45_61 Depth=2
	s_or_b32 exec_lo, exec_lo, s28
	s_delay_alu instid0(VALU_DEP_1) | instskip(NEXT) | instid1(VALU_DEP_3)
	v_mov_b32_dpp v6, v4 row_shr:4 row_mask:0xf bank_mask:0xf
	v_mov_b32_dpp v7, v5 row_shr:4 row_mask:0xf bank_mask:0xf
	s_and_saveexec_b32 s28, s2
; %bb.104:                              ;   in Loop: Header=BB45_61 Depth=2
	s_delay_alu instid0(VALU_DEP_1) | instskip(NEXT) | instid1(VALU_DEP_3)
	v_fmac_f32_e32 v5, v4, v7
	v_mul_f32_e32 v4, v4, v6
; %bb.105:                              ;   in Loop: Header=BB45_61 Depth=2
	s_or_b32 exec_lo, exec_lo, s28
	s_delay_alu instid0(VALU_DEP_1) | instskip(NEXT) | instid1(VALU_DEP_3)
	v_mov_b32_dpp v6, v4 row_shr:8 row_mask:0xf bank_mask:0xf
	v_mov_b32_dpp v7, v5 row_shr:8 row_mask:0xf bank_mask:0xf
	s_and_saveexec_b32 s28, s3
; %bb.106:                              ;   in Loop: Header=BB45_61 Depth=2
	s_delay_alu instid0(VALU_DEP_1) | instskip(NEXT) | instid1(VALU_DEP_3)
	v_fmac_f32_e32 v5, v4, v7
	v_mul_f32_e32 v4, v4, v6
; %bb.107:                              ;   in Loop: Header=BB45_61 Depth=2
	s_or_b32 exec_lo, exec_lo, s28
	ds_swizzle_b32 v7, v4 offset:swizzle(BROADCAST,32,15)
	ds_swizzle_b32 v6, v5 offset:swizzle(BROADCAST,32,15)
	s_and_saveexec_b32 s28, s4
	s_cbranch_execz .LBB45_109
; %bb.108:                              ;   in Loop: Header=BB45_61 Depth=2
	s_waitcnt lgkmcnt(1)
	v_mul_f32_e32 v7, v4, v7
	s_waitcnt lgkmcnt(0)
	s_delay_alu instid0(VALU_DEP_1)
	v_dual_fmac_f32 v5, v4, v6 :: v_dual_mov_b32 v4, v7
.LBB45_109:                             ;   in Loop: Header=BB45_61 Depth=2
	s_or_b32 exec_lo, exec_lo, s28
	s_and_saveexec_b32 s28, s5
	s_cbranch_execz .LBB45_111
; %bb.110:                              ;   in Loop: Header=BB45_61 Depth=2
	ds_store_b64 v35, v[4:5] offset:2112
.LBB45_111:                             ;   in Loop: Header=BB45_61 Depth=2
	s_or_b32 exec_lo, exec_lo, s28
	s_waitcnt vmcnt(0) lgkmcnt(0)
	s_waitcnt_vscnt null, 0x0
	s_barrier
	buffer_gl0_inv
	s_and_saveexec_b32 s28, s6
	s_cbranch_execz .LBB45_113
; %bb.112:                              ;   in Loop: Header=BB45_61 Depth=2
	ds_load_b64 v[6:7], v36 offset:2112
	s_waitcnt lgkmcnt(0)
	v_mov_b32_dpp v97, v6 row_shr:1 row_mask:0xf bank_mask:0xf
	v_mov_b32_dpp v98, v7 row_shr:1 row_mask:0xf bank_mask:0xf
	s_delay_alu instid0(VALU_DEP_2) | instskip(NEXT) | instid1(VALU_DEP_2)
	v_mul_f32_e32 v97, v6, v97
	v_fma_f32 v98, v6, v98, v7
	s_delay_alu instid0(VALU_DEP_2) | instskip(NEXT) | instid1(VALU_DEP_2)
	v_cndmask_b32_e64 v6, v97, v6, s7
	v_cndmask_b32_e64 v7, v98, v7, s7
	ds_store_b64 v36, v[6:7] offset:2112
.LBB45_113:                             ;   in Loop: Header=BB45_61 Depth=2
	s_or_b32 exec_lo, exec_lo, s28
	s_waitcnt lgkmcnt(0)
	s_barrier
	buffer_gl0_inv
                                        ; implicit-def: $vgpr7
	s_and_saveexec_b32 s28, s9
	s_cbranch_execz .LBB45_115
; %bb.114:                              ;   in Loop: Header=BB45_61 Depth=2
	ds_load_b64 v[6:7], v35 offset:2104
	s_waitcnt lgkmcnt(0)
	v_mul_f32_e32 v97, v4, v6
	s_delay_alu instid0(VALU_DEP_1)
	v_dual_fmac_f32 v5, v4, v7 :: v_dual_mov_b32 v4, v97
.LBB45_115:                             ;   in Loop: Header=BB45_61 Depth=2
	s_or_b32 exec_lo, exec_lo, s28
	ds_bpermute_b32 v97, v37, v4
	ds_bpermute_b32 v98, v37, v5
	s_and_saveexec_b32 s28, s8
	s_cbranch_execz .LBB45_119
; %bb.116:                              ;   in Loop: Header=BB45_61 Depth=2
	ds_load_b64 v[4:5], v13 offset:2120
	s_and_saveexec_b32 s29, s10
	s_cbranch_execz .LBB45_118
; %bb.117:                              ;   in Loop: Header=BB45_61 Depth=2
	ds_store_b64 v13, v[8:9] offset:2120
.LBB45_118:                             ;   in Loop: Header=BB45_61 Depth=2
	s_or_b32 exec_lo, exec_lo, s29
	s_waitcnt lgkmcnt(0)
	v_fmac_f32_e32 v5, v9, v4
	s_delay_alu instid0(VALU_DEP_1)
	v_dual_mul_f32 v8, v8, v4 :: v_dual_mov_b32 v9, v5
.LBB45_119:                             ;   in Loop: Header=BB45_61 Depth=2
	s_or_b32 exec_lo, exec_lo, s28
	s_waitcnt lgkmcnt(0)
	s_barrier
	buffer_gl0_inv
	ds_load_b32 v4, v13 offset:2124
	s_and_saveexec_b32 s28, s10
	s_cbranch_execz .LBB45_60
; %bb.120:                              ;   in Loop: Header=BB45_61 Depth=2
	v_mov_b32_e32 v5, s72
	s_and_not1_b32 vcc_lo, exec_lo, s70
	ds_store_b64 v5, v[8:9]
	s_cbranch_vccnz .LBB45_60
; %bb.121:                              ;   in Loop: Header=BB45_61 Depth=2
	s_mov_b32 s43, s53
	s_delay_alu instid0(SALU_CYCLE_1) | instskip(NEXT) | instid1(SALU_CYCLE_1)
	s_lshl_b64 s[74:75], s[42:43], 2
	s_add_u32 s74, s60, s74
	s_addc_u32 s75, s61, s75
	global_store_b32 v13, v9, s[74:75]
	s_branch .LBB45_60
.LBB45_122:                             ;   in Loop: Header=BB45_12 Depth=1
	v_bfe_u32 v0, v63, 16, 1
	v_bfe_u32 v2, v61, 16, 1
	;; [unrolled: 1-line block ×3, first 2 shown]
	v_cmp_o_f32_e32 vcc_lo, v63, v63
	v_bfe_u32 v4, v59, 16, 1
	v_add3_u32 v0, v63, v0, 0x7fff
	v_add3_u32 v2, v61, v2, 0x7fff
	;; [unrolled: 1-line block ×3, first 2 shown]
	v_bfe_u32 v5, v57, 16, 1
	v_bfe_u32 v6, v56, 16, 1
	v_lshrrev_b32_e32 v0, 16, v0
	v_lshrrev_b32_e32 v2, 16, v2
	;; [unrolled: 1-line block ×3, first 2 shown]
	v_bfe_u32 v7, v60, 16, 1
	v_add3_u32 v4, v59, v4, 0x7fff
	v_cndmask_b32_e32 v0, 0x7fc0, v0, vcc_lo
	v_cmp_o_f32_e32 vcc_lo, v61, v61
	v_add3_u32 v6, v56, v6, 0x7fff
	v_bfe_u32 v1, v64, 16, 1
	s_waitcnt_vscnt null, 0x0
	s_barrier
	v_cndmask_b32_e32 v8, 0x7fc0, v2, vcc_lo
	v_cmp_o_f32_e32 vcc_lo, v62, v62
	v_add3_u32 v2, v57, v5, 0x7fff
	v_add3_u32 v5, v60, v7, 0x7fff
	;; [unrolled: 1-line block ×3, first 2 shown]
	buffer_gl0_inv
	v_cndmask_b32_e32 v7, 0x7fc0, v3, vcc_lo
	v_lshrrev_b32_e32 v3, 16, v4
	v_cmp_o_f32_e32 vcc_lo, v59, v59
	v_lshrrev_b32_e32 v4, 16, v6
	v_lshrrev_b32_e32 v5, 16, v5
	;; [unrolled: 1-line block ×4, first 2 shown]
	v_cndmask_b32_e32 v6, 0x7fc0, v3, vcc_lo
	v_cmp_o_f32_e32 vcc_lo, v56, v56
	s_mov_b32 s31, s53
	s_delay_alu instid0(SALU_CYCLE_1) | instskip(SKIP_4) | instid1(VALU_DEP_2)
	s_lshl_b64 s[24:25], s[30:31], 1
	v_cndmask_b32_e32 v3, 0x7fc0, v4, vcc_lo
	v_cmp_o_f32_e32 vcc_lo, v60, v60
	v_cndmask_b32_e32 v4, 0x7fc0, v5, vcc_lo
	v_cmp_o_f32_e32 vcc_lo, v57, v57
	v_perm_b32 v3, v4, v3, 0x5040100
	v_cndmask_b32_e32 v2, 0x7fc0, v2, vcc_lo
	v_cmp_o_f32_e32 vcc_lo, v64, v64
	s_delay_alu instid0(VALU_DEP_2) | instskip(SKIP_2) | instid1(VALU_DEP_2)
	v_perm_b32 v2, v2, v6, 0x5040100
	v_cndmask_b32_e32 v5, 0x7fc0, v1, vcc_lo
	v_perm_b32 v1, v7, v8, 0x5040100
	v_perm_b32 v0, v5, v0, 0x5040100
	ds_store_b128 v27, v[0:3]
	; wave barrier
	ds_load_u16 v8, v20 offset:64
	ds_load_u16 v7, v21 offset:128
	;; [unrolled: 1-line block ×7, first 2 shown]
	v_add_co_u32 v0, vcc_lo, v38, s24
	v_add_co_ci_u32_e32 v1, vcc_lo, s25, v39, vcc_lo
	s_and_saveexec_b32 s20, s12
	s_cbranch_execnz .LBB45_157
; %bb.123:                              ;   in Loop: Header=BB45_12 Depth=1
	s_or_b32 exec_lo, exec_lo, s20
	s_and_saveexec_b32 s20, s13
	s_cbranch_execnz .LBB45_158
.LBB45_124:                             ;   in Loop: Header=BB45_12 Depth=1
	s_or_b32 exec_lo, exec_lo, s20
	s_and_saveexec_b32 s20, s14
	s_cbranch_execnz .LBB45_159
.LBB45_125:                             ;   in Loop: Header=BB45_12 Depth=1
	s_or_b32 exec_lo, exec_lo, s20
	s_and_saveexec_b32 s20, s15
	s_cbranch_execnz .LBB45_160
.LBB45_126:                             ;   in Loop: Header=BB45_12 Depth=1
	s_or_b32 exec_lo, exec_lo, s20
	s_and_saveexec_b32 s20, s16
	s_cbranch_execnz .LBB45_161
.LBB45_127:                             ;   in Loop: Header=BB45_12 Depth=1
	s_or_b32 exec_lo, exec_lo, s20
	s_and_saveexec_b32 s20, s17
	s_cbranch_execnz .LBB45_162
.LBB45_128:                             ;   in Loop: Header=BB45_12 Depth=1
	s_or_b32 exec_lo, exec_lo, s20
	s_and_saveexec_b32 s20, s18
	s_cbranch_execnz .LBB45_163
.LBB45_129:                             ;   in Loop: Header=BB45_12 Depth=1
	s_or_b32 exec_lo, exec_lo, s20
	s_and_saveexec_b32 s20, s19
	s_cbranch_execz .LBB45_131
.LBB45_130:                             ;   in Loop: Header=BB45_12 Depth=1
	s_waitcnt lgkmcnt(0)
	global_store_b16 v[0:1], v2, off offset:448
.LBB45_131:                             ;   in Loop: Header=BB45_12 Depth=1
	s_or_b32 exec_lo, exec_lo, s20
	v_add_co_u32 v0, vcc_lo, v40, s24
	v_add_co_ci_u32_e32 v1, vcc_lo, s25, v41, vcc_lo
	s_waitcnt lgkmcnt(0)
	v_dual_mov_b32 v2, 0 :: v_dual_mov_b32 v3, 0
	s_waitcnt_vscnt null, 0x0
	s_barrier
	buffer_gl0_inv
	s_and_saveexec_b32 s20, s12
	s_cbranch_execz .LBB45_133
; %bb.132:                              ;   in Loop: Header=BB45_12 Depth=1
	global_load_u16 v3, v[0:1], off
.LBB45_133:                             ;   in Loop: Header=BB45_12 Depth=1
	s_or_b32 exec_lo, exec_lo, s20
	s_and_saveexec_b32 s20, s13
	s_cbranch_execz .LBB45_135
; %bb.134:                              ;   in Loop: Header=BB45_12 Depth=1
	global_load_u16 v2, v[0:1], off offset:64
.LBB45_135:                             ;   in Loop: Header=BB45_12 Depth=1
	s_or_b32 exec_lo, exec_lo, s20
	v_dual_mov_b32 v4, 0 :: v_dual_mov_b32 v5, 0
	s_and_saveexec_b32 s20, s14
	s_cbranch_execz .LBB45_137
; %bb.136:                              ;   in Loop: Header=BB45_12 Depth=1
	global_load_u16 v5, v[0:1], off offset:128
.LBB45_137:                             ;   in Loop: Header=BB45_12 Depth=1
	s_or_b32 exec_lo, exec_lo, s20
	s_and_saveexec_b32 s20, s15
	s_cbranch_execz .LBB45_139
; %bb.138:                              ;   in Loop: Header=BB45_12 Depth=1
	global_load_u16 v4, v[0:1], off offset:192
.LBB45_139:                             ;   in Loop: Header=BB45_12 Depth=1
	s_or_b32 exec_lo, exec_lo, s20
	v_dual_mov_b32 v6, 0 :: v_dual_mov_b32 v7, 0
	s_and_saveexec_b32 s20, s16
	s_cbranch_execz .LBB45_141
; %bb.140:                              ;   in Loop: Header=BB45_12 Depth=1
	global_load_u16 v7, v[0:1], off offset:256
.LBB45_141:                             ;   in Loop: Header=BB45_12 Depth=1
	;; [unrolled: 13-line block ×3, first 2 shown]
	s_or_b32 exec_lo, exec_lo, s20
	s_and_saveexec_b32 s20, s19
	s_cbranch_execz .LBB45_147
; %bb.146:                              ;   in Loop: Header=BB45_12 Depth=1
	global_load_u16 v8, v[0:1], off offset:448
.LBB45_147:                             ;   in Loop: Header=BB45_12 Depth=1
	s_or_b32 exec_lo, exec_lo, s20
	s_waitcnt vmcnt(0)
	ds_store_b16 v20, v3
	ds_store_b16 v20, v2 offset:64
	ds_store_b16 v21, v5 offset:128
	;; [unrolled: 1-line block ×7, first 2 shown]
	; wave barrier
	ds_load_b128 v[0:3], v27
	s_waitcnt lgkmcnt(0)
	s_barrier
	buffer_gl0_inv
	v_and_b32_e32 v4, 0xffff0000, v0
	v_and_b32_e32 v5, 0xffff0000, v1
	v_lshlrev_b32_e32 v1, 16, v1
	s_delay_alu instid0(VALU_DEP_1) | instskip(NEXT) | instid1(VALU_DEP_1)
	v_dual_mul_f32 v9, 0xbfb8aa3b, v1 :: v_dual_lshlrev_b32 v0, 16, v0
	v_mul_f32_e32 v7, 0xbfb8aa3b, v0
	s_delay_alu instid0(VALU_DEP_2) | instskip(NEXT) | instid1(VALU_DEP_2)
	v_rndne_f32_e32 v67, v9
	v_rndne_f32_e32 v55, v7
	v_fma_f32 v58, 0xbfb8aa3b, v0, -v7
	s_delay_alu instid0(VALU_DEP_2) | instskip(SKIP_3) | instid1(VALU_DEP_4)
	v_dual_sub_f32 v7, v7, v55 :: v_dual_mul_f32 v6, 0xbfb8aa3b, v4
	v_fma_f32 v68, 0xbfb8aa3b, v1, -v9
	v_cvt_i32_f32_e32 v55, v55
	v_cmp_nlt_f32_e32 vcc_lo, 0x42ce8ed0, v4
	v_rndne_f32_e32 v54, v6
	v_fma_f32 v53, 0xbfb8aa3b, v4, -v6
	s_delay_alu instid0(VALU_DEP_2) | instskip(SKIP_2) | instid1(VALU_DEP_2)
	v_sub_f32_e32 v6, v6, v54
	v_mul_f32_e32 v8, 0xbfb8aa3b, v5
	v_cvt_i32_f32_e32 v54, v54
	v_rndne_f32_e32 v66, v8
	v_fmac_f32_e32 v53, 0xb2a5705f, v4
	v_fma_f32 v65, 0xbfb8aa3b, v5, -v8
	v_fmac_f32_e32 v58, 0xb2a5705f, v0
	s_delay_alu instid0(VALU_DEP_4) | instskip(NEXT) | instid1(VALU_DEP_4)
	v_dual_sub_f32 v8, v8, v66 :: v_dual_sub_f32 v9, v9, v67
	v_add_f32_e32 v6, v6, v53
	s_delay_alu instid0(VALU_DEP_4) | instskip(NEXT) | instid1(VALU_DEP_4)
	v_fmac_f32_e32 v65, 0xb2a5705f, v5
	v_dual_fmac_f32 v68, 0xb2a5705f, v1 :: v_dual_add_f32 v7, v7, v58
	v_cvt_i32_f32_e32 v58, v66
	s_delay_alu instid0(VALU_DEP_4) | instskip(NEXT) | instid1(VALU_DEP_2)
	v_exp_f32_e32 v6, v6
	v_dual_add_f32 v8, v8, v65 :: v_dual_add_f32 v9, v9, v68
	s_delay_alu instid0(VALU_DEP_3) | instskip(NEXT) | instid1(VALU_DEP_1)
	v_exp_f32_e32 v7, v7
	v_exp_f32_e32 v8, v8
	s_delay_alu instid0(VALU_DEP_1) | instskip(SKIP_2) | instid1(TRANS32_DEP_3)
	v_exp_f32_e32 v9, v9
	v_ldexp_f32 v6, v6, v54
	v_cvt_i32_f32_e32 v54, v67
	v_ldexp_f32 v7, v7, v55
	s_delay_alu instid0(VALU_DEP_3) | instskip(SKIP_1) | instid1(TRANS32_DEP_2)
	v_cndmask_b32_e32 v6, 0, v6, vcc_lo
	v_cmp_nlt_f32_e32 vcc_lo, 0x42ce8ed0, v0
	v_ldexp_f32 v8, v8, v58
	s_delay_alu instid0(TRANS32_DEP_1) | instskip(SKIP_4) | instid1(VALU_DEP_4)
	v_ldexp_f32 v9, v9, v54
	v_cndmask_b32_e32 v7, 0, v7, vcc_lo
	v_cmp_ngt_f32_e32 vcc_lo, 0xc2b17218, v4
	v_cndmask_b32_e32 v6, 0x7f800000, v6, vcc_lo
	v_cmp_ngt_f32_e32 vcc_lo, 0xc2b17218, v0
	v_cndmask_b32_e32 v7, 0x7f800000, v7, vcc_lo
	v_cmp_nlt_f32_e32 vcc_lo, 0x42ce8ed0, v5
	v_and_b32_e32 v53, 0xffff0000, v2
	s_delay_alu instid0(VALU_DEP_3) | instskip(SKIP_3) | instid1(VALU_DEP_4)
	v_dual_add_f32 v7, 1.0, v7 :: v_dual_cndmask_b32 v8, 0, v8
	v_add_f32_e32 v6, 1.0, v6
	v_cmp_nlt_f32_e32 vcc_lo, 0x42ce8ed0, v1
	v_lshlrev_b32_e32 v2, 16, v2
	v_div_scale_f32 v55, null, v7, v7, v0
	s_delay_alu instid0(VALU_DEP_4) | instskip(SKIP_2) | instid1(VALU_DEP_4)
	v_div_scale_f32 v54, null, v6, v6, v4
	v_cndmask_b32_e32 v9, 0, v9, vcc_lo
	v_cmp_ngt_f32_e32 vcc_lo, 0xc2b17218, v5
	v_rcp_f32_e32 v66, v55
	s_delay_alu instid0(VALU_DEP_3)
	v_rcp_f32_e32 v65, v54
	v_div_scale_f32 v72, s20, v0, v7, v0
	v_cndmask_b32_e32 v8, 0x7f800000, v8, vcc_lo
	v_cmp_ngt_f32_e32 vcc_lo, 0xc2b17218, v1
	v_cndmask_b32_e32 v9, 0x7f800000, v9, vcc_lo
	s_waitcnt_depctr 0xfff
	v_fma_f32 v70, -v54, v65, 1.0
	v_fma_f32 v71, -v55, v66, 1.0
	v_div_scale_f32 v67, vcc_lo, v4, v6, v4
	v_dual_add_f32 v9, 1.0, v9 :: v_dual_add_f32 v8, 1.0, v8
	s_delay_alu instid0(VALU_DEP_3) | instskip(SKIP_1) | instid1(VALU_DEP_3)
	v_dual_fmac_f32 v65, v70, v65 :: v_dual_fmac_f32 v66, v71, v66
	v_mul_f32_e32 v58, 0xbfb8aa3b, v53
	v_div_scale_f32 v69, null, v9, v9, v1
	s_delay_alu instid0(VALU_DEP_4) | instskip(NEXT) | instid1(VALU_DEP_4)
	v_div_scale_f32 v68, null, v8, v8, v5
	v_mul_f32_e32 v77, v72, v66
	s_delay_alu instid0(VALU_DEP_3) | instskip(SKIP_1) | instid1(VALU_DEP_3)
	v_rcp_f32_e32 v74, v69
	v_fma_f32 v71, 0xbfb8aa3b, v53, -v58
	v_rcp_f32_e32 v73, v68
	v_div_scale_f32 v78, s21, v5, v8, v5
	v_fma_f32 v82, -v55, v77, v72
	v_mul_f32_e32 v76, v67, v65
	v_div_scale_f32 v83, s22, v1, v9, v1
	v_fmac_f32_e32 v71, 0xb2a5705f, v53
	s_delay_alu instid0(VALU_DEP_4) | instskip(NEXT) | instid1(VALU_DEP_4)
	v_fmac_f32_e32 v77, v82, v66
	v_fma_f32 v81, -v54, v76, v67
	s_delay_alu instid0(TRANS32_DEP_1)
	v_fma_f32 v79, -v68, v73, 1.0
	v_mul_f32_e32 v70, 0xbfb8aa3b, v2
	v_fma_f32 v80, -v69, v74, 1.0
	v_fma_f32 v55, -v55, v77, v72
	v_fmac_f32_e32 v76, v81, v65
	v_fmac_f32_e32 v73, v79, v73
	v_rndne_f32_e32 v75, v58
	v_fmac_f32_e32 v74, v80, v74
	s_delay_alu instid0(VALU_DEP_4) | instskip(NEXT) | instid1(VALU_DEP_4)
	v_fma_f32 v54, -v54, v76, v67
	v_mul_f32_e32 v79, v78, v73
	v_rndne_f32_e32 v67, v70
	s_delay_alu instid0(VALU_DEP_4) | instskip(NEXT) | instid1(VALU_DEP_4)
	v_mul_f32_e32 v80, v83, v74
	v_div_fmas_f32 v54, v54, v65, v76
	s_mov_b32 vcc_lo, s20
	v_fma_f32 v65, 0xbfb8aa3b, v2, -v70
	v_div_fmas_f32 v55, v55, v66, v77
	s_mov_b32 vcc_lo, s21
	v_div_fixup_f32 v4, v54, v6, v4
	v_fma_f32 v54, -v68, v79, v78
	v_and_b32_e32 v72, 0xffff0000, v3
	v_div_fixup_f32 v0, v55, v7, v0
	v_fma_f32 v66, -v69, v80, v83
	v_lshlrev_b32_e32 v3, 16, v3
	s_delay_alu instid0(VALU_DEP_4) | instskip(NEXT) | instid1(VALU_DEP_4)
	v_dual_fmac_f32 v79, v54, v73 :: v_dual_mul_f32 v76, 0xbfb8aa3b, v72
	v_mul_f32_e32 v0, v63, v0
	v_mul_f32_e32 v4, v64, v4
	v_sub_f32_e32 v58, v58, v75
	s_delay_alu instid0(VALU_DEP_4) | instskip(SKIP_2) | instid1(VALU_DEP_4)
	v_fma_f32 v55, -v68, v79, v78
	v_fmac_f32_e32 v65, 0xb2a5705f, v2
	v_bfe_u32 v63, v0, 16, 1
	v_add_f32_e32 v54, v58, v71
	s_delay_alu instid0(VALU_DEP_4) | instskip(SKIP_1) | instid1(VALU_DEP_3)
	v_div_fmas_f32 v55, v55, v73, v79
	s_mov_b32 vcc_lo, s22
	v_add3_u32 v63, v0, v63, 0x7fff
	s_delay_alu instid0(VALU_DEP_2) | instskip(SKIP_1) | instid1(VALU_DEP_3)
	v_div_fixup_f32 v5, v55, v8, v5
	v_rndne_f32_e32 v55, v76
	v_lshrrev_b32_e32 v8, 16, v63
	v_mul_f32_e32 v63, 0xbfb8aa3b, v3
	v_bfe_u32 v7, v4, 16, 1
	s_delay_alu instid0(VALU_DEP_4) | instskip(SKIP_1) | instid1(VALU_DEP_4)
	v_dual_mul_f32 v5, v62, v5 :: v_dual_sub_f32 v64, v76, v55
	v_fmac_f32_e32 v80, v66, v74
	v_fma_f32 v68, 0xbfb8aa3b, v3, -v63
	s_delay_alu instid0(VALU_DEP_4)
	v_add3_u32 v7, v4, v7, 0x7fff
	v_cvt_i32_f32_e32 v66, v67
	v_cvt_i32_f32_e32 v55, v55
	v_fma_f32 v58, -v69, v80, v83
	v_fmac_f32_e32 v68, 0xb2a5705f, v3
	v_lshrrev_b32_e32 v7, 16, v7
	v_sub_f32_e32 v6, v70, v67
	v_rndne_f32_e32 v67, v63
	v_div_fmas_f32 v58, v58, v74, v80
	v_cmp_o_f32_e32 vcc_lo, v4, v4
	v_bfe_u32 v73, v5, 16, 1
	s_delay_alu instid0(VALU_DEP_3)
	v_div_fixup_f32 v1, v58, v9, v1
	v_cndmask_b32_e32 v4, 0x7fc0, v7, vcc_lo
	v_fma_f32 v7, 0xbfb8aa3b, v72, -v76
	v_cmp_nlt_f32_e32 vcc_lo, 0x42ce8ed0, v53
	v_sub_f32_e32 v63, v63, v67
	v_mul_f32_e32 v1, v61, v1
	v_exp_f32_e32 v54, v54
	v_fmac_f32_e32 v7, 0xb2a5705f, v72
	v_add3_u32 v73, v5, v73, 0x7fff
	v_dual_add_f32 v63, v63, v68 :: v_dual_add_f32 v6, v6, v65
	v_cvt_i32_f32_e32 v65, v75
	s_delay_alu instid0(VALU_DEP_4) | instskip(SKIP_1) | instid1(VALU_DEP_4)
	v_add_f32_e32 v7, v64, v7
	v_bfe_u32 v77, v1, 16, 1
	v_exp_f32_e32 v63, v63
	v_exp_f32_e32 v6, v6
	s_delay_alu instid0(TRANS32_DEP_3) | instskip(SKIP_1) | instid1(VALU_DEP_1)
	v_ldexp_f32 v54, v54, v65
	v_exp_f32_e32 v7, v7
	v_cndmask_b32_e32 v54, 0, v54, vcc_lo
	v_cmp_nlt_f32_e32 vcc_lo, 0x42ce8ed0, v2
	s_waitcnt_depctr 0xfff
	v_ldexp_f32 v6, v6, v66
	v_ldexp_f32 v7, v7, v55
	v_cvt_i32_f32_e32 v55, v67
	s_delay_alu instid0(VALU_DEP_1) | instskip(NEXT) | instid1(VALU_DEP_4)
	v_ldexp_f32 v55, v63, v55
	v_cndmask_b32_e32 v6, 0, v6, vcc_lo
	v_cmp_ngt_f32_e32 vcc_lo, 0xc2b17218, v53
	v_cndmask_b32_e32 v54, 0x7f800000, v54, vcc_lo
	v_cmp_ngt_f32_e32 vcc_lo, 0xc2b17218, v2
	s_delay_alu instid0(VALU_DEP_4) | instskip(SKIP_3) | instid1(VALU_DEP_2)
	v_cndmask_b32_e32 v6, 0x7f800000, v6, vcc_lo
	v_cmp_nlt_f32_e32 vcc_lo, 0x42ce8ed0, v72
	v_cndmask_b32_e32 v7, 0, v7, vcc_lo
	v_cmp_ngt_f32_e32 vcc_lo, 0xc2b17218, v72
	v_cndmask_b32_e32 v7, 0x7f800000, v7, vcc_lo
	v_cmp_nlt_f32_e32 vcc_lo, 0x42ce8ed0, v3
	s_delay_alu instid0(VALU_DEP_2) | instskip(SKIP_3) | instid1(VALU_DEP_4)
	v_add_f32_e32 v7, 1.0, v7
	v_cndmask_b32_e32 v55, 0, v55, vcc_lo
	v_cmp_ngt_f32_e32 vcc_lo, 0xc2b17218, v3
	v_add_f32_e32 v54, 1.0, v54
	v_div_scale_f32 v66, null, v7, v7, v72
	s_delay_alu instid0(VALU_DEP_4) | instskip(NEXT) | instid1(VALU_DEP_3)
	v_cndmask_b32_e32 v55, 0x7f800000, v55, vcc_lo
	v_div_scale_f32 v64, null, v54, v54, v53
	s_delay_alu instid0(VALU_DEP_3) | instskip(NEXT) | instid1(VALU_DEP_2)
	v_rcp_f32_e32 v67, v66
	v_add_f32_e32 v55, 1.0, v55
	s_delay_alu instid0(VALU_DEP_2) | instskip(NEXT) | instid1(VALU_DEP_1)
	v_rcp_f32_e32 v63, v64
	v_div_scale_f32 v62, null, v55, v55, v3
	s_waitcnt_depctr 0xfff
	v_fma_f32 v61, -v66, v67, 1.0
	v_rcp_f32_e32 v69, v62
	v_fma_f32 v58, -v64, v63, 1.0
	s_delay_alu instid0(VALU_DEP_1) | instskip(NEXT) | instid1(VALU_DEP_1)
	v_dual_add_f32 v6, 1.0, v6 :: v_dual_fmac_f32 v63, v58, v63
	v_div_scale_f32 v65, null, v6, v6, v2
	v_div_scale_f32 v58, vcc_lo, v53, v54, v53
	s_waitcnt_depctr 0xfff
	v_fma_f32 v71, -v62, v69, 1.0
	v_rcp_f32_e32 v9, v65
	s_delay_alu instid0(VALU_DEP_1) | instskip(SKIP_4) | instid1(VALU_DEP_2)
	v_fmac_f32_e32 v69, v71, v69
	v_div_scale_f32 v71, s22, v3, v55, v3
	s_waitcnt_depctr 0xfff
	v_fma_f32 v68, -v65, v9, 1.0
	v_dual_mul_f32 v70, v58, v63 :: v_dual_mul_f32 v79, v71, v69
	v_fmac_f32_e32 v9, v68, v9
	v_div_scale_f32 v68, s20, v2, v6, v2
	s_delay_alu instid0(VALU_DEP_3) | instskip(NEXT) | instid1(VALU_DEP_1)
	v_fma_f32 v74, -v64, v70, v58
	v_dual_mul_f32 v75, v68, v9 :: v_dual_fmac_f32 v70, v74, v63
	s_delay_alu instid0(VALU_DEP_1) | instskip(NEXT) | instid1(VALU_DEP_2)
	v_fma_f32 v74, -v65, v75, v68
	v_fma_f32 v58, -v64, v70, v58
	;; [unrolled: 1-line block ×3, first 2 shown]
	s_delay_alu instid0(VALU_DEP_3) | instskip(NEXT) | instid1(VALU_DEP_2)
	v_fmac_f32_e32 v75, v74, v9
	v_fmac_f32_e32 v79, v64, v69
	s_delay_alu instid0(VALU_DEP_4) | instskip(NEXT) | instid1(VALU_DEP_3)
	v_div_fmas_f32 v58, v58, v63, v70
	v_fma_f32 v63, -v65, v75, v68
	s_mov_b32 vcc_lo, s20
	s_delay_alu instid0(VALU_DEP_3) | instskip(NEXT) | instid1(VALU_DEP_3)
	v_fma_f32 v62, -v62, v79, v71
	v_div_fixup_f32 v53, v58, v54, v53
	s_delay_alu instid0(VALU_DEP_3) | instskip(SKIP_1) | instid1(VALU_DEP_2)
	v_div_fmas_f32 v9, v63, v9, v75
	v_add3_u32 v63, v1, v77, 0x7fff
	v_div_fixup_f32 v2, v9, v6, v2
	v_fmac_f32_e32 v67, v61, v67
	v_div_scale_f32 v61, s21, v72, v7, v72
	s_delay_alu instid0(VALU_DEP_3) | instskip(SKIP_1) | instid1(VALU_DEP_2)
	v_dual_mul_f32 v9, v57, v53 :: v_dual_mul_f32 v2, v59, v2
	s_mov_b32 vcc_lo, s21
	v_mul_f32_e32 v76, v61, v67
	v_lshrrev_b32_e32 v53, 16, v63
	s_delay_alu instid0(VALU_DEP_3) | instskip(NEXT) | instid1(VALU_DEP_3)
	v_bfe_u32 v54, v9, 16, 1
	v_fma_f32 v78, -v66, v76, v61
	s_delay_alu instid0(VALU_DEP_1) | instskip(NEXT) | instid1(VALU_DEP_1)
	v_fmac_f32_e32 v76, v78, v67
	v_fma_f32 v61, -v66, v76, v61
	s_delay_alu instid0(VALU_DEP_1) | instskip(SKIP_3) | instid1(VALU_DEP_3)
	v_div_fmas_f32 v61, v61, v67, v76
	s_mov_b32 vcc_lo, s22
	v_div_fmas_f32 v62, v62, v69, v79
	v_cmp_o_f32_e32 vcc_lo, v5, v5
	v_div_fixup_f32 v6, v61, v7, v72
	v_lshrrev_b32_e32 v7, 16, v73
	s_delay_alu instid0(VALU_DEP_4) | instskip(SKIP_1) | instid1(VALU_DEP_3)
	v_div_fixup_f32 v3, v62, v55, v3
	v_bfe_u32 v55, v2, 16, 1
	v_dual_mul_f32 v6, v60, v6 :: v_dual_cndmask_b32 v5, 0x7fc0, v7
	v_add3_u32 v7, v9, v54, 0x7fff
	v_cmp_o_f32_e32 vcc_lo, v1, v1
	s_delay_alu instid0(VALU_DEP_4) | instskip(NEXT) | instid1(VALU_DEP_3)
	v_add3_u32 v54, v2, v55, 0x7fff
	v_lshrrev_b32_e32 v7, 16, v7
	v_cndmask_b32_e32 v1, 0x7fc0, v53, vcc_lo
	v_cmp_o_f32_e32 vcc_lo, v9, v9
	s_delay_alu instid0(VALU_DEP_4) | instskip(NEXT) | instid1(VALU_DEP_3)
	v_lshrrev_b32_e32 v53, 16, v54
	v_perm_b32 v1, v5, v1, 0x5040100
	v_cndmask_b32_e32 v7, 0x7fc0, v7, vcc_lo
	v_cmp_o_f32_e32 vcc_lo, v6, v6
	v_mul_f32_e32 v3, v56, v3
	v_bfe_u32 v56, v6, 16, 1
	s_delay_alu instid0(VALU_DEP_1) | instskip(NEXT) | instid1(VALU_DEP_1)
	v_add3_u32 v55, v6, v56, 0x7fff
	v_lshrrev_b32_e32 v54, 16, v55
	s_delay_alu instid0(VALU_DEP_1) | instskip(SKIP_2) | instid1(VALU_DEP_2)
	v_cndmask_b32_e32 v6, 0x7fc0, v54, vcc_lo
	v_bfe_u32 v57, v3, 16, 1
	v_cmp_o_f32_e32 vcc_lo, v3, v3
	v_add3_u32 v56, v3, v57, 0x7fff
	s_delay_alu instid0(VALU_DEP_1) | instskip(NEXT) | instid1(VALU_DEP_1)
	v_lshrrev_b32_e32 v55, 16, v56
	v_cndmask_b32_e32 v3, 0x7fc0, v55, vcc_lo
	v_cmp_o_f32_e32 vcc_lo, v2, v2
	s_delay_alu instid0(VALU_DEP_2) | instskip(SKIP_2) | instid1(VALU_DEP_2)
	v_perm_b32 v3, v6, v3, 0x5040100
	v_cndmask_b32_e32 v2, 0x7fc0, v53, vcc_lo
	v_cmp_o_f32_e32 vcc_lo, v0, v0
	v_perm_b32 v2, v7, v2, 0x5040100
	v_cndmask_b32_e32 v0, 0x7fc0, v8, vcc_lo
	s_delay_alu instid0(VALU_DEP_1)
	v_perm_b32 v0, v4, v0, 0x5040100
	ds_store_b128 v27, v[0:3]
	; wave barrier
	ds_load_u16 v8, v20 offset:64
	ds_load_u16 v7, v21 offset:128
	ds_load_u16 v6, v22 offset:192
	ds_load_u16 v5, v23 offset:256
	ds_load_u16 v4, v24 offset:320
	ds_load_u16 v3, v25 offset:384
	ds_load_u16 v2, v26 offset:448
	v_add_co_u32 v0, vcc_lo, v42, s24
	v_add_co_ci_u32_e32 v1, vcc_lo, s25, v43, vcc_lo
	s_and_saveexec_b32 s20, s12
	s_cbranch_execnz .LBB45_164
; %bb.148:                              ;   in Loop: Header=BB45_12 Depth=1
	s_or_b32 exec_lo, exec_lo, s20
	s_and_saveexec_b32 s12, s13
	s_cbranch_execnz .LBB45_165
.LBB45_149:                             ;   in Loop: Header=BB45_12 Depth=1
	s_or_b32 exec_lo, exec_lo, s12
	s_and_saveexec_b32 s12, s14
	s_cbranch_execnz .LBB45_166
.LBB45_150:                             ;   in Loop: Header=BB45_12 Depth=1
	s_or_b32 exec_lo, exec_lo, s12
	s_and_saveexec_b32 s12, s15
	s_cbranch_execnz .LBB45_167
.LBB45_151:                             ;   in Loop: Header=BB45_12 Depth=1
	s_or_b32 exec_lo, exec_lo, s12
	s_and_saveexec_b32 s12, s16
	s_cbranch_execnz .LBB45_168
.LBB45_152:                             ;   in Loop: Header=BB45_12 Depth=1
	s_or_b32 exec_lo, exec_lo, s12
	s_and_saveexec_b32 s12, s17
	s_cbranch_execnz .LBB45_169
.LBB45_153:                             ;   in Loop: Header=BB45_12 Depth=1
	s_or_b32 exec_lo, exec_lo, s12
	s_and_saveexec_b32 s12, s18
	s_cbranch_execnz .LBB45_170
.LBB45_154:                             ;   in Loop: Header=BB45_12 Depth=1
	s_or_b32 exec_lo, exec_lo, s12
	s_and_saveexec_b32 s12, s19
	s_cbranch_execz .LBB45_11
	s_branch .LBB45_171
.LBB45_155:                             ;   in Loop: Header=BB45_12 Depth=1
	global_load_u16 v55, v[4:5], off offset:320
	s_or_b32 exec_lo, exec_lo, s20
	s_and_saveexec_b32 s20, s18
	s_cbranch_execz .LBB45_40
.LBB45_156:                             ;   in Loop: Header=BB45_12 Depth=1
	global_load_u16 v54, v[4:5], off offset:384
	s_or_b32 exec_lo, exec_lo, s20
	v_mov_b32_e32 v56, 0
	s_and_saveexec_b32 s20, s19
	s_cbranch_execnz .LBB45_41
	s_branch .LBB45_42
.LBB45_157:                             ;   in Loop: Header=BB45_12 Depth=1
	ds_load_u16 v9, v20
	s_waitcnt lgkmcnt(0)
	global_store_b16 v[0:1], v9, off
	s_or_b32 exec_lo, exec_lo, s20
	s_and_saveexec_b32 s20, s13
	s_cbranch_execz .LBB45_124
.LBB45_158:                             ;   in Loop: Header=BB45_12 Depth=1
	s_waitcnt lgkmcnt(6)
	global_store_b16 v[0:1], v8, off offset:64
	s_or_b32 exec_lo, exec_lo, s20
	s_and_saveexec_b32 s20, s14
	s_cbranch_execz .LBB45_125
.LBB45_159:                             ;   in Loop: Header=BB45_12 Depth=1
	s_waitcnt lgkmcnt(5)
	global_store_b16 v[0:1], v7, off offset:128
	s_or_b32 exec_lo, exec_lo, s20
	s_and_saveexec_b32 s20, s15
	s_cbranch_execz .LBB45_126
.LBB45_160:                             ;   in Loop: Header=BB45_12 Depth=1
	s_waitcnt lgkmcnt(4)
	global_store_b16 v[0:1], v6, off offset:192
	s_or_b32 exec_lo, exec_lo, s20
	s_and_saveexec_b32 s20, s16
	s_cbranch_execz .LBB45_127
.LBB45_161:                             ;   in Loop: Header=BB45_12 Depth=1
	s_waitcnt lgkmcnt(3)
	global_store_b16 v[0:1], v5, off offset:256
	s_or_b32 exec_lo, exec_lo, s20
	s_and_saveexec_b32 s20, s17
	s_cbranch_execz .LBB45_128
.LBB45_162:                             ;   in Loop: Header=BB45_12 Depth=1
	s_waitcnt lgkmcnt(2)
	global_store_b16 v[0:1], v4, off offset:320
	s_or_b32 exec_lo, exec_lo, s20
	s_and_saveexec_b32 s20, s18
	s_cbranch_execz .LBB45_129
.LBB45_163:                             ;   in Loop: Header=BB45_12 Depth=1
	s_waitcnt lgkmcnt(1)
	global_store_b16 v[0:1], v3, off offset:384
	s_or_b32 exec_lo, exec_lo, s20
	s_and_saveexec_b32 s20, s19
	s_cbranch_execnz .LBB45_130
	s_branch .LBB45_131
.LBB45_164:                             ;   in Loop: Header=BB45_12 Depth=1
	ds_load_u16 v9, v20
	s_waitcnt lgkmcnt(0)
	global_store_b16 v[0:1], v9, off
	s_or_b32 exec_lo, exec_lo, s20
	s_and_saveexec_b32 s12, s13
	s_cbranch_execz .LBB45_149
.LBB45_165:                             ;   in Loop: Header=BB45_12 Depth=1
	s_waitcnt lgkmcnt(6)
	global_store_b16 v[0:1], v8, off offset:64
	s_or_b32 exec_lo, exec_lo, s12
	s_and_saveexec_b32 s12, s14
	s_cbranch_execz .LBB45_150
.LBB45_166:                             ;   in Loop: Header=BB45_12 Depth=1
	s_waitcnt lgkmcnt(5)
	global_store_b16 v[0:1], v7, off offset:128
	s_or_b32 exec_lo, exec_lo, s12
	s_and_saveexec_b32 s12, s15
	s_cbranch_execz .LBB45_151
.LBB45_167:                             ;   in Loop: Header=BB45_12 Depth=1
	s_waitcnt lgkmcnt(4)
	global_store_b16 v[0:1], v6, off offset:192
	s_or_b32 exec_lo, exec_lo, s12
	s_and_saveexec_b32 s12, s16
	s_cbranch_execz .LBB45_152
.LBB45_168:                             ;   in Loop: Header=BB45_12 Depth=1
	s_waitcnt lgkmcnt(3)
	global_store_b16 v[0:1], v5, off offset:256
	s_or_b32 exec_lo, exec_lo, s12
	s_and_saveexec_b32 s12, s17
	s_cbranch_execz .LBB45_153
.LBB45_169:                             ;   in Loop: Header=BB45_12 Depth=1
	s_waitcnt lgkmcnt(2)
	global_store_b16 v[0:1], v4, off offset:320
	s_or_b32 exec_lo, exec_lo, s12
	s_and_saveexec_b32 s12, s18
	s_cbranch_execz .LBB45_154
.LBB45_170:                             ;   in Loop: Header=BB45_12 Depth=1
	s_waitcnt lgkmcnt(1)
	global_store_b16 v[0:1], v3, off offset:384
	s_or_b32 exec_lo, exec_lo, s12
	s_and_saveexec_b32 s12, s19
	s_cbranch_execz .LBB45_11
.LBB45_171:                             ;   in Loop: Header=BB45_12 Depth=1
	s_waitcnt lgkmcnt(0)
	global_store_b16 v[0:1], v2, off offset:448
	s_branch .LBB45_11
.LBB45_172:
	s_nop 0
	s_sendmsg sendmsg(MSG_DEALLOC_VGPRS)
	s_endpgm
	.section	.rodata,"a",@progbits
	.p2align	6, 0x0
	.amdhsa_kernel _Z25selective_scan_fwd_kernelI32Selective_Scan_fwd_kernel_traitsILi64ELi8ELi1ELb0ELb1ELb1ELb1ELb0EN3c108BFloat16EffEEv13SSMParamsBase
		.amdhsa_group_segment_fixed_size 0
		.amdhsa_private_segment_fixed_size 0
		.amdhsa_kernarg_size 248
		.amdhsa_user_sgpr_count 14
		.amdhsa_user_sgpr_dispatch_ptr 0
		.amdhsa_user_sgpr_queue_ptr 0
		.amdhsa_user_sgpr_kernarg_segment_ptr 1
		.amdhsa_user_sgpr_dispatch_id 0
		.amdhsa_user_sgpr_private_segment_size 0
		.amdhsa_wavefront_size32 1
		.amdhsa_uses_dynamic_stack 0
		.amdhsa_enable_private_segment 0
		.amdhsa_system_sgpr_workgroup_id_x 1
		.amdhsa_system_sgpr_workgroup_id_y 1
		.amdhsa_system_sgpr_workgroup_id_z 0
		.amdhsa_system_sgpr_workgroup_info 0
		.amdhsa_system_vgpr_workitem_id 0
		.amdhsa_next_free_vgpr 99
		.amdhsa_next_free_sgpr 76
		.amdhsa_reserve_vcc 1
		.amdhsa_float_round_mode_32 0
		.amdhsa_float_round_mode_16_64 0
		.amdhsa_float_denorm_mode_32 3
		.amdhsa_float_denorm_mode_16_64 3
		.amdhsa_dx10_clamp 1
		.amdhsa_ieee_mode 1
		.amdhsa_fp16_overflow 0
		.amdhsa_workgroup_processor_mode 1
		.amdhsa_memory_ordered 1
		.amdhsa_forward_progress 0
		.amdhsa_shared_vgpr_count 0
		.amdhsa_exception_fp_ieee_invalid_op 0
		.amdhsa_exception_fp_denorm_src 0
		.amdhsa_exception_fp_ieee_div_zero 0
		.amdhsa_exception_fp_ieee_overflow 0
		.amdhsa_exception_fp_ieee_underflow 0
		.amdhsa_exception_fp_ieee_inexact 0
		.amdhsa_exception_int_div_zero 0
	.end_amdhsa_kernel
	.section	.text._Z25selective_scan_fwd_kernelI32Selective_Scan_fwd_kernel_traitsILi64ELi8ELi1ELb0ELb1ELb1ELb1ELb0EN3c108BFloat16EffEEv13SSMParamsBase,"axG",@progbits,_Z25selective_scan_fwd_kernelI32Selective_Scan_fwd_kernel_traitsILi64ELi8ELi1ELb0ELb1ELb1ELb1ELb0EN3c108BFloat16EffEEv13SSMParamsBase,comdat
.Lfunc_end45:
	.size	_Z25selective_scan_fwd_kernelI32Selective_Scan_fwd_kernel_traitsILi64ELi8ELi1ELb0ELb1ELb1ELb1ELb0EN3c108BFloat16EffEEv13SSMParamsBase, .Lfunc_end45-_Z25selective_scan_fwd_kernelI32Selective_Scan_fwd_kernel_traitsILi64ELi8ELi1ELb0ELb1ELb1ELb1ELb0EN3c108BFloat16EffEEv13SSMParamsBase
                                        ; -- End function
	.section	.AMDGPU.csdata,"",@progbits
; Kernel info:
; codeLenInByte = 14552
; NumSgprs: 78
; NumVgprs: 99
; ScratchSize: 0
; MemoryBound: 0
; FloatMode: 240
; IeeeMode: 1
; LDSByteSize: 0 bytes/workgroup (compile time only)
; SGPRBlocks: 9
; VGPRBlocks: 12
; NumSGPRsForWavesPerEU: 78
; NumVGPRsForWavesPerEU: 99
; Occupancy: 12
; WaveLimiterHint : 0
; COMPUTE_PGM_RSRC2:SCRATCH_EN: 0
; COMPUTE_PGM_RSRC2:USER_SGPR: 14
; COMPUTE_PGM_RSRC2:TRAP_HANDLER: 0
; COMPUTE_PGM_RSRC2:TGID_X_EN: 1
; COMPUTE_PGM_RSRC2:TGID_Y_EN: 1
; COMPUTE_PGM_RSRC2:TGID_Z_EN: 0
; COMPUTE_PGM_RSRC2:TIDIG_COMP_CNT: 0
	.section	.text._Z25selective_scan_fwd_kernelI32Selective_Scan_fwd_kernel_traitsILi64ELi8ELi1ELb0ELb1ELb1ELb0ELb1EN3c108BFloat16EffEEv13SSMParamsBase,"axG",@progbits,_Z25selective_scan_fwd_kernelI32Selective_Scan_fwd_kernel_traitsILi64ELi8ELi1ELb0ELb1ELb1ELb0ELb1EN3c108BFloat16EffEEv13SSMParamsBase,comdat
	.protected	_Z25selective_scan_fwd_kernelI32Selective_Scan_fwd_kernel_traitsILi64ELi8ELi1ELb0ELb1ELb1ELb0ELb1EN3c108BFloat16EffEEv13SSMParamsBase ; -- Begin function _Z25selective_scan_fwd_kernelI32Selective_Scan_fwd_kernel_traitsILi64ELi8ELi1ELb0ELb1ELb1ELb0ELb1EN3c108BFloat16EffEEv13SSMParamsBase
	.globl	_Z25selective_scan_fwd_kernelI32Selective_Scan_fwd_kernel_traitsILi64ELi8ELi1ELb0ELb1ELb1ELb0ELb1EN3c108BFloat16EffEEv13SSMParamsBase
	.p2align	8
	.type	_Z25selective_scan_fwd_kernelI32Selective_Scan_fwd_kernel_traitsILi64ELi8ELi1ELb0ELb1ELb1ELb0ELb1EN3c108BFloat16EffEEv13SSMParamsBase,@function
_Z25selective_scan_fwd_kernelI32Selective_Scan_fwd_kernel_traitsILi64ELi8ELi1ELb0ELb1ELb1ELb0ELb1EN3c108BFloat16EffEEv13SSMParamsBase: ; @_Z25selective_scan_fwd_kernelI32Selective_Scan_fwd_kernel_traitsILi64ELi8ELi1ELb0ELb1ELb1ELb0ELb1EN3c108BFloat16EffEEv13SSMParamsBase
; %bb.0:
	s_clause 0x2
	s_load_b32 s35, s[0:1], 0x18
	s_load_b128 s[4:7], s[0:1], 0xe0
	s_load_b64 s[10:11], s[0:1], 0xf0
	s_mov_b32 s12, s15
	s_ashr_i32 s15, s14, 31
	s_mov_b32 s33, 0
	s_lshl_b64 s[8:9], s[14:15], 2
	s_waitcnt lgkmcnt(0)
	s_abs_i32 s34, s35
	s_add_u32 s2, s4, s8
	v_cvt_f32_u32_e32 v1, s34
	s_addc_u32 s3, s5, s9
	s_cmp_eq_u64 s[10:11], 0
	s_delay_alu instid0(VALU_DEP_1) | instskip(SKIP_2) | instid1(VALU_DEP_1)
	v_rcp_iflag_f32_e32 v1, v1
	s_waitcnt_depctr 0xfff
	v_mul_f32_e32 v1, 0x4f7ffffe, v1
	v_cvt_u32_f32_e32 v1, v1
	s_delay_alu instid0(VALU_DEP_1)
	v_readfirstlane_b32 s36, v1
	s_cbranch_scc1 .LBB46_2
; %bb.1:
	v_mov_b32_e32 v1, 0
	s_add_u32 s4, s10, s14
	s_addc_u32 s5, s11, s15
	global_load_u8 v1, v1, s[4:5]
	s_waitcnt vmcnt(0)
	v_and_b32_e32 v1, 1, v1
	s_delay_alu instid0(VALU_DEP_1)
	v_cmp_eq_u32_e64 s33, 1, v1
.LBB46_2:
	s_load_b64 s[4:5], s[0:1], 0x20
	s_cmp_eq_u64 s[6:7], 0
	s_cbranch_scc1 .LBB46_4
; %bb.3:
	s_add_u32 s6, s6, s8
	s_addc_u32 s7, s7, s9
	s_load_b32 s14, s[6:7], 0x0
	s_waitcnt lgkmcnt(0)
	s_ashr_i32 s15, s14, 31
.LBB46_4:
	s_waitcnt lgkmcnt(0)
	s_cmp_eq_u64 s[4:5], s[14:15]
	s_cbranch_scc1 .LBB46_140
; %bb.5:
	s_load_b512 s[16:31], s[0:1], 0x88
	s_load_b64 s[10:11], s[2:3], 0x0
	s_mov_b32 s52, 0
	s_mov_b32 s53, 0
	s_waitcnt lgkmcnt(0)
	s_cmp_eq_u64 s[22:23], 0
	s_cbranch_scc1 .LBB46_7
; %bb.6:
	s_ashr_i32 s13, s12, 31
	s_delay_alu instid0(SALU_CYCLE_1) | instskip(NEXT) | instid1(SALU_CYCLE_1)
	s_lshl_b64 s[2:3], s[12:13], 2
	s_add_u32 s2, s22, s2
	s_addc_u32 s3, s23, s3
	s_load_b32 s53, s[2:3], 0x0
.LBB46_7:
	s_cmp_eq_u64 s[28:29], 0
	s_cbranch_scc1 .LBB46_9
; %bb.8:
	s_ashr_i32 s13, s12, 31
	s_delay_alu instid0(SALU_CYCLE_1) | instskip(NEXT) | instid1(SALU_CYCLE_1)
	s_lshl_b64 s[2:3], s[12:13], 2
	s_add_u32 s2, s28, s2
	s_addc_u32 s3, s29, s3
	s_load_b32 s52, s[2:3], 0x0
.LBB46_9:
	s_sub_i32 s54, s11, s10
	s_delay_alu instid0(SALU_CYCLE_1)
	s_cmp_lt_i32 s54, 1
	s_cbranch_scc1 .LBB46_140
; %bb.10:
	s_sub_i32 s2, 0, s34
	s_abs_i32 s5, s12
	s_mul_i32 s4, s2, s36
	s_clause 0x1
	s_load_b64 s[2:3], s[0:1], 0x5c
	s_load_b128 s[44:47], s[0:1], 0x4c
	s_mul_hi_u32 s4, s36, s4
	s_ashr_i32 s7, s35, 31
	s_add_i32 s36, s36, s4
	s_ashr_i32 s4, s12, 31
	s_mul_hi_u32 s6, s5, s36
	s_xor_b32 s7, s4, s7
	s_mul_i32 s8, s6, s34
	s_load_b256 s[36:43], s[0:1], 0x2c
	s_sub_i32 s4, s5, s8
	s_add_i32 s5, s6, 1
	s_sub_i32 s8, s4, s34
	s_cmp_ge_u32 s4, s34
	s_mov_b32 s35, 0
	s_cselect_b32 s5, s5, s6
	s_cselect_b32 s4, s8, s4
	s_add_i32 s6, s5, 1
	s_cmp_ge_u32 s4, s34
	s_load_b128 s[48:51], s[0:1], 0x7c
	s_cselect_b32 s4, s6, s5
	s_waitcnt lgkmcnt(0)
	s_mul_i32 s34, s10, s46
	s_xor_b32 s6, s4, s7
	s_lshl_b64 s[4:5], s[34:35], 1
	s_sub_i32 s6, s6, s7
	s_mul_i32 s34, s47, s12
	s_add_u32 s7, s24, s4
	s_addc_u32 s8, s25, s5
	s_lshl_b64 s[4:5], s[34:35], 1
	s_mul_i32 s34, s10, s2
	s_add_u32 s55, s7, s4
	s_addc_u32 s56, s8, s5
	s_lshl_b64 s[4:5], s[34:35], 1
	;; [unrolled: 4-line block ×4, first 2 shown]
	s_mul_i32 s34, s10, s38
	s_add_u32 s58, s16, s2
	s_addc_u32 s59, s17, s3
	s_load_b64 s[16:17], s[0:1], 0x6c
	s_lshl_b64 s[2:3], s[34:35], 1
	s_mul_i32 s34, s6, s41
	s_add_u32 s7, s18, s2
	s_addc_u32 s8, s19, s3
	s_lshl_b64 s[2:3], s[34:35], 1
	v_dual_mov_b32 v13, 0 :: v_dual_lshlrev_b32 v10, 3, v0
	s_mul_i32 s34, s10, s42
	s_load_b64 s[4:5], s[0:1], 0xc8
	s_add_u32 s41, s7, s2
	s_addc_u32 s51, s8, s3
	s_lshl_b64 s[2:3], s[34:35], 1
	s_mul_i32 s34, s6, s45
	s_add_u32 s7, s20, s2
	v_mbcnt_lo_u32_b32 v1, -1, 0
	v_and_b32_e32 v2, 0x100, v10
	s_addc_u32 s6, s21, s3
	s_lshl_b64 s[2:3], s[34:35], 1
	s_mul_i32 s34, s14, s48
	s_add_u32 s45, s7, s2
	s_addc_u32 s48, s6, s3
	s_lshl_b64 s[2:3], s[34:35], 2
	s_mul_i32 s34, s49, s12
	s_clause 0x1
	s_load_b32 s49, s[0:1], 0xc
	s_load_b32 s0, s[0:1], 0x28
	v_or_b32_e32 v11, v1, v2
	v_and_b32_e32 v6, 32, v0
	v_lshrrev_b32_e32 v4, 5, v2
	v_cmp_gt_u32_e64 s6, 2, v0
	s_waitcnt lgkmcnt(0)
	s_add_u32 s4, s4, s2
	v_or_b32_e32 v12, 0x60, v11
	v_or_b32_e32 v17, 0xa0, v11
	;; [unrolled: 1-line block ×3, first 2 shown]
	s_addc_u32 s5, s5, s3
	s_lshl_b64 s[2:3], s[34:35], 2
	v_lshrrev_b32_e32 v3, 5, v12
	s_add_u32 s60, s4, s2
	v_or_b32_e32 v15, 64, v11
	v_or_b32_e32 v16, 0x80, v11
	;; [unrolled: 1-line block ×3, first 2 shown]
	v_and_b32_e32 v3, 10, v3
	v_lshrrev_b32_e32 v7, 5, v17
	v_lshrrev_b32_e32 v24, 5, v19
	s_addc_u32 s61, s5, s3
	s_add_i32 s1, s54, 0x7ff
	v_lshrrev_b32_e32 v5, 5, v15
	s_lshr_b32 s62, s1, 11
	s_bitcmp1_b32 s0, 0
	v_add_lshl_u32 v3, v3, v11, 1
	v_lshrrev_b32_e32 v8, 5, v16
	v_or_b32_e32 v9, v1, v6
	v_and_b32_e32 v7, 12, v7
	v_lshrrev_b32_e32 v23, 5, v18
	v_and_b32_e32 v26, 14, v24
	s_cselect_b32 s63, -1, 0
	s_cmp_gt_i32 s49, 0
	v_add_lshl_u32 v4, v4, v11, 1
	s_cselect_b32 s64, -1, 0
	s_add_i32 s0, 0, 0x420
	v_add_lshl_u32 v5, v5, v11, 1
	v_add_nc_u32_e32 v22, 0, v3
	v_add_lshl_u32 v8, v8, v11, 1
	v_lshrrev_b32_e32 v25, 2, v9
	v_add_lshl_u32 v7, v7, v11, 1
	v_add_lshl_u32 v33, v23, v11, 1
	;; [unrolled: 1-line block ×3, first 2 shown]
	v_add_nc_u32_e32 v30, s0, v3
	v_and_b32_e32 v3, 15, v1
	s_and_b32 s1, s54, 0x1ff
	v_and_b32_e32 v27, 14, v25
	v_add_nc_u32_e32 v25, 0, v33
	v_add_nc_u32_e32 v26, 0, v34
	;; [unrolled: 1-line block ×7, first 2 shown]
	s_cmp_eq_u32 s1, 0
	v_add_nc_u32_e32 v34, s0, v34
	v_cmp_ne_u32_e64 s0, 0, v3
	v_cmp_lt_u32_e64 s1, 1, v3
	v_cmp_lt_u32_e64 s2, 3, v3
	;; [unrolled: 1-line block ×3, first 2 shown]
	v_add_nc_u32_e32 v3, -1, v1
	v_add_nc_u32_e32 v20, 0, v4
	v_lshrrev_b32_e32 v4, 2, v0
	v_or_b32_e32 v6, 31, v6
	s_mul_i32 s34, s10, s16
	v_cmp_gt_i32_e32 vcc_lo, 0, v3
	s_cselect_b32 s65, -1, 0
	v_and_b32_e32 v4, 8, v4
	s_lshl_b64 s[14:15], s[34:35], 1
	s_add_i32 s66, s62, -1
	v_cndmask_b32_e32 v3, v3, v1, vcc_lo
	s_mul_i32 s34, s17, s12
	v_cmp_eq_u32_e64 s5, v6, v0
	v_cmp_gt_u32_e64 s8, 32, v0
	v_cmp_lt_u32_e64 s9, 31, v0
	v_cmp_eq_u32_e64 s10, 0, v0
	s_add_u32 s11, s30, s14
	v_lshlrev_b32_e32 v0, 1, v1
	s_addc_u32 s14, s31, s15
	s_lshl_b64 s[12:13], s[34:35], 1
	v_add_nc_u32_e32 v35, 0, v4
	v_and_b32_e32 v4, 1, v1
	s_add_u32 s11, s11, s12
	v_lshlrev_b32_e32 v37, 2, v3
	s_addc_u32 s12, s14, s13
	v_lshlrev_b32_e32 v3, 1, v2
	v_add_co_u32 v0, s11, s11, v0
	v_add_nc_u32_e32 v21, 0, v5
	v_lshl_add_u32 v9, v9, 3, v27
	v_and_b32_e32 v5, 16, v1
	v_cmp_eq_u32_e64 s7, 0, v4
	v_add_co_ci_u32_e64 v4, null, s12, 0, s11
	v_add_co_u32 v38, vcc_lo, v0, v3
	v_or_b32_e32 v14, 32, v11
	v_add_nc_u32_e32 v23, 0, v8
	v_add_nc_u32_e32 v24, 0, v7
	v_lshl_add_u32 v27, v9, 1, 0
	v_cmp_ne_u32_e64 s4, 0, v5
	v_add_nc_u32_e32 v36, 0, v10
	v_cmp_eq_u32_e64 s11, 0, v1
	v_add_co_ci_u32_e32 v39, vcc_lo, 0, v4, vcc_lo
	v_or_b32_e32 v40, 1, v10
	v_or_b32_e32 v41, 2, v10
	;; [unrolled: 1-line block ×7, first 2 shown]
	v_lshlrev_b32_e32 v47, 1, v1
	v_lshlrev_b32_e32 v48, 1, v2
	s_mov_b32 s67, 0x3e9b6dac
	s_add_i32 s68, 0, 0x850
	s_mov_b32 s69, 0
	s_branch .LBB46_12
.LBB46_11:                              ;   in Loop: Header=BB46_12 Depth=1
	s_or_b32 exec_lo, exec_lo, s12
	s_add_u32 s57, s57, 0x400
	s_addc_u32 s36, s36, 0
	s_add_u32 s55, s55, 0x400
	s_addc_u32 s56, s56, 0
	;; [unrolled: 2-line block ×4, first 2 shown]
	s_add_i32 s69, s69, 1
	s_delay_alu instid0(SALU_CYCLE_1)
	s_cmp_eq_u32 s69, s62
	s_cbranch_scc1 .LBB46_140
.LBB46_12:                              ; =>This Loop Header: Depth=1
                                        ;     Child Loop BB46_61 Depth 2
	v_add_co_u32 v0, s12, s55, v47
	s_delay_alu instid0(VALU_DEP_1) | instskip(SKIP_1) | instid1(VALU_DEP_2)
	v_add_co_ci_u32_e64 v1, null, s56, 0, s12
	s_lshl_b32 s30, s69, 9
	v_add_co_u32 v0, vcc_lo, v0, v48
	s_sub_i32 s23, s54, s30
	s_delay_alu instid0(VALU_DEP_2)
	v_add_co_ci_u32_e32 v1, vcc_lo, 0, v1, vcc_lo
	v_cmp_gt_u32_e64 s12, s23, v11
	s_waitcnt lgkmcnt(0)
	v_mov_b32_e32 v2, 0
	s_waitcnt_vscnt null, 0x0
	s_barrier
	buffer_gl0_inv
	s_and_saveexec_b32 s13, s12
	s_cbranch_execz .LBB46_14
; %bb.13:                               ;   in Loop: Header=BB46_12 Depth=1
	global_load_u16 v2, v[0:1], off
.LBB46_14:                              ;   in Loop: Header=BB46_12 Depth=1
	s_or_b32 exec_lo, exec_lo, s13
	v_cmp_gt_u32_e64 s13, s23, v14
	v_dual_mov_b32 v3, 0 :: v_dual_mov_b32 v4, 0
	s_delay_alu instid0(VALU_DEP_2)
	s_and_saveexec_b32 s14, s13
	s_cbranch_execz .LBB46_16
; %bb.15:                               ;   in Loop: Header=BB46_12 Depth=1
	global_load_u16 v4, v[0:1], off offset:64
.LBB46_16:                              ;   in Loop: Header=BB46_12 Depth=1
	s_or_b32 exec_lo, exec_lo, s14
	v_cmp_gt_u32_e64 s14, s23, v15
	s_delay_alu instid0(VALU_DEP_1)
	s_and_saveexec_b32 s15, s14
	s_cbranch_execz .LBB46_18
; %bb.17:                               ;   in Loop: Header=BB46_12 Depth=1
	global_load_u16 v3, v[0:1], off offset:128
.LBB46_18:                              ;   in Loop: Header=BB46_12 Depth=1
	s_or_b32 exec_lo, exec_lo, s15
	v_cmp_gt_u32_e64 s15, s23, v12
	v_mov_b32_e32 v5, 0
	v_mov_b32_e32 v7, 0
	s_delay_alu instid0(VALU_DEP_3)
	s_and_saveexec_b32 s16, s15
	s_cbranch_execz .LBB46_20
; %bb.19:                               ;   in Loop: Header=BB46_12 Depth=1
	global_load_u16 v7, v[0:1], off offset:192
.LBB46_20:                              ;   in Loop: Header=BB46_12 Depth=1
	s_or_b32 exec_lo, exec_lo, s16
	v_cmp_gt_u32_e64 s16, s23, v16
	s_delay_alu instid0(VALU_DEP_1)
	s_and_saveexec_b32 s17, s16
	s_cbranch_execz .LBB46_22
; %bb.21:                               ;   in Loop: Header=BB46_12 Depth=1
	global_load_u16 v5, v[0:1], off offset:256
.LBB46_22:                              ;   in Loop: Header=BB46_12 Depth=1
	s_or_b32 exec_lo, exec_lo, s17
	v_cmp_gt_u32_e64 s17, s23, v17
	v_dual_mov_b32 v8, 0 :: v_dual_mov_b32 v9, 0
	s_delay_alu instid0(VALU_DEP_2)
	s_and_saveexec_b32 s18, s17
	s_cbranch_execz .LBB46_24
; %bb.23:                               ;   in Loop: Header=BB46_12 Depth=1
	global_load_u16 v9, v[0:1], off offset:320
.LBB46_24:                              ;   in Loop: Header=BB46_12 Depth=1
	s_or_b32 exec_lo, exec_lo, s18
	v_cmp_gt_u32_e64 s18, s23, v18
	s_delay_alu instid0(VALU_DEP_1)
	s_and_saveexec_b32 s19, s18
	s_cbranch_execz .LBB46_26
; %bb.25:                               ;   in Loop: Header=BB46_12 Depth=1
	global_load_u16 v8, v[0:1], off offset:384
.LBB46_26:                              ;   in Loop: Header=BB46_12 Depth=1
	s_or_b32 exec_lo, exec_lo, s19
	v_cmp_gt_u32_e64 s19, s23, v19
	v_dual_mov_b32 v6, 0 :: v_dual_mov_b32 v49, 0
	s_delay_alu instid0(VALU_DEP_2)
	s_and_saveexec_b32 s20, s19
	s_cbranch_execz .LBB46_28
; %bb.27:                               ;   in Loop: Header=BB46_12 Depth=1
	global_load_u16 v49, v[0:1], off offset:448
.LBB46_28:                              ;   in Loop: Header=BB46_12 Depth=1
	s_or_b32 exec_lo, exec_lo, s20
	s_waitcnt vmcnt(0)
	ds_store_b16 v20, v2
	ds_store_b16 v20, v4 offset:64
	ds_store_b16 v21, v3 offset:128
	ds_store_b16 v22, v7 offset:192
	ds_store_b16 v23, v5 offset:256
	ds_store_b16 v24, v9 offset:320
	ds_store_b16 v25, v8 offset:384
	ds_store_b16 v26, v49 offset:448
	; wave barrier
	ds_load_b128 v[0:3], v27
	v_add_co_u32 v4, s20, s57, v47
	s_delay_alu instid0(VALU_DEP_1) | instskip(SKIP_1) | instid1(VALU_DEP_2)
	v_add_co_ci_u32_e64 v5, null, s36, 0, s20
	s_waitcnt lgkmcnt(0)
	v_add_co_u32 v4, vcc_lo, v4, v48
	s_delay_alu instid0(VALU_DEP_2)
	v_add_co_ci_u32_e32 v5, vcc_lo, 0, v5, vcc_lo
	s_barrier
	buffer_gl0_inv
	s_and_saveexec_b32 s20, s12
	s_cbranch_execz .LBB46_30
; %bb.29:                               ;   in Loop: Header=BB46_12 Depth=1
	global_load_u16 v6, v[4:5], off
.LBB46_30:                              ;   in Loop: Header=BB46_12 Depth=1
	s_or_b32 exec_lo, exec_lo, s20
	v_dual_mov_b32 v7, 0 :: v_dual_mov_b32 v8, 0
	s_and_saveexec_b32 s20, s13
	s_cbranch_execz .LBB46_32
; %bb.31:                               ;   in Loop: Header=BB46_12 Depth=1
	global_load_u16 v8, v[4:5], off offset:64
.LBB46_32:                              ;   in Loop: Header=BB46_12 Depth=1
	s_or_b32 exec_lo, exec_lo, s20
	s_and_saveexec_b32 s20, s14
	s_cbranch_execz .LBB46_34
; %bb.33:                               ;   in Loop: Header=BB46_12 Depth=1
	global_load_u16 v7, v[4:5], off offset:128
.LBB46_34:                              ;   in Loop: Header=BB46_12 Depth=1
	s_or_b32 exec_lo, exec_lo, s20
	v_mov_b32_e32 v9, 0
	v_mov_b32_e32 v49, 0
	s_and_saveexec_b32 s20, s15
	s_cbranch_execz .LBB46_36
; %bb.35:                               ;   in Loop: Header=BB46_12 Depth=1
	global_load_u16 v49, v[4:5], off offset:192
.LBB46_36:                              ;   in Loop: Header=BB46_12 Depth=1
	s_or_b32 exec_lo, exec_lo, s20
	s_and_saveexec_b32 s20, s16
	s_cbranch_execz .LBB46_38
; %bb.37:                               ;   in Loop: Header=BB46_12 Depth=1
	global_load_u16 v9, v[4:5], off offset:256
.LBB46_38:                              ;   in Loop: Header=BB46_12 Depth=1
	s_or_b32 exec_lo, exec_lo, s20
	v_dual_mov_b32 v50, 0 :: v_dual_mov_b32 v51, 0
	s_and_saveexec_b32 s20, s17
	s_cbranch_execnz .LBB46_130
; %bb.39:                               ;   in Loop: Header=BB46_12 Depth=1
	s_or_b32 exec_lo, exec_lo, s20
	s_and_saveexec_b32 s20, s18
	s_cbranch_execnz .LBB46_131
.LBB46_40:                              ;   in Loop: Header=BB46_12 Depth=1
	s_or_b32 exec_lo, exec_lo, s20
	v_mov_b32_e32 v52, 0
	s_and_saveexec_b32 s20, s19
	s_cbranch_execz .LBB46_42
.LBB46_41:                              ;   in Loop: Header=BB46_12 Depth=1
	global_load_u16 v52, v[4:5], off offset:448
.LBB46_42:                              ;   in Loop: Header=BB46_12 Depth=1
	s_or_b32 exec_lo, exec_lo, s20
	s_waitcnt vmcnt(0)
	ds_store_b16 v20, v6
	ds_store_b16 v20, v8 offset:64
	ds_store_b16 v21, v7 offset:128
	;; [unrolled: 1-line block ×7, first 2 shown]
	; wave barrier
	ds_load_b128 v[4:7], v27
	s_waitcnt lgkmcnt(0)
	v_lshlrev_b32_e32 v8, 16, v4
	s_delay_alu instid0(VALU_DEP_1) | instskip(NEXT) | instid1(VALU_DEP_1)
	v_add_f32_e32 v49, s52, v8
	v_cmp_ge_f32_e32 vcc_lo, 0x41a00000, v49
	s_and_b32 s20, s63, vcc_lo
	s_delay_alu instid0(SALU_CYCLE_1)
	s_and_saveexec_b32 s21, s20
	s_cbranch_execz .LBB46_44
; %bb.43:                               ;   in Loop: Header=BB46_12 Depth=1
	v_mul_f32_e32 v8, 0x3fb8aa3b, v49
	v_cmp_ngt_f32_e32 vcc_lo, 0xc2ce8ed0, v49
	s_delay_alu instid0(VALU_DEP_2) | instskip(SKIP_1) | instid1(VALU_DEP_2)
	v_rndne_f32_e32 v9, v8
	v_fma_f32 v50, 0x3fb8aa3b, v49, -v8
	v_sub_f32_e32 v8, v8, v9
	s_delay_alu instid0(VALU_DEP_2) | instskip(SKIP_1) | instid1(VALU_DEP_2)
	v_fmac_f32_e32 v50, 0x32a5705f, v49
	v_cvt_i32_f32_e32 v9, v9
	v_add_f32_e32 v8, v8, v50
	s_delay_alu instid0(VALU_DEP_1) | instskip(SKIP_2) | instid1(VALU_DEP_1)
	v_exp_f32_e32 v8, v8
	s_waitcnt_depctr 0xfff
	v_ldexp_f32 v8, v8, v9
	v_cndmask_b32_e32 v8, 0, v8, vcc_lo
	v_cmp_nlt_f32_e32 vcc_lo, 0x42b17218, v49
	s_delay_alu instid0(VALU_DEP_2) | instskip(NEXT) | instid1(VALU_DEP_1)
	v_cndmask_b32_e32 v49, 0x7f800000, v8, vcc_lo
	v_add_f32_e32 v50, 1.0, v49
	s_delay_alu instid0(VALU_DEP_1) | instskip(NEXT) | instid1(VALU_DEP_1)
	v_cvt_f64_f32_e32 v[8:9], v50
	v_frexp_exp_i32_f64_e32 v8, v[8:9]
	v_frexp_mant_f32_e32 v9, v50
	s_delay_alu instid0(VALU_DEP_1) | instskip(SKIP_1) | instid1(VALU_DEP_1)
	v_cmp_gt_f32_e32 vcc_lo, 0x3f2aaaab, v9
	v_add_f32_e32 v9, -1.0, v50
	v_sub_f32_e32 v52, v9, v50
	v_sub_f32_e32 v9, v49, v9
	v_cmp_gt_f32_e64 s20, 0x33800000, v49
	s_delay_alu instid0(VALU_DEP_3) | instskip(NEXT) | instid1(VALU_DEP_1)
	v_add_f32_e32 v52, 1.0, v52
	v_add_f32_e32 v9, v9, v52
	v_subrev_co_ci_u32_e32 v8, vcc_lo, 0, v8, vcc_lo
	v_cmp_eq_f32_e32 vcc_lo, 0x7f800000, v49
	s_delay_alu instid0(VALU_DEP_2) | instskip(SKIP_2) | instid1(VALU_DEP_2)
	v_sub_nc_u32_e32 v51, 0, v8
	v_cvt_f32_i32_e32 v8, v8
	s_or_b32 vcc_lo, s20, vcc_lo
	v_ldexp_f32 v50, v50, v51
	v_ldexp_f32 v9, v9, v51
	s_delay_alu instid0(VALU_DEP_2) | instskip(NEXT) | instid1(VALU_DEP_1)
	v_add_f32_e32 v53, 1.0, v50
	v_dual_add_f32 v51, -1.0, v50 :: v_dual_add_f32 v52, -1.0, v53
	s_delay_alu instid0(VALU_DEP_1) | instskip(NEXT) | instid1(VALU_DEP_2)
	v_add_f32_e32 v54, 1.0, v51
	v_sub_f32_e32 v52, v50, v52
	s_delay_alu instid0(VALU_DEP_2) | instskip(NEXT) | instid1(VALU_DEP_2)
	v_sub_f32_e32 v50, v50, v54
	v_add_f32_e32 v52, v9, v52
	s_delay_alu instid0(VALU_DEP_2) | instskip(NEXT) | instid1(VALU_DEP_1)
	v_add_f32_e32 v9, v9, v50
	v_dual_add_f32 v55, v51, v9 :: v_dual_add_f32 v54, v53, v52
	s_delay_alu instid0(VALU_DEP_1) | instskip(NEXT) | instid1(VALU_DEP_2)
	v_sub_f32_e32 v51, v51, v55
	v_rcp_f32_e32 v50, v54
	v_sub_f32_e32 v53, v53, v54
	s_delay_alu instid0(VALU_DEP_1) | instskip(SKIP_2) | instid1(VALU_DEP_1)
	v_dual_add_f32 v9, v9, v51 :: v_dual_add_f32 v52, v52, v53
	s_waitcnt_depctr 0xfff
	v_mul_f32_e32 v56, v55, v50
	v_mul_f32_e32 v57, v54, v56
	s_delay_alu instid0(VALU_DEP_1) | instskip(NEXT) | instid1(VALU_DEP_1)
	v_fma_f32 v53, v56, v54, -v57
	v_fmac_f32_e32 v53, v56, v52
	s_delay_alu instid0(VALU_DEP_1) | instskip(NEXT) | instid1(VALU_DEP_1)
	v_add_f32_e32 v58, v57, v53
	v_sub_f32_e32 v59, v55, v58
	s_delay_alu instid0(VALU_DEP_1) | instskip(NEXT) | instid1(VALU_DEP_1)
	v_sub_f32_e32 v55, v55, v59
	v_sub_f32_e32 v55, v55, v58
	;; [unrolled: 1-line block ×3, first 2 shown]
	s_delay_alu instid0(VALU_DEP_2) | instskip(NEXT) | instid1(VALU_DEP_2)
	v_add_f32_e32 v9, v9, v55
	v_sub_f32_e32 v51, v51, v53
	s_delay_alu instid0(VALU_DEP_1) | instskip(NEXT) | instid1(VALU_DEP_1)
	v_add_f32_e32 v9, v51, v9
	v_add_f32_e32 v51, v59, v9
	s_delay_alu instid0(VALU_DEP_1) | instskip(NEXT) | instid1(VALU_DEP_1)
	v_mul_f32_e32 v53, v50, v51
	v_dual_sub_f32 v58, v59, v51 :: v_dual_mul_f32 v55, v54, v53
	s_delay_alu instid0(VALU_DEP_1) | instskip(NEXT) | instid1(VALU_DEP_2)
	v_add_f32_e32 v9, v9, v58
	v_fma_f32 v54, v53, v54, -v55
	s_delay_alu instid0(VALU_DEP_1) | instskip(NEXT) | instid1(VALU_DEP_1)
	v_fmac_f32_e32 v54, v53, v52
	v_add_f32_e32 v52, v55, v54
	s_delay_alu instid0(VALU_DEP_1) | instskip(NEXT) | instid1(VALU_DEP_1)
	v_sub_f32_e32 v57, v51, v52
	v_sub_f32_e32 v51, v51, v57
	s_delay_alu instid0(VALU_DEP_1) | instskip(NEXT) | instid1(VALU_DEP_1)
	v_sub_f32_e32 v51, v51, v52
	v_add_f32_e32 v9, v9, v51
	v_add_f32_e32 v51, v56, v53
	v_sub_f32_e32 v55, v52, v55
	s_delay_alu instid0(VALU_DEP_1) | instskip(NEXT) | instid1(VALU_DEP_1)
	v_sub_f32_e32 v52, v55, v54
	v_dual_add_f32 v9, v52, v9 :: v_dual_sub_f32 v52, v51, v56
	s_delay_alu instid0(VALU_DEP_1) | instskip(NEXT) | instid1(VALU_DEP_1)
	v_add_f32_e32 v9, v57, v9
	v_dual_sub_f32 v52, v53, v52 :: v_dual_mul_f32 v9, v50, v9
	s_delay_alu instid0(VALU_DEP_1) | instskip(NEXT) | instid1(VALU_DEP_1)
	v_add_f32_e32 v9, v52, v9
	v_add_f32_e32 v50, v51, v9
	s_delay_alu instid0(VALU_DEP_1) | instskip(NEXT) | instid1(VALU_DEP_1)
	v_mul_f32_e32 v52, v50, v50
	v_fmaak_f32 v53, s67, v52, 0x3ecc95a3
	v_mul_f32_e32 v54, v50, v52
	s_delay_alu instid0(VALU_DEP_2) | instskip(SKIP_2) | instid1(VALU_DEP_3)
	v_fmaak_f32 v52, v52, v53, 0x3f2aaada
	v_ldexp_f32 v53, v50, 1
	v_sub_f32_e32 v50, v50, v51
	v_mul_f32_e32 v52, v54, v52
	v_mul_f32_e32 v54, 0x3f317218, v8
	s_delay_alu instid0(VALU_DEP_2) | instskip(NEXT) | instid1(VALU_DEP_1)
	v_add_f32_e32 v51, v53, v52
	v_dual_sub_f32 v9, v9, v50 :: v_dual_sub_f32 v50, v51, v53
	s_delay_alu instid0(VALU_DEP_3) | instskip(NEXT) | instid1(VALU_DEP_2)
	v_fma_f32 v53, 0x3f317218, v8, -v54
	v_ldexp_f32 v9, v9, 1
	s_delay_alu instid0(VALU_DEP_2) | instskip(NEXT) | instid1(VALU_DEP_1)
	v_dual_sub_f32 v50, v52, v50 :: v_dual_fmac_f32 v53, 0xb102e308, v8
	v_dual_add_f32 v8, v9, v50 :: v_dual_add_f32 v9, v54, v53
	s_delay_alu instid0(VALU_DEP_1) | instskip(NEXT) | instid1(VALU_DEP_1)
	v_add_f32_e32 v50, v51, v8
	v_add_f32_e32 v52, v9, v50
	s_delay_alu instid0(VALU_DEP_1) | instskip(NEXT) | instid1(VALU_DEP_1)
	v_sub_f32_e32 v55, v52, v9
	v_sub_f32_e32 v56, v52, v55
	;; [unrolled: 1-line block ×4, first 2 shown]
	s_delay_alu instid0(VALU_DEP_2) | instskip(SKIP_1) | instid1(VALU_DEP_1)
	v_sub_f32_e32 v8, v8, v51
	v_sub_f32_e32 v54, v9, v54
	;; [unrolled: 1-line block ×3, first 2 shown]
	s_delay_alu instid0(VALU_DEP_1) | instskip(SKIP_1) | instid1(VALU_DEP_1)
	v_add_f32_e32 v51, v53, v8
	v_sub_f32_e32 v9, v9, v56
	v_add_f32_e32 v9, v50, v9
	s_delay_alu instid0(VALU_DEP_3) | instskip(NEXT) | instid1(VALU_DEP_1)
	v_sub_f32_e32 v50, v51, v53
	v_dual_sub_f32 v8, v8, v50 :: v_dual_add_f32 v9, v51, v9
	s_delay_alu instid0(VALU_DEP_1) | instskip(NEXT) | instid1(VALU_DEP_1)
	v_dual_sub_f32 v51, v51, v50 :: v_dual_add_f32 v54, v52, v9
	v_dual_sub_f32 v51, v53, v51 :: v_dual_sub_f32 v50, v54, v52
	s_delay_alu instid0(VALU_DEP_1) | instskip(NEXT) | instid1(VALU_DEP_1)
	v_dual_add_f32 v8, v8, v51 :: v_dual_sub_f32 v9, v9, v50
	v_add_f32_e32 v8, v8, v9
	s_delay_alu instid0(VALU_DEP_1) | instskip(NEXT) | instid1(VALU_DEP_1)
	v_add_f32_e32 v8, v54, v8
	v_cndmask_b32_e32 v49, v8, v49, vcc_lo
.LBB46_44:                              ;   in Loop: Header=BB46_12 Depth=1
	s_or_b32 exec_lo, exec_lo, s21
	v_and_b32_e32 v4, 0xffff0000, v4
	s_delay_alu instid0(VALU_DEP_1) | instskip(NEXT) | instid1(VALU_DEP_1)
	v_add_f32_e32 v50, s52, v4
	v_cmp_ge_f32_e32 vcc_lo, 0x41a00000, v50
	s_and_b32 s20, s63, vcc_lo
	s_delay_alu instid0(SALU_CYCLE_1)
	s_and_saveexec_b32 s21, s20
	s_cbranch_execz .LBB46_46
; %bb.45:                               ;   in Loop: Header=BB46_12 Depth=1
	v_mul_f32_e32 v4, 0x3fb8aa3b, v50
	v_cmp_ngt_f32_e32 vcc_lo, 0xc2ce8ed0, v50
	s_delay_alu instid0(VALU_DEP_2) | instskip(SKIP_1) | instid1(VALU_DEP_1)
	v_rndne_f32_e32 v8, v4
	v_fma_f32 v9, 0x3fb8aa3b, v50, -v4
	v_dual_sub_f32 v4, v4, v8 :: v_dual_fmac_f32 v9, 0x32a5705f, v50
	v_cvt_i32_f32_e32 v8, v8
	s_delay_alu instid0(VALU_DEP_2) | instskip(NEXT) | instid1(VALU_DEP_1)
	v_add_f32_e32 v4, v4, v9
	v_exp_f32_e32 v4, v4
	s_waitcnt_depctr 0xfff
	v_ldexp_f32 v4, v4, v8
	s_delay_alu instid0(VALU_DEP_1) | instskip(SKIP_1) | instid1(VALU_DEP_2)
	v_cndmask_b32_e32 v4, 0, v4, vcc_lo
	v_cmp_nlt_f32_e32 vcc_lo, 0x42b17218, v50
	v_cndmask_b32_e32 v4, 0x7f800000, v4, vcc_lo
	s_delay_alu instid0(VALU_DEP_1) | instskip(NEXT) | instid1(VALU_DEP_1)
	v_add_f32_e32 v50, 1.0, v4
	v_cvt_f64_f32_e32 v[8:9], v50
	s_delay_alu instid0(VALU_DEP_1) | instskip(SKIP_1) | instid1(VALU_DEP_1)
	v_frexp_exp_i32_f64_e32 v8, v[8:9]
	v_frexp_mant_f32_e32 v9, v50
	v_cmp_gt_f32_e32 vcc_lo, 0x3f2aaaab, v9
	v_add_f32_e32 v9, -1.0, v50
	s_delay_alu instid0(VALU_DEP_1) | instskip(NEXT) | instid1(VALU_DEP_1)
	v_dual_sub_f32 v52, v9, v50 :: v_dual_sub_f32 v9, v4, v9
	v_add_f32_e32 v52, 1.0, v52
	s_delay_alu instid0(VALU_DEP_1) | instskip(SKIP_1) | instid1(VALU_DEP_1)
	v_add_f32_e32 v9, v9, v52
	v_subrev_co_ci_u32_e32 v8, vcc_lo, 0, v8, vcc_lo
	v_sub_nc_u32_e32 v51, 0, v8
	v_cvt_f32_i32_e32 v8, v8
	s_delay_alu instid0(VALU_DEP_2) | instskip(SKIP_1) | instid1(VALU_DEP_2)
	v_ldexp_f32 v50, v50, v51
	v_ldexp_f32 v9, v9, v51
	v_add_f32_e32 v53, 1.0, v50
	v_add_f32_e32 v51, -1.0, v50
	v_cmp_eq_f32_e32 vcc_lo, 0x7f800000, v4
	v_cmp_gt_f32_e64 s20, 0x33800000, v4
	s_delay_alu instid0(VALU_DEP_4) | instskip(NEXT) | instid1(VALU_DEP_4)
	v_add_f32_e32 v52, -1.0, v53
	v_add_f32_e32 v54, 1.0, v51
	s_delay_alu instid0(VALU_DEP_3) | instskip(NEXT) | instid1(VALU_DEP_2)
	s_or_b32 vcc_lo, s20, vcc_lo
	v_sub_f32_e32 v52, v50, v52
	s_delay_alu instid0(VALU_DEP_2) | instskip(NEXT) | instid1(VALU_DEP_2)
	v_sub_f32_e32 v50, v50, v54
	v_add_f32_e32 v52, v9, v52
	s_delay_alu instid0(VALU_DEP_2) | instskip(NEXT) | instid1(VALU_DEP_1)
	v_add_f32_e32 v9, v9, v50
	v_add_f32_e32 v55, v51, v9
	s_delay_alu instid0(VALU_DEP_1) | instskip(NEXT) | instid1(VALU_DEP_1)
	v_dual_sub_f32 v51, v51, v55 :: v_dual_add_f32 v54, v53, v52
	v_add_f32_e32 v9, v9, v51
	s_delay_alu instid0(VALU_DEP_2) | instskip(SKIP_1) | instid1(VALU_DEP_1)
	v_rcp_f32_e32 v50, v54
	v_sub_f32_e32 v53, v53, v54
	v_add_f32_e32 v52, v52, v53
	s_waitcnt_depctr 0xfff
	v_mul_f32_e32 v56, v55, v50
	s_delay_alu instid0(VALU_DEP_1) | instskip(NEXT) | instid1(VALU_DEP_1)
	v_mul_f32_e32 v57, v54, v56
	v_fma_f32 v53, v56, v54, -v57
	s_delay_alu instid0(VALU_DEP_1) | instskip(NEXT) | instid1(VALU_DEP_1)
	v_fmac_f32_e32 v53, v56, v52
	v_add_f32_e32 v58, v57, v53
	s_delay_alu instid0(VALU_DEP_1) | instskip(SKIP_1) | instid1(VALU_DEP_2)
	v_sub_f32_e32 v59, v55, v58
	v_sub_f32_e32 v51, v58, v57
	;; [unrolled: 1-line block ×3, first 2 shown]
	s_delay_alu instid0(VALU_DEP_2) | instskip(NEXT) | instid1(VALU_DEP_2)
	v_sub_f32_e32 v51, v51, v53
	v_sub_f32_e32 v55, v55, v58
	s_delay_alu instid0(VALU_DEP_1) | instskip(NEXT) | instid1(VALU_DEP_1)
	v_add_f32_e32 v9, v9, v55
	v_add_f32_e32 v9, v51, v9
	s_delay_alu instid0(VALU_DEP_1) | instskip(NEXT) | instid1(VALU_DEP_1)
	v_add_f32_e32 v51, v59, v9
	v_mul_f32_e32 v53, v50, v51
	s_delay_alu instid0(VALU_DEP_1) | instskip(NEXT) | instid1(VALU_DEP_1)
	v_dual_sub_f32 v58, v59, v51 :: v_dual_mul_f32 v55, v54, v53
	v_add_f32_e32 v9, v9, v58
	s_delay_alu instid0(VALU_DEP_2) | instskip(NEXT) | instid1(VALU_DEP_1)
	v_fma_f32 v54, v53, v54, -v55
	v_fmac_f32_e32 v54, v53, v52
	s_delay_alu instid0(VALU_DEP_1) | instskip(NEXT) | instid1(VALU_DEP_1)
	v_add_f32_e32 v52, v55, v54
	v_sub_f32_e32 v57, v51, v52
	s_delay_alu instid0(VALU_DEP_1) | instskip(NEXT) | instid1(VALU_DEP_1)
	v_sub_f32_e32 v51, v51, v57
	v_sub_f32_e32 v51, v51, v52
	s_delay_alu instid0(VALU_DEP_1) | instskip(SKIP_2) | instid1(VALU_DEP_1)
	v_add_f32_e32 v9, v9, v51
	v_add_f32_e32 v51, v56, v53
	v_sub_f32_e32 v55, v52, v55
	v_sub_f32_e32 v52, v55, v54
	s_delay_alu instid0(VALU_DEP_1) | instskip(NEXT) | instid1(VALU_DEP_1)
	v_dual_add_f32 v9, v52, v9 :: v_dual_sub_f32 v52, v51, v56
	v_add_f32_e32 v9, v57, v9
	s_delay_alu instid0(VALU_DEP_1) | instskip(NEXT) | instid1(VALU_DEP_1)
	v_dual_sub_f32 v52, v53, v52 :: v_dual_mul_f32 v9, v50, v9
	v_add_f32_e32 v9, v52, v9
	s_delay_alu instid0(VALU_DEP_1) | instskip(NEXT) | instid1(VALU_DEP_1)
	v_add_f32_e32 v50, v51, v9
	v_mul_f32_e32 v52, v50, v50
	s_delay_alu instid0(VALU_DEP_1) | instskip(SKIP_1) | instid1(VALU_DEP_2)
	v_fmaak_f32 v53, s67, v52, 0x3ecc95a3
	v_mul_f32_e32 v54, v50, v52
	v_fmaak_f32 v52, v52, v53, 0x3f2aaada
	v_ldexp_f32 v53, v50, 1
	v_sub_f32_e32 v50, v50, v51
	s_delay_alu instid0(VALU_DEP_3) | instskip(SKIP_1) | instid1(VALU_DEP_2)
	v_mul_f32_e32 v52, v54, v52
	v_mul_f32_e32 v54, 0x3f317218, v8
	v_add_f32_e32 v51, v53, v52
	s_delay_alu instid0(VALU_DEP_1) | instskip(NEXT) | instid1(VALU_DEP_3)
	v_dual_sub_f32 v9, v9, v50 :: v_dual_sub_f32 v50, v51, v53
	v_fma_f32 v53, 0x3f317218, v8, -v54
	s_delay_alu instid0(VALU_DEP_2) | instskip(NEXT) | instid1(VALU_DEP_2)
	v_ldexp_f32 v9, v9, 1
	v_dual_sub_f32 v50, v52, v50 :: v_dual_fmac_f32 v53, 0xb102e308, v8
	s_delay_alu instid0(VALU_DEP_1) | instskip(NEXT) | instid1(VALU_DEP_1)
	v_dual_add_f32 v8, v9, v50 :: v_dual_add_f32 v9, v54, v53
	v_add_f32_e32 v50, v51, v8
	s_delay_alu instid0(VALU_DEP_1) | instskip(NEXT) | instid1(VALU_DEP_1)
	v_add_f32_e32 v52, v9, v50
	v_sub_f32_e32 v55, v52, v9
	s_delay_alu instid0(VALU_DEP_1) | instskip(SKIP_2) | instid1(VALU_DEP_2)
	v_sub_f32_e32 v56, v52, v55
	v_sub_f32_e32 v51, v50, v51
	;; [unrolled: 1-line block ×5, first 2 shown]
	s_delay_alu instid0(VALU_DEP_1) | instskip(NEXT) | instid1(VALU_DEP_1)
	v_sub_f32_e32 v53, v53, v54
	v_add_f32_e32 v51, v53, v8
	v_sub_f32_e32 v9, v9, v56
	s_delay_alu instid0(VALU_DEP_1) | instskip(NEXT) | instid1(VALU_DEP_3)
	v_add_f32_e32 v9, v50, v9
	v_sub_f32_e32 v50, v51, v53
	s_delay_alu instid0(VALU_DEP_1) | instskip(NEXT) | instid1(VALU_DEP_1)
	v_dual_sub_f32 v8, v8, v50 :: v_dual_add_f32 v9, v51, v9
	v_dual_sub_f32 v51, v51, v50 :: v_dual_add_f32 v54, v52, v9
	s_delay_alu instid0(VALU_DEP_1) | instskip(NEXT) | instid1(VALU_DEP_1)
	v_dual_sub_f32 v51, v53, v51 :: v_dual_sub_f32 v50, v54, v52
	v_dual_add_f32 v8, v8, v51 :: v_dual_sub_f32 v9, v9, v50
	s_delay_alu instid0(VALU_DEP_1) | instskip(NEXT) | instid1(VALU_DEP_1)
	v_add_f32_e32 v8, v8, v9
	v_add_f32_e32 v8, v54, v8
	s_delay_alu instid0(VALU_DEP_1)
	v_cndmask_b32_e32 v50, v8, v4, vcc_lo
.LBB46_46:                              ;   in Loop: Header=BB46_12 Depth=1
	s_or_b32 exec_lo, exec_lo, s21
	v_lshlrev_b32_e32 v4, 16, v5
	s_delay_alu instid0(VALU_DEP_1) | instskip(NEXT) | instid1(VALU_DEP_1)
	v_add_f32_e32 v51, s52, v4
	v_cmp_ge_f32_e32 vcc_lo, 0x41a00000, v51
	s_and_b32 s20, s63, vcc_lo
	s_delay_alu instid0(SALU_CYCLE_1)
	s_and_saveexec_b32 s21, s20
	s_cbranch_execz .LBB46_48
; %bb.47:                               ;   in Loop: Header=BB46_12 Depth=1
	v_mul_f32_e32 v4, 0x3fb8aa3b, v51
	v_cmp_ngt_f32_e32 vcc_lo, 0xc2ce8ed0, v51
	s_delay_alu instid0(VALU_DEP_2) | instskip(SKIP_1) | instid1(VALU_DEP_1)
	v_rndne_f32_e32 v8, v4
	v_fma_f32 v9, 0x3fb8aa3b, v51, -v4
	v_dual_sub_f32 v4, v4, v8 :: v_dual_fmac_f32 v9, 0x32a5705f, v51
	v_cvt_i32_f32_e32 v8, v8
	s_delay_alu instid0(VALU_DEP_2) | instskip(NEXT) | instid1(VALU_DEP_1)
	v_add_f32_e32 v4, v4, v9
	v_exp_f32_e32 v4, v4
	s_waitcnt_depctr 0xfff
	v_ldexp_f32 v4, v4, v8
	s_delay_alu instid0(VALU_DEP_1) | instskip(SKIP_1) | instid1(VALU_DEP_2)
	v_cndmask_b32_e32 v4, 0, v4, vcc_lo
	v_cmp_nlt_f32_e32 vcc_lo, 0x42b17218, v51
	v_cndmask_b32_e32 v4, 0x7f800000, v4, vcc_lo
	s_delay_alu instid0(VALU_DEP_1) | instskip(NEXT) | instid1(VALU_DEP_1)
	v_add_f32_e32 v51, 1.0, v4
	v_cvt_f64_f32_e32 v[8:9], v51
	s_delay_alu instid0(VALU_DEP_1) | instskip(SKIP_1) | instid1(VALU_DEP_1)
	v_frexp_exp_i32_f64_e32 v8, v[8:9]
	v_frexp_mant_f32_e32 v9, v51
	v_cmp_gt_f32_e32 vcc_lo, 0x3f2aaaab, v9
	v_add_f32_e32 v9, -1.0, v51
	s_delay_alu instid0(VALU_DEP_1) | instskip(NEXT) | instid1(VALU_DEP_1)
	v_sub_f32_e32 v53, v9, v51
	v_add_f32_e32 v53, 1.0, v53
	v_subrev_co_ci_u32_e32 v8, vcc_lo, 0, v8, vcc_lo
	s_delay_alu instid0(VALU_DEP_1) | instskip(SKIP_1) | instid1(VALU_DEP_2)
	v_sub_nc_u32_e32 v52, 0, v8
	v_cvt_f32_i32_e32 v8, v8
	v_ldexp_f32 v51, v51, v52
	s_delay_alu instid0(VALU_DEP_1) | instskip(NEXT) | instid1(VALU_DEP_1)
	v_dual_sub_f32 v9, v4, v9 :: v_dual_add_f32 v54, 1.0, v51
	v_add_f32_e32 v9, v9, v53
	v_cmp_eq_f32_e32 vcc_lo, 0x7f800000, v4
	v_cmp_gt_f32_e64 s20, 0x33800000, v4
	s_delay_alu instid0(VALU_DEP_4) | instskip(NEXT) | instid1(VALU_DEP_4)
	v_add_f32_e32 v53, -1.0, v54
	v_ldexp_f32 v9, v9, v52
	v_add_f32_e32 v52, -1.0, v51
	s_delay_alu instid0(VALU_DEP_4) | instskip(NEXT) | instid1(VALU_DEP_3)
	s_or_b32 vcc_lo, s20, vcc_lo
	v_sub_f32_e32 v53, v51, v53
	s_delay_alu instid0(VALU_DEP_2) | instskip(NEXT) | instid1(VALU_DEP_2)
	v_add_f32_e32 v55, 1.0, v52
	v_add_f32_e32 v53, v9, v53
	s_delay_alu instid0(VALU_DEP_2) | instskip(NEXT) | instid1(VALU_DEP_1)
	v_sub_f32_e32 v51, v51, v55
	v_add_f32_e32 v9, v9, v51
	s_delay_alu instid0(VALU_DEP_1) | instskip(NEXT) | instid1(VALU_DEP_1)
	v_add_f32_e32 v56, v52, v9
	v_dual_add_f32 v55, v54, v53 :: v_dual_sub_f32 v52, v52, v56
	s_delay_alu instid0(VALU_DEP_1) | instskip(SKIP_1) | instid1(VALU_DEP_1)
	v_rcp_f32_e32 v51, v55
	v_sub_f32_e32 v54, v54, v55
	v_add_f32_e32 v53, v53, v54
	s_waitcnt_depctr 0xfff
	v_mul_f32_e32 v57, v56, v51
	s_delay_alu instid0(VALU_DEP_1) | instskip(NEXT) | instid1(VALU_DEP_1)
	v_mul_f32_e32 v58, v55, v57
	v_fma_f32 v54, v57, v55, -v58
	s_delay_alu instid0(VALU_DEP_1) | instskip(SKIP_1) | instid1(VALU_DEP_2)
	v_fmac_f32_e32 v54, v57, v53
	v_add_f32_e32 v9, v9, v52
	v_add_f32_e32 v59, v58, v54
	s_delay_alu instid0(VALU_DEP_1) | instskip(SKIP_1) | instid1(VALU_DEP_2)
	v_sub_f32_e32 v60, v56, v59
	v_sub_f32_e32 v52, v59, v58
	;; [unrolled: 1-line block ×3, first 2 shown]
	s_delay_alu instid0(VALU_DEP_2) | instskip(NEXT) | instid1(VALU_DEP_2)
	v_sub_f32_e32 v52, v52, v54
	v_sub_f32_e32 v56, v56, v59
	s_delay_alu instid0(VALU_DEP_1) | instskip(NEXT) | instid1(VALU_DEP_1)
	v_add_f32_e32 v9, v9, v56
	v_add_f32_e32 v9, v52, v9
	s_delay_alu instid0(VALU_DEP_1) | instskip(NEXT) | instid1(VALU_DEP_1)
	v_add_f32_e32 v52, v60, v9
	v_mul_f32_e32 v54, v51, v52
	s_delay_alu instid0(VALU_DEP_1) | instskip(NEXT) | instid1(VALU_DEP_1)
	v_dual_sub_f32 v59, v60, v52 :: v_dual_mul_f32 v56, v55, v54
	v_add_f32_e32 v9, v9, v59
	s_delay_alu instid0(VALU_DEP_2) | instskip(NEXT) | instid1(VALU_DEP_1)
	v_fma_f32 v55, v54, v55, -v56
	v_fmac_f32_e32 v55, v54, v53
	s_delay_alu instid0(VALU_DEP_1) | instskip(NEXT) | instid1(VALU_DEP_1)
	v_add_f32_e32 v53, v56, v55
	v_sub_f32_e32 v58, v52, v53
	s_delay_alu instid0(VALU_DEP_1) | instskip(NEXT) | instid1(VALU_DEP_1)
	v_sub_f32_e32 v52, v52, v58
	v_sub_f32_e32 v52, v52, v53
	s_delay_alu instid0(VALU_DEP_1) | instskip(SKIP_2) | instid1(VALU_DEP_1)
	v_add_f32_e32 v9, v9, v52
	v_add_f32_e32 v52, v57, v54
	v_sub_f32_e32 v56, v53, v56
	v_sub_f32_e32 v53, v56, v55
	s_delay_alu instid0(VALU_DEP_1) | instskip(NEXT) | instid1(VALU_DEP_4)
	v_add_f32_e32 v9, v53, v9
	v_sub_f32_e32 v53, v52, v57
	s_delay_alu instid0(VALU_DEP_2) | instskip(NEXT) | instid1(VALU_DEP_2)
	v_add_f32_e32 v9, v58, v9
	v_sub_f32_e32 v53, v54, v53
	s_delay_alu instid0(VALU_DEP_2) | instskip(NEXT) | instid1(VALU_DEP_1)
	v_mul_f32_e32 v9, v51, v9
	v_add_f32_e32 v9, v53, v9
	s_delay_alu instid0(VALU_DEP_1) | instskip(NEXT) | instid1(VALU_DEP_1)
	v_add_f32_e32 v51, v52, v9
	v_mul_f32_e32 v53, v51, v51
	s_delay_alu instid0(VALU_DEP_1) | instskip(SKIP_1) | instid1(VALU_DEP_2)
	v_fmaak_f32 v54, s67, v53, 0x3ecc95a3
	v_mul_f32_e32 v55, v51, v53
	v_fmaak_f32 v53, v53, v54, 0x3f2aaada
	v_ldexp_f32 v54, v51, 1
	v_sub_f32_e32 v51, v51, v52
	s_delay_alu instid0(VALU_DEP_3) | instskip(SKIP_1) | instid1(VALU_DEP_2)
	v_mul_f32_e32 v53, v55, v53
	v_mul_f32_e32 v55, 0x3f317218, v8
	v_dual_sub_f32 v9, v9, v51 :: v_dual_add_f32 v52, v54, v53
	s_delay_alu instid0(VALU_DEP_1) | instskip(NEXT) | instid1(VALU_DEP_2)
	v_ldexp_f32 v9, v9, 1
	v_sub_f32_e32 v51, v52, v54
	s_delay_alu instid0(VALU_DEP_4) | instskip(NEXT) | instid1(VALU_DEP_1)
	v_fma_f32 v54, 0x3f317218, v8, -v55
	v_dual_sub_f32 v51, v53, v51 :: v_dual_fmac_f32 v54, 0xb102e308, v8
	s_delay_alu instid0(VALU_DEP_1) | instskip(NEXT) | instid1(VALU_DEP_1)
	v_dual_add_f32 v8, v9, v51 :: v_dual_add_f32 v9, v55, v54
	v_add_f32_e32 v51, v52, v8
	s_delay_alu instid0(VALU_DEP_2) | instskip(NEXT) | instid1(VALU_DEP_2)
	v_sub_f32_e32 v55, v9, v55
	v_dual_add_f32 v53, v9, v51 :: v_dual_sub_f32 v52, v51, v52
	s_delay_alu instid0(VALU_DEP_2) | instskip(NEXT) | instid1(VALU_DEP_2)
	v_sub_f32_e32 v54, v54, v55
	v_sub_f32_e32 v56, v53, v9
	s_delay_alu instid0(VALU_DEP_3) | instskip(NEXT) | instid1(VALU_DEP_2)
	v_sub_f32_e32 v8, v8, v52
	v_sub_f32_e32 v57, v53, v56
	;; [unrolled: 1-line block ×3, first 2 shown]
	s_delay_alu instid0(VALU_DEP_2) | instskip(NEXT) | instid1(VALU_DEP_1)
	v_dual_add_f32 v52, v54, v8 :: v_dual_sub_f32 v9, v9, v57
	v_add_f32_e32 v9, v51, v9
	s_delay_alu instid0(VALU_DEP_2) | instskip(NEXT) | instid1(VALU_DEP_2)
	v_sub_f32_e32 v51, v52, v54
	v_add_f32_e32 v9, v52, v9
	s_delay_alu instid0(VALU_DEP_2) | instskip(NEXT) | instid1(VALU_DEP_2)
	v_sub_f32_e32 v52, v52, v51
	v_dual_sub_f32 v8, v8, v51 :: v_dual_add_f32 v55, v53, v9
	s_delay_alu instid0(VALU_DEP_1) | instskip(NEXT) | instid1(VALU_DEP_1)
	v_dual_sub_f32 v52, v54, v52 :: v_dual_sub_f32 v51, v55, v53
	v_dual_add_f32 v8, v8, v52 :: v_dual_sub_f32 v9, v9, v51
	s_delay_alu instid0(VALU_DEP_1) | instskip(NEXT) | instid1(VALU_DEP_1)
	v_add_f32_e32 v8, v8, v9
	v_add_f32_e32 v8, v55, v8
	s_delay_alu instid0(VALU_DEP_1)
	v_cndmask_b32_e32 v51, v8, v4, vcc_lo
.LBB46_48:                              ;   in Loop: Header=BB46_12 Depth=1
	s_or_b32 exec_lo, exec_lo, s21
	v_and_b32_e32 v4, 0xffff0000, v5
	s_delay_alu instid0(VALU_DEP_1) | instskip(NEXT) | instid1(VALU_DEP_1)
	v_add_f32_e32 v52, s52, v4
	v_cmp_ge_f32_e32 vcc_lo, 0x41a00000, v52
	s_and_b32 s20, s63, vcc_lo
	s_delay_alu instid0(SALU_CYCLE_1)
	s_and_saveexec_b32 s21, s20
	s_cbranch_execz .LBB46_50
; %bb.49:                               ;   in Loop: Header=BB46_12 Depth=1
	v_mul_f32_e32 v4, 0x3fb8aa3b, v52
	v_cmp_ngt_f32_e32 vcc_lo, 0xc2ce8ed0, v52
	s_delay_alu instid0(VALU_DEP_2) | instskip(SKIP_1) | instid1(VALU_DEP_2)
	v_rndne_f32_e32 v5, v4
	v_fma_f32 v8, 0x3fb8aa3b, v52, -v4
	v_sub_f32_e32 v4, v4, v5
	s_delay_alu instid0(VALU_DEP_2) | instskip(SKIP_1) | instid1(VALU_DEP_2)
	v_fmac_f32_e32 v8, 0x32a5705f, v52
	v_cvt_i32_f32_e32 v5, v5
	v_add_f32_e32 v4, v4, v8
	s_delay_alu instid0(VALU_DEP_1) | instskip(SKIP_2) | instid1(VALU_DEP_1)
	v_exp_f32_e32 v4, v4
	s_waitcnt_depctr 0xfff
	v_ldexp_f32 v4, v4, v5
	v_cndmask_b32_e32 v4, 0, v4, vcc_lo
	v_cmp_nlt_f32_e32 vcc_lo, 0x42b17218, v52
	s_delay_alu instid0(VALU_DEP_2) | instskip(NEXT) | instid1(VALU_DEP_1)
	v_cndmask_b32_e32 v8, 0x7f800000, v4, vcc_lo
	v_add_f32_e32 v9, 1.0, v8
	s_delay_alu instid0(VALU_DEP_1) | instskip(NEXT) | instid1(VALU_DEP_1)
	v_cvt_f64_f32_e32 v[4:5], v9
	v_frexp_exp_i32_f64_e32 v4, v[4:5]
	v_frexp_mant_f32_e32 v5, v9
	s_delay_alu instid0(VALU_DEP_1) | instskip(SKIP_1) | instid1(VALU_DEP_1)
	v_cmp_gt_f32_e32 vcc_lo, 0x3f2aaaab, v5
	v_add_f32_e32 v5, -1.0, v9
	v_sub_f32_e32 v53, v5, v9
	v_sub_f32_e32 v5, v8, v5
	s_delay_alu instid0(VALU_DEP_2) | instskip(NEXT) | instid1(VALU_DEP_1)
	v_add_f32_e32 v53, 1.0, v53
	v_add_f32_e32 v5, v5, v53
	v_cmp_gt_f32_e64 s20, 0x33800000, v8
	v_subrev_co_ci_u32_e32 v4, vcc_lo, 0, v4, vcc_lo
	v_cmp_eq_f32_e32 vcc_lo, 0x7f800000, v8
	s_delay_alu instid0(VALU_DEP_2) | instskip(SKIP_2) | instid1(VALU_DEP_2)
	v_sub_nc_u32_e32 v52, 0, v4
	v_cvt_f32_i32_e32 v4, v4
	s_or_b32 vcc_lo, s20, vcc_lo
	v_ldexp_f32 v9, v9, v52
	v_ldexp_f32 v5, v5, v52
	s_delay_alu instid0(VALU_DEP_2) | instskip(NEXT) | instid1(VALU_DEP_1)
	v_add_f32_e32 v52, -1.0, v9
	v_dual_add_f32 v54, 1.0, v9 :: v_dual_add_f32 v55, 1.0, v52
	s_delay_alu instid0(VALU_DEP_1) | instskip(NEXT) | instid1(VALU_DEP_1)
	v_add_f32_e32 v53, -1.0, v54
	v_sub_f32_e32 v53, v9, v53
	s_delay_alu instid0(VALU_DEP_3) | instskip(NEXT) | instid1(VALU_DEP_2)
	v_sub_f32_e32 v9, v9, v55
	v_add_f32_e32 v53, v5, v53
	s_delay_alu instid0(VALU_DEP_2) | instskip(NEXT) | instid1(VALU_DEP_1)
	v_add_f32_e32 v5, v5, v9
	v_add_f32_e32 v56, v52, v5
	s_delay_alu instid0(VALU_DEP_1) | instskip(NEXT) | instid1(VALU_DEP_1)
	v_dual_add_f32 v55, v54, v53 :: v_dual_sub_f32 v52, v52, v56
	v_rcp_f32_e32 v9, v55
	v_sub_f32_e32 v54, v54, v55
	s_delay_alu instid0(VALU_DEP_1) | instskip(SKIP_2) | instid1(VALU_DEP_1)
	v_add_f32_e32 v53, v53, v54
	s_waitcnt_depctr 0xfff
	v_mul_f32_e32 v57, v56, v9
	v_mul_f32_e32 v58, v55, v57
	s_delay_alu instid0(VALU_DEP_1) | instskip(NEXT) | instid1(VALU_DEP_1)
	v_fma_f32 v54, v57, v55, -v58
	v_fmac_f32_e32 v54, v57, v53
	s_delay_alu instid0(VALU_DEP_1) | instskip(NEXT) | instid1(VALU_DEP_1)
	v_add_f32_e32 v59, v58, v54
	v_sub_f32_e32 v60, v56, v59
	s_delay_alu instid0(VALU_DEP_1) | instskip(SKIP_1) | instid1(VALU_DEP_2)
	v_sub_f32_e32 v56, v56, v60
	v_dual_add_f32 v5, v5, v52 :: v_dual_sub_f32 v52, v59, v58
	v_sub_f32_e32 v56, v56, v59
	s_delay_alu instid0(VALU_DEP_1) | instskip(NEXT) | instid1(VALU_DEP_1)
	v_dual_sub_f32 v52, v52, v54 :: v_dual_add_f32 v5, v5, v56
	v_add_f32_e32 v5, v52, v5
	s_delay_alu instid0(VALU_DEP_1) | instskip(NEXT) | instid1(VALU_DEP_1)
	v_add_f32_e32 v52, v60, v5
	v_mul_f32_e32 v54, v9, v52
	s_delay_alu instid0(VALU_DEP_1) | instskip(NEXT) | instid1(VALU_DEP_1)
	v_dual_sub_f32 v59, v60, v52 :: v_dual_mul_f32 v56, v55, v54
	v_add_f32_e32 v5, v5, v59
	s_delay_alu instid0(VALU_DEP_2) | instskip(NEXT) | instid1(VALU_DEP_1)
	v_fma_f32 v55, v54, v55, -v56
	v_fmac_f32_e32 v55, v54, v53
	s_delay_alu instid0(VALU_DEP_1) | instskip(NEXT) | instid1(VALU_DEP_1)
	v_add_f32_e32 v53, v56, v55
	v_sub_f32_e32 v58, v52, v53
	s_delay_alu instid0(VALU_DEP_1) | instskip(NEXT) | instid1(VALU_DEP_1)
	v_sub_f32_e32 v52, v52, v58
	v_sub_f32_e32 v52, v52, v53
	s_delay_alu instid0(VALU_DEP_1) | instskip(SKIP_2) | instid1(VALU_DEP_1)
	v_add_f32_e32 v5, v5, v52
	v_add_f32_e32 v52, v57, v54
	v_sub_f32_e32 v56, v53, v56
	v_sub_f32_e32 v53, v56, v55
	s_delay_alu instid0(VALU_DEP_1) | instskip(NEXT) | instid1(VALU_DEP_4)
	v_add_f32_e32 v5, v53, v5
	v_sub_f32_e32 v53, v52, v57
	s_delay_alu instid0(VALU_DEP_2) | instskip(NEXT) | instid1(VALU_DEP_2)
	v_add_f32_e32 v5, v58, v5
	v_sub_f32_e32 v53, v54, v53
	s_delay_alu instid0(VALU_DEP_2) | instskip(NEXT) | instid1(VALU_DEP_1)
	v_mul_f32_e32 v5, v9, v5
	v_add_f32_e32 v5, v53, v5
	s_delay_alu instid0(VALU_DEP_1) | instskip(NEXT) | instid1(VALU_DEP_1)
	v_add_f32_e32 v9, v52, v5
	v_mul_f32_e32 v53, v9, v9
	s_delay_alu instid0(VALU_DEP_1) | instskip(SKIP_1) | instid1(VALU_DEP_2)
	v_fmaak_f32 v54, s67, v53, 0x3ecc95a3
	v_mul_f32_e32 v55, v9, v53
	v_fmaak_f32 v53, v53, v54, 0x3f2aaada
	v_ldexp_f32 v54, v9, 1
	s_delay_alu instid0(VALU_DEP_2) | instskip(NEXT) | instid1(VALU_DEP_1)
	v_mul_f32_e32 v53, v55, v53
	v_dual_sub_f32 v9, v9, v52 :: v_dual_add_f32 v52, v54, v53
	s_delay_alu instid0(VALU_DEP_1) | instskip(NEXT) | instid1(VALU_DEP_2)
	v_sub_f32_e32 v5, v5, v9
	v_sub_f32_e32 v9, v52, v54
	s_delay_alu instid0(VALU_DEP_2) | instskip(NEXT) | instid1(VALU_DEP_2)
	v_ldexp_f32 v5, v5, 1
	v_sub_f32_e32 v9, v53, v9
	v_mul_f32_e32 v55, 0x3f317218, v4
	s_delay_alu instid0(VALU_DEP_1) | instskip(NEXT) | instid1(VALU_DEP_1)
	v_fma_f32 v54, 0x3f317218, v4, -v55
	v_fmac_f32_e32 v54, 0xb102e308, v4
	s_delay_alu instid0(VALU_DEP_1) | instskip(NEXT) | instid1(VALU_DEP_1)
	v_dual_add_f32 v4, v5, v9 :: v_dual_add_f32 v5, v55, v54
	v_add_f32_e32 v9, v52, v4
	s_delay_alu instid0(VALU_DEP_1) | instskip(SKIP_1) | instid1(VALU_DEP_2)
	v_add_f32_e32 v53, v5, v9
	v_sub_f32_e32 v52, v9, v52
	v_sub_f32_e32 v56, v53, v5
	s_delay_alu instid0(VALU_DEP_2) | instskip(NEXT) | instid1(VALU_DEP_2)
	v_dual_sub_f32 v4, v4, v52 :: v_dual_sub_f32 v55, v5, v55
	v_sub_f32_e32 v57, v53, v56
	s_delay_alu instid0(VALU_DEP_2) | instskip(NEXT) | instid1(VALU_DEP_1)
	v_dual_sub_f32 v9, v9, v56 :: v_dual_sub_f32 v54, v54, v55
	v_dual_sub_f32 v5, v5, v57 :: v_dual_add_f32 v52, v54, v4
	s_delay_alu instid0(VALU_DEP_1) | instskip(NEXT) | instid1(VALU_DEP_2)
	v_add_f32_e32 v5, v9, v5
	v_sub_f32_e32 v9, v52, v54
	s_delay_alu instid0(VALU_DEP_2) | instskip(NEXT) | instid1(VALU_DEP_2)
	v_add_f32_e32 v5, v52, v5
	v_sub_f32_e32 v52, v52, v9
	v_sub_f32_e32 v4, v4, v9
	s_delay_alu instid0(VALU_DEP_2) | instskip(NEXT) | instid1(VALU_DEP_1)
	v_dual_add_f32 v55, v53, v5 :: v_dual_sub_f32 v52, v54, v52
	v_dual_sub_f32 v9, v55, v53 :: v_dual_add_f32 v4, v4, v52
	s_delay_alu instid0(VALU_DEP_1) | instskip(NEXT) | instid1(VALU_DEP_1)
	v_sub_f32_e32 v5, v5, v9
	v_add_f32_e32 v4, v4, v5
	s_delay_alu instid0(VALU_DEP_1) | instskip(NEXT) | instid1(VALU_DEP_1)
	v_add_f32_e32 v4, v55, v4
	v_cndmask_b32_e32 v52, v4, v8, vcc_lo
.LBB46_50:                              ;   in Loop: Header=BB46_12 Depth=1
	s_or_b32 exec_lo, exec_lo, s21
	v_lshlrev_b32_e32 v4, 16, v6
	s_delay_alu instid0(VALU_DEP_1) | instskip(NEXT) | instid1(VALU_DEP_1)
	v_add_f32_e32 v53, s52, v4
	v_cmp_ge_f32_e32 vcc_lo, 0x41a00000, v53
	s_and_b32 s20, s63, vcc_lo
	s_delay_alu instid0(SALU_CYCLE_1)
	s_and_saveexec_b32 s21, s20
	s_cbranch_execz .LBB46_52
; %bb.51:                               ;   in Loop: Header=BB46_12 Depth=1
	v_mul_f32_e32 v4, 0x3fb8aa3b, v53
	v_cmp_ngt_f32_e32 vcc_lo, 0xc2ce8ed0, v53
	s_delay_alu instid0(VALU_DEP_2) | instskip(SKIP_1) | instid1(VALU_DEP_2)
	v_rndne_f32_e32 v5, v4
	v_fma_f32 v8, 0x3fb8aa3b, v53, -v4
	v_sub_f32_e32 v4, v4, v5
	s_delay_alu instid0(VALU_DEP_2) | instskip(SKIP_1) | instid1(VALU_DEP_2)
	v_fmac_f32_e32 v8, 0x32a5705f, v53
	v_cvt_i32_f32_e32 v5, v5
	v_add_f32_e32 v4, v4, v8
	s_delay_alu instid0(VALU_DEP_1) | instskip(SKIP_2) | instid1(VALU_DEP_1)
	v_exp_f32_e32 v4, v4
	s_waitcnt_depctr 0xfff
	v_ldexp_f32 v4, v4, v5
	v_cndmask_b32_e32 v4, 0, v4, vcc_lo
	v_cmp_nlt_f32_e32 vcc_lo, 0x42b17218, v53
	s_delay_alu instid0(VALU_DEP_2) | instskip(NEXT) | instid1(VALU_DEP_1)
	v_cndmask_b32_e32 v8, 0x7f800000, v4, vcc_lo
	v_add_f32_e32 v9, 1.0, v8
	s_delay_alu instid0(VALU_DEP_1) | instskip(NEXT) | instid1(VALU_DEP_1)
	v_cvt_f64_f32_e32 v[4:5], v9
	v_frexp_exp_i32_f64_e32 v4, v[4:5]
	v_frexp_mant_f32_e32 v5, v9
	s_delay_alu instid0(VALU_DEP_1) | instskip(SKIP_1) | instid1(VALU_DEP_1)
	v_cmp_gt_f32_e32 vcc_lo, 0x3f2aaaab, v5
	v_add_f32_e32 v5, -1.0, v9
	v_sub_f32_e32 v54, v5, v9
	v_subrev_co_ci_u32_e32 v4, vcc_lo, 0, v4, vcc_lo
	s_delay_alu instid0(VALU_DEP_1) | instskip(SKIP_1) | instid1(VALU_DEP_2)
	v_sub_nc_u32_e32 v53, 0, v4
	v_cvt_f32_i32_e32 v4, v4
	v_ldexp_f32 v9, v9, v53
	s_delay_alu instid0(VALU_DEP_1) | instskip(SKIP_3) | instid1(VALU_DEP_3)
	v_dual_add_f32 v54, 1.0, v54 :: v_dual_add_f32 v55, 1.0, v9
	v_sub_f32_e32 v5, v8, v5
	v_cmp_eq_f32_e32 vcc_lo, 0x7f800000, v8
	v_cmp_gt_f32_e64 s20, 0x33800000, v8
	v_add_f32_e32 v5, v5, v54
	s_delay_alu instid0(VALU_DEP_2) | instskip(NEXT) | instid1(VALU_DEP_1)
	s_or_b32 vcc_lo, s20, vcc_lo
	v_ldexp_f32 v5, v5, v53
	v_dual_add_f32 v53, -1.0, v9 :: v_dual_add_f32 v54, -1.0, v55
	s_delay_alu instid0(VALU_DEP_1) | instskip(NEXT) | instid1(VALU_DEP_2)
	v_add_f32_e32 v56, 1.0, v53
	v_sub_f32_e32 v54, v9, v54
	s_delay_alu instid0(VALU_DEP_2) | instskip(NEXT) | instid1(VALU_DEP_2)
	v_sub_f32_e32 v9, v9, v56
	v_add_f32_e32 v54, v5, v54
	s_delay_alu instid0(VALU_DEP_1) | instskip(NEXT) | instid1(VALU_DEP_1)
	v_dual_add_f32 v5, v5, v9 :: v_dual_add_f32 v56, v55, v54
	v_add_f32_e32 v57, v53, v5
	s_delay_alu instid0(VALU_DEP_2) | instskip(SKIP_1) | instid1(VALU_DEP_1)
	v_rcp_f32_e32 v9, v56
	v_sub_f32_e32 v55, v55, v56
	v_dual_sub_f32 v53, v53, v57 :: v_dual_add_f32 v54, v54, v55
	s_delay_alu instid0(VALU_DEP_1) | instskip(SKIP_2) | instid1(VALU_DEP_1)
	v_add_f32_e32 v5, v5, v53
	s_waitcnt_depctr 0xfff
	v_mul_f32_e32 v58, v57, v9
	v_mul_f32_e32 v59, v56, v58
	s_delay_alu instid0(VALU_DEP_1) | instskip(NEXT) | instid1(VALU_DEP_1)
	v_fma_f32 v55, v58, v56, -v59
	v_fmac_f32_e32 v55, v58, v54
	s_delay_alu instid0(VALU_DEP_1) | instskip(NEXT) | instid1(VALU_DEP_1)
	v_add_f32_e32 v60, v59, v55
	v_sub_f32_e32 v61, v57, v60
	v_sub_f32_e32 v53, v60, v59
	s_delay_alu instid0(VALU_DEP_2) | instskip(NEXT) | instid1(VALU_DEP_2)
	v_sub_f32_e32 v57, v57, v61
	v_sub_f32_e32 v53, v53, v55
	s_delay_alu instid0(VALU_DEP_2) | instskip(NEXT) | instid1(VALU_DEP_1)
	v_sub_f32_e32 v57, v57, v60
	v_add_f32_e32 v5, v5, v57
	s_delay_alu instid0(VALU_DEP_1) | instskip(NEXT) | instid1(VALU_DEP_1)
	v_add_f32_e32 v5, v53, v5
	v_add_f32_e32 v53, v61, v5
	s_delay_alu instid0(VALU_DEP_1) | instskip(NEXT) | instid1(VALU_DEP_1)
	v_mul_f32_e32 v55, v9, v53
	v_mul_f32_e32 v57, v56, v55
	s_delay_alu instid0(VALU_DEP_1) | instskip(NEXT) | instid1(VALU_DEP_1)
	v_fma_f32 v56, v55, v56, -v57
	v_fmac_f32_e32 v56, v55, v54
	v_sub_f32_e32 v60, v61, v53
	s_delay_alu instid0(VALU_DEP_2) | instskip(NEXT) | instid1(VALU_DEP_2)
	v_add_f32_e32 v54, v57, v56
	v_add_f32_e32 v5, v5, v60
	s_delay_alu instid0(VALU_DEP_2) | instskip(NEXT) | instid1(VALU_DEP_1)
	v_sub_f32_e32 v59, v53, v54
	v_sub_f32_e32 v53, v53, v59
	s_delay_alu instid0(VALU_DEP_1) | instskip(NEXT) | instid1(VALU_DEP_1)
	v_sub_f32_e32 v53, v53, v54
	v_add_f32_e32 v5, v5, v53
	v_add_f32_e32 v53, v58, v55
	v_sub_f32_e32 v57, v54, v57
	s_delay_alu instid0(VALU_DEP_1) | instskip(NEXT) | instid1(VALU_DEP_1)
	v_sub_f32_e32 v54, v57, v56
	v_dual_add_f32 v5, v54, v5 :: v_dual_sub_f32 v54, v53, v58
	s_delay_alu instid0(VALU_DEP_1) | instskip(NEXT) | instid1(VALU_DEP_1)
	v_add_f32_e32 v5, v59, v5
	v_dual_sub_f32 v54, v55, v54 :: v_dual_mul_f32 v5, v9, v5
	s_delay_alu instid0(VALU_DEP_1) | instskip(NEXT) | instid1(VALU_DEP_1)
	v_add_f32_e32 v5, v54, v5
	v_add_f32_e32 v9, v53, v5
	s_delay_alu instid0(VALU_DEP_1) | instskip(NEXT) | instid1(VALU_DEP_1)
	v_mul_f32_e32 v54, v9, v9
	v_fmaak_f32 v55, s67, v54, 0x3ecc95a3
	v_mul_f32_e32 v56, v9, v54
	s_delay_alu instid0(VALU_DEP_2) | instskip(SKIP_1) | instid1(VALU_DEP_2)
	v_fmaak_f32 v54, v54, v55, 0x3f2aaada
	v_ldexp_f32 v55, v9, 1
	v_dual_sub_f32 v9, v9, v53 :: v_dual_mul_f32 v54, v56, v54
	s_delay_alu instid0(VALU_DEP_1) | instskip(NEXT) | instid1(VALU_DEP_2)
	v_dual_mul_f32 v56, 0x3f317218, v4 :: v_dual_sub_f32 v5, v5, v9
	v_add_f32_e32 v53, v55, v54
	s_delay_alu instid0(VALU_DEP_2) | instskip(NEXT) | instid1(VALU_DEP_2)
	v_ldexp_f32 v5, v5, 1
	v_sub_f32_e32 v9, v53, v55
	s_delay_alu instid0(VALU_DEP_4) | instskip(NEXT) | instid1(VALU_DEP_2)
	v_fma_f32 v55, 0x3f317218, v4, -v56
	v_sub_f32_e32 v9, v54, v9
	s_delay_alu instid0(VALU_DEP_1) | instskip(NEXT) | instid1(VALU_DEP_1)
	v_dual_fmac_f32 v55, 0xb102e308, v4 :: v_dual_add_f32 v4, v5, v9
	v_add_f32_e32 v5, v56, v55
	s_delay_alu instid0(VALU_DEP_2) | instskip(NEXT) | instid1(VALU_DEP_2)
	v_add_f32_e32 v9, v53, v4
	v_sub_f32_e32 v56, v5, v56
	s_delay_alu instid0(VALU_DEP_1) | instskip(SKIP_1) | instid1(VALU_DEP_2)
	v_dual_add_f32 v54, v5, v9 :: v_dual_sub_f32 v55, v55, v56
	v_sub_f32_e32 v53, v9, v53
	v_sub_f32_e32 v57, v54, v5
	s_delay_alu instid0(VALU_DEP_2) | instskip(NEXT) | instid1(VALU_DEP_2)
	v_sub_f32_e32 v4, v4, v53
	v_sub_f32_e32 v58, v54, v57
	;; [unrolled: 1-line block ×3, first 2 shown]
	s_delay_alu instid0(VALU_DEP_3) | instskip(NEXT) | instid1(VALU_DEP_3)
	v_add_f32_e32 v53, v55, v4
	v_sub_f32_e32 v5, v5, v58
	s_delay_alu instid0(VALU_DEP_1) | instskip(NEXT) | instid1(VALU_DEP_3)
	v_add_f32_e32 v5, v9, v5
	v_sub_f32_e32 v9, v53, v55
	s_delay_alu instid0(VALU_DEP_2) | instskip(NEXT) | instid1(VALU_DEP_2)
	v_add_f32_e32 v5, v53, v5
	v_sub_f32_e32 v53, v53, v9
	v_sub_f32_e32 v4, v4, v9
	s_delay_alu instid0(VALU_DEP_3) | instskip(NEXT) | instid1(VALU_DEP_3)
	v_add_f32_e32 v56, v54, v5
	v_sub_f32_e32 v53, v55, v53
	s_delay_alu instid0(VALU_DEP_2) | instskip(NEXT) | instid1(VALU_DEP_2)
	v_sub_f32_e32 v9, v56, v54
	v_add_f32_e32 v4, v4, v53
	s_delay_alu instid0(VALU_DEP_2) | instskip(NEXT) | instid1(VALU_DEP_1)
	v_sub_f32_e32 v5, v5, v9
	v_add_f32_e32 v4, v4, v5
	s_delay_alu instid0(VALU_DEP_1) | instskip(NEXT) | instid1(VALU_DEP_1)
	v_add_f32_e32 v4, v56, v4
	v_cndmask_b32_e32 v53, v4, v8, vcc_lo
.LBB46_52:                              ;   in Loop: Header=BB46_12 Depth=1
	s_or_b32 exec_lo, exec_lo, s21
	v_and_b32_e32 v4, 0xffff0000, v6
	s_delay_alu instid0(VALU_DEP_1) | instskip(NEXT) | instid1(VALU_DEP_1)
	v_add_f32_e32 v54, s52, v4
	v_cmp_ge_f32_e32 vcc_lo, 0x41a00000, v54
	s_and_b32 s20, s63, vcc_lo
	s_delay_alu instid0(SALU_CYCLE_1)
	s_and_saveexec_b32 s21, s20
	s_cbranch_execz .LBB46_54
; %bb.53:                               ;   in Loop: Header=BB46_12 Depth=1
	v_mul_f32_e32 v4, 0x3fb8aa3b, v54
	v_cmp_ngt_f32_e32 vcc_lo, 0xc2ce8ed0, v54
	s_delay_alu instid0(VALU_DEP_2) | instskip(SKIP_1) | instid1(VALU_DEP_2)
	v_rndne_f32_e32 v5, v4
	v_fma_f32 v6, 0x3fb8aa3b, v54, -v4
	v_sub_f32_e32 v4, v4, v5
	s_delay_alu instid0(VALU_DEP_2) | instskip(SKIP_1) | instid1(VALU_DEP_2)
	v_fmac_f32_e32 v6, 0x32a5705f, v54
	v_cvt_i32_f32_e32 v5, v5
	v_add_f32_e32 v4, v4, v6
	s_delay_alu instid0(VALU_DEP_1) | instskip(SKIP_2) | instid1(VALU_DEP_1)
	v_exp_f32_e32 v4, v4
	s_waitcnt_depctr 0xfff
	v_ldexp_f32 v4, v4, v5
	v_cndmask_b32_e32 v4, 0, v4, vcc_lo
	v_cmp_nlt_f32_e32 vcc_lo, 0x42b17218, v54
	s_delay_alu instid0(VALU_DEP_2) | instskip(NEXT) | instid1(VALU_DEP_1)
	v_cndmask_b32_e32 v6, 0x7f800000, v4, vcc_lo
	v_add_f32_e32 v8, 1.0, v6
	s_delay_alu instid0(VALU_DEP_1) | instskip(NEXT) | instid1(VALU_DEP_1)
	v_cvt_f64_f32_e32 v[4:5], v8
	v_frexp_exp_i32_f64_e32 v4, v[4:5]
	v_frexp_mant_f32_e32 v5, v8
	s_delay_alu instid0(VALU_DEP_1) | instskip(SKIP_1) | instid1(VALU_DEP_1)
	v_cmp_gt_f32_e32 vcc_lo, 0x3f2aaaab, v5
	v_add_f32_e32 v5, -1.0, v8
	v_dual_sub_f32 v54, v5, v8 :: v_dual_sub_f32 v5, v6, v5
	s_delay_alu instid0(VALU_DEP_1) | instskip(NEXT) | instid1(VALU_DEP_1)
	v_add_f32_e32 v54, 1.0, v54
	v_add_f32_e32 v5, v5, v54
	v_subrev_co_ci_u32_e32 v4, vcc_lo, 0, v4, vcc_lo
	s_delay_alu instid0(VALU_DEP_1) | instskip(SKIP_1) | instid1(VALU_DEP_2)
	v_sub_nc_u32_e32 v9, 0, v4
	v_cvt_f32_i32_e32 v4, v4
	v_ldexp_f32 v8, v8, v9
	v_ldexp_f32 v5, v5, v9
	s_delay_alu instid0(VALU_DEP_2) | instskip(NEXT) | instid1(VALU_DEP_1)
	v_add_f32_e32 v55, 1.0, v8
	v_dual_add_f32 v9, -1.0, v8 :: v_dual_add_f32 v54, -1.0, v55
	s_delay_alu instid0(VALU_DEP_1) | instskip(NEXT) | instid1(VALU_DEP_2)
	v_add_f32_e32 v56, 1.0, v9
	v_sub_f32_e32 v54, v8, v54
	s_delay_alu instid0(VALU_DEP_2) | instskip(NEXT) | instid1(VALU_DEP_2)
	v_sub_f32_e32 v8, v8, v56
	v_add_f32_e32 v54, v5, v54
	s_delay_alu instid0(VALU_DEP_2) | instskip(NEXT) | instid1(VALU_DEP_1)
	v_add_f32_e32 v5, v5, v8
	v_add_f32_e32 v57, v9, v5
	v_cmp_eq_f32_e32 vcc_lo, 0x7f800000, v6
	v_cmp_gt_f32_e64 s20, 0x33800000, v6
	s_delay_alu instid0(VALU_DEP_3) | instskip(NEXT) | instid1(VALU_DEP_2)
	v_dual_sub_f32 v9, v9, v57 :: v_dual_add_f32 v56, v55, v54
	s_or_b32 vcc_lo, s20, vcc_lo
	s_delay_alu instid0(VALU_DEP_1) | instskip(NEXT) | instid1(VALU_DEP_2)
	v_add_f32_e32 v5, v5, v9
	v_rcp_f32_e32 v8, v56
	v_sub_f32_e32 v55, v55, v56
	s_delay_alu instid0(VALU_DEP_1) | instskip(SKIP_2) | instid1(VALU_DEP_1)
	v_add_f32_e32 v54, v54, v55
	s_waitcnt_depctr 0xfff
	v_mul_f32_e32 v58, v57, v8
	v_mul_f32_e32 v59, v56, v58
	s_delay_alu instid0(VALU_DEP_1) | instskip(NEXT) | instid1(VALU_DEP_1)
	v_fma_f32 v55, v58, v56, -v59
	v_fmac_f32_e32 v55, v58, v54
	s_delay_alu instid0(VALU_DEP_1) | instskip(NEXT) | instid1(VALU_DEP_1)
	v_add_f32_e32 v60, v59, v55
	v_sub_f32_e32 v61, v57, v60
	s_delay_alu instid0(VALU_DEP_1) | instskip(NEXT) | instid1(VALU_DEP_1)
	v_sub_f32_e32 v57, v57, v61
	v_sub_f32_e32 v57, v57, v60
	s_delay_alu instid0(VALU_DEP_1) | instskip(SKIP_1) | instid1(VALU_DEP_1)
	v_add_f32_e32 v5, v5, v57
	v_sub_f32_e32 v9, v60, v59
	v_sub_f32_e32 v9, v9, v55
	s_delay_alu instid0(VALU_DEP_1) | instskip(NEXT) | instid1(VALU_DEP_1)
	v_add_f32_e32 v5, v9, v5
	v_add_f32_e32 v9, v61, v5
	s_delay_alu instid0(VALU_DEP_1) | instskip(NEXT) | instid1(VALU_DEP_1)
	v_mul_f32_e32 v55, v8, v9
	v_dual_sub_f32 v60, v61, v9 :: v_dual_mul_f32 v57, v56, v55
	s_delay_alu instid0(VALU_DEP_1) | instskip(NEXT) | instid1(VALU_DEP_2)
	v_add_f32_e32 v5, v5, v60
	v_fma_f32 v56, v55, v56, -v57
	s_delay_alu instid0(VALU_DEP_1) | instskip(NEXT) | instid1(VALU_DEP_1)
	v_fmac_f32_e32 v56, v55, v54
	v_add_f32_e32 v54, v57, v56
	s_delay_alu instid0(VALU_DEP_1) | instskip(NEXT) | instid1(VALU_DEP_1)
	v_sub_f32_e32 v59, v9, v54
	v_sub_f32_e32 v9, v9, v59
	s_delay_alu instid0(VALU_DEP_1) | instskip(NEXT) | instid1(VALU_DEP_1)
	v_sub_f32_e32 v9, v9, v54
	v_add_f32_e32 v5, v5, v9
	v_add_f32_e32 v9, v58, v55
	v_sub_f32_e32 v57, v54, v57
	s_delay_alu instid0(VALU_DEP_1) | instskip(NEXT) | instid1(VALU_DEP_1)
	v_sub_f32_e32 v54, v57, v56
	v_dual_add_f32 v5, v54, v5 :: v_dual_sub_f32 v54, v9, v58
	s_delay_alu instid0(VALU_DEP_1) | instskip(NEXT) | instid1(VALU_DEP_1)
	v_add_f32_e32 v5, v59, v5
	v_dual_sub_f32 v54, v55, v54 :: v_dual_mul_f32 v5, v8, v5
	s_delay_alu instid0(VALU_DEP_1) | instskip(NEXT) | instid1(VALU_DEP_1)
	v_add_f32_e32 v5, v54, v5
	v_add_f32_e32 v8, v9, v5
	s_delay_alu instid0(VALU_DEP_1) | instskip(NEXT) | instid1(VALU_DEP_1)
	v_mul_f32_e32 v54, v8, v8
	v_fmaak_f32 v55, s67, v54, 0x3ecc95a3
	v_mul_f32_e32 v56, v8, v54
	s_delay_alu instid0(VALU_DEP_2) | instskip(SKIP_1) | instid1(VALU_DEP_2)
	v_fmaak_f32 v54, v54, v55, 0x3f2aaada
	v_ldexp_f32 v55, v8, 1
	v_mul_f32_e32 v54, v56, v54
	v_sub_f32_e32 v8, v8, v9
	s_delay_alu instid0(VALU_DEP_2) | instskip(NEXT) | instid1(VALU_DEP_2)
	v_dual_mul_f32 v56, 0x3f317218, v4 :: v_dual_add_f32 v9, v55, v54
	v_sub_f32_e32 v5, v5, v8
	s_delay_alu instid0(VALU_DEP_2) | instskip(NEXT) | instid1(VALU_DEP_3)
	v_sub_f32_e32 v8, v9, v55
	v_fma_f32 v55, 0x3f317218, v4, -v56
	s_delay_alu instid0(VALU_DEP_3) | instskip(NEXT) | instid1(VALU_DEP_3)
	v_ldexp_f32 v5, v5, 1
	v_sub_f32_e32 v8, v54, v8
	s_delay_alu instid0(VALU_DEP_3) | instskip(NEXT) | instid1(VALU_DEP_2)
	v_fmac_f32_e32 v55, 0xb102e308, v4
	v_add_f32_e32 v4, v5, v8
	s_delay_alu instid0(VALU_DEP_1) | instskip(NEXT) | instid1(VALU_DEP_1)
	v_add_f32_e32 v8, v9, v4
	v_sub_f32_e32 v9, v8, v9
	s_delay_alu instid0(VALU_DEP_1) | instskip(SKIP_1) | instid1(VALU_DEP_1)
	v_sub_f32_e32 v4, v4, v9
	v_add_f32_e32 v5, v56, v55
	v_add_f32_e32 v54, v5, v8
	s_delay_alu instid0(VALU_DEP_1) | instskip(NEXT) | instid1(VALU_DEP_1)
	v_dual_sub_f32 v56, v5, v56 :: v_dual_sub_f32 v57, v54, v5
	v_dual_sub_f32 v55, v55, v56 :: v_dual_sub_f32 v8, v8, v57
	v_sub_f32_e32 v58, v54, v57
	s_delay_alu instid0(VALU_DEP_1) | instskip(NEXT) | instid1(VALU_DEP_1)
	v_sub_f32_e32 v5, v5, v58
	v_add_f32_e32 v5, v8, v5
	s_delay_alu instid0(VALU_DEP_4) | instskip(NEXT) | instid1(VALU_DEP_1)
	v_add_f32_e32 v9, v55, v4
	v_add_f32_e32 v5, v9, v5
	s_delay_alu instid0(VALU_DEP_1) | instskip(SKIP_1) | instid1(VALU_DEP_1)
	v_add_f32_e32 v56, v54, v5
	v_sub_f32_e32 v8, v9, v55
	v_sub_f32_e32 v9, v9, v8
	;; [unrolled: 1-line block ×3, first 2 shown]
	s_delay_alu instid0(VALU_DEP_2) | instskip(NEXT) | instid1(VALU_DEP_1)
	v_dual_sub_f32 v8, v56, v54 :: v_dual_sub_f32 v9, v55, v9
	v_dual_sub_f32 v5, v5, v8 :: v_dual_add_f32 v4, v4, v9
	s_delay_alu instid0(VALU_DEP_1) | instskip(NEXT) | instid1(VALU_DEP_1)
	v_add_f32_e32 v4, v4, v5
	v_add_f32_e32 v4, v56, v4
	s_delay_alu instid0(VALU_DEP_1)
	v_cndmask_b32_e32 v54, v4, v6, vcc_lo
.LBB46_54:                              ;   in Loop: Header=BB46_12 Depth=1
	s_or_b32 exec_lo, exec_lo, s21
	v_lshlrev_b32_e32 v4, 16, v7
	s_delay_alu instid0(VALU_DEP_1) | instskip(NEXT) | instid1(VALU_DEP_1)
	v_add_f32_e32 v55, s52, v4
	v_cmp_ge_f32_e32 vcc_lo, 0x41a00000, v55
	s_and_b32 s20, s63, vcc_lo
	s_delay_alu instid0(SALU_CYCLE_1)
	s_and_saveexec_b32 s21, s20
	s_cbranch_execz .LBB46_56
; %bb.55:                               ;   in Loop: Header=BB46_12 Depth=1
	v_mul_f32_e32 v4, 0x3fb8aa3b, v55
	v_cmp_ngt_f32_e32 vcc_lo, 0xc2ce8ed0, v55
	s_delay_alu instid0(VALU_DEP_2) | instskip(SKIP_1) | instid1(VALU_DEP_2)
	v_rndne_f32_e32 v5, v4
	v_fma_f32 v6, 0x3fb8aa3b, v55, -v4
	v_sub_f32_e32 v4, v4, v5
	s_delay_alu instid0(VALU_DEP_2) | instskip(SKIP_1) | instid1(VALU_DEP_2)
	v_fmac_f32_e32 v6, 0x32a5705f, v55
	v_cvt_i32_f32_e32 v5, v5
	v_add_f32_e32 v4, v4, v6
	s_delay_alu instid0(VALU_DEP_1) | instskip(SKIP_2) | instid1(VALU_DEP_1)
	v_exp_f32_e32 v4, v4
	s_waitcnt_depctr 0xfff
	v_ldexp_f32 v4, v4, v5
	v_cndmask_b32_e32 v4, 0, v4, vcc_lo
	v_cmp_nlt_f32_e32 vcc_lo, 0x42b17218, v55
	s_delay_alu instid0(VALU_DEP_2) | instskip(NEXT) | instid1(VALU_DEP_1)
	v_cndmask_b32_e32 v6, 0x7f800000, v4, vcc_lo
	v_add_f32_e32 v8, 1.0, v6
	s_delay_alu instid0(VALU_DEP_1) | instskip(NEXT) | instid1(VALU_DEP_1)
	v_cvt_f64_f32_e32 v[4:5], v8
	v_frexp_exp_i32_f64_e32 v4, v[4:5]
	v_frexp_mant_f32_e32 v5, v8
	s_delay_alu instid0(VALU_DEP_1) | instskip(SKIP_1) | instid1(VALU_DEP_1)
	v_cmp_gt_f32_e32 vcc_lo, 0x3f2aaaab, v5
	v_add_f32_e32 v5, -1.0, v8
	v_sub_f32_e32 v55, v5, v8
	v_sub_f32_e32 v5, v6, v5
	s_delay_alu instid0(VALU_DEP_2) | instskip(NEXT) | instid1(VALU_DEP_1)
	v_add_f32_e32 v55, 1.0, v55
	v_add_f32_e32 v5, v5, v55
	v_cmp_gt_f32_e64 s20, 0x33800000, v6
	v_subrev_co_ci_u32_e32 v4, vcc_lo, 0, v4, vcc_lo
	v_cmp_eq_f32_e32 vcc_lo, 0x7f800000, v6
	s_delay_alu instid0(VALU_DEP_2) | instskip(SKIP_2) | instid1(VALU_DEP_2)
	v_sub_nc_u32_e32 v9, 0, v4
	v_cvt_f32_i32_e32 v4, v4
	s_or_b32 vcc_lo, s20, vcc_lo
	v_ldexp_f32 v8, v8, v9
	v_ldexp_f32 v5, v5, v9
	s_delay_alu instid0(VALU_DEP_2) | instskip(SKIP_1) | instid1(VALU_DEP_2)
	v_add_f32_e32 v56, 1.0, v8
	v_add_f32_e32 v9, -1.0, v8
	v_add_f32_e32 v55, -1.0, v56
	s_delay_alu instid0(VALU_DEP_2) | instskip(NEXT) | instid1(VALU_DEP_2)
	v_add_f32_e32 v57, 1.0, v9
	v_sub_f32_e32 v55, v8, v55
	s_delay_alu instid0(VALU_DEP_1) | instskip(NEXT) | instid1(VALU_DEP_1)
	v_dual_sub_f32 v8, v8, v57 :: v_dual_add_f32 v55, v5, v55
	v_add_f32_e32 v5, v5, v8
	s_delay_alu instid0(VALU_DEP_1) | instskip(NEXT) | instid1(VALU_DEP_1)
	v_dual_add_f32 v57, v56, v55 :: v_dual_add_f32 v58, v9, v5
	v_rcp_f32_e32 v8, v57
	s_delay_alu instid0(VALU_DEP_1) | instskip(NEXT) | instid1(VALU_DEP_1)
	v_dual_sub_f32 v56, v56, v57 :: v_dual_sub_f32 v9, v9, v58
	v_add_f32_e32 v55, v55, v56
	s_waitcnt_depctr 0xfff
	v_mul_f32_e32 v59, v58, v8
	s_delay_alu instid0(VALU_DEP_1) | instskip(NEXT) | instid1(VALU_DEP_1)
	v_mul_f32_e32 v60, v57, v59
	v_fma_f32 v56, v59, v57, -v60
	s_delay_alu instid0(VALU_DEP_1) | instskip(NEXT) | instid1(VALU_DEP_1)
	v_dual_fmac_f32 v56, v59, v55 :: v_dual_add_f32 v5, v5, v9
	v_add_f32_e32 v61, v60, v56
	s_delay_alu instid0(VALU_DEP_1) | instskip(NEXT) | instid1(VALU_DEP_1)
	v_sub_f32_e32 v62, v58, v61
	v_dual_sub_f32 v58, v58, v62 :: v_dual_sub_f32 v9, v61, v60
	s_delay_alu instid0(VALU_DEP_1) | instskip(NEXT) | instid1(VALU_DEP_1)
	v_dual_sub_f32 v58, v58, v61 :: v_dual_sub_f32 v9, v9, v56
	v_add_f32_e32 v5, v5, v58
	s_delay_alu instid0(VALU_DEP_1) | instskip(NEXT) | instid1(VALU_DEP_1)
	v_add_f32_e32 v5, v9, v5
	v_add_f32_e32 v9, v62, v5
	s_delay_alu instid0(VALU_DEP_1) | instskip(NEXT) | instid1(VALU_DEP_1)
	v_mul_f32_e32 v56, v8, v9
	v_dual_mul_f32 v58, v57, v56 :: v_dual_sub_f32 v61, v62, v9
	s_delay_alu instid0(VALU_DEP_1) | instskip(NEXT) | instid1(VALU_DEP_2)
	v_fma_f32 v57, v56, v57, -v58
	v_add_f32_e32 v5, v5, v61
	s_delay_alu instid0(VALU_DEP_2) | instskip(NEXT) | instid1(VALU_DEP_1)
	v_fmac_f32_e32 v57, v56, v55
	v_add_f32_e32 v55, v58, v57
	s_delay_alu instid0(VALU_DEP_1) | instskip(NEXT) | instid1(VALU_DEP_1)
	v_sub_f32_e32 v60, v9, v55
	v_dual_sub_f32 v58, v55, v58 :: v_dual_sub_f32 v9, v9, v60
	s_delay_alu instid0(VALU_DEP_1) | instskip(NEXT) | instid1(VALU_DEP_2)
	v_sub_f32_e32 v9, v9, v55
	v_sub_f32_e32 v55, v58, v57
	s_delay_alu instid0(VALU_DEP_2) | instskip(SKIP_1) | instid1(VALU_DEP_2)
	v_add_f32_e32 v5, v5, v9
	v_add_f32_e32 v9, v59, v56
	;; [unrolled: 1-line block ×3, first 2 shown]
	s_delay_alu instid0(VALU_DEP_2) | instskip(NEXT) | instid1(VALU_DEP_2)
	v_sub_f32_e32 v55, v9, v59
	v_add_f32_e32 v5, v60, v5
	s_delay_alu instid0(VALU_DEP_2) | instskip(NEXT) | instid1(VALU_DEP_2)
	v_sub_f32_e32 v55, v56, v55
	v_mul_f32_e32 v5, v8, v5
	s_delay_alu instid0(VALU_DEP_1) | instskip(NEXT) | instid1(VALU_DEP_1)
	v_add_f32_e32 v5, v55, v5
	v_add_f32_e32 v8, v9, v5
	s_delay_alu instid0(VALU_DEP_1) | instskip(NEXT) | instid1(VALU_DEP_1)
	v_mul_f32_e32 v55, v8, v8
	v_fmaak_f32 v56, s67, v55, 0x3ecc95a3
	v_mul_f32_e32 v57, v8, v55
	s_delay_alu instid0(VALU_DEP_2) | instskip(SKIP_1) | instid1(VALU_DEP_2)
	v_fmaak_f32 v55, v55, v56, 0x3f2aaada
	v_ldexp_f32 v56, v8, 1
	v_dual_sub_f32 v8, v8, v9 :: v_dual_mul_f32 v55, v57, v55
	v_mul_f32_e32 v57, 0x3f317218, v4
	s_delay_alu instid0(VALU_DEP_2) | instskip(NEXT) | instid1(VALU_DEP_3)
	v_sub_f32_e32 v5, v5, v8
	v_add_f32_e32 v9, v56, v55
	s_delay_alu instid0(VALU_DEP_2) | instskip(NEXT) | instid1(VALU_DEP_2)
	v_ldexp_f32 v5, v5, 1
	v_sub_f32_e32 v8, v9, v56
	v_fma_f32 v56, 0x3f317218, v4, -v57
	s_delay_alu instid0(VALU_DEP_2) | instskip(NEXT) | instid1(VALU_DEP_2)
	v_sub_f32_e32 v8, v55, v8
	v_fmac_f32_e32 v56, 0xb102e308, v4
	s_delay_alu instid0(VALU_DEP_2) | instskip(NEXT) | instid1(VALU_DEP_2)
	v_add_f32_e32 v4, v5, v8
	v_add_f32_e32 v5, v57, v56
	s_delay_alu instid0(VALU_DEP_2) | instskip(NEXT) | instid1(VALU_DEP_2)
	v_add_f32_e32 v8, v9, v4
	v_sub_f32_e32 v57, v5, v57
	s_delay_alu instid0(VALU_DEP_2) | instskip(SKIP_1) | instid1(VALU_DEP_3)
	v_add_f32_e32 v55, v5, v8
	v_sub_f32_e32 v9, v8, v9
	v_sub_f32_e32 v56, v56, v57
	s_delay_alu instid0(VALU_DEP_3) | instskip(NEXT) | instid1(VALU_DEP_1)
	v_sub_f32_e32 v58, v55, v5
	v_dual_sub_f32 v4, v4, v9 :: v_dual_sub_f32 v59, v55, v58
	v_sub_f32_e32 v8, v8, v58
	s_delay_alu instid0(VALU_DEP_2) | instskip(NEXT) | instid1(VALU_DEP_3)
	v_add_f32_e32 v9, v56, v4
	v_sub_f32_e32 v5, v5, v59
	s_delay_alu instid0(VALU_DEP_1) | instskip(NEXT) | instid1(VALU_DEP_1)
	v_dual_add_f32 v5, v8, v5 :: v_dual_sub_f32 v8, v9, v56
	v_add_f32_e32 v5, v9, v5
	s_delay_alu instid0(VALU_DEP_2) | instskip(NEXT) | instid1(VALU_DEP_2)
	v_sub_f32_e32 v9, v9, v8
	v_dual_sub_f32 v4, v4, v8 :: v_dual_add_f32 v57, v55, v5
	s_delay_alu instid0(VALU_DEP_1) | instskip(NEXT) | instid1(VALU_DEP_1)
	v_dual_sub_f32 v9, v56, v9 :: v_dual_sub_f32 v8, v57, v55
	v_dual_add_f32 v4, v4, v9 :: v_dual_sub_f32 v5, v5, v8
	s_delay_alu instid0(VALU_DEP_1) | instskip(NEXT) | instid1(VALU_DEP_1)
	v_add_f32_e32 v4, v4, v5
	v_add_f32_e32 v4, v57, v4
	s_delay_alu instid0(VALU_DEP_1)
	v_cndmask_b32_e32 v55, v4, v6, vcc_lo
.LBB46_56:                              ;   in Loop: Header=BB46_12 Depth=1
	s_or_b32 exec_lo, exec_lo, s21
	v_and_b32_e32 v4, 0xffff0000, v7
	s_delay_alu instid0(VALU_DEP_1) | instskip(NEXT) | instid1(VALU_DEP_1)
	v_add_f32_e32 v64, s52, v4
	v_cmp_ge_f32_e32 vcc_lo, 0x41a00000, v64
	s_and_b32 s20, s63, vcc_lo
	s_delay_alu instid0(SALU_CYCLE_1)
	s_and_saveexec_b32 s21, s20
	s_cbranch_execz .LBB46_58
; %bb.57:                               ;   in Loop: Header=BB46_12 Depth=1
	v_mul_f32_e32 v4, 0x3fb8aa3b, v64
	v_cmp_ngt_f32_e32 vcc_lo, 0xc2ce8ed0, v64
	s_delay_alu instid0(VALU_DEP_2) | instskip(SKIP_1) | instid1(VALU_DEP_2)
	v_rndne_f32_e32 v5, v4
	v_fma_f32 v6, 0x3fb8aa3b, v64, -v4
	v_sub_f32_e32 v4, v4, v5
	s_delay_alu instid0(VALU_DEP_2) | instskip(SKIP_1) | instid1(VALU_DEP_2)
	v_fmac_f32_e32 v6, 0x32a5705f, v64
	v_cvt_i32_f32_e32 v5, v5
	v_add_f32_e32 v4, v4, v6
	s_delay_alu instid0(VALU_DEP_1) | instskip(SKIP_2) | instid1(VALU_DEP_1)
	v_exp_f32_e32 v4, v4
	s_waitcnt_depctr 0xfff
	v_ldexp_f32 v4, v4, v5
	v_cndmask_b32_e32 v4, 0, v4, vcc_lo
	v_cmp_nlt_f32_e32 vcc_lo, 0x42b17218, v64
	s_delay_alu instid0(VALU_DEP_2) | instskip(NEXT) | instid1(VALU_DEP_1)
	v_cndmask_b32_e32 v6, 0x7f800000, v4, vcc_lo
	v_add_f32_e32 v7, 1.0, v6
	s_delay_alu instid0(VALU_DEP_1) | instskip(NEXT) | instid1(VALU_DEP_1)
	v_cvt_f64_f32_e32 v[4:5], v7
	v_frexp_exp_i32_f64_e32 v4, v[4:5]
	v_frexp_mant_f32_e32 v5, v7
	s_delay_alu instid0(VALU_DEP_1) | instskip(SKIP_1) | instid1(VALU_DEP_1)
	v_cmp_gt_f32_e32 vcc_lo, 0x3f2aaaab, v5
	v_add_f32_e32 v5, -1.0, v7
	v_sub_f32_e32 v9, v5, v7
	v_sub_f32_e32 v5, v6, v5
	s_delay_alu instid0(VALU_DEP_2) | instskip(NEXT) | instid1(VALU_DEP_1)
	v_add_f32_e32 v9, 1.0, v9
	v_add_f32_e32 v5, v5, v9
	v_cmp_gt_f32_e64 s20, 0x33800000, v6
	v_subrev_co_ci_u32_e32 v4, vcc_lo, 0, v4, vcc_lo
	v_cmp_eq_f32_e32 vcc_lo, 0x7f800000, v6
	s_delay_alu instid0(VALU_DEP_2) | instskip(SKIP_2) | instid1(VALU_DEP_2)
	v_sub_nc_u32_e32 v8, 0, v4
	v_cvt_f32_i32_e32 v4, v4
	s_or_b32 vcc_lo, s20, vcc_lo
	v_ldexp_f32 v7, v7, v8
	v_ldexp_f32 v5, v5, v8
	s_delay_alu instid0(VALU_DEP_2) | instskip(NEXT) | instid1(VALU_DEP_1)
	v_add_f32_e32 v56, 1.0, v7
	v_dual_add_f32 v8, -1.0, v7 :: v_dual_add_f32 v9, -1.0, v56
	s_delay_alu instid0(VALU_DEP_1) | instskip(NEXT) | instid1(VALU_DEP_2)
	v_add_f32_e32 v57, 1.0, v8
	v_sub_f32_e32 v9, v7, v9
	s_delay_alu instid0(VALU_DEP_2) | instskip(NEXT) | instid1(VALU_DEP_2)
	v_sub_f32_e32 v7, v7, v57
	v_add_f32_e32 v9, v5, v9
	s_delay_alu instid0(VALU_DEP_2) | instskip(NEXT) | instid1(VALU_DEP_1)
	v_add_f32_e32 v5, v5, v7
	v_add_f32_e32 v58, v8, v5
	s_delay_alu instid0(VALU_DEP_1) | instskip(NEXT) | instid1(VALU_DEP_4)
	v_sub_f32_e32 v8, v8, v58
	v_add_f32_e32 v57, v56, v9
	s_delay_alu instid0(VALU_DEP_1) | instskip(NEXT) | instid1(VALU_DEP_2)
	v_rcp_f32_e32 v7, v57
	v_dual_sub_f32 v56, v56, v57 :: v_dual_add_f32 v5, v5, v8
	s_delay_alu instid0(VALU_DEP_1) | instskip(SKIP_2) | instid1(VALU_DEP_1)
	v_add_f32_e32 v9, v9, v56
	s_waitcnt_depctr 0xfff
	v_mul_f32_e32 v59, v58, v7
	v_mul_f32_e32 v60, v57, v59
	s_delay_alu instid0(VALU_DEP_1) | instskip(NEXT) | instid1(VALU_DEP_1)
	v_fma_f32 v56, v59, v57, -v60
	v_fmac_f32_e32 v56, v59, v9
	s_delay_alu instid0(VALU_DEP_1) | instskip(NEXT) | instid1(VALU_DEP_1)
	v_add_f32_e32 v61, v60, v56
	v_sub_f32_e32 v62, v58, v61
	v_sub_f32_e32 v8, v61, v60
	s_delay_alu instid0(VALU_DEP_2) | instskip(NEXT) | instid1(VALU_DEP_1)
	v_sub_f32_e32 v58, v58, v62
	v_sub_f32_e32 v58, v58, v61
	s_delay_alu instid0(VALU_DEP_1) | instskip(NEXT) | instid1(VALU_DEP_1)
	v_dual_sub_f32 v8, v8, v56 :: v_dual_add_f32 v5, v5, v58
	v_add_f32_e32 v5, v8, v5
	s_delay_alu instid0(VALU_DEP_1) | instskip(NEXT) | instid1(VALU_DEP_1)
	v_add_f32_e32 v8, v62, v5
	v_mul_f32_e32 v56, v7, v8
	v_sub_f32_e32 v61, v62, v8
	s_delay_alu instid0(VALU_DEP_2) | instskip(NEXT) | instid1(VALU_DEP_2)
	v_mul_f32_e32 v58, v57, v56
	v_add_f32_e32 v5, v5, v61
	s_delay_alu instid0(VALU_DEP_2) | instskip(NEXT) | instid1(VALU_DEP_1)
	v_fma_f32 v57, v56, v57, -v58
	v_fmac_f32_e32 v57, v56, v9
	s_delay_alu instid0(VALU_DEP_1) | instskip(NEXT) | instid1(VALU_DEP_1)
	v_add_f32_e32 v9, v58, v57
	v_sub_f32_e32 v60, v8, v9
	s_delay_alu instid0(VALU_DEP_1) | instskip(NEXT) | instid1(VALU_DEP_1)
	v_sub_f32_e32 v8, v8, v60
	v_sub_f32_e32 v8, v8, v9
	s_delay_alu instid0(VALU_DEP_1) | instskip(SKIP_2) | instid1(VALU_DEP_1)
	v_add_f32_e32 v5, v5, v8
	v_add_f32_e32 v8, v59, v56
	v_sub_f32_e32 v58, v9, v58
	v_sub_f32_e32 v9, v58, v57
	s_delay_alu instid0(VALU_DEP_1) | instskip(NEXT) | instid1(VALU_DEP_4)
	v_add_f32_e32 v5, v9, v5
	v_sub_f32_e32 v9, v8, v59
	s_delay_alu instid0(VALU_DEP_2) | instskip(NEXT) | instid1(VALU_DEP_2)
	v_add_f32_e32 v5, v60, v5
	v_sub_f32_e32 v9, v56, v9
	s_delay_alu instid0(VALU_DEP_2) | instskip(NEXT) | instid1(VALU_DEP_1)
	v_mul_f32_e32 v5, v7, v5
	v_add_f32_e32 v5, v9, v5
	s_delay_alu instid0(VALU_DEP_1) | instskip(NEXT) | instid1(VALU_DEP_1)
	v_add_f32_e32 v7, v8, v5
	v_mul_f32_e32 v9, v7, v7
	s_delay_alu instid0(VALU_DEP_1) | instskip(SKIP_1) | instid1(VALU_DEP_2)
	v_fmaak_f32 v56, s67, v9, 0x3ecc95a3
	v_mul_f32_e32 v57, v7, v9
	v_fmaak_f32 v9, v9, v56, 0x3f2aaada
	v_ldexp_f32 v56, v7, 1
	v_sub_f32_e32 v7, v7, v8
	s_delay_alu instid0(VALU_DEP_3) | instskip(SKIP_1) | instid1(VALU_DEP_2)
	v_mul_f32_e32 v9, v57, v9
	v_mul_f32_e32 v57, 0x3f317218, v4
	v_dual_sub_f32 v5, v5, v7 :: v_dual_add_f32 v8, v56, v9
	s_delay_alu instid0(VALU_DEP_1) | instskip(NEXT) | instid1(VALU_DEP_2)
	v_ldexp_f32 v5, v5, 1
	v_sub_f32_e32 v7, v8, v56
	s_delay_alu instid0(VALU_DEP_4) | instskip(NEXT) | instid1(VALU_DEP_1)
	v_fma_f32 v56, 0x3f317218, v4, -v57
	v_dual_sub_f32 v7, v9, v7 :: v_dual_fmac_f32 v56, 0xb102e308, v4
	s_delay_alu instid0(VALU_DEP_1) | instskip(NEXT) | instid1(VALU_DEP_1)
	v_add_f32_e32 v4, v5, v7
	v_add_f32_e32 v7, v8, v4
	s_delay_alu instid0(VALU_DEP_1) | instskip(NEXT) | instid1(VALU_DEP_1)
	v_sub_f32_e32 v8, v7, v8
	v_sub_f32_e32 v4, v4, v8
	v_add_f32_e32 v5, v57, v56
	s_delay_alu instid0(VALU_DEP_1) | instskip(SKIP_1) | instid1(VALU_DEP_2)
	v_add_f32_e32 v9, v5, v7
	v_sub_f32_e32 v57, v5, v57
	v_sub_f32_e32 v58, v9, v5
	s_delay_alu instid0(VALU_DEP_1) | instskip(NEXT) | instid1(VALU_DEP_1)
	v_dual_sub_f32 v56, v56, v57 :: v_dual_sub_f32 v59, v9, v58
	v_dual_sub_f32 v7, v7, v58 :: v_dual_add_f32 v8, v56, v4
	s_delay_alu instid0(VALU_DEP_2) | instskip(NEXT) | instid1(VALU_DEP_1)
	v_sub_f32_e32 v5, v5, v59
	v_add_f32_e32 v5, v7, v5
	s_delay_alu instid0(VALU_DEP_3) | instskip(NEXT) | instid1(VALU_DEP_2)
	v_sub_f32_e32 v7, v8, v56
	v_add_f32_e32 v5, v8, v5
	s_delay_alu instid0(VALU_DEP_2) | instskip(NEXT) | instid1(VALU_DEP_2)
	v_sub_f32_e32 v8, v8, v7
	v_dual_sub_f32 v4, v4, v7 :: v_dual_add_f32 v57, v9, v5
	s_delay_alu instid0(VALU_DEP_1) | instskip(NEXT) | instid1(VALU_DEP_1)
	v_dual_sub_f32 v8, v56, v8 :: v_dual_sub_f32 v7, v57, v9
	v_dual_add_f32 v4, v4, v8 :: v_dual_sub_f32 v5, v5, v7
	s_delay_alu instid0(VALU_DEP_1) | instskip(NEXT) | instid1(VALU_DEP_1)
	v_add_f32_e32 v4, v4, v5
	v_add_f32_e32 v4, v57, v4
	s_delay_alu instid0(VALU_DEP_1)
	v_cndmask_b32_e32 v64, v4, v6, vcc_lo
.LBB46_58:                              ;   in Loop: Header=BB46_12 Depth=1
	s_or_b32 exec_lo, exec_lo, s21
	v_and_b32_e32 v5, 0xffff0000, v2
	v_and_b32_e32 v7, 0xffff0000, v3
	v_lshlrev_b32_e32 v2, 16, v2
	v_lshlrev_b32_e32 v4, 16, v3
	v_and_b32_e32 v6, 0xffff0000, v0
	v_and_b32_e32 v3, 0xffff0000, v1
	v_lshlrev_b32_e32 v1, 16, v1
	v_dual_mul_f32 v59, s53, v2 :: v_dual_lshlrev_b32 v0, 16, v0
	s_delay_alu instid0(VALU_DEP_4) | instskip(NEXT) | instid1(VALU_DEP_3)
	v_dual_mul_f32 v57, s53, v4 :: v_dual_mul_f32 v58, s53, v6
	v_dual_mul_f32 v61, s53, v3 :: v_dual_mul_f32 v62, s53, v1
	v_mul_f32_e32 v56, s53, v5
	s_delay_alu instid0(VALU_DEP_4)
	v_dual_mul_f32 v60, s53, v7 :: v_dual_mul_f32 v63, s53, v0
	s_and_b32 vcc_lo, exec_lo, s64
	s_barrier
	buffer_gl0_inv
	s_cbranch_vccz .LBB46_122
; %bb.59:                               ;   in Loop: Header=BB46_12 Depth=1
	v_dual_mul_f32 v65, v64, v7 :: v_dual_mul_f32 v70, v55, v4
	v_add_co_u32 v7, s20, s41, v47
	s_delay_alu instid0(VALU_DEP_1) | instskip(SKIP_1) | instid1(VALU_DEP_1)
	v_add_co_ci_u32_e64 v8, null, s51, 0, s20
	v_add_co_u32 v9, s20, s45, v47
	v_add_co_ci_u32_e64 v69, null, s48, 0, s20
	s_delay_alu instid0(VALU_DEP_4) | instskip(NEXT) | instid1(VALU_DEP_4)
	v_add_co_u32 v66, vcc_lo, v7, v48
	v_add_co_ci_u32_e32 v67, vcc_lo, 0, v8, vcc_lo
	s_delay_alu instid0(VALU_DEP_4) | instskip(NEXT) | instid1(VALU_DEP_4)
	v_add_co_u32 v68, vcc_lo, v9, v48
	v_add_co_ci_u32_e32 v69, vcc_lo, 0, v69, vcc_lo
	v_cmp_gt_u32_e32 vcc_lo, s23, v10
	s_cmp_lg_u32 s69, 0
	v_cmp_gt_u32_e64 s21, s23, v40
	s_cselect_b32 s31, -1, 0
	s_cmp_eq_u32 s69, s66
	v_cmp_gt_u32_e64 s22, s23, v41
	s_cselect_b32 s70, -1, 0
	s_or_b32 s20, s65, vcc_lo
	v_cmp_gt_u32_e32 vcc_lo, s23, v42
	v_cmp_gt_u32_e64 s24, s23, v43
	v_cmp_gt_u32_e64 s25, s23, v44
	;; [unrolled: 1-line block ×4, first 2 shown]
	v_dual_mul_f32 v71, v54, v5 :: v_dual_mul_f32 v72, v53, v2
	v_dual_mul_f32 v73, v52, v3 :: v_dual_mul_f32 v74, v51, v1
	;; [unrolled: 1-line block ×3, first 2 shown]
	s_mov_b32 s34, 0
	s_or_b32 s21, s65, s21
	s_or_b32 s22, s65, s22
	s_or_b32 s23, s65, vcc_lo
	s_or_b32 s24, s65, s24
	s_or_b32 s25, s65, s25
	;; [unrolled: 1-line block ×4, first 2 shown]
	s_mov_b32 s38, s34
	s_mov_b32 s42, s34
	;; [unrolled: 1-line block ×5, first 2 shown]
	s_branch .LBB46_61
.LBB46_60:                              ;   in Loop: Header=BB46_61 Depth=2
	s_or_b32 exec_lo, exec_lo, s28
	v_cndmask_b32_e64 v5, v94, v7, s11
	v_cndmask_b32_e64 v6, v93, v6, s11
	s_add_i32 s71, s71, -1
	s_add_i32 s72, s72, 8
	s_add_i32 s46, s46, s50
	v_fma_f32 v5, v5, v82, v80
	v_mul_f32_e32 v6, v6, v82
	s_add_i32 s42, s42, s44
	s_add_i32 s38, s38, s40
	;; [unrolled: 1-line block ×3, first 2 shown]
	v_cndmask_b32_e64 v5, v5, v80, s10
	v_cndmask_b32_e64 v6, v6, v82, s10
	s_cmp_eq_u32 s71, 0
	s_waitcnt lgkmcnt(0)
	s_delay_alu instid0(VALU_DEP_1) | instskip(NEXT) | instid1(VALU_DEP_1)
	v_dual_fmac_f32 v5, v4, v6 :: v_dual_and_b32 v4, 0xffff0000, v0
	v_fmac_f32_e32 v77, v5, v83
	s_delay_alu instid0(VALU_DEP_1) | instskip(SKIP_1) | instid1(VALU_DEP_1)
	v_dual_fmac_f32 v58, v77, v4 :: v_dual_and_b32 v7, 0xffff0000, v2
	v_fmac_f32_e32 v78, v77, v85
	v_dual_fmac_f32 v79, v78, v86 :: v_dual_and_b32 v6, 0xffff0000, v1
	s_delay_alu instid0(VALU_DEP_1) | instskip(SKIP_1) | instid1(VALU_DEP_3)
	v_fmac_f32_e32 v81, v79, v88
	v_lshlrev_b32_e32 v1, 16, v1
	v_dual_fmac_f32 v61, v79, v6 :: v_dual_and_b32 v8, 0xffff0000, v3
	s_delay_alu instid0(VALU_DEP_3) | instskip(SKIP_1) | instid1(VALU_DEP_4)
	v_fmac_f32_e32 v84, v81, v92
	v_lshlrev_b32_e32 v0, 16, v0
	v_dual_fmac_f32 v62, v78, v1 :: v_dual_lshlrev_b32 v3, 16, v3
	s_delay_alu instid0(VALU_DEP_3) | instskip(NEXT) | instid1(VALU_DEP_3)
	v_fmac_f32_e32 v87, v84, v90
	v_dual_fmac_f32 v63, v5, v0 :: v_dual_lshlrev_b32 v2, 16, v2
	v_fmac_f32_e32 v56, v84, v7
	s_delay_alu instid0(VALU_DEP_3) | instskip(NEXT) | instid1(VALU_DEP_3)
	v_fmac_f32_e32 v89, v87, v91
	v_fmac_f32_e32 v59, v81, v2
	s_delay_alu instid0(VALU_DEP_2)
	v_dual_fmac_f32 v57, v87, v3 :: v_dual_fmac_f32 v60, v89, v8
	s_cbranch_scc1 .LBB46_122
.LBB46_61:                              ;   Parent Loop BB46_12 Depth=1
                                        ; =>  This Inner Loop Header: Depth=2
	s_lshl_b64 s[28:29], s[34:35], 2
	s_mov_b32 s39, s35
	s_add_u32 s28, s58, s28
	s_addc_u32 s29, s59, s29
	v_dual_mov_b32 v2, 0 :: v_dual_mov_b32 v3, 0
	global_load_b32 v77, v13, s[28:29]
	s_lshl_b64 s[28:29], s[38:39], 1
	s_delay_alu instid0(SALU_CYCLE_1)
	v_add_co_u32 v0, vcc_lo, v66, s28
	v_add_co_ci_u32_e32 v1, vcc_lo, s29, v67, vcc_lo
	s_and_saveexec_b32 s28, s12
	s_cbranch_execz .LBB46_63
; %bb.62:                               ;   in Loop: Header=BB46_61 Depth=2
	global_load_u16 v3, v[0:1], off
.LBB46_63:                              ;   in Loop: Header=BB46_61 Depth=2
	s_or_b32 exec_lo, exec_lo, s28
	s_and_saveexec_b32 s28, s13
	s_cbranch_execz .LBB46_65
; %bb.64:                               ;   in Loop: Header=BB46_61 Depth=2
	global_load_u16 v2, v[0:1], off offset:64
.LBB46_65:                              ;   in Loop: Header=BB46_61 Depth=2
	s_or_b32 exec_lo, exec_lo, s28
	v_dual_mov_b32 v4, 0 :: v_dual_mov_b32 v5, 0
	s_and_saveexec_b32 s28, s14
	s_cbranch_execz .LBB46_67
; %bb.66:                               ;   in Loop: Header=BB46_61 Depth=2
	global_load_u16 v5, v[0:1], off offset:128
.LBB46_67:                              ;   in Loop: Header=BB46_61 Depth=2
	s_or_b32 exec_lo, exec_lo, s28
	s_and_saveexec_b32 s28, s15
	s_cbranch_execz .LBB46_69
; %bb.68:                               ;   in Loop: Header=BB46_61 Depth=2
	global_load_u16 v4, v[0:1], off offset:192
.LBB46_69:                              ;   in Loop: Header=BB46_61 Depth=2
	s_or_b32 exec_lo, exec_lo, s28
	v_dual_mov_b32 v6, 0 :: v_dual_mov_b32 v7, 0
	s_and_saveexec_b32 s28, s16
	s_cbranch_execz .LBB46_71
; %bb.70:                               ;   in Loop: Header=BB46_61 Depth=2
	global_load_u16 v7, v[0:1], off offset:256
.LBB46_71:                              ;   in Loop: Header=BB46_61 Depth=2
	;; [unrolled: 13-line block ×3, first 2 shown]
	s_or_b32 exec_lo, exec_lo, s28
	s_and_saveexec_b32 s28, s19
	s_cbranch_execz .LBB46_77
; %bb.76:                               ;   in Loop: Header=BB46_61 Depth=2
	global_load_u16 v8, v[0:1], off offset:448
.LBB46_77:                              ;   in Loop: Header=BB46_61 Depth=2
	s_or_b32 exec_lo, exec_lo, s28
	s_waitcnt vmcnt(0)
	ds_store_b16 v20, v3
	ds_store_b16 v20, v2 offset:64
	ds_store_b16 v21, v5 offset:128
	;; [unrolled: 1-line block ×7, first 2 shown]
	; wave barrier
	ds_load_b128 v[4:7], v27
	s_mov_b32 s43, s35
	v_dual_mov_b32 v2, 0 :: v_dual_mov_b32 v3, 0
	s_lshl_b64 s[28:29], s[42:43], 1
	s_delay_alu instid0(SALU_CYCLE_1)
	v_add_co_u32 v0, vcc_lo, v68, s28
	v_add_co_ci_u32_e32 v1, vcc_lo, s29, v69, vcc_lo
	s_and_saveexec_b32 s28, s12
	s_cbranch_execz .LBB46_79
; %bb.78:                               ;   in Loop: Header=BB46_61 Depth=2
	global_load_u16 v3, v[0:1], off
.LBB46_79:                              ;   in Loop: Header=BB46_61 Depth=2
	s_or_b32 exec_lo, exec_lo, s28
	s_and_saveexec_b32 s28, s13
	s_cbranch_execz .LBB46_81
; %bb.80:                               ;   in Loop: Header=BB46_61 Depth=2
	global_load_u16 v2, v[0:1], off offset:64
.LBB46_81:                              ;   in Loop: Header=BB46_61 Depth=2
	s_or_b32 exec_lo, exec_lo, s28
	v_dual_mov_b32 v8, 0 :: v_dual_mov_b32 v9, 0
	s_and_saveexec_b32 s28, s14
	s_cbranch_execz .LBB46_83
; %bb.82:                               ;   in Loop: Header=BB46_61 Depth=2
	global_load_u16 v9, v[0:1], off offset:128
.LBB46_83:                              ;   in Loop: Header=BB46_61 Depth=2
	s_or_b32 exec_lo, exec_lo, s28
	s_and_saveexec_b32 s28, s15
	s_cbranch_execz .LBB46_85
; %bb.84:                               ;   in Loop: Header=BB46_61 Depth=2
	global_load_u16 v8, v[0:1], off offset:192
.LBB46_85:                              ;   in Loop: Header=BB46_61 Depth=2
	s_or_b32 exec_lo, exec_lo, s28
	v_dual_mov_b32 v78, 0 :: v_dual_mov_b32 v79, 0
	s_and_saveexec_b32 s28, s16
	s_cbranch_execz .LBB46_87
; %bb.86:                               ;   in Loop: Header=BB46_61 Depth=2
	global_load_u16 v79, v[0:1], off offset:256
.LBB46_87:                              ;   in Loop: Header=BB46_61 Depth=2
	;; [unrolled: 13-line block ×3, first 2 shown]
	s_or_b32 exec_lo, exec_lo, s28
	s_and_saveexec_b32 s28, s19
	s_cbranch_execz .LBB46_93
; %bb.92:                               ;   in Loop: Header=BB46_61 Depth=2
	global_load_u16 v80, v[0:1], off offset:448
.LBB46_93:                              ;   in Loop: Header=BB46_61 Depth=2
	s_or_b32 exec_lo, exec_lo, s28
	s_waitcnt vmcnt(0)
	ds_store_b16 v20, v3 offset:1056
	ds_store_b16 v28, v2 offset:64
	ds_store_b16 v29, v9 offset:128
	ds_store_b16 v30, v8 offset:192
	ds_store_b16 v31, v79 offset:256
	ds_store_b16 v32, v78 offset:320
	ds_store_b16 v33, v81 offset:384
	ds_store_b16 v34, v80 offset:448
	; wave barrier
	ds_load_b128 v[0:3], v27 offset:1056
	s_and_not1_b32 vcc_lo, exec_lo, s31
	s_cbranch_vccnz .LBB46_95
; %bb.94:                               ;   in Loop: Header=BB46_61 Depth=2
	v_mov_b32_e32 v8, s72
	ds_load_b64 v[8:9], v8
	s_cbranch_execz .LBB46_96
	s_branch .LBB46_99
.LBB46_95:                              ;   in Loop: Header=BB46_61 Depth=2
                                        ; implicit-def: $vgpr8
.LBB46_96:                              ;   in Loop: Header=BB46_61 Depth=2
	s_waitcnt lgkmcnt(0)
	v_mov_b32_e32 v9, 0
	s_and_not1_b32 vcc_lo, exec_lo, s33
	s_cbranch_vccnz .LBB46_98
; %bb.97:                               ;   in Loop: Header=BB46_61 Depth=2
	s_mov_b32 s47, s35
	s_delay_alu instid0(SALU_CYCLE_1) | instskip(NEXT) | instid1(SALU_CYCLE_1)
	s_lshl_b64 s[28:29], s[46:47], 2
	s_add_u32 s28, s60, s28
	s_addc_u32 s29, s61, s29
	global_load_b32 v9, v13, s[28:29]
.LBB46_98:                              ;   in Loop: Header=BB46_61 Depth=2
	v_mov_b32_e32 v8, 1.0
.LBB46_99:                              ;   in Loop: Header=BB46_61 Depth=2
	v_mul_f32_e32 v87, 0x3fb8aa3b, v77
	s_waitcnt lgkmcnt(9)
	v_lshlrev_b32_e32 v77, 16, v4
	v_and_b32_e32 v4, 0xffff0000, v4
	s_delay_alu instid0(VALU_DEP_1) | instskip(SKIP_1) | instid1(VALU_DEP_4)
	v_mul_f32_e32 v4, v75, v4
	v_mul_f32_e32 v78, v87, v49
	;; [unrolled: 1-line block ×3, first 2 shown]
	v_dual_mul_f32 v80, v87, v50 :: v_dual_lshlrev_b32 v79, 16, v5
	v_mul_f32_e32 v82, v87, v51
	s_delay_alu instid0(VALU_DEP_4) | instskip(SKIP_1) | instid1(VALU_DEP_4)
	v_cmp_gt_f32_e32 vcc_lo, 0xc2fc0000, v78
	v_dual_mul_f32 v84, v87, v52 :: v_dual_lshlrev_b32 v89, 16, v7
	v_cmp_gt_f32_e64 s28, 0xc2fc0000, v80
	s_delay_alu instid0(VALU_DEP_4)
	v_cmp_gt_f32_e64 s29, 0xc2fc0000, v82
	v_cndmask_b32_e64 v78, 0, 0x42800000, vcc_lo
	v_lshlrev_b32_e32 v81, 16, v6
	v_cndmask_b32_e64 v85, 1.0, 0x1f800000, vcc_lo
	v_cndmask_b32_e64 v80, 0, 0x42800000, s28
	v_and_b32_e32 v5, 0xffff0000, v5
	v_fmac_f32_e32 v78, v87, v49
	v_cndmask_b32_e64 v82, 0, 0x42800000, s29
	v_cndmask_b32_e64 v86, 1.0, 0x1f800000, s28
	v_fmac_f32_e32 v80, v87, v50
	v_cmp_gt_f32_e32 vcc_lo, 0xc2fc0000, v84
	v_exp_f32_e32 v78, v78
	v_and_b32_e32 v7, 0xffff0000, v7
	v_dual_fmac_f32 v82, v87, v51 :: v_dual_mul_f32 v5, v73, v5
	v_exp_f32_e32 v83, v80
	v_cndmask_b32_e64 v80, 0, v77, s20
	v_cndmask_b32_e64 v77, 0, v4, s21
	v_cndmask_b32_e64 v84, 0, 0x42800000, vcc_lo
	v_dual_mul_f32 v79, v74, v79 :: v_dual_and_b32 v6, 0xffff0000, v6
	s_delay_alu instid0(TRANS32_DEP_2) | instskip(SKIP_1) | instid1(VALU_DEP_3)
	v_mul_f32_e32 v4, v78, v85
	v_exp_f32_e32 v85, v82
	v_dual_fmac_f32 v84, v87, v52 :: v_dual_mul_f32 v89, v70, v89
	s_delay_alu instid0(TRANS32_DEP_2) | instskip(NEXT) | instid1(VALU_DEP_3)
	v_dual_mul_f32 v78, v83, v86 :: v_dual_mul_f32 v81, v72, v81
	v_cndmask_b32_e64 v82, 1.0, v4, s20
	v_dual_mul_f32 v4, v87, v53 :: v_dual_mul_f32 v7, v65, v7
	s_delay_alu instid0(VALU_DEP_3) | instskip(SKIP_2) | instid1(VALU_DEP_4)
	v_cndmask_b32_e64 v83, 1.0, v78, s21
	v_cndmask_b32_e64 v78, 1.0, 0x1f800000, s29
	v_mul_f32_e32 v86, v87, v54
	v_cmp_gt_f32_e64 s28, 0xc2fc0000, v4
	v_exp_f32_e32 v84, v84
	v_mul_f32_e32 v91, v87, v64
	v_mul_f32_e32 v85, v85, v78
	v_cndmask_b32_e64 v78, 0, v79, s22
	v_cndmask_b32_e64 v4, 0, 0x42800000, s28
	v_cndmask_b32_e64 v79, 1.0, 0x1f800000, vcc_lo
	v_cmp_gt_f32_e32 vcc_lo, 0xc2fc0000, v86
	v_mul_f32_e32 v6, v71, v6
	v_cndmask_b32_e64 v85, 1.0, v85, s22
	v_fmac_f32_e32 v4, v87, v53
	v_mul_f32_e32 v84, v84, v79
	v_cndmask_b32_e64 v88, 0, 0x42800000, vcc_lo
	v_cndmask_b32_e64 v79, 0, v5, s23
	v_cndmask_b32_e64 v5, 1.0, 0x1f800000, s28
	v_exp_f32_e32 v4, v4
	v_cndmask_b32_e64 v86, 1.0, v84, s23
	v_fmac_f32_e32 v88, v87, v54
	v_cmp_gt_f32_e64 s28, 0xc2fc0000, v91
	v_fma_f32 v91, v83, v80, v77
	v_cndmask_b32_e64 v81, 0, v81, s24
	s_delay_alu instid0(VALU_DEP_4) | instskip(SKIP_1) | instid1(TRANS32_DEP_2)
	v_exp_f32_e32 v84, v88
	v_mul_f32_e32 v88, v87, v55
	v_mul_f32_e32 v4, v4, v5
	v_cndmask_b32_e64 v5, 1.0, 0x1f800000, vcc_lo
	s_delay_alu instid0(VALU_DEP_3) | instskip(NEXT) | instid1(VALU_DEP_3)
	v_cmp_gt_f32_e32 vcc_lo, 0xc2fc0000, v88
	v_cndmask_b32_e64 v88, 1.0, v4, s24
	s_waitcnt_depctr 0xfff
	v_mul_f32_e32 v4, v84, v5
	v_cndmask_b32_e64 v90, 0, 0x42800000, vcc_lo
	v_cndmask_b32_e64 v84, 0, v6, s25
	v_cndmask_b32_e64 v5, 0, 0x42800000, s28
	v_mul_f32_e32 v6, v83, v82
	v_cndmask_b32_e64 v92, 1.0, v4, s25
	v_fmac_f32_e32 v90, v87, v55
	s_delay_alu instid0(VALU_DEP_3) | instskip(SKIP_1) | instid1(VALU_DEP_3)
	v_dual_fmac_f32 v5, v87, v64 :: v_dual_mul_f32 v4, v6, v85
	v_fma_f32 v6, v91, v85, v78
	v_exp_f32_e32 v90, v90
	v_cndmask_b32_e64 v87, 1.0, 0x1f800000, vcc_lo
	s_delay_alu instid0(VALU_DEP_3) | instskip(SKIP_2) | instid1(VALU_DEP_2)
	v_exp_f32_e32 v5, v5
	v_mul_f32_e32 v4, v4, v86
	v_fma_f32 v6, v6, v86, v79
	v_mul_f32_e32 v4, v4, v88
	s_delay_alu instid0(VALU_DEP_2) | instskip(NEXT) | instid1(TRANS32_DEP_2)
	v_fma_f32 v6, v6, v88, v81
	v_mul_f32_e32 v90, v90, v87
	v_cndmask_b32_e64 v87, 0, v89, s26
	v_cndmask_b32_e64 v89, 1.0, 0x1f800000, s28
	v_mul_f32_e32 v4, v4, v92
	v_fma_f32 v6, v6, v92, v84
	v_cndmask_b32_e64 v90, 1.0, v90, s26
	s_delay_alu instid0(VALU_DEP_4) | instskip(SKIP_1) | instid1(VALU_DEP_3)
	v_mul_f32_e32 v5, v5, v89
	v_cndmask_b32_e64 v89, 0, v7, s27
	v_mul_f32_e32 v4, v4, v90
	s_delay_alu instid0(VALU_DEP_3) | instskip(SKIP_1) | instid1(VALU_DEP_2)
	v_cndmask_b32_e64 v91, 1.0, v5, s27
	v_fma_f32 v5, v6, v90, v87
	v_mul_f32_e32 v4, v4, v91
	s_delay_alu instid0(VALU_DEP_2) | instskip(NEXT) | instid1(VALU_DEP_2)
	v_fma_f32 v5, v5, v91, v89
	v_mov_b32_dpp v7, v4 row_shr:1 row_mask:0xf bank_mask:0xf
	s_delay_alu instid0(VALU_DEP_2)
	v_mov_b32_dpp v6, v5 row_shr:1 row_mask:0xf bank_mask:0xf
	s_and_saveexec_b32 s28, s0
; %bb.100:                              ;   in Loop: Header=BB46_61 Depth=2
	s_delay_alu instid0(VALU_DEP_2) | instskip(NEXT) | instid1(VALU_DEP_1)
	v_mul_f32_e32 v7, v4, v7
	v_dual_fmac_f32 v5, v4, v6 :: v_dual_mov_b32 v4, v7
; %bb.101:                              ;   in Loop: Header=BB46_61 Depth=2
	s_or_b32 exec_lo, exec_lo, s28
	s_delay_alu instid0(VALU_DEP_1) | instskip(NEXT) | instid1(VALU_DEP_2)
	v_mov_b32_dpp v6, v4 row_shr:2 row_mask:0xf bank_mask:0xf
	v_mov_b32_dpp v7, v5 row_shr:2 row_mask:0xf bank_mask:0xf
	s_and_saveexec_b32 s28, s1
; %bb.102:                              ;   in Loop: Header=BB46_61 Depth=2
	s_delay_alu instid0(VALU_DEP_1) | instskip(NEXT) | instid1(VALU_DEP_3)
	v_fmac_f32_e32 v5, v4, v7
	v_mul_f32_e32 v4, v4, v6
; %bb.103:                              ;   in Loop: Header=BB46_61 Depth=2
	s_or_b32 exec_lo, exec_lo, s28
	s_delay_alu instid0(VALU_DEP_1) | instskip(NEXT) | instid1(VALU_DEP_3)
	v_mov_b32_dpp v6, v4 row_shr:4 row_mask:0xf bank_mask:0xf
	v_mov_b32_dpp v7, v5 row_shr:4 row_mask:0xf bank_mask:0xf
	s_and_saveexec_b32 s28, s2
; %bb.104:                              ;   in Loop: Header=BB46_61 Depth=2
	s_delay_alu instid0(VALU_DEP_1) | instskip(NEXT) | instid1(VALU_DEP_3)
	v_fmac_f32_e32 v5, v4, v7
	v_mul_f32_e32 v4, v4, v6
; %bb.105:                              ;   in Loop: Header=BB46_61 Depth=2
	s_or_b32 exec_lo, exec_lo, s28
	s_delay_alu instid0(VALU_DEP_1) | instskip(NEXT) | instid1(VALU_DEP_3)
	v_mov_b32_dpp v6, v4 row_shr:8 row_mask:0xf bank_mask:0xf
	v_mov_b32_dpp v7, v5 row_shr:8 row_mask:0xf bank_mask:0xf
	s_and_saveexec_b32 s28, s3
; %bb.106:                              ;   in Loop: Header=BB46_61 Depth=2
	s_delay_alu instid0(VALU_DEP_1) | instskip(NEXT) | instid1(VALU_DEP_3)
	v_fmac_f32_e32 v5, v4, v7
	v_mul_f32_e32 v4, v4, v6
; %bb.107:                              ;   in Loop: Header=BB46_61 Depth=2
	s_or_b32 exec_lo, exec_lo, s28
	ds_swizzle_b32 v7, v4 offset:swizzle(BROADCAST,32,15)
	ds_swizzle_b32 v6, v5 offset:swizzle(BROADCAST,32,15)
	s_and_saveexec_b32 s28, s4
	s_cbranch_execz .LBB46_109
; %bb.108:                              ;   in Loop: Header=BB46_61 Depth=2
	s_waitcnt lgkmcnt(1)
	v_mul_f32_e32 v7, v4, v7
	s_waitcnt lgkmcnt(0)
	s_delay_alu instid0(VALU_DEP_1)
	v_dual_fmac_f32 v5, v4, v6 :: v_dual_mov_b32 v4, v7
.LBB46_109:                             ;   in Loop: Header=BB46_61 Depth=2
	s_or_b32 exec_lo, exec_lo, s28
	s_and_saveexec_b32 s28, s5
	s_cbranch_execz .LBB46_111
; %bb.110:                              ;   in Loop: Header=BB46_61 Depth=2
	ds_store_b64 v35, v[4:5] offset:2112
.LBB46_111:                             ;   in Loop: Header=BB46_61 Depth=2
	s_or_b32 exec_lo, exec_lo, s28
	s_waitcnt vmcnt(0) lgkmcnt(0)
	s_waitcnt_vscnt null, 0x0
	s_barrier
	buffer_gl0_inv
	s_and_saveexec_b32 s28, s6
	s_cbranch_execz .LBB46_113
; %bb.112:                              ;   in Loop: Header=BB46_61 Depth=2
	ds_load_b64 v[6:7], v36 offset:2112
	s_waitcnt lgkmcnt(0)
	v_mov_b32_dpp v93, v6 row_shr:1 row_mask:0xf bank_mask:0xf
	v_mov_b32_dpp v94, v7 row_shr:1 row_mask:0xf bank_mask:0xf
	s_delay_alu instid0(VALU_DEP_2) | instskip(NEXT) | instid1(VALU_DEP_2)
	v_mul_f32_e32 v93, v6, v93
	v_fma_f32 v94, v6, v94, v7
	s_delay_alu instid0(VALU_DEP_2) | instskip(NEXT) | instid1(VALU_DEP_2)
	v_cndmask_b32_e64 v6, v93, v6, s7
	v_cndmask_b32_e64 v7, v94, v7, s7
	ds_store_b64 v36, v[6:7] offset:2112
.LBB46_113:                             ;   in Loop: Header=BB46_61 Depth=2
	s_or_b32 exec_lo, exec_lo, s28
	s_waitcnt lgkmcnt(0)
	s_barrier
	buffer_gl0_inv
                                        ; implicit-def: $vgpr7
	s_and_saveexec_b32 s28, s9
	s_cbranch_execz .LBB46_115
; %bb.114:                              ;   in Loop: Header=BB46_61 Depth=2
	ds_load_b64 v[6:7], v35 offset:2104
	s_waitcnt lgkmcnt(0)
	v_mul_f32_e32 v93, v4, v6
	s_delay_alu instid0(VALU_DEP_1)
	v_dual_fmac_f32 v5, v4, v7 :: v_dual_mov_b32 v4, v93
.LBB46_115:                             ;   in Loop: Header=BB46_61 Depth=2
	s_or_b32 exec_lo, exec_lo, s28
	ds_bpermute_b32 v93, v37, v4
	ds_bpermute_b32 v94, v37, v5
	s_and_saveexec_b32 s28, s8
	s_cbranch_execz .LBB46_119
; %bb.116:                              ;   in Loop: Header=BB46_61 Depth=2
	ds_load_b64 v[4:5], v13 offset:2120
	s_and_saveexec_b32 s29, s10
	s_cbranch_execz .LBB46_118
; %bb.117:                              ;   in Loop: Header=BB46_61 Depth=2
	ds_store_b64 v13, v[8:9] offset:2120
.LBB46_118:                             ;   in Loop: Header=BB46_61 Depth=2
	s_or_b32 exec_lo, exec_lo, s29
	s_waitcnt lgkmcnt(0)
	v_fmac_f32_e32 v5, v9, v4
	s_delay_alu instid0(VALU_DEP_1)
	v_dual_mul_f32 v8, v8, v4 :: v_dual_mov_b32 v9, v5
.LBB46_119:                             ;   in Loop: Header=BB46_61 Depth=2
	s_or_b32 exec_lo, exec_lo, s28
	s_waitcnt lgkmcnt(0)
	s_barrier
	buffer_gl0_inv
	ds_load_b32 v4, v13 offset:2124
	s_and_saveexec_b32 s28, s10
	s_cbranch_execz .LBB46_60
; %bb.120:                              ;   in Loop: Header=BB46_61 Depth=2
	v_mov_b32_e32 v5, s72
	s_and_not1_b32 vcc_lo, exec_lo, s70
	ds_store_b64 v5, v[8:9]
	s_cbranch_vccnz .LBB46_60
; %bb.121:                              ;   in Loop: Header=BB46_61 Depth=2
	s_mov_b32 s47, s35
	s_delay_alu instid0(SALU_CYCLE_1) | instskip(NEXT) | instid1(SALU_CYCLE_1)
	s_lshl_b64 s[74:75], s[46:47], 2
	s_add_u32 s74, s60, s74
	s_addc_u32 s75, s61, s75
	global_store_b32 v13, v9, s[74:75]
	s_branch .LBB46_60
.LBB46_122:                             ;   in Loop: Header=BB46_12 Depth=1
	v_bfe_u32 v0, v63, 16, 1
	v_bfe_u32 v2, v62, 16, 1
	;; [unrolled: 1-line block ×3, first 2 shown]
	v_cmp_o_f32_e32 vcc_lo, v63, v63
	v_bfe_u32 v4, v59, 16, 1
	v_add3_u32 v0, v63, v0, 0x7fff
	v_add3_u32 v2, v62, v2, 0x7fff
	;; [unrolled: 1-line block ×3, first 2 shown]
	v_bfe_u32 v5, v56, 16, 1
	v_bfe_u32 v6, v57, 16, 1
	v_lshrrev_b32_e32 v0, 16, v0
	v_lshrrev_b32_e32 v2, 16, v2
	;; [unrolled: 1-line block ×3, first 2 shown]
	v_bfe_u32 v7, v60, 16, 1
	v_add3_u32 v4, v59, v4, 0x7fff
	v_cndmask_b32_e32 v0, 0x7fc0, v0, vcc_lo
	v_cmp_o_f32_e32 vcc_lo, v62, v62
	v_add3_u32 v6, v57, v6, 0x7fff
	v_bfe_u32 v1, v58, 16, 1
	s_waitcnt_vscnt null, 0x0
	s_barrier
	v_cndmask_b32_e32 v8, 0x7fc0, v2, vcc_lo
	v_cmp_o_f32_e32 vcc_lo, v61, v61
	v_add3_u32 v2, v56, v5, 0x7fff
	v_add3_u32 v5, v60, v7, 0x7fff
	;; [unrolled: 1-line block ×3, first 2 shown]
	buffer_gl0_inv
	v_cndmask_b32_e32 v7, 0x7fc0, v3, vcc_lo
	v_lshrrev_b32_e32 v3, 16, v4
	v_cmp_o_f32_e32 vcc_lo, v59, v59
	v_lshrrev_b32_e32 v4, 16, v6
	v_lshrrev_b32_e32 v5, 16, v5
	;; [unrolled: 1-line block ×4, first 2 shown]
	v_cndmask_b32_e32 v6, 0x7fc0, v3, vcc_lo
	v_cmp_o_f32_e32 vcc_lo, v57, v57
	s_mov_b32 s31, s35
	s_delay_alu instid0(SALU_CYCLE_1) | instskip(SKIP_4) | instid1(VALU_DEP_2)
	s_lshl_b64 s[20:21], s[30:31], 1
	v_cndmask_b32_e32 v3, 0x7fc0, v4, vcc_lo
	v_cmp_o_f32_e32 vcc_lo, v60, v60
	v_cndmask_b32_e32 v4, 0x7fc0, v5, vcc_lo
	v_cmp_o_f32_e32 vcc_lo, v56, v56
	v_perm_b32 v3, v4, v3, 0x5040100
	v_cndmask_b32_e32 v2, 0x7fc0, v2, vcc_lo
	v_cmp_o_f32_e32 vcc_lo, v58, v58
	s_delay_alu instid0(VALU_DEP_2) | instskip(SKIP_2) | instid1(VALU_DEP_2)
	v_perm_b32 v2, v2, v6, 0x5040100
	v_cndmask_b32_e32 v5, 0x7fc0, v1, vcc_lo
	v_perm_b32 v1, v7, v8, 0x5040100
	v_perm_b32 v0, v5, v0, 0x5040100
	ds_store_b128 v27, v[0:3]
	; wave barrier
	ds_load_u16 v8, v20 offset:64
	ds_load_u16 v7, v21 offset:128
	;; [unrolled: 1-line block ×7, first 2 shown]
	v_add_co_u32 v0, vcc_lo, v38, s20
	v_add_co_ci_u32_e32 v1, vcc_lo, s21, v39, vcc_lo
	s_and_saveexec_b32 s20, s12
	s_cbranch_execnz .LBB46_132
; %bb.123:                              ;   in Loop: Header=BB46_12 Depth=1
	s_or_b32 exec_lo, exec_lo, s20
	s_and_saveexec_b32 s12, s13
	s_cbranch_execnz .LBB46_133
.LBB46_124:                             ;   in Loop: Header=BB46_12 Depth=1
	s_or_b32 exec_lo, exec_lo, s12
	s_and_saveexec_b32 s12, s14
	s_cbranch_execnz .LBB46_134
.LBB46_125:                             ;   in Loop: Header=BB46_12 Depth=1
	s_or_b32 exec_lo, exec_lo, s12
	s_and_saveexec_b32 s12, s15
	s_cbranch_execnz .LBB46_135
.LBB46_126:                             ;   in Loop: Header=BB46_12 Depth=1
	s_or_b32 exec_lo, exec_lo, s12
	s_and_saveexec_b32 s12, s16
	s_cbranch_execnz .LBB46_136
.LBB46_127:                             ;   in Loop: Header=BB46_12 Depth=1
	s_or_b32 exec_lo, exec_lo, s12
	s_and_saveexec_b32 s12, s17
	s_cbranch_execnz .LBB46_137
.LBB46_128:                             ;   in Loop: Header=BB46_12 Depth=1
	s_or_b32 exec_lo, exec_lo, s12
	s_and_saveexec_b32 s12, s18
	s_cbranch_execnz .LBB46_138
.LBB46_129:                             ;   in Loop: Header=BB46_12 Depth=1
	s_or_b32 exec_lo, exec_lo, s12
	s_and_saveexec_b32 s12, s19
	s_cbranch_execz .LBB46_11
	s_branch .LBB46_139
.LBB46_130:                             ;   in Loop: Header=BB46_12 Depth=1
	global_load_u16 v51, v[4:5], off offset:320
	s_or_b32 exec_lo, exec_lo, s20
	s_and_saveexec_b32 s20, s18
	s_cbranch_execz .LBB46_40
.LBB46_131:                             ;   in Loop: Header=BB46_12 Depth=1
	global_load_u16 v50, v[4:5], off offset:384
	s_or_b32 exec_lo, exec_lo, s20
	v_mov_b32_e32 v52, 0
	s_and_saveexec_b32 s20, s19
	s_cbranch_execnz .LBB46_41
	s_branch .LBB46_42
.LBB46_132:                             ;   in Loop: Header=BB46_12 Depth=1
	ds_load_u16 v9, v20
	s_waitcnt lgkmcnt(0)
	global_store_b16 v[0:1], v9, off
	s_or_b32 exec_lo, exec_lo, s20
	s_and_saveexec_b32 s12, s13
	s_cbranch_execz .LBB46_124
.LBB46_133:                             ;   in Loop: Header=BB46_12 Depth=1
	s_waitcnt lgkmcnt(6)
	global_store_b16 v[0:1], v8, off offset:64
	s_or_b32 exec_lo, exec_lo, s12
	s_and_saveexec_b32 s12, s14
	s_cbranch_execz .LBB46_125
.LBB46_134:                             ;   in Loop: Header=BB46_12 Depth=1
	s_waitcnt lgkmcnt(5)
	global_store_b16 v[0:1], v7, off offset:128
	s_or_b32 exec_lo, exec_lo, s12
	s_and_saveexec_b32 s12, s15
	s_cbranch_execz .LBB46_126
.LBB46_135:                             ;   in Loop: Header=BB46_12 Depth=1
	s_waitcnt lgkmcnt(4)
	global_store_b16 v[0:1], v6, off offset:192
	s_or_b32 exec_lo, exec_lo, s12
	s_and_saveexec_b32 s12, s16
	s_cbranch_execz .LBB46_127
.LBB46_136:                             ;   in Loop: Header=BB46_12 Depth=1
	s_waitcnt lgkmcnt(3)
	global_store_b16 v[0:1], v5, off offset:256
	s_or_b32 exec_lo, exec_lo, s12
	s_and_saveexec_b32 s12, s17
	s_cbranch_execz .LBB46_128
.LBB46_137:                             ;   in Loop: Header=BB46_12 Depth=1
	s_waitcnt lgkmcnt(2)
	global_store_b16 v[0:1], v4, off offset:320
	s_or_b32 exec_lo, exec_lo, s12
	s_and_saveexec_b32 s12, s18
	s_cbranch_execz .LBB46_129
.LBB46_138:                             ;   in Loop: Header=BB46_12 Depth=1
	s_waitcnt lgkmcnt(1)
	global_store_b16 v[0:1], v3, off offset:384
	s_or_b32 exec_lo, exec_lo, s12
	s_and_saveexec_b32 s12, s19
	s_cbranch_execz .LBB46_11
.LBB46_139:                             ;   in Loop: Header=BB46_12 Depth=1
	s_waitcnt lgkmcnt(0)
	global_store_b16 v[0:1], v2, off offset:448
	s_branch .LBB46_11
.LBB46_140:
	s_nop 0
	s_sendmsg sendmsg(MSG_DEALLOC_VGPRS)
	s_endpgm
	.section	.rodata,"a",@progbits
	.p2align	6, 0x0
	.amdhsa_kernel _Z25selective_scan_fwd_kernelI32Selective_Scan_fwd_kernel_traitsILi64ELi8ELi1ELb0ELb1ELb1ELb0ELb1EN3c108BFloat16EffEEv13SSMParamsBase
		.amdhsa_group_segment_fixed_size 0
		.amdhsa_private_segment_fixed_size 0
		.amdhsa_kernarg_size 248
		.amdhsa_user_sgpr_count 14
		.amdhsa_user_sgpr_dispatch_ptr 0
		.amdhsa_user_sgpr_queue_ptr 0
		.amdhsa_user_sgpr_kernarg_segment_ptr 1
		.amdhsa_user_sgpr_dispatch_id 0
		.amdhsa_user_sgpr_private_segment_size 0
		.amdhsa_wavefront_size32 1
		.amdhsa_uses_dynamic_stack 0
		.amdhsa_enable_private_segment 0
		.amdhsa_system_sgpr_workgroup_id_x 1
		.amdhsa_system_sgpr_workgroup_id_y 1
		.amdhsa_system_sgpr_workgroup_id_z 0
		.amdhsa_system_sgpr_workgroup_info 0
		.amdhsa_system_vgpr_workitem_id 0
		.amdhsa_next_free_vgpr 95
		.amdhsa_next_free_sgpr 76
		.amdhsa_reserve_vcc 1
		.amdhsa_float_round_mode_32 0
		.amdhsa_float_round_mode_16_64 0
		.amdhsa_float_denorm_mode_32 3
		.amdhsa_float_denorm_mode_16_64 3
		.amdhsa_dx10_clamp 1
		.amdhsa_ieee_mode 1
		.amdhsa_fp16_overflow 0
		.amdhsa_workgroup_processor_mode 1
		.amdhsa_memory_ordered 1
		.amdhsa_forward_progress 0
		.amdhsa_shared_vgpr_count 0
		.amdhsa_exception_fp_ieee_invalid_op 0
		.amdhsa_exception_fp_denorm_src 0
		.amdhsa_exception_fp_ieee_div_zero 0
		.amdhsa_exception_fp_ieee_overflow 0
		.amdhsa_exception_fp_ieee_underflow 0
		.amdhsa_exception_fp_ieee_inexact 0
		.amdhsa_exception_int_div_zero 0
	.end_amdhsa_kernel
	.section	.text._Z25selective_scan_fwd_kernelI32Selective_Scan_fwd_kernel_traitsILi64ELi8ELi1ELb0ELb1ELb1ELb0ELb1EN3c108BFloat16EffEEv13SSMParamsBase,"axG",@progbits,_Z25selective_scan_fwd_kernelI32Selective_Scan_fwd_kernel_traitsILi64ELi8ELi1ELb0ELb1ELb1ELb0ELb1EN3c108BFloat16EffEEv13SSMParamsBase,comdat
.Lfunc_end46:
	.size	_Z25selective_scan_fwd_kernelI32Selective_Scan_fwd_kernel_traitsILi64ELi8ELi1ELb0ELb1ELb1ELb0ELb1EN3c108BFloat16EffEEv13SSMParamsBase, .Lfunc_end46-_Z25selective_scan_fwd_kernelI32Selective_Scan_fwd_kernel_traitsILi64ELi8ELi1ELb0ELb1ELb1ELb0ELb1EN3c108BFloat16EffEEv13SSMParamsBase
                                        ; -- End function
	.section	.AMDGPU.csdata,"",@progbits
; Kernel info:
; codeLenInByte = 11788
; NumSgprs: 78
; NumVgprs: 95
; ScratchSize: 0
; MemoryBound: 0
; FloatMode: 240
; IeeeMode: 1
; LDSByteSize: 0 bytes/workgroup (compile time only)
; SGPRBlocks: 9
; VGPRBlocks: 11
; NumSGPRsForWavesPerEU: 78
; NumVGPRsForWavesPerEU: 95
; Occupancy: 16
; WaveLimiterHint : 1
; COMPUTE_PGM_RSRC2:SCRATCH_EN: 0
; COMPUTE_PGM_RSRC2:USER_SGPR: 14
; COMPUTE_PGM_RSRC2:TRAP_HANDLER: 0
; COMPUTE_PGM_RSRC2:TGID_X_EN: 1
; COMPUTE_PGM_RSRC2:TGID_Y_EN: 1
; COMPUTE_PGM_RSRC2:TGID_Z_EN: 0
; COMPUTE_PGM_RSRC2:TIDIG_COMP_CNT: 0
	.section	.text._Z25selective_scan_fwd_kernelI32Selective_Scan_fwd_kernel_traitsILi64ELi8ELi1ELb0ELb1ELb1ELb0ELb0EN3c108BFloat16EffEEv13SSMParamsBase,"axG",@progbits,_Z25selective_scan_fwd_kernelI32Selective_Scan_fwd_kernel_traitsILi64ELi8ELi1ELb0ELb1ELb1ELb0ELb0EN3c108BFloat16EffEEv13SSMParamsBase,comdat
	.protected	_Z25selective_scan_fwd_kernelI32Selective_Scan_fwd_kernel_traitsILi64ELi8ELi1ELb0ELb1ELb1ELb0ELb0EN3c108BFloat16EffEEv13SSMParamsBase ; -- Begin function _Z25selective_scan_fwd_kernelI32Selective_Scan_fwd_kernel_traitsILi64ELi8ELi1ELb0ELb1ELb1ELb0ELb0EN3c108BFloat16EffEEv13SSMParamsBase
	.globl	_Z25selective_scan_fwd_kernelI32Selective_Scan_fwd_kernel_traitsILi64ELi8ELi1ELb0ELb1ELb1ELb0ELb0EN3c108BFloat16EffEEv13SSMParamsBase
	.p2align	8
	.type	_Z25selective_scan_fwd_kernelI32Selective_Scan_fwd_kernel_traitsILi64ELi8ELi1ELb0ELb1ELb1ELb0ELb0EN3c108BFloat16EffEEv13SSMParamsBase,@function
_Z25selective_scan_fwd_kernelI32Selective_Scan_fwd_kernel_traitsILi64ELi8ELi1ELb0ELb1ELb1ELb0ELb0EN3c108BFloat16EffEEv13SSMParamsBase: ; @_Z25selective_scan_fwd_kernelI32Selective_Scan_fwd_kernel_traitsILi64ELi8ELi1ELb0ELb1ELb1ELb0ELb0EN3c108BFloat16EffEEv13SSMParamsBase
; %bb.0:
	s_clause 0x1
	s_load_b32 s9, s[0:1], 0x18
	s_load_b128 s[4:7], s[0:1], 0xe8
	s_mov_b32 s12, s15
	s_mov_b32 s33, 0
	s_waitcnt lgkmcnt(0)
	s_abs_i32 s8, s9
	s_cmp_eq_u64 s[6:7], 0
	v_cvt_f32_u32_e32 v1, s8
	s_delay_alu instid0(VALU_DEP_1) | instskip(SKIP_2) | instid1(VALU_DEP_1)
	v_rcp_iflag_f32_e32 v1, v1
	s_waitcnt_depctr 0xfff
	v_mul_f32_e32 v1, 0x4f7ffffe, v1
	v_cvt_u32_f32_e32 v1, v1
	s_delay_alu instid0(VALU_DEP_1)
	v_readfirstlane_b32 s10, v1
	s_cbranch_scc1 .LBB47_2
; %bb.1:
	v_mov_b32_e32 v1, 0
	s_ashr_i32 s3, s14, 31
	s_add_u32 s2, s6, s14
	s_addc_u32 s3, s7, s3
	global_load_u8 v1, v1, s[2:3]
	s_waitcnt vmcnt(0)
	v_and_b32_e32 v1, 1, v1
	s_delay_alu instid0(VALU_DEP_1)
	v_cmp_eq_u32_e64 s33, 1, v1
.LBB47_2:
	s_load_b64 s[6:7], s[0:1], 0x20
	s_cmp_eq_u64 s[4:5], 0
	s_cbranch_scc1 .LBB47_4
; %bb.3:
	s_ashr_i32 s15, s14, 31
	s_delay_alu instid0(SALU_CYCLE_1) | instskip(NEXT) | instid1(SALU_CYCLE_1)
	s_lshl_b64 s[2:3], s[14:15], 2
	s_add_u32 s2, s4, s2
	s_addc_u32 s3, s5, s3
	s_load_b32 s2, s[2:3], 0x0
	s_waitcnt lgkmcnt(0)
	s_ashr_i32 s3, s2, 31
	s_delay_alu instid0(SALU_CYCLE_1)
	s_cmp_eq_u64 s[6:7], s[2:3]
	s_cbranch_scc0 .LBB47_5
	s_branch .LBB47_140
.LBB47_4:
	s_mov_b32 s2, s14
	s_delay_alu instid0(SALU_CYCLE_1)
	s_ashr_i32 s3, s2, 31
	s_waitcnt lgkmcnt(0)
	s_cmp_eq_u64 s[6:7], s[2:3]
	s_cbranch_scc1 .LBB47_140
.LBB47_5:
	s_clause 0x1
	s_load_b512 s[16:31], s[0:1], 0x88
	s_load_b64 s[34:35], s[0:1], 0x8
	s_mov_b32 s54, 0
	s_mov_b32 s55, 0
	s_waitcnt lgkmcnt(0)
	s_cmp_eq_u64 s[22:23], 0
	s_cbranch_scc1 .LBB47_7
; %bb.6:
	s_ashr_i32 s13, s12, 31
	s_delay_alu instid0(SALU_CYCLE_1) | instskip(NEXT) | instid1(SALU_CYCLE_1)
	s_lshl_b64 s[4:5], s[12:13], 2
	s_add_u32 s4, s22, s4
	s_addc_u32 s5, s23, s5
	s_load_b32 s55, s[4:5], 0x0
.LBB47_7:
	s_cmp_eq_u64 s[28:29], 0
	s_cbranch_scc1 .LBB47_9
; %bb.8:
	s_ashr_i32 s13, s12, 31
	s_delay_alu instid0(SALU_CYCLE_1) | instskip(NEXT) | instid1(SALU_CYCLE_1)
	s_lshl_b64 s[4:5], s[12:13], 2
	s_add_u32 s4, s28, s4
	s_addc_u32 s5, s29, s5
	s_load_b32 s54, s[4:5], 0x0
.LBB47_9:
	s_cmp_lt_i32 s34, 1
	s_cbranch_scc1 .LBB47_140
; %bb.10:
	s_sub_i32 s3, 0, s8
	s_clause 0x1
	s_load_b64 s[4:5], s[0:1], 0x5c
	s_load_b128 s[44:47], s[0:1], 0x4c
	s_mul_i32 s3, s3, s10
	s_abs_i32 s6, s12
	s_mul_hi_u32 s3, s10, s3
	s_ashr_i32 s9, s9, 31
	s_add_i32 s10, s10, s3
	s_ashr_i32 s3, s12, 31
	s_mul_hi_u32 s7, s6, s10
	s_xor_b32 s3, s3, s9
	s_mul_i32 s10, s7, s8
	s_add_i32 s9, s7, 1
	s_sub_i32 s6, s6, s10
	s_load_b256 s[36:43], s[0:1], 0x2c
	s_sub_i32 s10, s6, s8
	s_cmp_ge_u32 s6, s8
	s_mov_b32 s53, 0
	s_cselect_b32 s7, s9, s7
	s_cselect_b32 s6, s10, s6
	s_add_i32 s9, s7, 1
	s_cmp_ge_u32 s6, s8
	s_waitcnt lgkmcnt(0)
	s_mul_i32 s52, s46, s14
	s_cselect_b32 s6, s9, s7
	s_clause 0x1
	s_load_b128 s[48:51], s[0:1], 0x7c
	s_load_b64 s[10:11], s[0:1], 0x6c
	s_xor_b32 s8, s6, s3
	s_lshl_b64 s[6:7], s[52:53], 1
	s_sub_i32 s3, s8, s3
	s_mul_i32 s52, s47, s12
	s_add_u32 s8, s24, s6
	s_addc_u32 s9, s25, s7
	s_lshl_b64 s[6:7], s[52:53], 1
	s_mul_i32 s52, s4, s14
	s_add_u32 s56, s8, s6
	s_addc_u32 s57, s9, s7
	s_lshl_b64 s[6:7], s[52:53], 1
	;; [unrolled: 4-line block ×3, first 2 shown]
	v_dual_mov_b32 v13, 0 :: v_dual_lshlrev_b32 v10, 3, v0
	s_add_u32 s58, s6, s4
	s_mul_i32 s52, s36, s12
	s_addc_u32 s36, s7, s5
	s_load_b64 s[6:7], s[0:1], 0xc8
	s_lshl_b64 s[4:5], s[52:53], 2
	v_mbcnt_lo_u32_b32 v1, -1, 0
	v_and_b32_e32 v2, 0x100, v10
	s_mul_i32 s52, s38, s14
	s_add_u32 s59, s16, s4
	s_addc_u32 s60, s17, s5
	s_lshl_b64 s[4:5], s[52:53], 1
	s_mul_i32 s52, s3, s41
	s_load_b32 s0, s[0:1], 0x28
	s_add_u32 s8, s18, s4
	v_or_b32_e32 v11, v1, v2
	s_addc_u32 s9, s19, s5
	s_lshl_b64 s[4:5], s[52:53], 1
	s_mul_i32 s52, s42, s14
	s_add_u32 s41, s8, s4
	s_waitcnt lgkmcnt(0)
	s_addc_u32 s51, s9, s5
	s_lshl_b64 s[4:5], s[52:53], 1
	s_mul_i32 s52, s3, s45
	v_or_b32_e32 v12, 0x60, v11
	s_add_u32 s8, s20, s4
	s_addc_u32 s3, s21, s5
	s_lshl_b64 s[4:5], s[52:53], 1
	s_mul_i32 s52, s2, s48
	s_add_u32 s45, s8, s4
	s_addc_u32 s48, s3, s5
	s_lshl_b64 s[2:3], s[52:53], 2
	v_lshrrev_b32_e32 v3, 5, v12
	v_or_b32_e32 v17, 0xa0, v11
	v_or_b32_e32 v19, 0xe0, v11
	s_mul_i32 s52, s49, s12
	s_add_u32 s4, s6, s2
	s_addc_u32 s5, s7, s3
	s_lshl_b64 s[2:3], s[52:53], 2
	v_or_b32_e32 v15, 64, v11
	s_add_u32 s49, s4, s2
	v_or_b32_e32 v16, 0x80, v11
	v_and_b32_e32 v3, 10, v3
	v_or_b32_e32 v18, 0xc0, v11
	v_and_b32_e32 v6, 32, v0
	v_lshrrev_b32_e32 v7, 5, v17
	v_lshrrev_b32_e32 v24, 5, v19
	s_addc_u32 s61, s5, s3
	s_add_i32 s1, s34, 0x7ff
	v_lshrrev_b32_e32 v4, 5, v2
	s_lshr_b32 s62, s1, 11
	s_bitcmp1_b32 s0, 0
	v_lshrrev_b32_e32 v5, 5, v15
	v_add_lshl_u32 v3, v3, v11, 1
	v_lshrrev_b32_e32 v8, 5, v16
	v_or_b32_e32 v9, v1, v6
	v_and_b32_e32 v7, 12, v7
	v_lshrrev_b32_e32 v23, 5, v18
	v_and_b32_e32 v26, 14, v24
	s_cselect_b32 s63, -1, 0
	s_cmp_gt_i32 s35, 0
	v_add_lshl_u32 v4, v4, v11, 1
	s_cselect_b32 s64, -1, 0
	s_add_i32 s0, 0, 0x420
	v_add_lshl_u32 v5, v5, v11, 1
	v_add_nc_u32_e32 v22, 0, v3
	v_add_lshl_u32 v8, v8, v11, 1
	v_lshrrev_b32_e32 v25, 2, v9
	v_add_lshl_u32 v7, v7, v11, 1
	v_add_lshl_u32 v33, v23, v11, 1
	;; [unrolled: 1-line block ×3, first 2 shown]
	v_add_nc_u32_e32 v30, s0, v3
	v_and_b32_e32 v3, 15, v1
	s_and_b32 s1, s34, 0x1ff
	v_and_b32_e32 v27, 14, v25
	v_add_nc_u32_e32 v25, 0, v33
	v_add_nc_u32_e32 v26, 0, v34
	;; [unrolled: 1-line block ×7, first 2 shown]
	s_cmp_eq_u32 s1, 0
	v_add_nc_u32_e32 v34, s0, v34
	v_cmp_ne_u32_e64 s0, 0, v3
	v_cmp_lt_u32_e64 s1, 1, v3
	v_cmp_lt_u32_e64 s2, 3, v3
	;; [unrolled: 1-line block ×3, first 2 shown]
	v_add_nc_u32_e32 v3, -1, v1
	v_add_nc_u32_e32 v20, 0, v4
	v_lshrrev_b32_e32 v4, 2, v0
	v_or_b32_e32 v6, 31, v6
	s_mul_i32 s52, s10, s14
	v_cmp_gt_i32_e32 vcc_lo, 0, v3
	s_cselect_b32 s65, -1, 0
	v_and_b32_e32 v4, 8, v4
	s_lshl_b64 s[14:15], s[52:53], 1
	s_add_i32 s66, s62, -1
	v_cndmask_b32_e32 v3, v3, v1, vcc_lo
	s_mul_i32 s52, s11, s12
	v_cmp_eq_u32_e64 s5, v6, v0
	v_cmp_gt_u32_e64 s6, 2, v0
	v_cmp_gt_u32_e64 s8, 32, v0
	v_cmp_lt_u32_e64 s9, 31, v0
	v_cmp_eq_u32_e64 s10, 0, v0
	s_add_u32 s14, s30, s14
	v_lshlrev_b32_e32 v0, 1, v1
	s_addc_u32 s11, s31, s15
	s_lshl_b64 s[12:13], s[52:53], 1
	v_add_nc_u32_e32 v35, 0, v4
	v_and_b32_e32 v4, 1, v1
	s_add_u32 s12, s14, s12
	v_lshlrev_b32_e32 v37, 2, v3
	s_addc_u32 s11, s11, s13
	v_lshlrev_b32_e32 v3, 1, v2
	v_add_co_u32 v0, s12, s12, v0
	v_add_nc_u32_e32 v21, 0, v5
	v_lshl_add_u32 v9, v9, 3, v27
	v_and_b32_e32 v5, 16, v1
	v_cmp_eq_u32_e64 s7, 0, v4
	v_add_co_ci_u32_e64 v4, null, s11, 0, s12
	v_add_co_u32 v38, vcc_lo, v0, v3
	v_or_b32_e32 v14, 32, v11
	v_add_nc_u32_e32 v23, 0, v8
	v_add_nc_u32_e32 v24, 0, v7
	v_lshl_add_u32 v27, v9, 1, 0
	v_cmp_ne_u32_e64 s4, 0, v5
	v_add_nc_u32_e32 v36, 0, v10
	v_cmp_eq_u32_e64 s11, 0, v1
	v_add_co_ci_u32_e32 v39, vcc_lo, 0, v4, vcc_lo
	v_or_b32_e32 v40, 1, v10
	v_or_b32_e32 v41, 2, v10
	;; [unrolled: 1-line block ×7, first 2 shown]
	v_lshlrev_b32_e32 v47, 1, v1
	v_lshlrev_b32_e32 v48, 1, v2
	s_mov_b32 s67, 0x3e9b6dac
	s_add_i32 s68, 0, 0x850
	s_mov_b32 s69, 0
	s_branch .LBB47_12
.LBB47_11:                              ;   in Loop: Header=BB47_12 Depth=1
	s_or_b32 exec_lo, exec_lo, s12
	s_add_u32 s58, s58, 0x400
	s_addc_u32 s36, s36, 0
	s_add_u32 s56, s56, 0x400
	s_addc_u32 s57, s57, 0
	;; [unrolled: 2-line block ×4, first 2 shown]
	s_add_i32 s69, s69, 1
	s_delay_alu instid0(SALU_CYCLE_1)
	s_cmp_eq_u32 s69, s62
	s_cbranch_scc1 .LBB47_140
.LBB47_12:                              ; =>This Loop Header: Depth=1
                                        ;     Child Loop BB47_61 Depth 2
	v_add_co_u32 v0, s12, s56, v47
	s_delay_alu instid0(VALU_DEP_1) | instskip(SKIP_1) | instid1(VALU_DEP_2)
	v_add_co_ci_u32_e64 v1, null, s57, 0, s12
	s_lshl_b32 s30, s69, 9
	v_add_co_u32 v0, vcc_lo, v0, v48
	s_sub_i32 s23, s34, s30
	s_delay_alu instid0(VALU_DEP_2)
	v_add_co_ci_u32_e32 v1, vcc_lo, 0, v1, vcc_lo
	v_cmp_gt_u32_e64 s12, s23, v11
	s_waitcnt lgkmcnt(0)
	v_mov_b32_e32 v2, 0
	s_waitcnt_vscnt null, 0x0
	s_barrier
	buffer_gl0_inv
	s_and_saveexec_b32 s13, s12
	s_cbranch_execz .LBB47_14
; %bb.13:                               ;   in Loop: Header=BB47_12 Depth=1
	global_load_u16 v2, v[0:1], off
.LBB47_14:                              ;   in Loop: Header=BB47_12 Depth=1
	s_or_b32 exec_lo, exec_lo, s13
	v_cmp_gt_u32_e64 s13, s23, v14
	v_dual_mov_b32 v3, 0 :: v_dual_mov_b32 v4, 0
	s_delay_alu instid0(VALU_DEP_2)
	s_and_saveexec_b32 s14, s13
	s_cbranch_execz .LBB47_16
; %bb.15:                               ;   in Loop: Header=BB47_12 Depth=1
	global_load_u16 v4, v[0:1], off offset:64
.LBB47_16:                              ;   in Loop: Header=BB47_12 Depth=1
	s_or_b32 exec_lo, exec_lo, s14
	v_cmp_gt_u32_e64 s14, s23, v15
	s_delay_alu instid0(VALU_DEP_1)
	s_and_saveexec_b32 s15, s14
	s_cbranch_execz .LBB47_18
; %bb.17:                               ;   in Loop: Header=BB47_12 Depth=1
	global_load_u16 v3, v[0:1], off offset:128
.LBB47_18:                              ;   in Loop: Header=BB47_12 Depth=1
	s_or_b32 exec_lo, exec_lo, s15
	v_cmp_gt_u32_e64 s15, s23, v12
	v_mov_b32_e32 v5, 0
	v_mov_b32_e32 v7, 0
	s_delay_alu instid0(VALU_DEP_3)
	s_and_saveexec_b32 s16, s15
	s_cbranch_execz .LBB47_20
; %bb.19:                               ;   in Loop: Header=BB47_12 Depth=1
	global_load_u16 v7, v[0:1], off offset:192
.LBB47_20:                              ;   in Loop: Header=BB47_12 Depth=1
	s_or_b32 exec_lo, exec_lo, s16
	v_cmp_gt_u32_e64 s16, s23, v16
	s_delay_alu instid0(VALU_DEP_1)
	s_and_saveexec_b32 s17, s16
	s_cbranch_execz .LBB47_22
; %bb.21:                               ;   in Loop: Header=BB47_12 Depth=1
	global_load_u16 v5, v[0:1], off offset:256
.LBB47_22:                              ;   in Loop: Header=BB47_12 Depth=1
	s_or_b32 exec_lo, exec_lo, s17
	v_cmp_gt_u32_e64 s17, s23, v17
	v_dual_mov_b32 v8, 0 :: v_dual_mov_b32 v9, 0
	s_delay_alu instid0(VALU_DEP_2)
	s_and_saveexec_b32 s18, s17
	s_cbranch_execz .LBB47_24
; %bb.23:                               ;   in Loop: Header=BB47_12 Depth=1
	global_load_u16 v9, v[0:1], off offset:320
.LBB47_24:                              ;   in Loop: Header=BB47_12 Depth=1
	s_or_b32 exec_lo, exec_lo, s18
	v_cmp_gt_u32_e64 s18, s23, v18
	s_delay_alu instid0(VALU_DEP_1)
	s_and_saveexec_b32 s19, s18
	s_cbranch_execz .LBB47_26
; %bb.25:                               ;   in Loop: Header=BB47_12 Depth=1
	global_load_u16 v8, v[0:1], off offset:384
.LBB47_26:                              ;   in Loop: Header=BB47_12 Depth=1
	s_or_b32 exec_lo, exec_lo, s19
	v_cmp_gt_u32_e64 s19, s23, v19
	v_dual_mov_b32 v6, 0 :: v_dual_mov_b32 v49, 0
	s_delay_alu instid0(VALU_DEP_2)
	s_and_saveexec_b32 s20, s19
	s_cbranch_execz .LBB47_28
; %bb.27:                               ;   in Loop: Header=BB47_12 Depth=1
	global_load_u16 v49, v[0:1], off offset:448
.LBB47_28:                              ;   in Loop: Header=BB47_12 Depth=1
	s_or_b32 exec_lo, exec_lo, s20
	s_waitcnt vmcnt(0)
	ds_store_b16 v20, v2
	ds_store_b16 v20, v4 offset:64
	ds_store_b16 v21, v3 offset:128
	;; [unrolled: 1-line block ×7, first 2 shown]
	; wave barrier
	ds_load_b128 v[0:3], v27
	v_add_co_u32 v4, s20, s58, v47
	s_delay_alu instid0(VALU_DEP_1) | instskip(SKIP_1) | instid1(VALU_DEP_2)
	v_add_co_ci_u32_e64 v5, null, s36, 0, s20
	s_waitcnt lgkmcnt(0)
	v_add_co_u32 v4, vcc_lo, v4, v48
	s_delay_alu instid0(VALU_DEP_2)
	v_add_co_ci_u32_e32 v5, vcc_lo, 0, v5, vcc_lo
	s_barrier
	buffer_gl0_inv
	s_and_saveexec_b32 s20, s12
	s_cbranch_execz .LBB47_30
; %bb.29:                               ;   in Loop: Header=BB47_12 Depth=1
	global_load_u16 v6, v[4:5], off
.LBB47_30:                              ;   in Loop: Header=BB47_12 Depth=1
	s_or_b32 exec_lo, exec_lo, s20
	v_dual_mov_b32 v7, 0 :: v_dual_mov_b32 v8, 0
	s_and_saveexec_b32 s20, s13
	s_cbranch_execz .LBB47_32
; %bb.31:                               ;   in Loop: Header=BB47_12 Depth=1
	global_load_u16 v8, v[4:5], off offset:64
.LBB47_32:                              ;   in Loop: Header=BB47_12 Depth=1
	s_or_b32 exec_lo, exec_lo, s20
	s_and_saveexec_b32 s20, s14
	s_cbranch_execz .LBB47_34
; %bb.33:                               ;   in Loop: Header=BB47_12 Depth=1
	global_load_u16 v7, v[4:5], off offset:128
.LBB47_34:                              ;   in Loop: Header=BB47_12 Depth=1
	s_or_b32 exec_lo, exec_lo, s20
	v_mov_b32_e32 v9, 0
	v_mov_b32_e32 v49, 0
	s_and_saveexec_b32 s20, s15
	s_cbranch_execz .LBB47_36
; %bb.35:                               ;   in Loop: Header=BB47_12 Depth=1
	global_load_u16 v49, v[4:5], off offset:192
.LBB47_36:                              ;   in Loop: Header=BB47_12 Depth=1
	s_or_b32 exec_lo, exec_lo, s20
	s_and_saveexec_b32 s20, s16
	s_cbranch_execz .LBB47_38
; %bb.37:                               ;   in Loop: Header=BB47_12 Depth=1
	global_load_u16 v9, v[4:5], off offset:256
.LBB47_38:                              ;   in Loop: Header=BB47_12 Depth=1
	s_or_b32 exec_lo, exec_lo, s20
	v_dual_mov_b32 v50, 0 :: v_dual_mov_b32 v51, 0
	s_and_saveexec_b32 s20, s17
	s_cbranch_execnz .LBB47_130
; %bb.39:                               ;   in Loop: Header=BB47_12 Depth=1
	s_or_b32 exec_lo, exec_lo, s20
	s_and_saveexec_b32 s20, s18
	s_cbranch_execnz .LBB47_131
.LBB47_40:                              ;   in Loop: Header=BB47_12 Depth=1
	s_or_b32 exec_lo, exec_lo, s20
	v_mov_b32_e32 v52, 0
	s_and_saveexec_b32 s20, s19
	s_cbranch_execz .LBB47_42
.LBB47_41:                              ;   in Loop: Header=BB47_12 Depth=1
	global_load_u16 v52, v[4:5], off offset:448
.LBB47_42:                              ;   in Loop: Header=BB47_12 Depth=1
	s_or_b32 exec_lo, exec_lo, s20
	s_waitcnt vmcnt(0)
	ds_store_b16 v20, v6
	ds_store_b16 v20, v8 offset:64
	ds_store_b16 v21, v7 offset:128
	;; [unrolled: 1-line block ×7, first 2 shown]
	; wave barrier
	ds_load_b128 v[4:7], v27
	s_waitcnt lgkmcnt(0)
	v_lshlrev_b32_e32 v8, 16, v4
	s_delay_alu instid0(VALU_DEP_1) | instskip(NEXT) | instid1(VALU_DEP_1)
	v_add_f32_e32 v49, s54, v8
	v_cmp_ge_f32_e32 vcc_lo, 0x41a00000, v49
	s_and_b32 s20, s63, vcc_lo
	s_delay_alu instid0(SALU_CYCLE_1)
	s_and_saveexec_b32 s21, s20
	s_cbranch_execz .LBB47_44
; %bb.43:                               ;   in Loop: Header=BB47_12 Depth=1
	v_mul_f32_e32 v8, 0x3fb8aa3b, v49
	v_cmp_ngt_f32_e32 vcc_lo, 0xc2ce8ed0, v49
	s_delay_alu instid0(VALU_DEP_2) | instskip(SKIP_1) | instid1(VALU_DEP_2)
	v_rndne_f32_e32 v9, v8
	v_fma_f32 v50, 0x3fb8aa3b, v49, -v8
	v_sub_f32_e32 v8, v8, v9
	s_delay_alu instid0(VALU_DEP_2) | instskip(SKIP_1) | instid1(VALU_DEP_2)
	v_fmac_f32_e32 v50, 0x32a5705f, v49
	v_cvt_i32_f32_e32 v9, v9
	v_add_f32_e32 v8, v8, v50
	s_delay_alu instid0(VALU_DEP_1) | instskip(SKIP_2) | instid1(VALU_DEP_1)
	v_exp_f32_e32 v8, v8
	s_waitcnt_depctr 0xfff
	v_ldexp_f32 v8, v8, v9
	v_cndmask_b32_e32 v8, 0, v8, vcc_lo
	v_cmp_nlt_f32_e32 vcc_lo, 0x42b17218, v49
	s_delay_alu instid0(VALU_DEP_2) | instskip(NEXT) | instid1(VALU_DEP_1)
	v_cndmask_b32_e32 v49, 0x7f800000, v8, vcc_lo
	v_add_f32_e32 v50, 1.0, v49
	s_delay_alu instid0(VALU_DEP_1) | instskip(NEXT) | instid1(VALU_DEP_1)
	v_cvt_f64_f32_e32 v[8:9], v50
	v_frexp_exp_i32_f64_e32 v8, v[8:9]
	v_frexp_mant_f32_e32 v9, v50
	s_delay_alu instid0(VALU_DEP_1) | instskip(SKIP_1) | instid1(VALU_DEP_1)
	v_cmp_gt_f32_e32 vcc_lo, 0x3f2aaaab, v9
	v_add_f32_e32 v9, -1.0, v50
	v_sub_f32_e32 v52, v9, v50
	v_sub_f32_e32 v9, v49, v9
	v_cmp_gt_f32_e64 s20, 0x33800000, v49
	s_delay_alu instid0(VALU_DEP_3) | instskip(NEXT) | instid1(VALU_DEP_1)
	v_add_f32_e32 v52, 1.0, v52
	v_add_f32_e32 v9, v9, v52
	v_subrev_co_ci_u32_e32 v8, vcc_lo, 0, v8, vcc_lo
	v_cmp_eq_f32_e32 vcc_lo, 0x7f800000, v49
	s_delay_alu instid0(VALU_DEP_2) | instskip(SKIP_2) | instid1(VALU_DEP_2)
	v_sub_nc_u32_e32 v51, 0, v8
	v_cvt_f32_i32_e32 v8, v8
	s_or_b32 vcc_lo, s20, vcc_lo
	v_ldexp_f32 v50, v50, v51
	v_ldexp_f32 v9, v9, v51
	s_delay_alu instid0(VALU_DEP_2) | instskip(NEXT) | instid1(VALU_DEP_1)
	v_add_f32_e32 v53, 1.0, v50
	v_dual_add_f32 v51, -1.0, v50 :: v_dual_add_f32 v52, -1.0, v53
	s_delay_alu instid0(VALU_DEP_1) | instskip(NEXT) | instid1(VALU_DEP_2)
	v_add_f32_e32 v54, 1.0, v51
	v_sub_f32_e32 v52, v50, v52
	s_delay_alu instid0(VALU_DEP_2) | instskip(NEXT) | instid1(VALU_DEP_2)
	v_sub_f32_e32 v50, v50, v54
	v_add_f32_e32 v52, v9, v52
	s_delay_alu instid0(VALU_DEP_2) | instskip(NEXT) | instid1(VALU_DEP_1)
	v_add_f32_e32 v9, v9, v50
	v_dual_add_f32 v55, v51, v9 :: v_dual_add_f32 v54, v53, v52
	s_delay_alu instid0(VALU_DEP_1) | instskip(NEXT) | instid1(VALU_DEP_2)
	v_sub_f32_e32 v51, v51, v55
	v_rcp_f32_e32 v50, v54
	v_sub_f32_e32 v53, v53, v54
	s_delay_alu instid0(VALU_DEP_1) | instskip(SKIP_2) | instid1(VALU_DEP_1)
	v_dual_add_f32 v9, v9, v51 :: v_dual_add_f32 v52, v52, v53
	s_waitcnt_depctr 0xfff
	v_mul_f32_e32 v56, v55, v50
	v_mul_f32_e32 v57, v54, v56
	s_delay_alu instid0(VALU_DEP_1) | instskip(NEXT) | instid1(VALU_DEP_1)
	v_fma_f32 v53, v56, v54, -v57
	v_fmac_f32_e32 v53, v56, v52
	s_delay_alu instid0(VALU_DEP_1) | instskip(NEXT) | instid1(VALU_DEP_1)
	v_add_f32_e32 v58, v57, v53
	v_sub_f32_e32 v59, v55, v58
	s_delay_alu instid0(VALU_DEP_1) | instskip(NEXT) | instid1(VALU_DEP_1)
	v_sub_f32_e32 v55, v55, v59
	v_sub_f32_e32 v55, v55, v58
	v_sub_f32_e32 v51, v58, v57
	s_delay_alu instid0(VALU_DEP_2) | instskip(NEXT) | instid1(VALU_DEP_2)
	v_add_f32_e32 v9, v9, v55
	v_sub_f32_e32 v51, v51, v53
	s_delay_alu instid0(VALU_DEP_1) | instskip(NEXT) | instid1(VALU_DEP_1)
	v_add_f32_e32 v9, v51, v9
	v_add_f32_e32 v51, v59, v9
	s_delay_alu instid0(VALU_DEP_1) | instskip(NEXT) | instid1(VALU_DEP_1)
	v_mul_f32_e32 v53, v50, v51
	v_dual_sub_f32 v58, v59, v51 :: v_dual_mul_f32 v55, v54, v53
	s_delay_alu instid0(VALU_DEP_1) | instskip(NEXT) | instid1(VALU_DEP_2)
	v_add_f32_e32 v9, v9, v58
	v_fma_f32 v54, v53, v54, -v55
	s_delay_alu instid0(VALU_DEP_1) | instskip(NEXT) | instid1(VALU_DEP_1)
	v_fmac_f32_e32 v54, v53, v52
	v_add_f32_e32 v52, v55, v54
	s_delay_alu instid0(VALU_DEP_1) | instskip(NEXT) | instid1(VALU_DEP_1)
	v_sub_f32_e32 v57, v51, v52
	v_sub_f32_e32 v51, v51, v57
	s_delay_alu instid0(VALU_DEP_1) | instskip(NEXT) | instid1(VALU_DEP_1)
	v_sub_f32_e32 v51, v51, v52
	v_add_f32_e32 v9, v9, v51
	v_add_f32_e32 v51, v56, v53
	v_sub_f32_e32 v55, v52, v55
	s_delay_alu instid0(VALU_DEP_1) | instskip(NEXT) | instid1(VALU_DEP_1)
	v_sub_f32_e32 v52, v55, v54
	v_dual_add_f32 v9, v52, v9 :: v_dual_sub_f32 v52, v51, v56
	s_delay_alu instid0(VALU_DEP_1) | instskip(NEXT) | instid1(VALU_DEP_1)
	v_add_f32_e32 v9, v57, v9
	v_dual_sub_f32 v52, v53, v52 :: v_dual_mul_f32 v9, v50, v9
	s_delay_alu instid0(VALU_DEP_1) | instskip(NEXT) | instid1(VALU_DEP_1)
	v_add_f32_e32 v9, v52, v9
	v_add_f32_e32 v50, v51, v9
	s_delay_alu instid0(VALU_DEP_1) | instskip(NEXT) | instid1(VALU_DEP_1)
	v_mul_f32_e32 v52, v50, v50
	v_fmaak_f32 v53, s67, v52, 0x3ecc95a3
	v_mul_f32_e32 v54, v50, v52
	s_delay_alu instid0(VALU_DEP_2) | instskip(SKIP_2) | instid1(VALU_DEP_3)
	v_fmaak_f32 v52, v52, v53, 0x3f2aaada
	v_ldexp_f32 v53, v50, 1
	v_sub_f32_e32 v50, v50, v51
	v_mul_f32_e32 v52, v54, v52
	v_mul_f32_e32 v54, 0x3f317218, v8
	s_delay_alu instid0(VALU_DEP_2) | instskip(NEXT) | instid1(VALU_DEP_1)
	v_add_f32_e32 v51, v53, v52
	v_dual_sub_f32 v9, v9, v50 :: v_dual_sub_f32 v50, v51, v53
	s_delay_alu instid0(VALU_DEP_3) | instskip(NEXT) | instid1(VALU_DEP_2)
	v_fma_f32 v53, 0x3f317218, v8, -v54
	v_ldexp_f32 v9, v9, 1
	s_delay_alu instid0(VALU_DEP_2) | instskip(NEXT) | instid1(VALU_DEP_1)
	v_dual_sub_f32 v50, v52, v50 :: v_dual_fmac_f32 v53, 0xb102e308, v8
	v_dual_add_f32 v8, v9, v50 :: v_dual_add_f32 v9, v54, v53
	s_delay_alu instid0(VALU_DEP_1) | instskip(NEXT) | instid1(VALU_DEP_1)
	v_add_f32_e32 v50, v51, v8
	v_add_f32_e32 v52, v9, v50
	s_delay_alu instid0(VALU_DEP_1) | instskip(NEXT) | instid1(VALU_DEP_1)
	v_sub_f32_e32 v55, v52, v9
	v_sub_f32_e32 v56, v52, v55
	;; [unrolled: 1-line block ×4, first 2 shown]
	s_delay_alu instid0(VALU_DEP_2) | instskip(SKIP_1) | instid1(VALU_DEP_1)
	v_sub_f32_e32 v8, v8, v51
	v_sub_f32_e32 v54, v9, v54
	v_sub_f32_e32 v53, v53, v54
	s_delay_alu instid0(VALU_DEP_1) | instskip(SKIP_1) | instid1(VALU_DEP_1)
	v_add_f32_e32 v51, v53, v8
	v_sub_f32_e32 v9, v9, v56
	v_add_f32_e32 v9, v50, v9
	s_delay_alu instid0(VALU_DEP_3) | instskip(NEXT) | instid1(VALU_DEP_1)
	v_sub_f32_e32 v50, v51, v53
	v_dual_sub_f32 v8, v8, v50 :: v_dual_add_f32 v9, v51, v9
	s_delay_alu instid0(VALU_DEP_1) | instskip(NEXT) | instid1(VALU_DEP_1)
	v_dual_sub_f32 v51, v51, v50 :: v_dual_add_f32 v54, v52, v9
	v_dual_sub_f32 v51, v53, v51 :: v_dual_sub_f32 v50, v54, v52
	s_delay_alu instid0(VALU_DEP_1) | instskip(NEXT) | instid1(VALU_DEP_1)
	v_dual_add_f32 v8, v8, v51 :: v_dual_sub_f32 v9, v9, v50
	v_add_f32_e32 v8, v8, v9
	s_delay_alu instid0(VALU_DEP_1) | instskip(NEXT) | instid1(VALU_DEP_1)
	v_add_f32_e32 v8, v54, v8
	v_cndmask_b32_e32 v49, v8, v49, vcc_lo
.LBB47_44:                              ;   in Loop: Header=BB47_12 Depth=1
	s_or_b32 exec_lo, exec_lo, s21
	v_and_b32_e32 v4, 0xffff0000, v4
	s_delay_alu instid0(VALU_DEP_1) | instskip(NEXT) | instid1(VALU_DEP_1)
	v_add_f32_e32 v50, s54, v4
	v_cmp_ge_f32_e32 vcc_lo, 0x41a00000, v50
	s_and_b32 s20, s63, vcc_lo
	s_delay_alu instid0(SALU_CYCLE_1)
	s_and_saveexec_b32 s21, s20
	s_cbranch_execz .LBB47_46
; %bb.45:                               ;   in Loop: Header=BB47_12 Depth=1
	v_mul_f32_e32 v4, 0x3fb8aa3b, v50
	v_cmp_ngt_f32_e32 vcc_lo, 0xc2ce8ed0, v50
	s_delay_alu instid0(VALU_DEP_2) | instskip(SKIP_1) | instid1(VALU_DEP_1)
	v_rndne_f32_e32 v8, v4
	v_fma_f32 v9, 0x3fb8aa3b, v50, -v4
	v_dual_sub_f32 v4, v4, v8 :: v_dual_fmac_f32 v9, 0x32a5705f, v50
	v_cvt_i32_f32_e32 v8, v8
	s_delay_alu instid0(VALU_DEP_2) | instskip(NEXT) | instid1(VALU_DEP_1)
	v_add_f32_e32 v4, v4, v9
	v_exp_f32_e32 v4, v4
	s_waitcnt_depctr 0xfff
	v_ldexp_f32 v4, v4, v8
	s_delay_alu instid0(VALU_DEP_1) | instskip(SKIP_1) | instid1(VALU_DEP_2)
	v_cndmask_b32_e32 v4, 0, v4, vcc_lo
	v_cmp_nlt_f32_e32 vcc_lo, 0x42b17218, v50
	v_cndmask_b32_e32 v4, 0x7f800000, v4, vcc_lo
	s_delay_alu instid0(VALU_DEP_1) | instskip(NEXT) | instid1(VALU_DEP_1)
	v_add_f32_e32 v50, 1.0, v4
	v_cvt_f64_f32_e32 v[8:9], v50
	s_delay_alu instid0(VALU_DEP_1) | instskip(SKIP_1) | instid1(VALU_DEP_1)
	v_frexp_exp_i32_f64_e32 v8, v[8:9]
	v_frexp_mant_f32_e32 v9, v50
	v_cmp_gt_f32_e32 vcc_lo, 0x3f2aaaab, v9
	v_add_f32_e32 v9, -1.0, v50
	s_delay_alu instid0(VALU_DEP_1) | instskip(NEXT) | instid1(VALU_DEP_1)
	v_dual_sub_f32 v52, v9, v50 :: v_dual_sub_f32 v9, v4, v9
	v_add_f32_e32 v52, 1.0, v52
	s_delay_alu instid0(VALU_DEP_1) | instskip(SKIP_1) | instid1(VALU_DEP_1)
	v_add_f32_e32 v9, v9, v52
	v_subrev_co_ci_u32_e32 v8, vcc_lo, 0, v8, vcc_lo
	v_sub_nc_u32_e32 v51, 0, v8
	v_cvt_f32_i32_e32 v8, v8
	s_delay_alu instid0(VALU_DEP_2) | instskip(SKIP_1) | instid1(VALU_DEP_2)
	v_ldexp_f32 v50, v50, v51
	v_ldexp_f32 v9, v9, v51
	v_add_f32_e32 v53, 1.0, v50
	v_add_f32_e32 v51, -1.0, v50
	v_cmp_eq_f32_e32 vcc_lo, 0x7f800000, v4
	v_cmp_gt_f32_e64 s20, 0x33800000, v4
	s_delay_alu instid0(VALU_DEP_4) | instskip(NEXT) | instid1(VALU_DEP_4)
	v_add_f32_e32 v52, -1.0, v53
	v_add_f32_e32 v54, 1.0, v51
	s_delay_alu instid0(VALU_DEP_3) | instskip(NEXT) | instid1(VALU_DEP_2)
	s_or_b32 vcc_lo, s20, vcc_lo
	v_sub_f32_e32 v52, v50, v52
	s_delay_alu instid0(VALU_DEP_2) | instskip(NEXT) | instid1(VALU_DEP_2)
	v_sub_f32_e32 v50, v50, v54
	v_add_f32_e32 v52, v9, v52
	s_delay_alu instid0(VALU_DEP_2) | instskip(NEXT) | instid1(VALU_DEP_1)
	v_add_f32_e32 v9, v9, v50
	v_add_f32_e32 v55, v51, v9
	s_delay_alu instid0(VALU_DEP_1) | instskip(NEXT) | instid1(VALU_DEP_1)
	v_dual_sub_f32 v51, v51, v55 :: v_dual_add_f32 v54, v53, v52
	v_add_f32_e32 v9, v9, v51
	s_delay_alu instid0(VALU_DEP_2) | instskip(SKIP_1) | instid1(VALU_DEP_1)
	v_rcp_f32_e32 v50, v54
	v_sub_f32_e32 v53, v53, v54
	v_add_f32_e32 v52, v52, v53
	s_waitcnt_depctr 0xfff
	v_mul_f32_e32 v56, v55, v50
	s_delay_alu instid0(VALU_DEP_1) | instskip(NEXT) | instid1(VALU_DEP_1)
	v_mul_f32_e32 v57, v54, v56
	v_fma_f32 v53, v56, v54, -v57
	s_delay_alu instid0(VALU_DEP_1) | instskip(NEXT) | instid1(VALU_DEP_1)
	v_fmac_f32_e32 v53, v56, v52
	v_add_f32_e32 v58, v57, v53
	s_delay_alu instid0(VALU_DEP_1) | instskip(SKIP_1) | instid1(VALU_DEP_2)
	v_sub_f32_e32 v59, v55, v58
	v_sub_f32_e32 v51, v58, v57
	;; [unrolled: 1-line block ×3, first 2 shown]
	s_delay_alu instid0(VALU_DEP_2) | instskip(NEXT) | instid1(VALU_DEP_2)
	v_sub_f32_e32 v51, v51, v53
	v_sub_f32_e32 v55, v55, v58
	s_delay_alu instid0(VALU_DEP_1) | instskip(NEXT) | instid1(VALU_DEP_1)
	v_add_f32_e32 v9, v9, v55
	v_add_f32_e32 v9, v51, v9
	s_delay_alu instid0(VALU_DEP_1) | instskip(NEXT) | instid1(VALU_DEP_1)
	v_add_f32_e32 v51, v59, v9
	v_mul_f32_e32 v53, v50, v51
	s_delay_alu instid0(VALU_DEP_1) | instskip(NEXT) | instid1(VALU_DEP_1)
	v_dual_sub_f32 v58, v59, v51 :: v_dual_mul_f32 v55, v54, v53
	v_add_f32_e32 v9, v9, v58
	s_delay_alu instid0(VALU_DEP_2) | instskip(NEXT) | instid1(VALU_DEP_1)
	v_fma_f32 v54, v53, v54, -v55
	v_fmac_f32_e32 v54, v53, v52
	s_delay_alu instid0(VALU_DEP_1) | instskip(NEXT) | instid1(VALU_DEP_1)
	v_add_f32_e32 v52, v55, v54
	v_sub_f32_e32 v57, v51, v52
	s_delay_alu instid0(VALU_DEP_1) | instskip(NEXT) | instid1(VALU_DEP_1)
	v_sub_f32_e32 v51, v51, v57
	v_sub_f32_e32 v51, v51, v52
	s_delay_alu instid0(VALU_DEP_1) | instskip(SKIP_2) | instid1(VALU_DEP_1)
	v_add_f32_e32 v9, v9, v51
	v_add_f32_e32 v51, v56, v53
	v_sub_f32_e32 v55, v52, v55
	v_sub_f32_e32 v52, v55, v54
	s_delay_alu instid0(VALU_DEP_1) | instskip(NEXT) | instid1(VALU_DEP_1)
	v_dual_add_f32 v9, v52, v9 :: v_dual_sub_f32 v52, v51, v56
	v_add_f32_e32 v9, v57, v9
	s_delay_alu instid0(VALU_DEP_1) | instskip(NEXT) | instid1(VALU_DEP_1)
	v_dual_sub_f32 v52, v53, v52 :: v_dual_mul_f32 v9, v50, v9
	v_add_f32_e32 v9, v52, v9
	s_delay_alu instid0(VALU_DEP_1) | instskip(NEXT) | instid1(VALU_DEP_1)
	v_add_f32_e32 v50, v51, v9
	v_mul_f32_e32 v52, v50, v50
	s_delay_alu instid0(VALU_DEP_1) | instskip(SKIP_1) | instid1(VALU_DEP_2)
	v_fmaak_f32 v53, s67, v52, 0x3ecc95a3
	v_mul_f32_e32 v54, v50, v52
	v_fmaak_f32 v52, v52, v53, 0x3f2aaada
	v_ldexp_f32 v53, v50, 1
	v_sub_f32_e32 v50, v50, v51
	s_delay_alu instid0(VALU_DEP_3) | instskip(SKIP_1) | instid1(VALU_DEP_2)
	v_mul_f32_e32 v52, v54, v52
	v_mul_f32_e32 v54, 0x3f317218, v8
	v_add_f32_e32 v51, v53, v52
	s_delay_alu instid0(VALU_DEP_1) | instskip(NEXT) | instid1(VALU_DEP_3)
	v_dual_sub_f32 v9, v9, v50 :: v_dual_sub_f32 v50, v51, v53
	v_fma_f32 v53, 0x3f317218, v8, -v54
	s_delay_alu instid0(VALU_DEP_2) | instskip(NEXT) | instid1(VALU_DEP_2)
	v_ldexp_f32 v9, v9, 1
	v_dual_sub_f32 v50, v52, v50 :: v_dual_fmac_f32 v53, 0xb102e308, v8
	s_delay_alu instid0(VALU_DEP_1) | instskip(NEXT) | instid1(VALU_DEP_1)
	v_dual_add_f32 v8, v9, v50 :: v_dual_add_f32 v9, v54, v53
	v_add_f32_e32 v50, v51, v8
	s_delay_alu instid0(VALU_DEP_1) | instskip(NEXT) | instid1(VALU_DEP_1)
	v_add_f32_e32 v52, v9, v50
	v_sub_f32_e32 v55, v52, v9
	s_delay_alu instid0(VALU_DEP_1) | instskip(SKIP_2) | instid1(VALU_DEP_2)
	v_sub_f32_e32 v56, v52, v55
	v_sub_f32_e32 v51, v50, v51
	;; [unrolled: 1-line block ×5, first 2 shown]
	s_delay_alu instid0(VALU_DEP_1) | instskip(NEXT) | instid1(VALU_DEP_1)
	v_sub_f32_e32 v53, v53, v54
	v_add_f32_e32 v51, v53, v8
	v_sub_f32_e32 v9, v9, v56
	s_delay_alu instid0(VALU_DEP_1) | instskip(NEXT) | instid1(VALU_DEP_3)
	v_add_f32_e32 v9, v50, v9
	v_sub_f32_e32 v50, v51, v53
	s_delay_alu instid0(VALU_DEP_1) | instskip(NEXT) | instid1(VALU_DEP_1)
	v_dual_sub_f32 v8, v8, v50 :: v_dual_add_f32 v9, v51, v9
	v_dual_sub_f32 v51, v51, v50 :: v_dual_add_f32 v54, v52, v9
	s_delay_alu instid0(VALU_DEP_1) | instskip(NEXT) | instid1(VALU_DEP_1)
	v_dual_sub_f32 v51, v53, v51 :: v_dual_sub_f32 v50, v54, v52
	v_dual_add_f32 v8, v8, v51 :: v_dual_sub_f32 v9, v9, v50
	s_delay_alu instid0(VALU_DEP_1) | instskip(NEXT) | instid1(VALU_DEP_1)
	v_add_f32_e32 v8, v8, v9
	v_add_f32_e32 v8, v54, v8
	s_delay_alu instid0(VALU_DEP_1)
	v_cndmask_b32_e32 v50, v8, v4, vcc_lo
.LBB47_46:                              ;   in Loop: Header=BB47_12 Depth=1
	s_or_b32 exec_lo, exec_lo, s21
	v_lshlrev_b32_e32 v4, 16, v5
	s_delay_alu instid0(VALU_DEP_1) | instskip(NEXT) | instid1(VALU_DEP_1)
	v_add_f32_e32 v51, s54, v4
	v_cmp_ge_f32_e32 vcc_lo, 0x41a00000, v51
	s_and_b32 s20, s63, vcc_lo
	s_delay_alu instid0(SALU_CYCLE_1)
	s_and_saveexec_b32 s21, s20
	s_cbranch_execz .LBB47_48
; %bb.47:                               ;   in Loop: Header=BB47_12 Depth=1
	v_mul_f32_e32 v4, 0x3fb8aa3b, v51
	v_cmp_ngt_f32_e32 vcc_lo, 0xc2ce8ed0, v51
	s_delay_alu instid0(VALU_DEP_2) | instskip(SKIP_1) | instid1(VALU_DEP_1)
	v_rndne_f32_e32 v8, v4
	v_fma_f32 v9, 0x3fb8aa3b, v51, -v4
	v_dual_sub_f32 v4, v4, v8 :: v_dual_fmac_f32 v9, 0x32a5705f, v51
	v_cvt_i32_f32_e32 v8, v8
	s_delay_alu instid0(VALU_DEP_2) | instskip(NEXT) | instid1(VALU_DEP_1)
	v_add_f32_e32 v4, v4, v9
	v_exp_f32_e32 v4, v4
	s_waitcnt_depctr 0xfff
	v_ldexp_f32 v4, v4, v8
	s_delay_alu instid0(VALU_DEP_1) | instskip(SKIP_1) | instid1(VALU_DEP_2)
	v_cndmask_b32_e32 v4, 0, v4, vcc_lo
	v_cmp_nlt_f32_e32 vcc_lo, 0x42b17218, v51
	v_cndmask_b32_e32 v4, 0x7f800000, v4, vcc_lo
	s_delay_alu instid0(VALU_DEP_1) | instskip(NEXT) | instid1(VALU_DEP_1)
	v_add_f32_e32 v51, 1.0, v4
	v_cvt_f64_f32_e32 v[8:9], v51
	s_delay_alu instid0(VALU_DEP_1) | instskip(SKIP_1) | instid1(VALU_DEP_1)
	v_frexp_exp_i32_f64_e32 v8, v[8:9]
	v_frexp_mant_f32_e32 v9, v51
	v_cmp_gt_f32_e32 vcc_lo, 0x3f2aaaab, v9
	v_add_f32_e32 v9, -1.0, v51
	s_delay_alu instid0(VALU_DEP_1) | instskip(NEXT) | instid1(VALU_DEP_1)
	v_sub_f32_e32 v53, v9, v51
	v_add_f32_e32 v53, 1.0, v53
	v_subrev_co_ci_u32_e32 v8, vcc_lo, 0, v8, vcc_lo
	s_delay_alu instid0(VALU_DEP_1) | instskip(SKIP_1) | instid1(VALU_DEP_2)
	v_sub_nc_u32_e32 v52, 0, v8
	v_cvt_f32_i32_e32 v8, v8
	v_ldexp_f32 v51, v51, v52
	s_delay_alu instid0(VALU_DEP_1) | instskip(NEXT) | instid1(VALU_DEP_1)
	v_dual_sub_f32 v9, v4, v9 :: v_dual_add_f32 v54, 1.0, v51
	v_add_f32_e32 v9, v9, v53
	v_cmp_eq_f32_e32 vcc_lo, 0x7f800000, v4
	v_cmp_gt_f32_e64 s20, 0x33800000, v4
	s_delay_alu instid0(VALU_DEP_4) | instskip(NEXT) | instid1(VALU_DEP_4)
	v_add_f32_e32 v53, -1.0, v54
	v_ldexp_f32 v9, v9, v52
	v_add_f32_e32 v52, -1.0, v51
	s_delay_alu instid0(VALU_DEP_4) | instskip(NEXT) | instid1(VALU_DEP_3)
	s_or_b32 vcc_lo, s20, vcc_lo
	v_sub_f32_e32 v53, v51, v53
	s_delay_alu instid0(VALU_DEP_2) | instskip(NEXT) | instid1(VALU_DEP_2)
	v_add_f32_e32 v55, 1.0, v52
	v_add_f32_e32 v53, v9, v53
	s_delay_alu instid0(VALU_DEP_2) | instskip(NEXT) | instid1(VALU_DEP_1)
	v_sub_f32_e32 v51, v51, v55
	v_add_f32_e32 v9, v9, v51
	s_delay_alu instid0(VALU_DEP_1) | instskip(NEXT) | instid1(VALU_DEP_1)
	v_add_f32_e32 v56, v52, v9
	v_dual_add_f32 v55, v54, v53 :: v_dual_sub_f32 v52, v52, v56
	s_delay_alu instid0(VALU_DEP_1) | instskip(SKIP_1) | instid1(VALU_DEP_1)
	v_rcp_f32_e32 v51, v55
	v_sub_f32_e32 v54, v54, v55
	v_add_f32_e32 v53, v53, v54
	s_waitcnt_depctr 0xfff
	v_mul_f32_e32 v57, v56, v51
	s_delay_alu instid0(VALU_DEP_1) | instskip(NEXT) | instid1(VALU_DEP_1)
	v_mul_f32_e32 v58, v55, v57
	v_fma_f32 v54, v57, v55, -v58
	s_delay_alu instid0(VALU_DEP_1) | instskip(SKIP_1) | instid1(VALU_DEP_2)
	v_fmac_f32_e32 v54, v57, v53
	v_add_f32_e32 v9, v9, v52
	v_add_f32_e32 v59, v58, v54
	s_delay_alu instid0(VALU_DEP_1) | instskip(SKIP_1) | instid1(VALU_DEP_2)
	v_sub_f32_e32 v60, v56, v59
	v_sub_f32_e32 v52, v59, v58
	;; [unrolled: 1-line block ×3, first 2 shown]
	s_delay_alu instid0(VALU_DEP_2) | instskip(NEXT) | instid1(VALU_DEP_2)
	v_sub_f32_e32 v52, v52, v54
	v_sub_f32_e32 v56, v56, v59
	s_delay_alu instid0(VALU_DEP_1) | instskip(NEXT) | instid1(VALU_DEP_1)
	v_add_f32_e32 v9, v9, v56
	v_add_f32_e32 v9, v52, v9
	s_delay_alu instid0(VALU_DEP_1) | instskip(NEXT) | instid1(VALU_DEP_1)
	v_add_f32_e32 v52, v60, v9
	v_mul_f32_e32 v54, v51, v52
	s_delay_alu instid0(VALU_DEP_1) | instskip(NEXT) | instid1(VALU_DEP_1)
	v_dual_sub_f32 v59, v60, v52 :: v_dual_mul_f32 v56, v55, v54
	v_add_f32_e32 v9, v9, v59
	s_delay_alu instid0(VALU_DEP_2) | instskip(NEXT) | instid1(VALU_DEP_1)
	v_fma_f32 v55, v54, v55, -v56
	v_fmac_f32_e32 v55, v54, v53
	s_delay_alu instid0(VALU_DEP_1) | instskip(NEXT) | instid1(VALU_DEP_1)
	v_add_f32_e32 v53, v56, v55
	v_sub_f32_e32 v58, v52, v53
	s_delay_alu instid0(VALU_DEP_1) | instskip(NEXT) | instid1(VALU_DEP_1)
	v_sub_f32_e32 v52, v52, v58
	v_sub_f32_e32 v52, v52, v53
	s_delay_alu instid0(VALU_DEP_1) | instskip(SKIP_2) | instid1(VALU_DEP_1)
	v_add_f32_e32 v9, v9, v52
	v_add_f32_e32 v52, v57, v54
	v_sub_f32_e32 v56, v53, v56
	v_sub_f32_e32 v53, v56, v55
	s_delay_alu instid0(VALU_DEP_1) | instskip(NEXT) | instid1(VALU_DEP_4)
	v_add_f32_e32 v9, v53, v9
	v_sub_f32_e32 v53, v52, v57
	s_delay_alu instid0(VALU_DEP_2) | instskip(NEXT) | instid1(VALU_DEP_2)
	v_add_f32_e32 v9, v58, v9
	v_sub_f32_e32 v53, v54, v53
	s_delay_alu instid0(VALU_DEP_2) | instskip(NEXT) | instid1(VALU_DEP_1)
	v_mul_f32_e32 v9, v51, v9
	v_add_f32_e32 v9, v53, v9
	s_delay_alu instid0(VALU_DEP_1) | instskip(NEXT) | instid1(VALU_DEP_1)
	v_add_f32_e32 v51, v52, v9
	v_mul_f32_e32 v53, v51, v51
	s_delay_alu instid0(VALU_DEP_1) | instskip(SKIP_1) | instid1(VALU_DEP_2)
	v_fmaak_f32 v54, s67, v53, 0x3ecc95a3
	v_mul_f32_e32 v55, v51, v53
	v_fmaak_f32 v53, v53, v54, 0x3f2aaada
	v_ldexp_f32 v54, v51, 1
	v_sub_f32_e32 v51, v51, v52
	s_delay_alu instid0(VALU_DEP_3) | instskip(SKIP_1) | instid1(VALU_DEP_2)
	v_mul_f32_e32 v53, v55, v53
	v_mul_f32_e32 v55, 0x3f317218, v8
	v_dual_sub_f32 v9, v9, v51 :: v_dual_add_f32 v52, v54, v53
	s_delay_alu instid0(VALU_DEP_1) | instskip(NEXT) | instid1(VALU_DEP_2)
	v_ldexp_f32 v9, v9, 1
	v_sub_f32_e32 v51, v52, v54
	s_delay_alu instid0(VALU_DEP_4) | instskip(NEXT) | instid1(VALU_DEP_1)
	v_fma_f32 v54, 0x3f317218, v8, -v55
	v_dual_sub_f32 v51, v53, v51 :: v_dual_fmac_f32 v54, 0xb102e308, v8
	s_delay_alu instid0(VALU_DEP_1) | instskip(NEXT) | instid1(VALU_DEP_1)
	v_dual_add_f32 v8, v9, v51 :: v_dual_add_f32 v9, v55, v54
	v_add_f32_e32 v51, v52, v8
	s_delay_alu instid0(VALU_DEP_2) | instskip(NEXT) | instid1(VALU_DEP_2)
	v_sub_f32_e32 v55, v9, v55
	v_dual_add_f32 v53, v9, v51 :: v_dual_sub_f32 v52, v51, v52
	s_delay_alu instid0(VALU_DEP_2) | instskip(NEXT) | instid1(VALU_DEP_2)
	v_sub_f32_e32 v54, v54, v55
	v_sub_f32_e32 v56, v53, v9
	s_delay_alu instid0(VALU_DEP_3) | instskip(NEXT) | instid1(VALU_DEP_2)
	v_sub_f32_e32 v8, v8, v52
	v_sub_f32_e32 v57, v53, v56
	;; [unrolled: 1-line block ×3, first 2 shown]
	s_delay_alu instid0(VALU_DEP_2) | instskip(NEXT) | instid1(VALU_DEP_1)
	v_dual_add_f32 v52, v54, v8 :: v_dual_sub_f32 v9, v9, v57
	v_add_f32_e32 v9, v51, v9
	s_delay_alu instid0(VALU_DEP_2) | instskip(NEXT) | instid1(VALU_DEP_2)
	v_sub_f32_e32 v51, v52, v54
	v_add_f32_e32 v9, v52, v9
	s_delay_alu instid0(VALU_DEP_2) | instskip(NEXT) | instid1(VALU_DEP_2)
	v_sub_f32_e32 v52, v52, v51
	v_dual_sub_f32 v8, v8, v51 :: v_dual_add_f32 v55, v53, v9
	s_delay_alu instid0(VALU_DEP_1) | instskip(NEXT) | instid1(VALU_DEP_1)
	v_dual_sub_f32 v52, v54, v52 :: v_dual_sub_f32 v51, v55, v53
	v_dual_add_f32 v8, v8, v52 :: v_dual_sub_f32 v9, v9, v51
	s_delay_alu instid0(VALU_DEP_1) | instskip(NEXT) | instid1(VALU_DEP_1)
	v_add_f32_e32 v8, v8, v9
	v_add_f32_e32 v8, v55, v8
	s_delay_alu instid0(VALU_DEP_1)
	v_cndmask_b32_e32 v51, v8, v4, vcc_lo
.LBB47_48:                              ;   in Loop: Header=BB47_12 Depth=1
	s_or_b32 exec_lo, exec_lo, s21
	v_and_b32_e32 v4, 0xffff0000, v5
	s_delay_alu instid0(VALU_DEP_1) | instskip(NEXT) | instid1(VALU_DEP_1)
	v_add_f32_e32 v52, s54, v4
	v_cmp_ge_f32_e32 vcc_lo, 0x41a00000, v52
	s_and_b32 s20, s63, vcc_lo
	s_delay_alu instid0(SALU_CYCLE_1)
	s_and_saveexec_b32 s21, s20
	s_cbranch_execz .LBB47_50
; %bb.49:                               ;   in Loop: Header=BB47_12 Depth=1
	v_mul_f32_e32 v4, 0x3fb8aa3b, v52
	v_cmp_ngt_f32_e32 vcc_lo, 0xc2ce8ed0, v52
	s_delay_alu instid0(VALU_DEP_2) | instskip(SKIP_1) | instid1(VALU_DEP_2)
	v_rndne_f32_e32 v5, v4
	v_fma_f32 v8, 0x3fb8aa3b, v52, -v4
	v_sub_f32_e32 v4, v4, v5
	s_delay_alu instid0(VALU_DEP_2) | instskip(SKIP_1) | instid1(VALU_DEP_2)
	v_fmac_f32_e32 v8, 0x32a5705f, v52
	v_cvt_i32_f32_e32 v5, v5
	v_add_f32_e32 v4, v4, v8
	s_delay_alu instid0(VALU_DEP_1) | instskip(SKIP_2) | instid1(VALU_DEP_1)
	v_exp_f32_e32 v4, v4
	s_waitcnt_depctr 0xfff
	v_ldexp_f32 v4, v4, v5
	v_cndmask_b32_e32 v4, 0, v4, vcc_lo
	v_cmp_nlt_f32_e32 vcc_lo, 0x42b17218, v52
	s_delay_alu instid0(VALU_DEP_2) | instskip(NEXT) | instid1(VALU_DEP_1)
	v_cndmask_b32_e32 v8, 0x7f800000, v4, vcc_lo
	v_add_f32_e32 v9, 1.0, v8
	s_delay_alu instid0(VALU_DEP_1) | instskip(NEXT) | instid1(VALU_DEP_1)
	v_cvt_f64_f32_e32 v[4:5], v9
	v_frexp_exp_i32_f64_e32 v4, v[4:5]
	v_frexp_mant_f32_e32 v5, v9
	s_delay_alu instid0(VALU_DEP_1) | instskip(SKIP_1) | instid1(VALU_DEP_1)
	v_cmp_gt_f32_e32 vcc_lo, 0x3f2aaaab, v5
	v_add_f32_e32 v5, -1.0, v9
	v_sub_f32_e32 v53, v5, v9
	v_sub_f32_e32 v5, v8, v5
	s_delay_alu instid0(VALU_DEP_2) | instskip(NEXT) | instid1(VALU_DEP_1)
	v_add_f32_e32 v53, 1.0, v53
	v_add_f32_e32 v5, v5, v53
	v_cmp_gt_f32_e64 s20, 0x33800000, v8
	v_subrev_co_ci_u32_e32 v4, vcc_lo, 0, v4, vcc_lo
	v_cmp_eq_f32_e32 vcc_lo, 0x7f800000, v8
	s_delay_alu instid0(VALU_DEP_2) | instskip(SKIP_2) | instid1(VALU_DEP_2)
	v_sub_nc_u32_e32 v52, 0, v4
	v_cvt_f32_i32_e32 v4, v4
	s_or_b32 vcc_lo, s20, vcc_lo
	v_ldexp_f32 v9, v9, v52
	v_ldexp_f32 v5, v5, v52
	s_delay_alu instid0(VALU_DEP_2) | instskip(NEXT) | instid1(VALU_DEP_1)
	v_add_f32_e32 v52, -1.0, v9
	v_dual_add_f32 v54, 1.0, v9 :: v_dual_add_f32 v55, 1.0, v52
	s_delay_alu instid0(VALU_DEP_1) | instskip(NEXT) | instid1(VALU_DEP_1)
	v_add_f32_e32 v53, -1.0, v54
	v_sub_f32_e32 v53, v9, v53
	s_delay_alu instid0(VALU_DEP_3) | instskip(NEXT) | instid1(VALU_DEP_2)
	v_sub_f32_e32 v9, v9, v55
	v_add_f32_e32 v53, v5, v53
	s_delay_alu instid0(VALU_DEP_2) | instskip(NEXT) | instid1(VALU_DEP_1)
	v_add_f32_e32 v5, v5, v9
	v_add_f32_e32 v56, v52, v5
	s_delay_alu instid0(VALU_DEP_1) | instskip(NEXT) | instid1(VALU_DEP_1)
	v_dual_add_f32 v55, v54, v53 :: v_dual_sub_f32 v52, v52, v56
	v_rcp_f32_e32 v9, v55
	v_sub_f32_e32 v54, v54, v55
	s_delay_alu instid0(VALU_DEP_1) | instskip(SKIP_2) | instid1(VALU_DEP_1)
	v_add_f32_e32 v53, v53, v54
	s_waitcnt_depctr 0xfff
	v_mul_f32_e32 v57, v56, v9
	v_mul_f32_e32 v58, v55, v57
	s_delay_alu instid0(VALU_DEP_1) | instskip(NEXT) | instid1(VALU_DEP_1)
	v_fma_f32 v54, v57, v55, -v58
	v_fmac_f32_e32 v54, v57, v53
	s_delay_alu instid0(VALU_DEP_1) | instskip(NEXT) | instid1(VALU_DEP_1)
	v_add_f32_e32 v59, v58, v54
	v_sub_f32_e32 v60, v56, v59
	s_delay_alu instid0(VALU_DEP_1) | instskip(SKIP_1) | instid1(VALU_DEP_2)
	v_sub_f32_e32 v56, v56, v60
	v_dual_add_f32 v5, v5, v52 :: v_dual_sub_f32 v52, v59, v58
	v_sub_f32_e32 v56, v56, v59
	s_delay_alu instid0(VALU_DEP_1) | instskip(NEXT) | instid1(VALU_DEP_1)
	v_dual_sub_f32 v52, v52, v54 :: v_dual_add_f32 v5, v5, v56
	v_add_f32_e32 v5, v52, v5
	s_delay_alu instid0(VALU_DEP_1) | instskip(NEXT) | instid1(VALU_DEP_1)
	v_add_f32_e32 v52, v60, v5
	v_mul_f32_e32 v54, v9, v52
	s_delay_alu instid0(VALU_DEP_1) | instskip(NEXT) | instid1(VALU_DEP_1)
	v_dual_sub_f32 v59, v60, v52 :: v_dual_mul_f32 v56, v55, v54
	v_add_f32_e32 v5, v5, v59
	s_delay_alu instid0(VALU_DEP_2) | instskip(NEXT) | instid1(VALU_DEP_1)
	v_fma_f32 v55, v54, v55, -v56
	v_fmac_f32_e32 v55, v54, v53
	s_delay_alu instid0(VALU_DEP_1) | instskip(NEXT) | instid1(VALU_DEP_1)
	v_add_f32_e32 v53, v56, v55
	v_sub_f32_e32 v58, v52, v53
	s_delay_alu instid0(VALU_DEP_1) | instskip(NEXT) | instid1(VALU_DEP_1)
	v_sub_f32_e32 v52, v52, v58
	v_sub_f32_e32 v52, v52, v53
	s_delay_alu instid0(VALU_DEP_1) | instskip(SKIP_2) | instid1(VALU_DEP_1)
	v_add_f32_e32 v5, v5, v52
	v_add_f32_e32 v52, v57, v54
	v_sub_f32_e32 v56, v53, v56
	v_sub_f32_e32 v53, v56, v55
	s_delay_alu instid0(VALU_DEP_1) | instskip(NEXT) | instid1(VALU_DEP_4)
	v_add_f32_e32 v5, v53, v5
	v_sub_f32_e32 v53, v52, v57
	s_delay_alu instid0(VALU_DEP_2) | instskip(NEXT) | instid1(VALU_DEP_2)
	v_add_f32_e32 v5, v58, v5
	v_sub_f32_e32 v53, v54, v53
	s_delay_alu instid0(VALU_DEP_2) | instskip(NEXT) | instid1(VALU_DEP_1)
	v_mul_f32_e32 v5, v9, v5
	v_add_f32_e32 v5, v53, v5
	s_delay_alu instid0(VALU_DEP_1) | instskip(NEXT) | instid1(VALU_DEP_1)
	v_add_f32_e32 v9, v52, v5
	v_mul_f32_e32 v53, v9, v9
	s_delay_alu instid0(VALU_DEP_1) | instskip(SKIP_1) | instid1(VALU_DEP_2)
	v_fmaak_f32 v54, s67, v53, 0x3ecc95a3
	v_mul_f32_e32 v55, v9, v53
	v_fmaak_f32 v53, v53, v54, 0x3f2aaada
	v_ldexp_f32 v54, v9, 1
	s_delay_alu instid0(VALU_DEP_2) | instskip(NEXT) | instid1(VALU_DEP_1)
	v_mul_f32_e32 v53, v55, v53
	v_dual_sub_f32 v9, v9, v52 :: v_dual_add_f32 v52, v54, v53
	s_delay_alu instid0(VALU_DEP_1) | instskip(NEXT) | instid1(VALU_DEP_2)
	v_sub_f32_e32 v5, v5, v9
	v_sub_f32_e32 v9, v52, v54
	s_delay_alu instid0(VALU_DEP_2) | instskip(NEXT) | instid1(VALU_DEP_2)
	v_ldexp_f32 v5, v5, 1
	v_sub_f32_e32 v9, v53, v9
	v_mul_f32_e32 v55, 0x3f317218, v4
	s_delay_alu instid0(VALU_DEP_1) | instskip(NEXT) | instid1(VALU_DEP_1)
	v_fma_f32 v54, 0x3f317218, v4, -v55
	v_fmac_f32_e32 v54, 0xb102e308, v4
	s_delay_alu instid0(VALU_DEP_1) | instskip(NEXT) | instid1(VALU_DEP_1)
	v_dual_add_f32 v4, v5, v9 :: v_dual_add_f32 v5, v55, v54
	v_add_f32_e32 v9, v52, v4
	s_delay_alu instid0(VALU_DEP_1) | instskip(SKIP_1) | instid1(VALU_DEP_2)
	v_add_f32_e32 v53, v5, v9
	v_sub_f32_e32 v52, v9, v52
	v_sub_f32_e32 v56, v53, v5
	s_delay_alu instid0(VALU_DEP_2) | instskip(NEXT) | instid1(VALU_DEP_2)
	v_dual_sub_f32 v4, v4, v52 :: v_dual_sub_f32 v55, v5, v55
	v_sub_f32_e32 v57, v53, v56
	s_delay_alu instid0(VALU_DEP_2) | instskip(NEXT) | instid1(VALU_DEP_1)
	v_dual_sub_f32 v9, v9, v56 :: v_dual_sub_f32 v54, v54, v55
	v_dual_sub_f32 v5, v5, v57 :: v_dual_add_f32 v52, v54, v4
	s_delay_alu instid0(VALU_DEP_1) | instskip(NEXT) | instid1(VALU_DEP_2)
	v_add_f32_e32 v5, v9, v5
	v_sub_f32_e32 v9, v52, v54
	s_delay_alu instid0(VALU_DEP_2) | instskip(NEXT) | instid1(VALU_DEP_2)
	v_add_f32_e32 v5, v52, v5
	v_sub_f32_e32 v52, v52, v9
	v_sub_f32_e32 v4, v4, v9
	s_delay_alu instid0(VALU_DEP_2) | instskip(NEXT) | instid1(VALU_DEP_1)
	v_dual_add_f32 v55, v53, v5 :: v_dual_sub_f32 v52, v54, v52
	v_dual_sub_f32 v9, v55, v53 :: v_dual_add_f32 v4, v4, v52
	s_delay_alu instid0(VALU_DEP_1) | instskip(NEXT) | instid1(VALU_DEP_1)
	v_sub_f32_e32 v5, v5, v9
	v_add_f32_e32 v4, v4, v5
	s_delay_alu instid0(VALU_DEP_1) | instskip(NEXT) | instid1(VALU_DEP_1)
	v_add_f32_e32 v4, v55, v4
	v_cndmask_b32_e32 v52, v4, v8, vcc_lo
.LBB47_50:                              ;   in Loop: Header=BB47_12 Depth=1
	s_or_b32 exec_lo, exec_lo, s21
	v_lshlrev_b32_e32 v4, 16, v6
	s_delay_alu instid0(VALU_DEP_1) | instskip(NEXT) | instid1(VALU_DEP_1)
	v_add_f32_e32 v53, s54, v4
	v_cmp_ge_f32_e32 vcc_lo, 0x41a00000, v53
	s_and_b32 s20, s63, vcc_lo
	s_delay_alu instid0(SALU_CYCLE_1)
	s_and_saveexec_b32 s21, s20
	s_cbranch_execz .LBB47_52
; %bb.51:                               ;   in Loop: Header=BB47_12 Depth=1
	v_mul_f32_e32 v4, 0x3fb8aa3b, v53
	v_cmp_ngt_f32_e32 vcc_lo, 0xc2ce8ed0, v53
	s_delay_alu instid0(VALU_DEP_2) | instskip(SKIP_1) | instid1(VALU_DEP_2)
	v_rndne_f32_e32 v5, v4
	v_fma_f32 v8, 0x3fb8aa3b, v53, -v4
	v_sub_f32_e32 v4, v4, v5
	s_delay_alu instid0(VALU_DEP_2) | instskip(SKIP_1) | instid1(VALU_DEP_2)
	v_fmac_f32_e32 v8, 0x32a5705f, v53
	v_cvt_i32_f32_e32 v5, v5
	v_add_f32_e32 v4, v4, v8
	s_delay_alu instid0(VALU_DEP_1) | instskip(SKIP_2) | instid1(VALU_DEP_1)
	v_exp_f32_e32 v4, v4
	s_waitcnt_depctr 0xfff
	v_ldexp_f32 v4, v4, v5
	v_cndmask_b32_e32 v4, 0, v4, vcc_lo
	v_cmp_nlt_f32_e32 vcc_lo, 0x42b17218, v53
	s_delay_alu instid0(VALU_DEP_2) | instskip(NEXT) | instid1(VALU_DEP_1)
	v_cndmask_b32_e32 v8, 0x7f800000, v4, vcc_lo
	v_add_f32_e32 v9, 1.0, v8
	s_delay_alu instid0(VALU_DEP_1) | instskip(NEXT) | instid1(VALU_DEP_1)
	v_cvt_f64_f32_e32 v[4:5], v9
	v_frexp_exp_i32_f64_e32 v4, v[4:5]
	v_frexp_mant_f32_e32 v5, v9
	s_delay_alu instid0(VALU_DEP_1) | instskip(SKIP_1) | instid1(VALU_DEP_1)
	v_cmp_gt_f32_e32 vcc_lo, 0x3f2aaaab, v5
	v_add_f32_e32 v5, -1.0, v9
	v_sub_f32_e32 v54, v5, v9
	v_subrev_co_ci_u32_e32 v4, vcc_lo, 0, v4, vcc_lo
	s_delay_alu instid0(VALU_DEP_1) | instskip(SKIP_1) | instid1(VALU_DEP_2)
	v_sub_nc_u32_e32 v53, 0, v4
	v_cvt_f32_i32_e32 v4, v4
	v_ldexp_f32 v9, v9, v53
	s_delay_alu instid0(VALU_DEP_1) | instskip(SKIP_3) | instid1(VALU_DEP_3)
	v_dual_add_f32 v54, 1.0, v54 :: v_dual_add_f32 v55, 1.0, v9
	v_sub_f32_e32 v5, v8, v5
	v_cmp_eq_f32_e32 vcc_lo, 0x7f800000, v8
	v_cmp_gt_f32_e64 s20, 0x33800000, v8
	v_add_f32_e32 v5, v5, v54
	s_delay_alu instid0(VALU_DEP_2) | instskip(NEXT) | instid1(VALU_DEP_1)
	s_or_b32 vcc_lo, s20, vcc_lo
	v_ldexp_f32 v5, v5, v53
	v_dual_add_f32 v53, -1.0, v9 :: v_dual_add_f32 v54, -1.0, v55
	s_delay_alu instid0(VALU_DEP_1) | instskip(NEXT) | instid1(VALU_DEP_2)
	v_add_f32_e32 v56, 1.0, v53
	v_sub_f32_e32 v54, v9, v54
	s_delay_alu instid0(VALU_DEP_2) | instskip(NEXT) | instid1(VALU_DEP_2)
	v_sub_f32_e32 v9, v9, v56
	v_add_f32_e32 v54, v5, v54
	s_delay_alu instid0(VALU_DEP_1) | instskip(NEXT) | instid1(VALU_DEP_1)
	v_dual_add_f32 v5, v5, v9 :: v_dual_add_f32 v56, v55, v54
	v_add_f32_e32 v57, v53, v5
	s_delay_alu instid0(VALU_DEP_2) | instskip(SKIP_1) | instid1(VALU_DEP_1)
	v_rcp_f32_e32 v9, v56
	v_sub_f32_e32 v55, v55, v56
	v_dual_sub_f32 v53, v53, v57 :: v_dual_add_f32 v54, v54, v55
	s_delay_alu instid0(VALU_DEP_1) | instskip(SKIP_2) | instid1(VALU_DEP_1)
	v_add_f32_e32 v5, v5, v53
	s_waitcnt_depctr 0xfff
	v_mul_f32_e32 v58, v57, v9
	v_mul_f32_e32 v59, v56, v58
	s_delay_alu instid0(VALU_DEP_1) | instskip(NEXT) | instid1(VALU_DEP_1)
	v_fma_f32 v55, v58, v56, -v59
	v_fmac_f32_e32 v55, v58, v54
	s_delay_alu instid0(VALU_DEP_1) | instskip(NEXT) | instid1(VALU_DEP_1)
	v_add_f32_e32 v60, v59, v55
	v_sub_f32_e32 v61, v57, v60
	v_sub_f32_e32 v53, v60, v59
	s_delay_alu instid0(VALU_DEP_2) | instskip(NEXT) | instid1(VALU_DEP_2)
	v_sub_f32_e32 v57, v57, v61
	v_sub_f32_e32 v53, v53, v55
	s_delay_alu instid0(VALU_DEP_2) | instskip(NEXT) | instid1(VALU_DEP_1)
	v_sub_f32_e32 v57, v57, v60
	v_add_f32_e32 v5, v5, v57
	s_delay_alu instid0(VALU_DEP_1) | instskip(NEXT) | instid1(VALU_DEP_1)
	v_add_f32_e32 v5, v53, v5
	v_add_f32_e32 v53, v61, v5
	s_delay_alu instid0(VALU_DEP_1) | instskip(NEXT) | instid1(VALU_DEP_1)
	v_mul_f32_e32 v55, v9, v53
	v_mul_f32_e32 v57, v56, v55
	s_delay_alu instid0(VALU_DEP_1) | instskip(NEXT) | instid1(VALU_DEP_1)
	v_fma_f32 v56, v55, v56, -v57
	v_fmac_f32_e32 v56, v55, v54
	v_sub_f32_e32 v60, v61, v53
	s_delay_alu instid0(VALU_DEP_2) | instskip(NEXT) | instid1(VALU_DEP_2)
	v_add_f32_e32 v54, v57, v56
	v_add_f32_e32 v5, v5, v60
	s_delay_alu instid0(VALU_DEP_2) | instskip(NEXT) | instid1(VALU_DEP_1)
	v_sub_f32_e32 v59, v53, v54
	v_sub_f32_e32 v53, v53, v59
	s_delay_alu instid0(VALU_DEP_1) | instskip(NEXT) | instid1(VALU_DEP_1)
	v_sub_f32_e32 v53, v53, v54
	v_add_f32_e32 v5, v5, v53
	v_add_f32_e32 v53, v58, v55
	v_sub_f32_e32 v57, v54, v57
	s_delay_alu instid0(VALU_DEP_1) | instskip(NEXT) | instid1(VALU_DEP_1)
	v_sub_f32_e32 v54, v57, v56
	v_dual_add_f32 v5, v54, v5 :: v_dual_sub_f32 v54, v53, v58
	s_delay_alu instid0(VALU_DEP_1) | instskip(NEXT) | instid1(VALU_DEP_1)
	v_add_f32_e32 v5, v59, v5
	v_dual_sub_f32 v54, v55, v54 :: v_dual_mul_f32 v5, v9, v5
	s_delay_alu instid0(VALU_DEP_1) | instskip(NEXT) | instid1(VALU_DEP_1)
	v_add_f32_e32 v5, v54, v5
	v_add_f32_e32 v9, v53, v5
	s_delay_alu instid0(VALU_DEP_1) | instskip(NEXT) | instid1(VALU_DEP_1)
	v_mul_f32_e32 v54, v9, v9
	v_fmaak_f32 v55, s67, v54, 0x3ecc95a3
	v_mul_f32_e32 v56, v9, v54
	s_delay_alu instid0(VALU_DEP_2) | instskip(SKIP_1) | instid1(VALU_DEP_2)
	v_fmaak_f32 v54, v54, v55, 0x3f2aaada
	v_ldexp_f32 v55, v9, 1
	v_dual_sub_f32 v9, v9, v53 :: v_dual_mul_f32 v54, v56, v54
	s_delay_alu instid0(VALU_DEP_1) | instskip(NEXT) | instid1(VALU_DEP_2)
	v_dual_mul_f32 v56, 0x3f317218, v4 :: v_dual_sub_f32 v5, v5, v9
	v_add_f32_e32 v53, v55, v54
	s_delay_alu instid0(VALU_DEP_2) | instskip(NEXT) | instid1(VALU_DEP_2)
	v_ldexp_f32 v5, v5, 1
	v_sub_f32_e32 v9, v53, v55
	s_delay_alu instid0(VALU_DEP_4) | instskip(NEXT) | instid1(VALU_DEP_2)
	v_fma_f32 v55, 0x3f317218, v4, -v56
	v_sub_f32_e32 v9, v54, v9
	s_delay_alu instid0(VALU_DEP_1) | instskip(NEXT) | instid1(VALU_DEP_1)
	v_dual_fmac_f32 v55, 0xb102e308, v4 :: v_dual_add_f32 v4, v5, v9
	v_add_f32_e32 v5, v56, v55
	s_delay_alu instid0(VALU_DEP_2) | instskip(NEXT) | instid1(VALU_DEP_2)
	v_add_f32_e32 v9, v53, v4
	v_sub_f32_e32 v56, v5, v56
	s_delay_alu instid0(VALU_DEP_1) | instskip(SKIP_1) | instid1(VALU_DEP_2)
	v_dual_add_f32 v54, v5, v9 :: v_dual_sub_f32 v55, v55, v56
	v_sub_f32_e32 v53, v9, v53
	v_sub_f32_e32 v57, v54, v5
	s_delay_alu instid0(VALU_DEP_2) | instskip(NEXT) | instid1(VALU_DEP_2)
	v_sub_f32_e32 v4, v4, v53
	v_sub_f32_e32 v58, v54, v57
	v_sub_f32_e32 v9, v9, v57
	s_delay_alu instid0(VALU_DEP_3) | instskip(NEXT) | instid1(VALU_DEP_3)
	v_add_f32_e32 v53, v55, v4
	v_sub_f32_e32 v5, v5, v58
	s_delay_alu instid0(VALU_DEP_1) | instskip(NEXT) | instid1(VALU_DEP_3)
	v_add_f32_e32 v5, v9, v5
	v_sub_f32_e32 v9, v53, v55
	s_delay_alu instid0(VALU_DEP_2) | instskip(NEXT) | instid1(VALU_DEP_2)
	v_add_f32_e32 v5, v53, v5
	v_sub_f32_e32 v53, v53, v9
	v_sub_f32_e32 v4, v4, v9
	s_delay_alu instid0(VALU_DEP_3) | instskip(NEXT) | instid1(VALU_DEP_3)
	v_add_f32_e32 v56, v54, v5
	v_sub_f32_e32 v53, v55, v53
	s_delay_alu instid0(VALU_DEP_2) | instskip(NEXT) | instid1(VALU_DEP_2)
	v_sub_f32_e32 v9, v56, v54
	v_add_f32_e32 v4, v4, v53
	s_delay_alu instid0(VALU_DEP_2) | instskip(NEXT) | instid1(VALU_DEP_1)
	v_sub_f32_e32 v5, v5, v9
	v_add_f32_e32 v4, v4, v5
	s_delay_alu instid0(VALU_DEP_1) | instskip(NEXT) | instid1(VALU_DEP_1)
	v_add_f32_e32 v4, v56, v4
	v_cndmask_b32_e32 v53, v4, v8, vcc_lo
.LBB47_52:                              ;   in Loop: Header=BB47_12 Depth=1
	s_or_b32 exec_lo, exec_lo, s21
	v_and_b32_e32 v4, 0xffff0000, v6
	s_delay_alu instid0(VALU_DEP_1) | instskip(NEXT) | instid1(VALU_DEP_1)
	v_add_f32_e32 v54, s54, v4
	v_cmp_ge_f32_e32 vcc_lo, 0x41a00000, v54
	s_and_b32 s20, s63, vcc_lo
	s_delay_alu instid0(SALU_CYCLE_1)
	s_and_saveexec_b32 s21, s20
	s_cbranch_execz .LBB47_54
; %bb.53:                               ;   in Loop: Header=BB47_12 Depth=1
	v_mul_f32_e32 v4, 0x3fb8aa3b, v54
	v_cmp_ngt_f32_e32 vcc_lo, 0xc2ce8ed0, v54
	s_delay_alu instid0(VALU_DEP_2) | instskip(SKIP_1) | instid1(VALU_DEP_2)
	v_rndne_f32_e32 v5, v4
	v_fma_f32 v6, 0x3fb8aa3b, v54, -v4
	v_sub_f32_e32 v4, v4, v5
	s_delay_alu instid0(VALU_DEP_2) | instskip(SKIP_1) | instid1(VALU_DEP_2)
	v_fmac_f32_e32 v6, 0x32a5705f, v54
	v_cvt_i32_f32_e32 v5, v5
	v_add_f32_e32 v4, v4, v6
	s_delay_alu instid0(VALU_DEP_1) | instskip(SKIP_2) | instid1(VALU_DEP_1)
	v_exp_f32_e32 v4, v4
	s_waitcnt_depctr 0xfff
	v_ldexp_f32 v4, v4, v5
	v_cndmask_b32_e32 v4, 0, v4, vcc_lo
	v_cmp_nlt_f32_e32 vcc_lo, 0x42b17218, v54
	s_delay_alu instid0(VALU_DEP_2) | instskip(NEXT) | instid1(VALU_DEP_1)
	v_cndmask_b32_e32 v6, 0x7f800000, v4, vcc_lo
	v_add_f32_e32 v8, 1.0, v6
	s_delay_alu instid0(VALU_DEP_1) | instskip(NEXT) | instid1(VALU_DEP_1)
	v_cvt_f64_f32_e32 v[4:5], v8
	v_frexp_exp_i32_f64_e32 v4, v[4:5]
	v_frexp_mant_f32_e32 v5, v8
	s_delay_alu instid0(VALU_DEP_1) | instskip(SKIP_1) | instid1(VALU_DEP_1)
	v_cmp_gt_f32_e32 vcc_lo, 0x3f2aaaab, v5
	v_add_f32_e32 v5, -1.0, v8
	v_dual_sub_f32 v54, v5, v8 :: v_dual_sub_f32 v5, v6, v5
	s_delay_alu instid0(VALU_DEP_1) | instskip(NEXT) | instid1(VALU_DEP_1)
	v_add_f32_e32 v54, 1.0, v54
	v_add_f32_e32 v5, v5, v54
	v_subrev_co_ci_u32_e32 v4, vcc_lo, 0, v4, vcc_lo
	s_delay_alu instid0(VALU_DEP_1) | instskip(SKIP_1) | instid1(VALU_DEP_2)
	v_sub_nc_u32_e32 v9, 0, v4
	v_cvt_f32_i32_e32 v4, v4
	v_ldexp_f32 v8, v8, v9
	v_ldexp_f32 v5, v5, v9
	s_delay_alu instid0(VALU_DEP_2) | instskip(NEXT) | instid1(VALU_DEP_1)
	v_add_f32_e32 v55, 1.0, v8
	v_dual_add_f32 v9, -1.0, v8 :: v_dual_add_f32 v54, -1.0, v55
	s_delay_alu instid0(VALU_DEP_1) | instskip(NEXT) | instid1(VALU_DEP_2)
	v_add_f32_e32 v56, 1.0, v9
	v_sub_f32_e32 v54, v8, v54
	s_delay_alu instid0(VALU_DEP_2) | instskip(NEXT) | instid1(VALU_DEP_2)
	v_sub_f32_e32 v8, v8, v56
	v_add_f32_e32 v54, v5, v54
	s_delay_alu instid0(VALU_DEP_2) | instskip(NEXT) | instid1(VALU_DEP_1)
	v_add_f32_e32 v5, v5, v8
	v_add_f32_e32 v57, v9, v5
	v_cmp_eq_f32_e32 vcc_lo, 0x7f800000, v6
	v_cmp_gt_f32_e64 s20, 0x33800000, v6
	s_delay_alu instid0(VALU_DEP_3) | instskip(NEXT) | instid1(VALU_DEP_2)
	v_dual_sub_f32 v9, v9, v57 :: v_dual_add_f32 v56, v55, v54
	s_or_b32 vcc_lo, s20, vcc_lo
	s_delay_alu instid0(VALU_DEP_1) | instskip(NEXT) | instid1(VALU_DEP_2)
	v_add_f32_e32 v5, v5, v9
	v_rcp_f32_e32 v8, v56
	v_sub_f32_e32 v55, v55, v56
	s_delay_alu instid0(VALU_DEP_1) | instskip(SKIP_2) | instid1(VALU_DEP_1)
	v_add_f32_e32 v54, v54, v55
	s_waitcnt_depctr 0xfff
	v_mul_f32_e32 v58, v57, v8
	v_mul_f32_e32 v59, v56, v58
	s_delay_alu instid0(VALU_DEP_1) | instskip(NEXT) | instid1(VALU_DEP_1)
	v_fma_f32 v55, v58, v56, -v59
	v_fmac_f32_e32 v55, v58, v54
	s_delay_alu instid0(VALU_DEP_1) | instskip(NEXT) | instid1(VALU_DEP_1)
	v_add_f32_e32 v60, v59, v55
	v_sub_f32_e32 v61, v57, v60
	s_delay_alu instid0(VALU_DEP_1) | instskip(NEXT) | instid1(VALU_DEP_1)
	v_sub_f32_e32 v57, v57, v61
	v_sub_f32_e32 v57, v57, v60
	s_delay_alu instid0(VALU_DEP_1) | instskip(SKIP_1) | instid1(VALU_DEP_1)
	v_add_f32_e32 v5, v5, v57
	v_sub_f32_e32 v9, v60, v59
	v_sub_f32_e32 v9, v9, v55
	s_delay_alu instid0(VALU_DEP_1) | instskip(NEXT) | instid1(VALU_DEP_1)
	v_add_f32_e32 v5, v9, v5
	v_add_f32_e32 v9, v61, v5
	s_delay_alu instid0(VALU_DEP_1) | instskip(NEXT) | instid1(VALU_DEP_1)
	v_mul_f32_e32 v55, v8, v9
	v_dual_sub_f32 v60, v61, v9 :: v_dual_mul_f32 v57, v56, v55
	s_delay_alu instid0(VALU_DEP_1) | instskip(NEXT) | instid1(VALU_DEP_2)
	v_add_f32_e32 v5, v5, v60
	v_fma_f32 v56, v55, v56, -v57
	s_delay_alu instid0(VALU_DEP_1) | instskip(NEXT) | instid1(VALU_DEP_1)
	v_fmac_f32_e32 v56, v55, v54
	v_add_f32_e32 v54, v57, v56
	s_delay_alu instid0(VALU_DEP_1) | instskip(NEXT) | instid1(VALU_DEP_1)
	v_sub_f32_e32 v59, v9, v54
	v_sub_f32_e32 v9, v9, v59
	s_delay_alu instid0(VALU_DEP_1) | instskip(NEXT) | instid1(VALU_DEP_1)
	v_sub_f32_e32 v9, v9, v54
	v_add_f32_e32 v5, v5, v9
	v_add_f32_e32 v9, v58, v55
	v_sub_f32_e32 v57, v54, v57
	s_delay_alu instid0(VALU_DEP_1) | instskip(NEXT) | instid1(VALU_DEP_1)
	v_sub_f32_e32 v54, v57, v56
	v_dual_add_f32 v5, v54, v5 :: v_dual_sub_f32 v54, v9, v58
	s_delay_alu instid0(VALU_DEP_1) | instskip(NEXT) | instid1(VALU_DEP_1)
	v_add_f32_e32 v5, v59, v5
	v_dual_sub_f32 v54, v55, v54 :: v_dual_mul_f32 v5, v8, v5
	s_delay_alu instid0(VALU_DEP_1) | instskip(NEXT) | instid1(VALU_DEP_1)
	v_add_f32_e32 v5, v54, v5
	v_add_f32_e32 v8, v9, v5
	s_delay_alu instid0(VALU_DEP_1) | instskip(NEXT) | instid1(VALU_DEP_1)
	v_mul_f32_e32 v54, v8, v8
	v_fmaak_f32 v55, s67, v54, 0x3ecc95a3
	v_mul_f32_e32 v56, v8, v54
	s_delay_alu instid0(VALU_DEP_2) | instskip(SKIP_1) | instid1(VALU_DEP_2)
	v_fmaak_f32 v54, v54, v55, 0x3f2aaada
	v_ldexp_f32 v55, v8, 1
	v_mul_f32_e32 v54, v56, v54
	v_sub_f32_e32 v8, v8, v9
	s_delay_alu instid0(VALU_DEP_2) | instskip(NEXT) | instid1(VALU_DEP_2)
	v_dual_mul_f32 v56, 0x3f317218, v4 :: v_dual_add_f32 v9, v55, v54
	v_sub_f32_e32 v5, v5, v8
	s_delay_alu instid0(VALU_DEP_2) | instskip(NEXT) | instid1(VALU_DEP_3)
	v_sub_f32_e32 v8, v9, v55
	v_fma_f32 v55, 0x3f317218, v4, -v56
	s_delay_alu instid0(VALU_DEP_3) | instskip(NEXT) | instid1(VALU_DEP_3)
	v_ldexp_f32 v5, v5, 1
	v_sub_f32_e32 v8, v54, v8
	s_delay_alu instid0(VALU_DEP_3) | instskip(NEXT) | instid1(VALU_DEP_2)
	v_fmac_f32_e32 v55, 0xb102e308, v4
	v_add_f32_e32 v4, v5, v8
	s_delay_alu instid0(VALU_DEP_1) | instskip(NEXT) | instid1(VALU_DEP_1)
	v_add_f32_e32 v8, v9, v4
	v_sub_f32_e32 v9, v8, v9
	s_delay_alu instid0(VALU_DEP_1) | instskip(SKIP_1) | instid1(VALU_DEP_1)
	v_sub_f32_e32 v4, v4, v9
	v_add_f32_e32 v5, v56, v55
	v_add_f32_e32 v54, v5, v8
	s_delay_alu instid0(VALU_DEP_1) | instskip(NEXT) | instid1(VALU_DEP_1)
	v_dual_sub_f32 v56, v5, v56 :: v_dual_sub_f32 v57, v54, v5
	v_dual_sub_f32 v55, v55, v56 :: v_dual_sub_f32 v8, v8, v57
	v_sub_f32_e32 v58, v54, v57
	s_delay_alu instid0(VALU_DEP_1) | instskip(NEXT) | instid1(VALU_DEP_1)
	v_sub_f32_e32 v5, v5, v58
	v_add_f32_e32 v5, v8, v5
	s_delay_alu instid0(VALU_DEP_4) | instskip(NEXT) | instid1(VALU_DEP_1)
	v_add_f32_e32 v9, v55, v4
	v_add_f32_e32 v5, v9, v5
	s_delay_alu instid0(VALU_DEP_1) | instskip(SKIP_1) | instid1(VALU_DEP_1)
	v_add_f32_e32 v56, v54, v5
	v_sub_f32_e32 v8, v9, v55
	v_sub_f32_e32 v9, v9, v8
	;; [unrolled: 1-line block ×3, first 2 shown]
	s_delay_alu instid0(VALU_DEP_2) | instskip(NEXT) | instid1(VALU_DEP_1)
	v_dual_sub_f32 v8, v56, v54 :: v_dual_sub_f32 v9, v55, v9
	v_dual_sub_f32 v5, v5, v8 :: v_dual_add_f32 v4, v4, v9
	s_delay_alu instid0(VALU_DEP_1) | instskip(NEXT) | instid1(VALU_DEP_1)
	v_add_f32_e32 v4, v4, v5
	v_add_f32_e32 v4, v56, v4
	s_delay_alu instid0(VALU_DEP_1)
	v_cndmask_b32_e32 v54, v4, v6, vcc_lo
.LBB47_54:                              ;   in Loop: Header=BB47_12 Depth=1
	s_or_b32 exec_lo, exec_lo, s21
	v_lshlrev_b32_e32 v4, 16, v7
	s_delay_alu instid0(VALU_DEP_1) | instskip(NEXT) | instid1(VALU_DEP_1)
	v_add_f32_e32 v55, s54, v4
	v_cmp_ge_f32_e32 vcc_lo, 0x41a00000, v55
	s_and_b32 s20, s63, vcc_lo
	s_delay_alu instid0(SALU_CYCLE_1)
	s_and_saveexec_b32 s21, s20
	s_cbranch_execz .LBB47_56
; %bb.55:                               ;   in Loop: Header=BB47_12 Depth=1
	v_mul_f32_e32 v4, 0x3fb8aa3b, v55
	v_cmp_ngt_f32_e32 vcc_lo, 0xc2ce8ed0, v55
	s_delay_alu instid0(VALU_DEP_2) | instskip(SKIP_1) | instid1(VALU_DEP_2)
	v_rndne_f32_e32 v5, v4
	v_fma_f32 v6, 0x3fb8aa3b, v55, -v4
	v_sub_f32_e32 v4, v4, v5
	s_delay_alu instid0(VALU_DEP_2) | instskip(SKIP_1) | instid1(VALU_DEP_2)
	v_fmac_f32_e32 v6, 0x32a5705f, v55
	v_cvt_i32_f32_e32 v5, v5
	v_add_f32_e32 v4, v4, v6
	s_delay_alu instid0(VALU_DEP_1) | instskip(SKIP_2) | instid1(VALU_DEP_1)
	v_exp_f32_e32 v4, v4
	s_waitcnt_depctr 0xfff
	v_ldexp_f32 v4, v4, v5
	v_cndmask_b32_e32 v4, 0, v4, vcc_lo
	v_cmp_nlt_f32_e32 vcc_lo, 0x42b17218, v55
	s_delay_alu instid0(VALU_DEP_2) | instskip(NEXT) | instid1(VALU_DEP_1)
	v_cndmask_b32_e32 v6, 0x7f800000, v4, vcc_lo
	v_add_f32_e32 v8, 1.0, v6
	s_delay_alu instid0(VALU_DEP_1) | instskip(NEXT) | instid1(VALU_DEP_1)
	v_cvt_f64_f32_e32 v[4:5], v8
	v_frexp_exp_i32_f64_e32 v4, v[4:5]
	v_frexp_mant_f32_e32 v5, v8
	s_delay_alu instid0(VALU_DEP_1) | instskip(SKIP_1) | instid1(VALU_DEP_1)
	v_cmp_gt_f32_e32 vcc_lo, 0x3f2aaaab, v5
	v_add_f32_e32 v5, -1.0, v8
	v_sub_f32_e32 v55, v5, v8
	v_sub_f32_e32 v5, v6, v5
	s_delay_alu instid0(VALU_DEP_2) | instskip(NEXT) | instid1(VALU_DEP_1)
	v_add_f32_e32 v55, 1.0, v55
	v_add_f32_e32 v5, v5, v55
	v_cmp_gt_f32_e64 s20, 0x33800000, v6
	v_subrev_co_ci_u32_e32 v4, vcc_lo, 0, v4, vcc_lo
	v_cmp_eq_f32_e32 vcc_lo, 0x7f800000, v6
	s_delay_alu instid0(VALU_DEP_2) | instskip(SKIP_2) | instid1(VALU_DEP_2)
	v_sub_nc_u32_e32 v9, 0, v4
	v_cvt_f32_i32_e32 v4, v4
	s_or_b32 vcc_lo, s20, vcc_lo
	v_ldexp_f32 v8, v8, v9
	v_ldexp_f32 v5, v5, v9
	s_delay_alu instid0(VALU_DEP_2) | instskip(SKIP_1) | instid1(VALU_DEP_2)
	v_add_f32_e32 v56, 1.0, v8
	v_add_f32_e32 v9, -1.0, v8
	v_add_f32_e32 v55, -1.0, v56
	s_delay_alu instid0(VALU_DEP_2) | instskip(NEXT) | instid1(VALU_DEP_2)
	v_add_f32_e32 v57, 1.0, v9
	v_sub_f32_e32 v55, v8, v55
	s_delay_alu instid0(VALU_DEP_1) | instskip(NEXT) | instid1(VALU_DEP_1)
	v_dual_sub_f32 v8, v8, v57 :: v_dual_add_f32 v55, v5, v55
	v_add_f32_e32 v5, v5, v8
	s_delay_alu instid0(VALU_DEP_1) | instskip(NEXT) | instid1(VALU_DEP_1)
	v_dual_add_f32 v57, v56, v55 :: v_dual_add_f32 v58, v9, v5
	v_rcp_f32_e32 v8, v57
	s_delay_alu instid0(VALU_DEP_1) | instskip(NEXT) | instid1(VALU_DEP_1)
	v_dual_sub_f32 v56, v56, v57 :: v_dual_sub_f32 v9, v9, v58
	v_add_f32_e32 v55, v55, v56
	s_waitcnt_depctr 0xfff
	v_mul_f32_e32 v59, v58, v8
	s_delay_alu instid0(VALU_DEP_1) | instskip(NEXT) | instid1(VALU_DEP_1)
	v_mul_f32_e32 v60, v57, v59
	v_fma_f32 v56, v59, v57, -v60
	s_delay_alu instid0(VALU_DEP_1) | instskip(NEXT) | instid1(VALU_DEP_1)
	v_dual_fmac_f32 v56, v59, v55 :: v_dual_add_f32 v5, v5, v9
	v_add_f32_e32 v61, v60, v56
	s_delay_alu instid0(VALU_DEP_1) | instskip(NEXT) | instid1(VALU_DEP_1)
	v_sub_f32_e32 v62, v58, v61
	v_dual_sub_f32 v58, v58, v62 :: v_dual_sub_f32 v9, v61, v60
	s_delay_alu instid0(VALU_DEP_1) | instskip(NEXT) | instid1(VALU_DEP_1)
	v_dual_sub_f32 v58, v58, v61 :: v_dual_sub_f32 v9, v9, v56
	v_add_f32_e32 v5, v5, v58
	s_delay_alu instid0(VALU_DEP_1) | instskip(NEXT) | instid1(VALU_DEP_1)
	v_add_f32_e32 v5, v9, v5
	v_add_f32_e32 v9, v62, v5
	s_delay_alu instid0(VALU_DEP_1) | instskip(NEXT) | instid1(VALU_DEP_1)
	v_mul_f32_e32 v56, v8, v9
	v_dual_mul_f32 v58, v57, v56 :: v_dual_sub_f32 v61, v62, v9
	s_delay_alu instid0(VALU_DEP_1) | instskip(NEXT) | instid1(VALU_DEP_2)
	v_fma_f32 v57, v56, v57, -v58
	v_add_f32_e32 v5, v5, v61
	s_delay_alu instid0(VALU_DEP_2) | instskip(NEXT) | instid1(VALU_DEP_1)
	v_fmac_f32_e32 v57, v56, v55
	v_add_f32_e32 v55, v58, v57
	s_delay_alu instid0(VALU_DEP_1) | instskip(NEXT) | instid1(VALU_DEP_1)
	v_sub_f32_e32 v60, v9, v55
	v_dual_sub_f32 v58, v55, v58 :: v_dual_sub_f32 v9, v9, v60
	s_delay_alu instid0(VALU_DEP_1) | instskip(NEXT) | instid1(VALU_DEP_2)
	v_sub_f32_e32 v9, v9, v55
	v_sub_f32_e32 v55, v58, v57
	s_delay_alu instid0(VALU_DEP_2) | instskip(SKIP_1) | instid1(VALU_DEP_2)
	v_add_f32_e32 v5, v5, v9
	v_add_f32_e32 v9, v59, v56
	v_add_f32_e32 v5, v55, v5
	s_delay_alu instid0(VALU_DEP_2) | instskip(NEXT) | instid1(VALU_DEP_2)
	v_sub_f32_e32 v55, v9, v59
	v_add_f32_e32 v5, v60, v5
	s_delay_alu instid0(VALU_DEP_2) | instskip(NEXT) | instid1(VALU_DEP_2)
	v_sub_f32_e32 v55, v56, v55
	v_mul_f32_e32 v5, v8, v5
	s_delay_alu instid0(VALU_DEP_1) | instskip(NEXT) | instid1(VALU_DEP_1)
	v_add_f32_e32 v5, v55, v5
	v_add_f32_e32 v8, v9, v5
	s_delay_alu instid0(VALU_DEP_1) | instskip(NEXT) | instid1(VALU_DEP_1)
	v_mul_f32_e32 v55, v8, v8
	v_fmaak_f32 v56, s67, v55, 0x3ecc95a3
	v_mul_f32_e32 v57, v8, v55
	s_delay_alu instid0(VALU_DEP_2) | instskip(SKIP_1) | instid1(VALU_DEP_2)
	v_fmaak_f32 v55, v55, v56, 0x3f2aaada
	v_ldexp_f32 v56, v8, 1
	v_dual_sub_f32 v8, v8, v9 :: v_dual_mul_f32 v55, v57, v55
	v_mul_f32_e32 v57, 0x3f317218, v4
	s_delay_alu instid0(VALU_DEP_2) | instskip(NEXT) | instid1(VALU_DEP_3)
	v_sub_f32_e32 v5, v5, v8
	v_add_f32_e32 v9, v56, v55
	s_delay_alu instid0(VALU_DEP_2) | instskip(NEXT) | instid1(VALU_DEP_2)
	v_ldexp_f32 v5, v5, 1
	v_sub_f32_e32 v8, v9, v56
	v_fma_f32 v56, 0x3f317218, v4, -v57
	s_delay_alu instid0(VALU_DEP_2) | instskip(NEXT) | instid1(VALU_DEP_2)
	v_sub_f32_e32 v8, v55, v8
	v_fmac_f32_e32 v56, 0xb102e308, v4
	s_delay_alu instid0(VALU_DEP_2) | instskip(NEXT) | instid1(VALU_DEP_2)
	v_add_f32_e32 v4, v5, v8
	v_add_f32_e32 v5, v57, v56
	s_delay_alu instid0(VALU_DEP_2) | instskip(NEXT) | instid1(VALU_DEP_2)
	v_add_f32_e32 v8, v9, v4
	v_sub_f32_e32 v57, v5, v57
	s_delay_alu instid0(VALU_DEP_2) | instskip(SKIP_1) | instid1(VALU_DEP_3)
	v_add_f32_e32 v55, v5, v8
	v_sub_f32_e32 v9, v8, v9
	v_sub_f32_e32 v56, v56, v57
	s_delay_alu instid0(VALU_DEP_3) | instskip(NEXT) | instid1(VALU_DEP_1)
	v_sub_f32_e32 v58, v55, v5
	v_dual_sub_f32 v4, v4, v9 :: v_dual_sub_f32 v59, v55, v58
	v_sub_f32_e32 v8, v8, v58
	s_delay_alu instid0(VALU_DEP_2) | instskip(NEXT) | instid1(VALU_DEP_3)
	v_add_f32_e32 v9, v56, v4
	v_sub_f32_e32 v5, v5, v59
	s_delay_alu instid0(VALU_DEP_1) | instskip(NEXT) | instid1(VALU_DEP_1)
	v_dual_add_f32 v5, v8, v5 :: v_dual_sub_f32 v8, v9, v56
	v_add_f32_e32 v5, v9, v5
	s_delay_alu instid0(VALU_DEP_2) | instskip(NEXT) | instid1(VALU_DEP_2)
	v_sub_f32_e32 v9, v9, v8
	v_dual_sub_f32 v4, v4, v8 :: v_dual_add_f32 v57, v55, v5
	s_delay_alu instid0(VALU_DEP_1) | instskip(NEXT) | instid1(VALU_DEP_1)
	v_dual_sub_f32 v9, v56, v9 :: v_dual_sub_f32 v8, v57, v55
	v_dual_add_f32 v4, v4, v9 :: v_dual_sub_f32 v5, v5, v8
	s_delay_alu instid0(VALU_DEP_1) | instskip(NEXT) | instid1(VALU_DEP_1)
	v_add_f32_e32 v4, v4, v5
	v_add_f32_e32 v4, v57, v4
	s_delay_alu instid0(VALU_DEP_1)
	v_cndmask_b32_e32 v55, v4, v6, vcc_lo
.LBB47_56:                              ;   in Loop: Header=BB47_12 Depth=1
	s_or_b32 exec_lo, exec_lo, s21
	v_and_b32_e32 v4, 0xffff0000, v7
	s_delay_alu instid0(VALU_DEP_1) | instskip(NEXT) | instid1(VALU_DEP_1)
	v_add_f32_e32 v64, s54, v4
	v_cmp_ge_f32_e32 vcc_lo, 0x41a00000, v64
	s_and_b32 s20, s63, vcc_lo
	s_delay_alu instid0(SALU_CYCLE_1)
	s_and_saveexec_b32 s21, s20
	s_cbranch_execz .LBB47_58
; %bb.57:                               ;   in Loop: Header=BB47_12 Depth=1
	v_mul_f32_e32 v4, 0x3fb8aa3b, v64
	v_cmp_ngt_f32_e32 vcc_lo, 0xc2ce8ed0, v64
	s_delay_alu instid0(VALU_DEP_2) | instskip(SKIP_1) | instid1(VALU_DEP_2)
	v_rndne_f32_e32 v5, v4
	v_fma_f32 v6, 0x3fb8aa3b, v64, -v4
	v_sub_f32_e32 v4, v4, v5
	s_delay_alu instid0(VALU_DEP_2) | instskip(SKIP_1) | instid1(VALU_DEP_2)
	v_fmac_f32_e32 v6, 0x32a5705f, v64
	v_cvt_i32_f32_e32 v5, v5
	v_add_f32_e32 v4, v4, v6
	s_delay_alu instid0(VALU_DEP_1) | instskip(SKIP_2) | instid1(VALU_DEP_1)
	v_exp_f32_e32 v4, v4
	s_waitcnt_depctr 0xfff
	v_ldexp_f32 v4, v4, v5
	v_cndmask_b32_e32 v4, 0, v4, vcc_lo
	v_cmp_nlt_f32_e32 vcc_lo, 0x42b17218, v64
	s_delay_alu instid0(VALU_DEP_2) | instskip(NEXT) | instid1(VALU_DEP_1)
	v_cndmask_b32_e32 v6, 0x7f800000, v4, vcc_lo
	v_add_f32_e32 v7, 1.0, v6
	s_delay_alu instid0(VALU_DEP_1) | instskip(NEXT) | instid1(VALU_DEP_1)
	v_cvt_f64_f32_e32 v[4:5], v7
	v_frexp_exp_i32_f64_e32 v4, v[4:5]
	v_frexp_mant_f32_e32 v5, v7
	s_delay_alu instid0(VALU_DEP_1) | instskip(SKIP_1) | instid1(VALU_DEP_1)
	v_cmp_gt_f32_e32 vcc_lo, 0x3f2aaaab, v5
	v_add_f32_e32 v5, -1.0, v7
	v_sub_f32_e32 v9, v5, v7
	v_sub_f32_e32 v5, v6, v5
	s_delay_alu instid0(VALU_DEP_2) | instskip(NEXT) | instid1(VALU_DEP_1)
	v_add_f32_e32 v9, 1.0, v9
	v_add_f32_e32 v5, v5, v9
	v_cmp_gt_f32_e64 s20, 0x33800000, v6
	v_subrev_co_ci_u32_e32 v4, vcc_lo, 0, v4, vcc_lo
	v_cmp_eq_f32_e32 vcc_lo, 0x7f800000, v6
	s_delay_alu instid0(VALU_DEP_2) | instskip(SKIP_2) | instid1(VALU_DEP_2)
	v_sub_nc_u32_e32 v8, 0, v4
	v_cvt_f32_i32_e32 v4, v4
	s_or_b32 vcc_lo, s20, vcc_lo
	v_ldexp_f32 v7, v7, v8
	v_ldexp_f32 v5, v5, v8
	s_delay_alu instid0(VALU_DEP_2) | instskip(NEXT) | instid1(VALU_DEP_1)
	v_add_f32_e32 v56, 1.0, v7
	v_dual_add_f32 v8, -1.0, v7 :: v_dual_add_f32 v9, -1.0, v56
	s_delay_alu instid0(VALU_DEP_1) | instskip(NEXT) | instid1(VALU_DEP_2)
	v_add_f32_e32 v57, 1.0, v8
	v_sub_f32_e32 v9, v7, v9
	s_delay_alu instid0(VALU_DEP_2) | instskip(NEXT) | instid1(VALU_DEP_2)
	v_sub_f32_e32 v7, v7, v57
	v_add_f32_e32 v9, v5, v9
	s_delay_alu instid0(VALU_DEP_2) | instskip(NEXT) | instid1(VALU_DEP_1)
	v_add_f32_e32 v5, v5, v7
	v_add_f32_e32 v58, v8, v5
	s_delay_alu instid0(VALU_DEP_1) | instskip(NEXT) | instid1(VALU_DEP_4)
	v_sub_f32_e32 v8, v8, v58
	v_add_f32_e32 v57, v56, v9
	s_delay_alu instid0(VALU_DEP_1) | instskip(NEXT) | instid1(VALU_DEP_2)
	v_rcp_f32_e32 v7, v57
	v_dual_sub_f32 v56, v56, v57 :: v_dual_add_f32 v5, v5, v8
	s_delay_alu instid0(VALU_DEP_1) | instskip(SKIP_2) | instid1(VALU_DEP_1)
	v_add_f32_e32 v9, v9, v56
	s_waitcnt_depctr 0xfff
	v_mul_f32_e32 v59, v58, v7
	v_mul_f32_e32 v60, v57, v59
	s_delay_alu instid0(VALU_DEP_1) | instskip(NEXT) | instid1(VALU_DEP_1)
	v_fma_f32 v56, v59, v57, -v60
	v_fmac_f32_e32 v56, v59, v9
	s_delay_alu instid0(VALU_DEP_1) | instskip(NEXT) | instid1(VALU_DEP_1)
	v_add_f32_e32 v61, v60, v56
	v_sub_f32_e32 v62, v58, v61
	v_sub_f32_e32 v8, v61, v60
	s_delay_alu instid0(VALU_DEP_2) | instskip(NEXT) | instid1(VALU_DEP_1)
	v_sub_f32_e32 v58, v58, v62
	v_sub_f32_e32 v58, v58, v61
	s_delay_alu instid0(VALU_DEP_1) | instskip(NEXT) | instid1(VALU_DEP_1)
	v_dual_sub_f32 v8, v8, v56 :: v_dual_add_f32 v5, v5, v58
	v_add_f32_e32 v5, v8, v5
	s_delay_alu instid0(VALU_DEP_1) | instskip(NEXT) | instid1(VALU_DEP_1)
	v_add_f32_e32 v8, v62, v5
	v_mul_f32_e32 v56, v7, v8
	v_sub_f32_e32 v61, v62, v8
	s_delay_alu instid0(VALU_DEP_2) | instskip(NEXT) | instid1(VALU_DEP_2)
	v_mul_f32_e32 v58, v57, v56
	v_add_f32_e32 v5, v5, v61
	s_delay_alu instid0(VALU_DEP_2) | instskip(NEXT) | instid1(VALU_DEP_1)
	v_fma_f32 v57, v56, v57, -v58
	v_fmac_f32_e32 v57, v56, v9
	s_delay_alu instid0(VALU_DEP_1) | instskip(NEXT) | instid1(VALU_DEP_1)
	v_add_f32_e32 v9, v58, v57
	v_sub_f32_e32 v60, v8, v9
	s_delay_alu instid0(VALU_DEP_1) | instskip(NEXT) | instid1(VALU_DEP_1)
	v_sub_f32_e32 v8, v8, v60
	v_sub_f32_e32 v8, v8, v9
	s_delay_alu instid0(VALU_DEP_1) | instskip(SKIP_2) | instid1(VALU_DEP_1)
	v_add_f32_e32 v5, v5, v8
	v_add_f32_e32 v8, v59, v56
	v_sub_f32_e32 v58, v9, v58
	v_sub_f32_e32 v9, v58, v57
	s_delay_alu instid0(VALU_DEP_1) | instskip(NEXT) | instid1(VALU_DEP_4)
	v_add_f32_e32 v5, v9, v5
	v_sub_f32_e32 v9, v8, v59
	s_delay_alu instid0(VALU_DEP_2) | instskip(NEXT) | instid1(VALU_DEP_2)
	v_add_f32_e32 v5, v60, v5
	v_sub_f32_e32 v9, v56, v9
	s_delay_alu instid0(VALU_DEP_2) | instskip(NEXT) | instid1(VALU_DEP_1)
	v_mul_f32_e32 v5, v7, v5
	v_add_f32_e32 v5, v9, v5
	s_delay_alu instid0(VALU_DEP_1) | instskip(NEXT) | instid1(VALU_DEP_1)
	v_add_f32_e32 v7, v8, v5
	v_mul_f32_e32 v9, v7, v7
	s_delay_alu instid0(VALU_DEP_1) | instskip(SKIP_1) | instid1(VALU_DEP_2)
	v_fmaak_f32 v56, s67, v9, 0x3ecc95a3
	v_mul_f32_e32 v57, v7, v9
	v_fmaak_f32 v9, v9, v56, 0x3f2aaada
	v_ldexp_f32 v56, v7, 1
	v_sub_f32_e32 v7, v7, v8
	s_delay_alu instid0(VALU_DEP_3) | instskip(SKIP_1) | instid1(VALU_DEP_2)
	v_mul_f32_e32 v9, v57, v9
	v_mul_f32_e32 v57, 0x3f317218, v4
	v_dual_sub_f32 v5, v5, v7 :: v_dual_add_f32 v8, v56, v9
	s_delay_alu instid0(VALU_DEP_1) | instskip(NEXT) | instid1(VALU_DEP_2)
	v_ldexp_f32 v5, v5, 1
	v_sub_f32_e32 v7, v8, v56
	s_delay_alu instid0(VALU_DEP_4) | instskip(NEXT) | instid1(VALU_DEP_1)
	v_fma_f32 v56, 0x3f317218, v4, -v57
	v_dual_sub_f32 v7, v9, v7 :: v_dual_fmac_f32 v56, 0xb102e308, v4
	s_delay_alu instid0(VALU_DEP_1) | instskip(NEXT) | instid1(VALU_DEP_1)
	v_add_f32_e32 v4, v5, v7
	v_add_f32_e32 v7, v8, v4
	s_delay_alu instid0(VALU_DEP_1) | instskip(NEXT) | instid1(VALU_DEP_1)
	v_sub_f32_e32 v8, v7, v8
	v_sub_f32_e32 v4, v4, v8
	v_add_f32_e32 v5, v57, v56
	s_delay_alu instid0(VALU_DEP_1) | instskip(SKIP_1) | instid1(VALU_DEP_2)
	v_add_f32_e32 v9, v5, v7
	v_sub_f32_e32 v57, v5, v57
	v_sub_f32_e32 v58, v9, v5
	s_delay_alu instid0(VALU_DEP_1) | instskip(NEXT) | instid1(VALU_DEP_1)
	v_dual_sub_f32 v56, v56, v57 :: v_dual_sub_f32 v59, v9, v58
	v_dual_sub_f32 v7, v7, v58 :: v_dual_add_f32 v8, v56, v4
	s_delay_alu instid0(VALU_DEP_2) | instskip(NEXT) | instid1(VALU_DEP_1)
	v_sub_f32_e32 v5, v5, v59
	v_add_f32_e32 v5, v7, v5
	s_delay_alu instid0(VALU_DEP_3) | instskip(NEXT) | instid1(VALU_DEP_2)
	v_sub_f32_e32 v7, v8, v56
	v_add_f32_e32 v5, v8, v5
	s_delay_alu instid0(VALU_DEP_2) | instskip(NEXT) | instid1(VALU_DEP_2)
	v_sub_f32_e32 v8, v8, v7
	v_dual_sub_f32 v4, v4, v7 :: v_dual_add_f32 v57, v9, v5
	s_delay_alu instid0(VALU_DEP_1) | instskip(NEXT) | instid1(VALU_DEP_1)
	v_dual_sub_f32 v8, v56, v8 :: v_dual_sub_f32 v7, v57, v9
	v_dual_add_f32 v4, v4, v8 :: v_dual_sub_f32 v5, v5, v7
	s_delay_alu instid0(VALU_DEP_1) | instskip(NEXT) | instid1(VALU_DEP_1)
	v_add_f32_e32 v4, v4, v5
	v_add_f32_e32 v4, v57, v4
	s_delay_alu instid0(VALU_DEP_1)
	v_cndmask_b32_e32 v64, v4, v6, vcc_lo
.LBB47_58:                              ;   in Loop: Header=BB47_12 Depth=1
	s_or_b32 exec_lo, exec_lo, s21
	v_and_b32_e32 v5, 0xffff0000, v2
	v_and_b32_e32 v7, 0xffff0000, v3
	v_lshlrev_b32_e32 v2, 16, v2
	v_lshlrev_b32_e32 v4, 16, v3
	v_and_b32_e32 v6, 0xffff0000, v0
	v_and_b32_e32 v3, 0xffff0000, v1
	v_lshlrev_b32_e32 v1, 16, v1
	v_dual_mul_f32 v59, s55, v2 :: v_dual_lshlrev_b32 v0, 16, v0
	s_delay_alu instid0(VALU_DEP_4) | instskip(NEXT) | instid1(VALU_DEP_3)
	v_dual_mul_f32 v57, s55, v4 :: v_dual_mul_f32 v58, s55, v6
	v_dual_mul_f32 v61, s55, v3 :: v_dual_mul_f32 v62, s55, v1
	v_mul_f32_e32 v56, s55, v5
	s_delay_alu instid0(VALU_DEP_4)
	v_dual_mul_f32 v60, s55, v7 :: v_dual_mul_f32 v63, s55, v0
	s_and_b32 vcc_lo, exec_lo, s64
	s_barrier
	buffer_gl0_inv
	s_cbranch_vccz .LBB47_122
; %bb.59:                               ;   in Loop: Header=BB47_12 Depth=1
	v_dual_mul_f32 v65, v64, v7 :: v_dual_mul_f32 v70, v55, v4
	v_add_co_u32 v7, s20, s41, v47
	s_delay_alu instid0(VALU_DEP_1) | instskip(SKIP_1) | instid1(VALU_DEP_1)
	v_add_co_ci_u32_e64 v8, null, s51, 0, s20
	v_add_co_u32 v9, s20, s45, v47
	v_add_co_ci_u32_e64 v69, null, s48, 0, s20
	s_delay_alu instid0(VALU_DEP_4) | instskip(NEXT) | instid1(VALU_DEP_4)
	v_add_co_u32 v66, vcc_lo, v7, v48
	v_add_co_ci_u32_e32 v67, vcc_lo, 0, v8, vcc_lo
	s_delay_alu instid0(VALU_DEP_4) | instskip(NEXT) | instid1(VALU_DEP_4)
	v_add_co_u32 v68, vcc_lo, v9, v48
	v_add_co_ci_u32_e32 v69, vcc_lo, 0, v69, vcc_lo
	v_cmp_gt_u32_e32 vcc_lo, s23, v10
	s_cmp_lg_u32 s69, 0
	v_cmp_gt_u32_e64 s21, s23, v40
	s_cselect_b32 s31, -1, 0
	s_cmp_eq_u32 s69, s66
	v_cmp_gt_u32_e64 s22, s23, v41
	s_cselect_b32 s70, -1, 0
	s_or_b32 s20, s65, vcc_lo
	v_cmp_gt_u32_e32 vcc_lo, s23, v42
	v_cmp_gt_u32_e64 s24, s23, v43
	v_cmp_gt_u32_e64 s25, s23, v44
	;; [unrolled: 1-line block ×4, first 2 shown]
	v_dual_mul_f32 v71, v54, v5 :: v_dual_mul_f32 v72, v53, v2
	v_dual_mul_f32 v73, v52, v3 :: v_dual_mul_f32 v74, v51, v1
	;; [unrolled: 1-line block ×3, first 2 shown]
	s_mov_b32 s52, 0
	s_or_b32 s21, s65, s21
	s_or_b32 s22, s65, s22
	s_or_b32 s23, s65, vcc_lo
	s_or_b32 s24, s65, s24
	s_or_b32 s25, s65, s25
	;; [unrolled: 1-line block ×4, first 2 shown]
	s_mov_b32 s38, s52
	s_mov_b32 s42, s52
	;; [unrolled: 1-line block ×5, first 2 shown]
	s_branch .LBB47_61
.LBB47_60:                              ;   in Loop: Header=BB47_61 Depth=2
	s_or_b32 exec_lo, exec_lo, s28
	v_cndmask_b32_e64 v5, v94, v7, s11
	v_cndmask_b32_e64 v6, v93, v6, s11
	s_add_i32 s71, s71, -1
	s_add_i32 s72, s72, 8
	s_add_i32 s46, s46, s50
	v_fma_f32 v5, v5, v82, v80
	v_mul_f32_e32 v6, v6, v82
	s_add_i32 s42, s42, s44
	s_add_i32 s38, s38, s40
	;; [unrolled: 1-line block ×3, first 2 shown]
	v_cndmask_b32_e64 v5, v5, v80, s10
	v_cndmask_b32_e64 v6, v6, v82, s10
	s_cmp_eq_u32 s71, 0
	s_waitcnt lgkmcnt(0)
	s_delay_alu instid0(VALU_DEP_1) | instskip(NEXT) | instid1(VALU_DEP_1)
	v_dual_fmac_f32 v5, v4, v6 :: v_dual_and_b32 v4, 0xffff0000, v0
	v_fmac_f32_e32 v77, v5, v83
	s_delay_alu instid0(VALU_DEP_1) | instskip(SKIP_1) | instid1(VALU_DEP_1)
	v_dual_fmac_f32 v58, v77, v4 :: v_dual_and_b32 v7, 0xffff0000, v2
	v_fmac_f32_e32 v78, v77, v85
	v_dual_fmac_f32 v79, v78, v86 :: v_dual_and_b32 v6, 0xffff0000, v1
	s_delay_alu instid0(VALU_DEP_1) | instskip(SKIP_1) | instid1(VALU_DEP_3)
	v_fmac_f32_e32 v81, v79, v88
	v_lshlrev_b32_e32 v1, 16, v1
	v_dual_fmac_f32 v61, v79, v6 :: v_dual_and_b32 v8, 0xffff0000, v3
	s_delay_alu instid0(VALU_DEP_3) | instskip(SKIP_1) | instid1(VALU_DEP_4)
	v_fmac_f32_e32 v84, v81, v92
	v_lshlrev_b32_e32 v0, 16, v0
	v_dual_fmac_f32 v62, v78, v1 :: v_dual_lshlrev_b32 v3, 16, v3
	s_delay_alu instid0(VALU_DEP_3) | instskip(NEXT) | instid1(VALU_DEP_3)
	v_fmac_f32_e32 v87, v84, v90
	v_dual_fmac_f32 v63, v5, v0 :: v_dual_lshlrev_b32 v2, 16, v2
	v_fmac_f32_e32 v56, v84, v7
	s_delay_alu instid0(VALU_DEP_3) | instskip(NEXT) | instid1(VALU_DEP_3)
	v_fmac_f32_e32 v89, v87, v91
	v_fmac_f32_e32 v59, v81, v2
	s_delay_alu instid0(VALU_DEP_2)
	v_dual_fmac_f32 v57, v87, v3 :: v_dual_fmac_f32 v60, v89, v8
	s_cbranch_scc1 .LBB47_122
.LBB47_61:                              ;   Parent Loop BB47_12 Depth=1
                                        ; =>  This Inner Loop Header: Depth=2
	s_lshl_b64 s[28:29], s[52:53], 2
	s_mov_b32 s39, s53
	s_add_u32 s28, s59, s28
	s_addc_u32 s29, s60, s29
	v_dual_mov_b32 v2, 0 :: v_dual_mov_b32 v3, 0
	global_load_b32 v77, v13, s[28:29]
	s_lshl_b64 s[28:29], s[38:39], 1
	s_delay_alu instid0(SALU_CYCLE_1)
	v_add_co_u32 v0, vcc_lo, v66, s28
	v_add_co_ci_u32_e32 v1, vcc_lo, s29, v67, vcc_lo
	s_and_saveexec_b32 s28, s12
	s_cbranch_execz .LBB47_63
; %bb.62:                               ;   in Loop: Header=BB47_61 Depth=2
	global_load_u16 v3, v[0:1], off
.LBB47_63:                              ;   in Loop: Header=BB47_61 Depth=2
	s_or_b32 exec_lo, exec_lo, s28
	s_and_saveexec_b32 s28, s13
	s_cbranch_execz .LBB47_65
; %bb.64:                               ;   in Loop: Header=BB47_61 Depth=2
	global_load_u16 v2, v[0:1], off offset:64
.LBB47_65:                              ;   in Loop: Header=BB47_61 Depth=2
	s_or_b32 exec_lo, exec_lo, s28
	v_dual_mov_b32 v4, 0 :: v_dual_mov_b32 v5, 0
	s_and_saveexec_b32 s28, s14
	s_cbranch_execz .LBB47_67
; %bb.66:                               ;   in Loop: Header=BB47_61 Depth=2
	global_load_u16 v5, v[0:1], off offset:128
.LBB47_67:                              ;   in Loop: Header=BB47_61 Depth=2
	s_or_b32 exec_lo, exec_lo, s28
	s_and_saveexec_b32 s28, s15
	s_cbranch_execz .LBB47_69
; %bb.68:                               ;   in Loop: Header=BB47_61 Depth=2
	global_load_u16 v4, v[0:1], off offset:192
.LBB47_69:                              ;   in Loop: Header=BB47_61 Depth=2
	s_or_b32 exec_lo, exec_lo, s28
	v_dual_mov_b32 v6, 0 :: v_dual_mov_b32 v7, 0
	s_and_saveexec_b32 s28, s16
	s_cbranch_execz .LBB47_71
; %bb.70:                               ;   in Loop: Header=BB47_61 Depth=2
	global_load_u16 v7, v[0:1], off offset:256
.LBB47_71:                              ;   in Loop: Header=BB47_61 Depth=2
	;; [unrolled: 13-line block ×3, first 2 shown]
	s_or_b32 exec_lo, exec_lo, s28
	s_and_saveexec_b32 s28, s19
	s_cbranch_execz .LBB47_77
; %bb.76:                               ;   in Loop: Header=BB47_61 Depth=2
	global_load_u16 v8, v[0:1], off offset:448
.LBB47_77:                              ;   in Loop: Header=BB47_61 Depth=2
	s_or_b32 exec_lo, exec_lo, s28
	s_waitcnt vmcnt(0)
	ds_store_b16 v20, v3
	ds_store_b16 v20, v2 offset:64
	ds_store_b16 v21, v5 offset:128
	;; [unrolled: 1-line block ×7, first 2 shown]
	; wave barrier
	ds_load_b128 v[4:7], v27
	s_mov_b32 s43, s53
	v_dual_mov_b32 v2, 0 :: v_dual_mov_b32 v3, 0
	s_lshl_b64 s[28:29], s[42:43], 1
	s_delay_alu instid0(SALU_CYCLE_1)
	v_add_co_u32 v0, vcc_lo, v68, s28
	v_add_co_ci_u32_e32 v1, vcc_lo, s29, v69, vcc_lo
	s_and_saveexec_b32 s28, s12
	s_cbranch_execz .LBB47_79
; %bb.78:                               ;   in Loop: Header=BB47_61 Depth=2
	global_load_u16 v3, v[0:1], off
.LBB47_79:                              ;   in Loop: Header=BB47_61 Depth=2
	s_or_b32 exec_lo, exec_lo, s28
	s_and_saveexec_b32 s28, s13
	s_cbranch_execz .LBB47_81
; %bb.80:                               ;   in Loop: Header=BB47_61 Depth=2
	global_load_u16 v2, v[0:1], off offset:64
.LBB47_81:                              ;   in Loop: Header=BB47_61 Depth=2
	s_or_b32 exec_lo, exec_lo, s28
	v_dual_mov_b32 v8, 0 :: v_dual_mov_b32 v9, 0
	s_and_saveexec_b32 s28, s14
	s_cbranch_execz .LBB47_83
; %bb.82:                               ;   in Loop: Header=BB47_61 Depth=2
	global_load_u16 v9, v[0:1], off offset:128
.LBB47_83:                              ;   in Loop: Header=BB47_61 Depth=2
	s_or_b32 exec_lo, exec_lo, s28
	s_and_saveexec_b32 s28, s15
	s_cbranch_execz .LBB47_85
; %bb.84:                               ;   in Loop: Header=BB47_61 Depth=2
	global_load_u16 v8, v[0:1], off offset:192
.LBB47_85:                              ;   in Loop: Header=BB47_61 Depth=2
	s_or_b32 exec_lo, exec_lo, s28
	v_dual_mov_b32 v78, 0 :: v_dual_mov_b32 v79, 0
	s_and_saveexec_b32 s28, s16
	s_cbranch_execz .LBB47_87
; %bb.86:                               ;   in Loop: Header=BB47_61 Depth=2
	global_load_u16 v79, v[0:1], off offset:256
.LBB47_87:                              ;   in Loop: Header=BB47_61 Depth=2
	;; [unrolled: 13-line block ×3, first 2 shown]
	s_or_b32 exec_lo, exec_lo, s28
	s_and_saveexec_b32 s28, s19
	s_cbranch_execz .LBB47_93
; %bb.92:                               ;   in Loop: Header=BB47_61 Depth=2
	global_load_u16 v80, v[0:1], off offset:448
.LBB47_93:                              ;   in Loop: Header=BB47_61 Depth=2
	s_or_b32 exec_lo, exec_lo, s28
	s_waitcnt vmcnt(0)
	ds_store_b16 v20, v3 offset:1056
	ds_store_b16 v28, v2 offset:64
	;; [unrolled: 1-line block ×8, first 2 shown]
	; wave barrier
	ds_load_b128 v[0:3], v27 offset:1056
	s_and_not1_b32 vcc_lo, exec_lo, s31
	s_cbranch_vccnz .LBB47_95
; %bb.94:                               ;   in Loop: Header=BB47_61 Depth=2
	v_mov_b32_e32 v8, s72
	ds_load_b64 v[8:9], v8
	s_cbranch_execz .LBB47_96
	s_branch .LBB47_99
.LBB47_95:                              ;   in Loop: Header=BB47_61 Depth=2
                                        ; implicit-def: $vgpr8
.LBB47_96:                              ;   in Loop: Header=BB47_61 Depth=2
	s_waitcnt lgkmcnt(0)
	v_mov_b32_e32 v9, 0
	s_and_not1_b32 vcc_lo, exec_lo, s33
	s_cbranch_vccnz .LBB47_98
; %bb.97:                               ;   in Loop: Header=BB47_61 Depth=2
	s_mov_b32 s47, s53
	s_delay_alu instid0(SALU_CYCLE_1) | instskip(NEXT) | instid1(SALU_CYCLE_1)
	s_lshl_b64 s[28:29], s[46:47], 2
	s_add_u32 s28, s49, s28
	s_addc_u32 s29, s61, s29
	global_load_b32 v9, v13, s[28:29]
.LBB47_98:                              ;   in Loop: Header=BB47_61 Depth=2
	v_mov_b32_e32 v8, 1.0
.LBB47_99:                              ;   in Loop: Header=BB47_61 Depth=2
	v_mul_f32_e32 v87, 0x3fb8aa3b, v77
	s_waitcnt lgkmcnt(9)
	v_lshlrev_b32_e32 v77, 16, v4
	v_and_b32_e32 v4, 0xffff0000, v4
	s_delay_alu instid0(VALU_DEP_1) | instskip(SKIP_1) | instid1(VALU_DEP_4)
	v_mul_f32_e32 v4, v75, v4
	v_mul_f32_e32 v78, v87, v49
	v_mul_f32_e32 v77, v76, v77
	v_dual_mul_f32 v80, v87, v50 :: v_dual_lshlrev_b32 v79, 16, v5
	v_mul_f32_e32 v82, v87, v51
	s_delay_alu instid0(VALU_DEP_4) | instskip(SKIP_1) | instid1(VALU_DEP_4)
	v_cmp_gt_f32_e32 vcc_lo, 0xc2fc0000, v78
	v_dual_mul_f32 v84, v87, v52 :: v_dual_lshlrev_b32 v89, 16, v7
	v_cmp_gt_f32_e64 s28, 0xc2fc0000, v80
	s_delay_alu instid0(VALU_DEP_4)
	v_cmp_gt_f32_e64 s29, 0xc2fc0000, v82
	v_cndmask_b32_e64 v78, 0, 0x42800000, vcc_lo
	v_lshlrev_b32_e32 v81, 16, v6
	v_cndmask_b32_e64 v85, 1.0, 0x1f800000, vcc_lo
	v_cndmask_b32_e64 v80, 0, 0x42800000, s28
	v_and_b32_e32 v5, 0xffff0000, v5
	v_fmac_f32_e32 v78, v87, v49
	v_cndmask_b32_e64 v82, 0, 0x42800000, s29
	v_cndmask_b32_e64 v86, 1.0, 0x1f800000, s28
	v_fmac_f32_e32 v80, v87, v50
	v_cmp_gt_f32_e32 vcc_lo, 0xc2fc0000, v84
	v_exp_f32_e32 v78, v78
	v_and_b32_e32 v7, 0xffff0000, v7
	v_dual_fmac_f32 v82, v87, v51 :: v_dual_mul_f32 v5, v73, v5
	v_exp_f32_e32 v83, v80
	v_cndmask_b32_e64 v80, 0, v77, s20
	v_cndmask_b32_e64 v77, 0, v4, s21
	v_cndmask_b32_e64 v84, 0, 0x42800000, vcc_lo
	v_dual_mul_f32 v79, v74, v79 :: v_dual_and_b32 v6, 0xffff0000, v6
	s_delay_alu instid0(TRANS32_DEP_2) | instskip(SKIP_1) | instid1(VALU_DEP_3)
	v_mul_f32_e32 v4, v78, v85
	v_exp_f32_e32 v85, v82
	v_dual_fmac_f32 v84, v87, v52 :: v_dual_mul_f32 v89, v70, v89
	s_delay_alu instid0(TRANS32_DEP_2) | instskip(NEXT) | instid1(VALU_DEP_3)
	v_dual_mul_f32 v78, v83, v86 :: v_dual_mul_f32 v81, v72, v81
	v_cndmask_b32_e64 v82, 1.0, v4, s20
	v_dual_mul_f32 v4, v87, v53 :: v_dual_mul_f32 v7, v65, v7
	s_delay_alu instid0(VALU_DEP_3) | instskip(SKIP_2) | instid1(VALU_DEP_4)
	v_cndmask_b32_e64 v83, 1.0, v78, s21
	v_cndmask_b32_e64 v78, 1.0, 0x1f800000, s29
	v_mul_f32_e32 v86, v87, v54
	v_cmp_gt_f32_e64 s28, 0xc2fc0000, v4
	v_exp_f32_e32 v84, v84
	v_mul_f32_e32 v91, v87, v64
	v_mul_f32_e32 v85, v85, v78
	v_cndmask_b32_e64 v78, 0, v79, s22
	v_cndmask_b32_e64 v4, 0, 0x42800000, s28
	v_cndmask_b32_e64 v79, 1.0, 0x1f800000, vcc_lo
	v_cmp_gt_f32_e32 vcc_lo, 0xc2fc0000, v86
	v_mul_f32_e32 v6, v71, v6
	v_cndmask_b32_e64 v85, 1.0, v85, s22
	v_fmac_f32_e32 v4, v87, v53
	v_mul_f32_e32 v84, v84, v79
	v_cndmask_b32_e64 v88, 0, 0x42800000, vcc_lo
	v_cndmask_b32_e64 v79, 0, v5, s23
	v_cndmask_b32_e64 v5, 1.0, 0x1f800000, s28
	v_exp_f32_e32 v4, v4
	v_cndmask_b32_e64 v86, 1.0, v84, s23
	v_fmac_f32_e32 v88, v87, v54
	v_cmp_gt_f32_e64 s28, 0xc2fc0000, v91
	v_fma_f32 v91, v83, v80, v77
	v_cndmask_b32_e64 v81, 0, v81, s24
	s_delay_alu instid0(VALU_DEP_4) | instskip(SKIP_1) | instid1(TRANS32_DEP_2)
	v_exp_f32_e32 v84, v88
	v_mul_f32_e32 v88, v87, v55
	v_mul_f32_e32 v4, v4, v5
	v_cndmask_b32_e64 v5, 1.0, 0x1f800000, vcc_lo
	s_delay_alu instid0(VALU_DEP_3) | instskip(NEXT) | instid1(VALU_DEP_3)
	v_cmp_gt_f32_e32 vcc_lo, 0xc2fc0000, v88
	v_cndmask_b32_e64 v88, 1.0, v4, s24
	s_waitcnt_depctr 0xfff
	v_mul_f32_e32 v4, v84, v5
	v_cndmask_b32_e64 v90, 0, 0x42800000, vcc_lo
	v_cndmask_b32_e64 v84, 0, v6, s25
	v_cndmask_b32_e64 v5, 0, 0x42800000, s28
	v_mul_f32_e32 v6, v83, v82
	v_cndmask_b32_e64 v92, 1.0, v4, s25
	v_fmac_f32_e32 v90, v87, v55
	s_delay_alu instid0(VALU_DEP_3) | instskip(SKIP_1) | instid1(VALU_DEP_3)
	v_dual_fmac_f32 v5, v87, v64 :: v_dual_mul_f32 v4, v6, v85
	v_fma_f32 v6, v91, v85, v78
	v_exp_f32_e32 v90, v90
	v_cndmask_b32_e64 v87, 1.0, 0x1f800000, vcc_lo
	s_delay_alu instid0(VALU_DEP_3) | instskip(SKIP_2) | instid1(VALU_DEP_2)
	v_exp_f32_e32 v5, v5
	v_mul_f32_e32 v4, v4, v86
	v_fma_f32 v6, v6, v86, v79
	v_mul_f32_e32 v4, v4, v88
	s_delay_alu instid0(VALU_DEP_2) | instskip(NEXT) | instid1(TRANS32_DEP_2)
	v_fma_f32 v6, v6, v88, v81
	v_mul_f32_e32 v90, v90, v87
	v_cndmask_b32_e64 v87, 0, v89, s26
	v_cndmask_b32_e64 v89, 1.0, 0x1f800000, s28
	v_mul_f32_e32 v4, v4, v92
	v_fma_f32 v6, v6, v92, v84
	v_cndmask_b32_e64 v90, 1.0, v90, s26
	s_delay_alu instid0(VALU_DEP_4) | instskip(SKIP_1) | instid1(VALU_DEP_3)
	v_mul_f32_e32 v5, v5, v89
	v_cndmask_b32_e64 v89, 0, v7, s27
	v_mul_f32_e32 v4, v4, v90
	s_delay_alu instid0(VALU_DEP_3) | instskip(SKIP_1) | instid1(VALU_DEP_2)
	v_cndmask_b32_e64 v91, 1.0, v5, s27
	v_fma_f32 v5, v6, v90, v87
	v_mul_f32_e32 v4, v4, v91
	s_delay_alu instid0(VALU_DEP_2) | instskip(NEXT) | instid1(VALU_DEP_2)
	v_fma_f32 v5, v5, v91, v89
	v_mov_b32_dpp v7, v4 row_shr:1 row_mask:0xf bank_mask:0xf
	s_delay_alu instid0(VALU_DEP_2)
	v_mov_b32_dpp v6, v5 row_shr:1 row_mask:0xf bank_mask:0xf
	s_and_saveexec_b32 s28, s0
; %bb.100:                              ;   in Loop: Header=BB47_61 Depth=2
	s_delay_alu instid0(VALU_DEP_2) | instskip(NEXT) | instid1(VALU_DEP_1)
	v_mul_f32_e32 v7, v4, v7
	v_dual_fmac_f32 v5, v4, v6 :: v_dual_mov_b32 v4, v7
; %bb.101:                              ;   in Loop: Header=BB47_61 Depth=2
	s_or_b32 exec_lo, exec_lo, s28
	s_delay_alu instid0(VALU_DEP_1) | instskip(NEXT) | instid1(VALU_DEP_2)
	v_mov_b32_dpp v6, v4 row_shr:2 row_mask:0xf bank_mask:0xf
	v_mov_b32_dpp v7, v5 row_shr:2 row_mask:0xf bank_mask:0xf
	s_and_saveexec_b32 s28, s1
; %bb.102:                              ;   in Loop: Header=BB47_61 Depth=2
	s_delay_alu instid0(VALU_DEP_1) | instskip(NEXT) | instid1(VALU_DEP_3)
	v_fmac_f32_e32 v5, v4, v7
	v_mul_f32_e32 v4, v4, v6
; %bb.103:                              ;   in Loop: Header=BB47_61 Depth=2
	s_or_b32 exec_lo, exec_lo, s28
	s_delay_alu instid0(VALU_DEP_1) | instskip(NEXT) | instid1(VALU_DEP_3)
	v_mov_b32_dpp v6, v4 row_shr:4 row_mask:0xf bank_mask:0xf
	v_mov_b32_dpp v7, v5 row_shr:4 row_mask:0xf bank_mask:0xf
	s_and_saveexec_b32 s28, s2
; %bb.104:                              ;   in Loop: Header=BB47_61 Depth=2
	s_delay_alu instid0(VALU_DEP_1) | instskip(NEXT) | instid1(VALU_DEP_3)
	v_fmac_f32_e32 v5, v4, v7
	v_mul_f32_e32 v4, v4, v6
; %bb.105:                              ;   in Loop: Header=BB47_61 Depth=2
	s_or_b32 exec_lo, exec_lo, s28
	s_delay_alu instid0(VALU_DEP_1) | instskip(NEXT) | instid1(VALU_DEP_3)
	v_mov_b32_dpp v6, v4 row_shr:8 row_mask:0xf bank_mask:0xf
	v_mov_b32_dpp v7, v5 row_shr:8 row_mask:0xf bank_mask:0xf
	s_and_saveexec_b32 s28, s3
; %bb.106:                              ;   in Loop: Header=BB47_61 Depth=2
	s_delay_alu instid0(VALU_DEP_1) | instskip(NEXT) | instid1(VALU_DEP_3)
	v_fmac_f32_e32 v5, v4, v7
	v_mul_f32_e32 v4, v4, v6
; %bb.107:                              ;   in Loop: Header=BB47_61 Depth=2
	s_or_b32 exec_lo, exec_lo, s28
	ds_swizzle_b32 v7, v4 offset:swizzle(BROADCAST,32,15)
	ds_swizzle_b32 v6, v5 offset:swizzle(BROADCAST,32,15)
	s_and_saveexec_b32 s28, s4
	s_cbranch_execz .LBB47_109
; %bb.108:                              ;   in Loop: Header=BB47_61 Depth=2
	s_waitcnt lgkmcnt(1)
	v_mul_f32_e32 v7, v4, v7
	s_waitcnt lgkmcnt(0)
	s_delay_alu instid0(VALU_DEP_1)
	v_dual_fmac_f32 v5, v4, v6 :: v_dual_mov_b32 v4, v7
.LBB47_109:                             ;   in Loop: Header=BB47_61 Depth=2
	s_or_b32 exec_lo, exec_lo, s28
	s_and_saveexec_b32 s28, s5
	s_cbranch_execz .LBB47_111
; %bb.110:                              ;   in Loop: Header=BB47_61 Depth=2
	ds_store_b64 v35, v[4:5] offset:2112
.LBB47_111:                             ;   in Loop: Header=BB47_61 Depth=2
	s_or_b32 exec_lo, exec_lo, s28
	s_waitcnt vmcnt(0) lgkmcnt(0)
	s_waitcnt_vscnt null, 0x0
	s_barrier
	buffer_gl0_inv
	s_and_saveexec_b32 s28, s6
	s_cbranch_execz .LBB47_113
; %bb.112:                              ;   in Loop: Header=BB47_61 Depth=2
	ds_load_b64 v[6:7], v36 offset:2112
	s_waitcnt lgkmcnt(0)
	v_mov_b32_dpp v93, v6 row_shr:1 row_mask:0xf bank_mask:0xf
	v_mov_b32_dpp v94, v7 row_shr:1 row_mask:0xf bank_mask:0xf
	s_delay_alu instid0(VALU_DEP_2) | instskip(NEXT) | instid1(VALU_DEP_2)
	v_mul_f32_e32 v93, v6, v93
	v_fma_f32 v94, v6, v94, v7
	s_delay_alu instid0(VALU_DEP_2) | instskip(NEXT) | instid1(VALU_DEP_2)
	v_cndmask_b32_e64 v6, v93, v6, s7
	v_cndmask_b32_e64 v7, v94, v7, s7
	ds_store_b64 v36, v[6:7] offset:2112
.LBB47_113:                             ;   in Loop: Header=BB47_61 Depth=2
	s_or_b32 exec_lo, exec_lo, s28
	s_waitcnt lgkmcnt(0)
	s_barrier
	buffer_gl0_inv
                                        ; implicit-def: $vgpr7
	s_and_saveexec_b32 s28, s9
	s_cbranch_execz .LBB47_115
; %bb.114:                              ;   in Loop: Header=BB47_61 Depth=2
	ds_load_b64 v[6:7], v35 offset:2104
	s_waitcnt lgkmcnt(0)
	v_mul_f32_e32 v93, v4, v6
	s_delay_alu instid0(VALU_DEP_1)
	v_dual_fmac_f32 v5, v4, v7 :: v_dual_mov_b32 v4, v93
.LBB47_115:                             ;   in Loop: Header=BB47_61 Depth=2
	s_or_b32 exec_lo, exec_lo, s28
	ds_bpermute_b32 v93, v37, v4
	ds_bpermute_b32 v94, v37, v5
	s_and_saveexec_b32 s28, s8
	s_cbranch_execz .LBB47_119
; %bb.116:                              ;   in Loop: Header=BB47_61 Depth=2
	ds_load_b64 v[4:5], v13 offset:2120
	s_and_saveexec_b32 s29, s10
	s_cbranch_execz .LBB47_118
; %bb.117:                              ;   in Loop: Header=BB47_61 Depth=2
	ds_store_b64 v13, v[8:9] offset:2120
.LBB47_118:                             ;   in Loop: Header=BB47_61 Depth=2
	s_or_b32 exec_lo, exec_lo, s29
	s_waitcnt lgkmcnt(0)
	v_fmac_f32_e32 v5, v9, v4
	s_delay_alu instid0(VALU_DEP_1)
	v_dual_mul_f32 v8, v8, v4 :: v_dual_mov_b32 v9, v5
.LBB47_119:                             ;   in Loop: Header=BB47_61 Depth=2
	s_or_b32 exec_lo, exec_lo, s28
	s_waitcnt lgkmcnt(0)
	s_barrier
	buffer_gl0_inv
	ds_load_b32 v4, v13 offset:2124
	s_and_saveexec_b32 s28, s10
	s_cbranch_execz .LBB47_60
; %bb.120:                              ;   in Loop: Header=BB47_61 Depth=2
	v_mov_b32_e32 v5, s72
	s_and_not1_b32 vcc_lo, exec_lo, s70
	ds_store_b64 v5, v[8:9]
	s_cbranch_vccnz .LBB47_60
; %bb.121:                              ;   in Loop: Header=BB47_61 Depth=2
	s_mov_b32 s47, s53
	s_delay_alu instid0(SALU_CYCLE_1) | instskip(NEXT) | instid1(SALU_CYCLE_1)
	s_lshl_b64 s[74:75], s[46:47], 2
	s_add_u32 s74, s49, s74
	s_addc_u32 s75, s61, s75
	global_store_b32 v13, v9, s[74:75]
	s_branch .LBB47_60
.LBB47_122:                             ;   in Loop: Header=BB47_12 Depth=1
	v_bfe_u32 v0, v63, 16, 1
	v_bfe_u32 v2, v62, 16, 1
	;; [unrolled: 1-line block ×3, first 2 shown]
	v_cmp_o_f32_e32 vcc_lo, v63, v63
	v_bfe_u32 v4, v59, 16, 1
	v_add3_u32 v0, v63, v0, 0x7fff
	v_add3_u32 v2, v62, v2, 0x7fff
	;; [unrolled: 1-line block ×3, first 2 shown]
	v_bfe_u32 v5, v56, 16, 1
	v_bfe_u32 v6, v57, 16, 1
	v_lshrrev_b32_e32 v0, 16, v0
	v_lshrrev_b32_e32 v2, 16, v2
	;; [unrolled: 1-line block ×3, first 2 shown]
	v_bfe_u32 v7, v60, 16, 1
	v_add3_u32 v4, v59, v4, 0x7fff
	v_cndmask_b32_e32 v0, 0x7fc0, v0, vcc_lo
	v_cmp_o_f32_e32 vcc_lo, v62, v62
	v_add3_u32 v6, v57, v6, 0x7fff
	v_bfe_u32 v1, v58, 16, 1
	s_waitcnt_vscnt null, 0x0
	s_barrier
	v_cndmask_b32_e32 v8, 0x7fc0, v2, vcc_lo
	v_cmp_o_f32_e32 vcc_lo, v61, v61
	v_add3_u32 v2, v56, v5, 0x7fff
	v_add3_u32 v5, v60, v7, 0x7fff
	;; [unrolled: 1-line block ×3, first 2 shown]
	buffer_gl0_inv
	v_cndmask_b32_e32 v7, 0x7fc0, v3, vcc_lo
	v_lshrrev_b32_e32 v3, 16, v4
	v_cmp_o_f32_e32 vcc_lo, v59, v59
	v_lshrrev_b32_e32 v4, 16, v6
	v_lshrrev_b32_e32 v5, 16, v5
	;; [unrolled: 1-line block ×4, first 2 shown]
	v_cndmask_b32_e32 v6, 0x7fc0, v3, vcc_lo
	v_cmp_o_f32_e32 vcc_lo, v57, v57
	s_mov_b32 s31, s53
	s_delay_alu instid0(SALU_CYCLE_1) | instskip(SKIP_4) | instid1(VALU_DEP_2)
	s_lshl_b64 s[20:21], s[30:31], 1
	v_cndmask_b32_e32 v3, 0x7fc0, v4, vcc_lo
	v_cmp_o_f32_e32 vcc_lo, v60, v60
	v_cndmask_b32_e32 v4, 0x7fc0, v5, vcc_lo
	v_cmp_o_f32_e32 vcc_lo, v56, v56
	v_perm_b32 v3, v4, v3, 0x5040100
	v_cndmask_b32_e32 v2, 0x7fc0, v2, vcc_lo
	v_cmp_o_f32_e32 vcc_lo, v58, v58
	s_delay_alu instid0(VALU_DEP_2) | instskip(SKIP_2) | instid1(VALU_DEP_2)
	v_perm_b32 v2, v2, v6, 0x5040100
	v_cndmask_b32_e32 v5, 0x7fc0, v1, vcc_lo
	v_perm_b32 v1, v7, v8, 0x5040100
	v_perm_b32 v0, v5, v0, 0x5040100
	ds_store_b128 v27, v[0:3]
	; wave barrier
	ds_load_u16 v8, v20 offset:64
	ds_load_u16 v7, v21 offset:128
	;; [unrolled: 1-line block ×7, first 2 shown]
	v_add_co_u32 v0, vcc_lo, v38, s20
	v_add_co_ci_u32_e32 v1, vcc_lo, s21, v39, vcc_lo
	s_and_saveexec_b32 s20, s12
	s_cbranch_execnz .LBB47_132
; %bb.123:                              ;   in Loop: Header=BB47_12 Depth=1
	s_or_b32 exec_lo, exec_lo, s20
	s_and_saveexec_b32 s12, s13
	s_cbranch_execnz .LBB47_133
.LBB47_124:                             ;   in Loop: Header=BB47_12 Depth=1
	s_or_b32 exec_lo, exec_lo, s12
	s_and_saveexec_b32 s12, s14
	s_cbranch_execnz .LBB47_134
.LBB47_125:                             ;   in Loop: Header=BB47_12 Depth=1
	s_or_b32 exec_lo, exec_lo, s12
	s_and_saveexec_b32 s12, s15
	s_cbranch_execnz .LBB47_135
.LBB47_126:                             ;   in Loop: Header=BB47_12 Depth=1
	s_or_b32 exec_lo, exec_lo, s12
	s_and_saveexec_b32 s12, s16
	s_cbranch_execnz .LBB47_136
.LBB47_127:                             ;   in Loop: Header=BB47_12 Depth=1
	s_or_b32 exec_lo, exec_lo, s12
	s_and_saveexec_b32 s12, s17
	s_cbranch_execnz .LBB47_137
.LBB47_128:                             ;   in Loop: Header=BB47_12 Depth=1
	s_or_b32 exec_lo, exec_lo, s12
	s_and_saveexec_b32 s12, s18
	s_cbranch_execnz .LBB47_138
.LBB47_129:                             ;   in Loop: Header=BB47_12 Depth=1
	s_or_b32 exec_lo, exec_lo, s12
	s_and_saveexec_b32 s12, s19
	s_cbranch_execz .LBB47_11
	s_branch .LBB47_139
.LBB47_130:                             ;   in Loop: Header=BB47_12 Depth=1
	global_load_u16 v51, v[4:5], off offset:320
	s_or_b32 exec_lo, exec_lo, s20
	s_and_saveexec_b32 s20, s18
	s_cbranch_execz .LBB47_40
.LBB47_131:                             ;   in Loop: Header=BB47_12 Depth=1
	global_load_u16 v50, v[4:5], off offset:384
	s_or_b32 exec_lo, exec_lo, s20
	v_mov_b32_e32 v52, 0
	s_and_saveexec_b32 s20, s19
	s_cbranch_execnz .LBB47_41
	s_branch .LBB47_42
.LBB47_132:                             ;   in Loop: Header=BB47_12 Depth=1
	ds_load_u16 v9, v20
	s_waitcnt lgkmcnt(0)
	global_store_b16 v[0:1], v9, off
	s_or_b32 exec_lo, exec_lo, s20
	s_and_saveexec_b32 s12, s13
	s_cbranch_execz .LBB47_124
.LBB47_133:                             ;   in Loop: Header=BB47_12 Depth=1
	s_waitcnt lgkmcnt(6)
	global_store_b16 v[0:1], v8, off offset:64
	s_or_b32 exec_lo, exec_lo, s12
	s_and_saveexec_b32 s12, s14
	s_cbranch_execz .LBB47_125
.LBB47_134:                             ;   in Loop: Header=BB47_12 Depth=1
	s_waitcnt lgkmcnt(5)
	global_store_b16 v[0:1], v7, off offset:128
	s_or_b32 exec_lo, exec_lo, s12
	s_and_saveexec_b32 s12, s15
	s_cbranch_execz .LBB47_126
.LBB47_135:                             ;   in Loop: Header=BB47_12 Depth=1
	s_waitcnt lgkmcnt(4)
	global_store_b16 v[0:1], v6, off offset:192
	s_or_b32 exec_lo, exec_lo, s12
	s_and_saveexec_b32 s12, s16
	s_cbranch_execz .LBB47_127
.LBB47_136:                             ;   in Loop: Header=BB47_12 Depth=1
	s_waitcnt lgkmcnt(3)
	global_store_b16 v[0:1], v5, off offset:256
	s_or_b32 exec_lo, exec_lo, s12
	s_and_saveexec_b32 s12, s17
	s_cbranch_execz .LBB47_128
.LBB47_137:                             ;   in Loop: Header=BB47_12 Depth=1
	s_waitcnt lgkmcnt(2)
	global_store_b16 v[0:1], v4, off offset:320
	s_or_b32 exec_lo, exec_lo, s12
	s_and_saveexec_b32 s12, s18
	s_cbranch_execz .LBB47_129
.LBB47_138:                             ;   in Loop: Header=BB47_12 Depth=1
	s_waitcnt lgkmcnt(1)
	global_store_b16 v[0:1], v3, off offset:384
	s_or_b32 exec_lo, exec_lo, s12
	s_and_saveexec_b32 s12, s19
	s_cbranch_execz .LBB47_11
.LBB47_139:                             ;   in Loop: Header=BB47_12 Depth=1
	s_waitcnt lgkmcnt(0)
	global_store_b16 v[0:1], v2, off offset:448
	s_branch .LBB47_11
.LBB47_140:
	s_nop 0
	s_sendmsg sendmsg(MSG_DEALLOC_VGPRS)
	s_endpgm
	.section	.rodata,"a",@progbits
	.p2align	6, 0x0
	.amdhsa_kernel _Z25selective_scan_fwd_kernelI32Selective_Scan_fwd_kernel_traitsILi64ELi8ELi1ELb0ELb1ELb1ELb0ELb0EN3c108BFloat16EffEEv13SSMParamsBase
		.amdhsa_group_segment_fixed_size 0
		.amdhsa_private_segment_fixed_size 0
		.amdhsa_kernarg_size 248
		.amdhsa_user_sgpr_count 14
		.amdhsa_user_sgpr_dispatch_ptr 0
		.amdhsa_user_sgpr_queue_ptr 0
		.amdhsa_user_sgpr_kernarg_segment_ptr 1
		.amdhsa_user_sgpr_dispatch_id 0
		.amdhsa_user_sgpr_private_segment_size 0
		.amdhsa_wavefront_size32 1
		.amdhsa_uses_dynamic_stack 0
		.amdhsa_enable_private_segment 0
		.amdhsa_system_sgpr_workgroup_id_x 1
		.amdhsa_system_sgpr_workgroup_id_y 1
		.amdhsa_system_sgpr_workgroup_id_z 0
		.amdhsa_system_sgpr_workgroup_info 0
		.amdhsa_system_vgpr_workitem_id 0
		.amdhsa_next_free_vgpr 95
		.amdhsa_next_free_sgpr 76
		.amdhsa_reserve_vcc 1
		.amdhsa_float_round_mode_32 0
		.amdhsa_float_round_mode_16_64 0
		.amdhsa_float_denorm_mode_32 3
		.amdhsa_float_denorm_mode_16_64 3
		.amdhsa_dx10_clamp 1
		.amdhsa_ieee_mode 1
		.amdhsa_fp16_overflow 0
		.amdhsa_workgroup_processor_mode 1
		.amdhsa_memory_ordered 1
		.amdhsa_forward_progress 0
		.amdhsa_shared_vgpr_count 0
		.amdhsa_exception_fp_ieee_invalid_op 0
		.amdhsa_exception_fp_denorm_src 0
		.amdhsa_exception_fp_ieee_div_zero 0
		.amdhsa_exception_fp_ieee_overflow 0
		.amdhsa_exception_fp_ieee_underflow 0
		.amdhsa_exception_fp_ieee_inexact 0
		.amdhsa_exception_int_div_zero 0
	.end_amdhsa_kernel
	.section	.text._Z25selective_scan_fwd_kernelI32Selective_Scan_fwd_kernel_traitsILi64ELi8ELi1ELb0ELb1ELb1ELb0ELb0EN3c108BFloat16EffEEv13SSMParamsBase,"axG",@progbits,_Z25selective_scan_fwd_kernelI32Selective_Scan_fwd_kernel_traitsILi64ELi8ELi1ELb0ELb1ELb1ELb0ELb0EN3c108BFloat16EffEEv13SSMParamsBase,comdat
.Lfunc_end47:
	.size	_Z25selective_scan_fwd_kernelI32Selective_Scan_fwd_kernel_traitsILi64ELi8ELi1ELb0ELb1ELb1ELb0ELb0EN3c108BFloat16EffEEv13SSMParamsBase, .Lfunc_end47-_Z25selective_scan_fwd_kernelI32Selective_Scan_fwd_kernel_traitsILi64ELi8ELi1ELb0ELb1ELb1ELb0ELb0EN3c108BFloat16EffEEv13SSMParamsBase
                                        ; -- End function
	.section	.AMDGPU.csdata,"",@progbits
; Kernel info:
; codeLenInByte = 11796
; NumSgprs: 78
; NumVgprs: 95
; ScratchSize: 0
; MemoryBound: 0
; FloatMode: 240
; IeeeMode: 1
; LDSByteSize: 0 bytes/workgroup (compile time only)
; SGPRBlocks: 9
; VGPRBlocks: 11
; NumSGPRsForWavesPerEU: 78
; NumVGPRsForWavesPerEU: 95
; Occupancy: 16
; WaveLimiterHint : 0
; COMPUTE_PGM_RSRC2:SCRATCH_EN: 0
; COMPUTE_PGM_RSRC2:USER_SGPR: 14
; COMPUTE_PGM_RSRC2:TRAP_HANDLER: 0
; COMPUTE_PGM_RSRC2:TGID_X_EN: 1
; COMPUTE_PGM_RSRC2:TGID_Y_EN: 1
; COMPUTE_PGM_RSRC2:TGID_Z_EN: 0
; COMPUTE_PGM_RSRC2:TIDIG_COMP_CNT: 0
	.section	.text._Z25selective_scan_fwd_kernelI32Selective_Scan_fwd_kernel_traitsILi64ELi16ELi1ELb1ELb1ELb1ELb1ELb1EN3c108BFloat16EffEEv13SSMParamsBase,"axG",@progbits,_Z25selective_scan_fwd_kernelI32Selective_Scan_fwd_kernel_traitsILi64ELi16ELi1ELb1ELb1ELb1ELb1ELb1EN3c108BFloat16EffEEv13SSMParamsBase,comdat
	.protected	_Z25selective_scan_fwd_kernelI32Selective_Scan_fwd_kernel_traitsILi64ELi16ELi1ELb1ELb1ELb1ELb1ELb1EN3c108BFloat16EffEEv13SSMParamsBase ; -- Begin function _Z25selective_scan_fwd_kernelI32Selective_Scan_fwd_kernel_traitsILi64ELi16ELi1ELb1ELb1ELb1ELb1ELb1EN3c108BFloat16EffEEv13SSMParamsBase
	.globl	_Z25selective_scan_fwd_kernelI32Selective_Scan_fwd_kernel_traitsILi64ELi16ELi1ELb1ELb1ELb1ELb1ELb1EN3c108BFloat16EffEEv13SSMParamsBase
	.p2align	8
	.type	_Z25selective_scan_fwd_kernelI32Selective_Scan_fwd_kernel_traitsILi64ELi16ELi1ELb1ELb1ELb1ELb1ELb1EN3c108BFloat16EffEEv13SSMParamsBase,@function
_Z25selective_scan_fwd_kernelI32Selective_Scan_fwd_kernel_traitsILi64ELi16ELi1ELb1ELb1ELb1ELb1ELb1EN3c108BFloat16EffEEv13SSMParamsBase: ; @_Z25selective_scan_fwd_kernelI32Selective_Scan_fwd_kernel_traitsILi64ELi16ELi1ELb1ELb1ELb1ELb1ELb1EN3c108BFloat16EffEEv13SSMParamsBase
; %bb.0:
	s_clause 0x2
	s_load_b32 s11, s[0:1], 0x18
	s_load_b256 s[36:43], s[0:1], 0xc8
	s_load_b128 s[4:7], s[0:1], 0xe8
	s_mov_b32 s12, s15
	s_ashr_i32 s15, s14, 31
	s_mov_b32 s47, 0
	s_lshl_b64 s[8:9], s[14:15], 2
	s_waitcnt lgkmcnt(0)
	s_abs_i32 s10, s11
	s_add_u32 s2, s42, s8
	v_cvt_f32_u32_e32 v1, s10
	s_addc_u32 s3, s43, s9
	s_cmp_eq_u64 s[6:7], 0
	s_delay_alu instid0(VALU_DEP_1) | instskip(SKIP_2) | instid1(VALU_DEP_1)
	v_rcp_iflag_f32_e32 v1, v1
	s_waitcnt_depctr 0xfff
	v_mul_f32_e32 v1, 0x4f7ffffe, v1
	v_cvt_u32_f32_e32 v1, v1
	s_delay_alu instid0(VALU_DEP_1)
	v_readfirstlane_b32 s33, v1
	s_cbranch_scc1 .LBB48_2
; %bb.1:
	v_mov_b32_e32 v1, 0
	s_add_u32 s6, s6, s14
	s_addc_u32 s7, s7, s15
	global_load_u8 v1, v1, s[6:7]
	s_waitcnt vmcnt(0)
	v_and_b32_e32 v1, 1, v1
	s_delay_alu instid0(VALU_DEP_1)
	v_cmp_eq_u32_e64 s47, 1, v1
.LBB48_2:
	s_load_b64 s[6:7], s[0:1], 0x20
	s_cmp_eq_u64 s[4:5], 0
	s_cbranch_scc1 .LBB48_4
; %bb.3:
	s_add_u32 s4, s4, s8
	s_addc_u32 s5, s5, s9
	s_load_b32 s14, s[4:5], 0x0
	s_waitcnt lgkmcnt(0)
	s_ashr_i32 s15, s14, 31
.LBB48_4:
	s_waitcnt lgkmcnt(0)
	s_cmp_eq_u64 s[6:7], s[14:15]
	s_cbranch_scc1 .LBB48_300
; %bb.5:
	s_load_b512 s[16:31], s[0:1], 0x88
	s_load_b64 s[34:35], s[2:3], 0x0
	s_mov_b32 s66, 0
	s_mov_b32 s67, 0
	s_waitcnt lgkmcnt(0)
	s_cmp_eq_u64 s[22:23], 0
	s_cbranch_scc1 .LBB48_7
; %bb.6:
	s_ashr_i32 s13, s12, 31
	s_delay_alu instid0(SALU_CYCLE_1) | instskip(NEXT) | instid1(SALU_CYCLE_1)
	s_lshl_b64 s[2:3], s[12:13], 2
	s_add_u32 s2, s22, s2
	s_addc_u32 s3, s23, s3
	s_load_b32 s67, s[2:3], 0x0
.LBB48_7:
	s_cmp_eq_u64 s[28:29], 0
	s_cbranch_scc1 .LBB48_9
; %bb.8:
	s_ashr_i32 s13, s12, 31
	s_delay_alu instid0(SALU_CYCLE_1) | instskip(NEXT) | instid1(SALU_CYCLE_1)
	s_lshl_b64 s[2:3], s[12:13], 2
	s_add_u32 s2, s28, s2
	s_addc_u32 s3, s29, s3
	s_load_b32 s66, s[2:3], 0x0
.LBB48_9:
	s_sub_i32 s68, s35, s34
	s_delay_alu instid0(SALU_CYCLE_1)
	s_cmp_lt_i32 s68, 1
	s_cbranch_scc1 .LBB48_300
; %bb.10:
	s_sub_i32 s2, 0, s10
	s_load_b256 s[48:55], s[0:1], 0x4c
	s_mul_i32 s2, s2, s33
	s_abs_i32 s3, s12
	s_mul_hi_u32 s2, s33, s2
	s_ashr_i32 s5, s11, 31
	s_add_i32 s33, s33, s2
	s_ashr_i32 s2, s12, 31
	s_mul_hi_u32 s4, s3, s33
	s_xor_b32 s5, s2, s5
	s_mul_i32 s6, s4, s10
	s_load_b256 s[56:63], s[0:1], 0x2c
	s_sub_i32 s2, s3, s6
	s_add_i32 s3, s4, 1
	s_sub_i32 s6, s2, s10
	s_cmp_ge_u32 s2, s10
	s_mov_b32 s65, 0
	s_cselect_b32 s3, s3, s4
	s_cselect_b32 s2, s6, s2
	s_add_i32 s4, s3, 1
	s_cmp_ge_u32 s2, s10
	s_waitcnt lgkmcnt(0)
	s_mul_i32 s64, s34, s50
	s_cselect_b32 s4, s4, s3
	s_lshl_b64 s[2:3], s[64:65], 1
	s_xor_b32 s4, s4, s5
	s_mul_i32 s64, s51, s12
	s_sub_i32 s6, s4, s5
	s_add_u32 s4, s24, s2
	s_addc_u32 s5, s25, s3
	s_lshl_b64 s[2:3], s[64:65], 1
	s_mul_i32 s64, s34, s52
	s_add_u32 s63, s4, s2
	s_addc_u32 s69, s5, s3
	s_lshl_b64 s[2:3], s[64:65], 1
	s_mul_i32 s64, s53, s12
	;; [unrolled: 4-line block ×3, first 2 shown]
	s_add_u32 s70, s4, s2
	s_addc_u32 s56, s5, s3
	s_load_b64 s[4:5], s[0:1], 0x7c
	v_dual_mov_b32 v21, 0 :: v_dual_lshlrev_b32 v18, 4, v0
	s_lshl_b64 s[2:3], s[64:65], 2
	s_mul_i32 s64, s34, s58
	s_add_u32 s71, s16, s2
	v_mbcnt_lo_u32_b32 v19, -1, 0
	v_and_b32_e32 v1, 0x200, v18
	s_addc_u32 s72, s17, s3
	s_lshl_b64 s[2:3], s[64:65], 1
	s_mul_i32 s64, s6, s61
	s_add_u32 s7, s18, s2
	s_addc_u32 s8, s19, s3
	s_clause 0x3
	s_load_b128 s[16:19], s[0:1], 0x6c
	s_load_b32 s74, s[0:1], 0x84
	s_load_b32 s77, s[0:1], 0xc
	;; [unrolled: 1-line block ×3, first 2 shown]
	v_or_b32_e32 v20, v19, v1
	s_lshl_b64 s[2:3], s[64:65], 1
	s_mul_i32 s64, s34, s62
	s_add_u32 s61, s7, s2
	s_addc_u32 s62, s8, s3
	s_lshl_b64 s[2:3], s[64:65], 1
	s_mul_i32 s64, s6, s49
	v_or_b32_e32 v24, 0x60, v20
	v_and_b32_e32 v14, 32, v0
	s_add_u32 s7, s20, s2
	s_addc_u32 s6, s21, s3
	s_lshl_b64 s[2:3], s[64:65], 1
	s_waitcnt lgkmcnt(0)
	s_mul_i32 s64, s14, s4
	s_add_u32 s49, s7, s2
	s_addc_u32 s73, s6, s3
	s_lshl_b64 s[2:3], s[64:65], 2
	v_or_b32_e32 v26, 0xa0, v20
	v_or_b32_e32 v28, 0xe0, v20
	;; [unrolled: 1-line block ×5, first 2 shown]
	v_lshrrev_b32_e32 v2, 5, v24
	v_or_b32_e32 v36, 0x1e0, v20
	v_or_b32_e32 v16, v19, v14
	s_mul_i32 s64, s5, s12
	s_add_u32 s4, s36, s2
	s_addc_u32 s5, s37, s3
	s_lshl_b64 s[2:3], s[64:65], 2
	v_or_b32_e32 v23, 64, v20
	s_add_u32 s75, s4, s2
	v_or_b32_e32 v25, 0x80, v20
	v_or_b32_e32 v27, 0xc0, v20
	;; [unrolled: 1-line block ×6, first 2 shown]
	v_and_b32_e32 v2, 18, v2
	v_lshrrev_b32_e32 v5, 5, v26
	v_lshrrev_b32_e32 v8, 5, v28
	;; [unrolled: 1-line block ×6, first 2 shown]
	v_lshrrev_b16 v50, 1, v16
	s_addc_u32 s76, s5, s3
	s_add_i32 s2, s68, 0x7ff
	v_lshrrev_b32_e32 v3, 5, v1
	s_lshr_b32 s78, s2, 11
	s_bitcmp1_b32 s0, 0
	v_lshrrev_b32_e32 v4, 5, v23
	v_lshrrev_b32_e32 v6, 5, v25
	v_add_lshl_u32 v2, v2, v20, 1
	v_and_b32_e32 v5, 20, v5
	v_lshrrev_b32_e32 v7, 5, v27
	v_and_b32_e32 v8, 22, v8
	v_lshrrev_b32_e32 v10, 5, v29
	;; [unrolled: 2-line block ×5, first 2 shown]
	v_and_b32_e32 v51, 30, v49
	v_lshlrev_b32_e32 v16, 4, v16
	v_and_b32_e32 v52, 30, v50
	s_cselect_b32 s79, -1, 0
	s_cmp_gt_i32 s77, 0
	v_add_lshl_u32 v3, v3, v20, 1
	s_cselect_b32 s80, -1, 0
	s_add_i32 s0, 0, 0x840
	v_add_lshl_u32 v4, v4, v20, 1
	v_add_lshl_u32 v6, v6, v20, 1
	v_add_nc_u32_e32 v39, 0, v2
	v_add_lshl_u32 v5, v5, v20, 1
	v_add_lshl_u32 v7, v7, v20, 1
	;; [unrolled: 1-line block ×12, first 2 shown]
	v_add_nc_u32_e32 v55, s0, v2
	v_and_b32_e32 v2, 15, v19
	s_and_b32 s1, s68, 0x3ff
	v_add_nc_u32_e32 v51, 0, v67
	v_add_nc_u32_e32 v53, s0, v3
	v_add_nc_u32_e32 v54, s0, v4
	v_add_nc_u32_e32 v56, s0, v6
	v_add_nc_u32_e32 v57, s0, v5
	v_add_nc_u32_e32 v58, s0, v7
	v_add_nc_u32_e32 v59, s0, v8
	v_add_nc_u32_e32 v60, s0, v10
	v_add_nc_u32_e32 v61, s0, v9
	v_add_nc_u32_e32 v62, s0, v12
	v_add_nc_u32_e32 v63, s0, v11
	v_add_nc_u32_e32 v64, s0, v13
	v_add_nc_u32_e32 v65, s0, v15
	v_add_nc_u32_e32 v66, s0, v17
	v_add_nc_u32_e32 v67, s0, v67
	s_cmp_eq_u32 s1, 0
	v_add_nc_u32_e32 v68, s0, v16
	v_cmp_ne_u32_e64 s0, 0, v2
	v_cmp_lt_u32_e64 s1, 1, v2
	v_cmp_lt_u32_e64 s2, 3, v2
	;; [unrolled: 1-line block ×3, first 2 shown]
	v_add_nc_u32_e32 v2, -1, v19
	v_add_nc_u32_e32 v37, 0, v3
	v_lshrrev_b32_e32 v3, 2, v0
	s_mul_i32 s64, s34, s16
	v_add_nc_u32_e32 v41, 0, v5
	v_or_b32_e32 v5, 31, v14
	v_cmp_gt_i32_e32 vcc_lo, 0, v2
	s_cselect_b32 s81, -1, 0
	s_lshl_b64 s[14:15], s[64:65], 1
	v_and_b32_e32 v3, 8, v3
	s_add_i32 s82, s78, -1
	v_cndmask_b32_e32 v2, v2, v19, vcc_lo
	s_mul_i32 s64, s17, s12
	s_add_u32 s13, s30, s14
	s_addc_u32 s16, s31, s15
	s_lshl_b64 s[14:15], s[64:65], 1
	v_cmp_eq_u32_e64 s5, v5, v0
	v_cmp_gt_u32_e64 s6, 2, v0
	v_lshl_add_u32 v70, v0, 3, 0
	v_cmp_gt_u32_e64 s8, 32, v0
	v_cmp_lt_u32_e64 s9, 31, v0
	v_cmp_eq_u32_e64 s10, 0, v0
	s_mul_i32 s64, s34, s54
	v_lshlrev_b32_e32 v0, 1, v19
	s_add_u32 s13, s13, s14
	v_add_nc_u32_e32 v69, 0, v3
	v_and_b32_e32 v3, 1, v19
	s_addc_u32 s16, s16, s15
	s_lshl_b64 s[14:15], s[64:65], 1
	v_add_nc_u32_e32 v38, 0, v4
	v_and_b32_e32 v4, 16, v19
	s_mul_i32 s64, s55, s12
	s_add_u32 s17, s38, s14
	v_lshlrev_b32_e32 v71, 2, v2
	s_addc_u32 s20, s39, s15
	s_lshl_b64 s[14:15], s[64:65], 1
	v_add_co_u32 v2, s13, s13, v0
	s_mul_i32 s64, s34, s18
	v_cmp_eq_u32_e64 s7, 0, v3
	v_add_co_ci_u32_e64 v3, null, s16, 0, s13
	s_add_u32 s16, s17, s14
	v_cmp_ne_u32_e64 s4, 0, v4
	s_addc_u32 s17, s20, s15
	s_lshl_b64 s[14:15], s[64:65], 1
	v_lshlrev_b32_e32 v4, 1, v1
	s_mul_i32 s64, s19, s12
	s_add_u32 s14, s40, s14
	s_addc_u32 s15, s41, s15
	s_lshl_b64 s[12:13], s[64:65], 1
	v_add_co_u32 v72, vcc_lo, v2, v4
	s_add_u32 s12, s14, s12
	v_add_co_u32 v2, s14, s16, v0
	v_add_co_ci_u32_e32 v73, vcc_lo, 0, v3, vcc_lo
	v_add_co_ci_u32_e64 v3, null, s17, 0, s14
	s_addc_u32 s13, s15, s13
	v_add_co_u32 v0, s12, s12, v0
	s_delay_alu instid0(VALU_DEP_1) | instskip(SKIP_2) | instid1(VALU_DEP_4)
	v_add_co_ci_u32_e64 v5, null, s13, 0, s12
	v_add_co_u32 v74, vcc_lo, v2, v4
	v_add_co_ci_u32_e32 v75, vcc_lo, 0, v3, vcc_lo
	v_add_co_u32 v76, vcc_lo, v0, v4
	v_or_b32_e32 v22, 32, v20
	v_add_nc_u32_e32 v40, 0, v6
	v_add_nc_u32_e32 v42, 0, v7
	;; [unrolled: 1-line block ×11, first 2 shown]
	v_cmp_eq_u32_e64 s11, 0, v19
	v_add_co_ci_u32_e32 v77, vcc_lo, 0, v5, vcc_lo
	v_or_b32_e32 v78, 1, v18
	v_or_b32_e32 v79, 2, v18
	;; [unrolled: 1-line block ×15, first 2 shown]
	v_lshlrev_b32_e32 v93, 1, v1
	s_mov_b32 s83, 0x3e9b6dac
	s_add_i32 s84, 0, 0x1090
	s_mov_b32 s85, 0
	s_branch .LBB48_12
.LBB48_11:                              ;   in Loop: Header=BB48_12 Depth=1
	s_or_b32 exec_lo, exec_lo, s12
	s_add_u32 s70, s70, 0x800
	s_addc_u32 s56, s56, 0
	s_add_u32 s63, s63, 0x800
	s_addc_u32 s69, s69, 0
	;; [unrolled: 2-line block ×4, first 2 shown]
	s_add_i32 s85, s85, 1
	s_delay_alu instid0(SALU_CYCLE_1)
	s_cmp_lg_u32 s85, s78
	s_cbranch_scc0 .LBB48_300
.LBB48_12:                              ; =>This Loop Header: Depth=1
                                        ;     Child Loop BB48_109 Depth 2
	s_waitcnt lgkmcnt(14)
	v_lshlrev_b32_e32 v16, 1, v19
	s_lshl_b32 s50, s85, 10
	s_waitcnt lgkmcnt(0)
	v_mov_b32_e32 v2, 0
	s_sub_i32 s40, s68, s50
	v_add_co_u32 v0, s12, s63, v16
	s_delay_alu instid0(VALU_DEP_1) | instskip(SKIP_1) | instid1(VALU_DEP_3)
	v_add_co_ci_u32_e64 v1, null, s69, 0, s12
	v_cmp_gt_u32_e64 s12, s40, v20
	v_add_co_u32 v0, vcc_lo, v0, v93
	s_delay_alu instid0(VALU_DEP_3)
	v_add_co_ci_u32_e32 v1, vcc_lo, 0, v1, vcc_lo
	s_waitcnt_vscnt null, 0x0
	s_barrier
	buffer_gl0_inv
	s_and_saveexec_b32 s13, s12
	s_cbranch_execz .LBB48_14
; %bb.13:                               ;   in Loop: Header=BB48_12 Depth=1
	global_load_u16 v2, v[0:1], off
.LBB48_14:                              ;   in Loop: Header=BB48_12 Depth=1
	s_or_b32 exec_lo, exec_lo, s13
	v_cmp_gt_u32_e64 s13, s40, v22
	v_dual_mov_b32 v3, 0 :: v_dual_mov_b32 v4, 0
	s_delay_alu instid0(VALU_DEP_2)
	s_and_saveexec_b32 s14, s13
	s_cbranch_execz .LBB48_16
; %bb.15:                               ;   in Loop: Header=BB48_12 Depth=1
	global_load_u16 v4, v[0:1], off offset:64
.LBB48_16:                              ;   in Loop: Header=BB48_12 Depth=1
	s_or_b32 exec_lo, exec_lo, s14
	v_cmp_gt_u32_e64 s14, s40, v23
	s_delay_alu instid0(VALU_DEP_1)
	s_and_saveexec_b32 s15, s14
	s_cbranch_execz .LBB48_18
; %bb.17:                               ;   in Loop: Header=BB48_12 Depth=1
	global_load_u16 v3, v[0:1], off offset:128
.LBB48_18:                              ;   in Loop: Header=BB48_12 Depth=1
	s_or_b32 exec_lo, exec_lo, s15
	v_cmp_gt_u32_e64 s15, s40, v24
	v_dual_mov_b32 v5, 0 :: v_dual_mov_b32 v6, 0
	s_delay_alu instid0(VALU_DEP_2)
	s_and_saveexec_b32 s16, s15
	s_cbranch_execz .LBB48_20
; %bb.19:                               ;   in Loop: Header=BB48_12 Depth=1
	global_load_u16 v6, v[0:1], off offset:192
.LBB48_20:                              ;   in Loop: Header=BB48_12 Depth=1
	s_or_b32 exec_lo, exec_lo, s16
	v_cmp_gt_u32_e64 s16, s40, v25
	s_delay_alu instid0(VALU_DEP_1)
	s_and_saveexec_b32 s17, s16
	s_cbranch_execz .LBB48_22
; %bb.21:                               ;   in Loop: Header=BB48_12 Depth=1
	global_load_u16 v5, v[0:1], off offset:256
.LBB48_22:                              ;   in Loop: Header=BB48_12 Depth=1
	;; [unrolled: 17-line block ×3, first 2 shown]
	s_or_b32 exec_lo, exec_lo, s19
	v_cmp_gt_u32_e64 s19, s40, v28
	v_mov_b32_e32 v9, 0
	v_mov_b32_e32 v11, 0
	s_delay_alu instid0(VALU_DEP_3)
	s_and_saveexec_b32 s20, s19
	s_cbranch_execz .LBB48_28
; %bb.27:                               ;   in Loop: Header=BB48_12 Depth=1
	global_load_u16 v11, v[0:1], off offset:448
.LBB48_28:                              ;   in Loop: Header=BB48_12 Depth=1
	s_or_b32 exec_lo, exec_lo, s20
	v_cmp_gt_u32_e64 s20, s40, v29
	s_delay_alu instid0(VALU_DEP_1)
	s_and_saveexec_b32 s21, s20
	s_cbranch_execz .LBB48_30
; %bb.29:                               ;   in Loop: Header=BB48_12 Depth=1
	global_load_u16 v9, v[0:1], off offset:512
.LBB48_30:                              ;   in Loop: Header=BB48_12 Depth=1
	s_or_b32 exec_lo, exec_lo, s21
	v_cmp_gt_u32_e64 s21, s40, v30
	v_dual_mov_b32 v12, 0 :: v_dual_mov_b32 v13, 0
	s_delay_alu instid0(VALU_DEP_2)
	s_and_saveexec_b32 s22, s21
	s_cbranch_execz .LBB48_32
; %bb.31:                               ;   in Loop: Header=BB48_12 Depth=1
	global_load_u16 v13, v[0:1], off offset:576
.LBB48_32:                              ;   in Loop: Header=BB48_12 Depth=1
	s_or_b32 exec_lo, exec_lo, s22
	v_cmp_gt_u32_e64 s22, s40, v31
	s_delay_alu instid0(VALU_DEP_1)
	s_and_saveexec_b32 s23, s22
	s_cbranch_execz .LBB48_34
; %bb.33:                               ;   in Loop: Header=BB48_12 Depth=1
	global_load_u16 v12, v[0:1], off offset:640
.LBB48_34:                              ;   in Loop: Header=BB48_12 Depth=1
	s_or_b32 exec_lo, exec_lo, s23
	v_cmp_gt_u32_e64 s23, s40, v32
	v_dual_mov_b32 v14, 0 :: v_dual_mov_b32 v15, 0
	s_delay_alu instid0(VALU_DEP_2)
	;; [unrolled: 17-line block ×4, first 2 shown]
	s_and_saveexec_b32 s28, s27
	s_cbranch_execz .LBB48_44
; %bb.43:                               ;   in Loop: Header=BB48_12 Depth=1
	global_load_u16 v95, v[0:1], off offset:960
.LBB48_44:                              ;   in Loop: Header=BB48_12 Depth=1
	s_or_b32 exec_lo, exec_lo, s28
	s_waitcnt vmcnt(0)
	ds_store_b16 v37, v2
	ds_store_b16 v37, v4 offset:64
	ds_store_b16 v38, v3 offset:128
	;; [unrolled: 1-line block ×15, first 2 shown]
	; wave barrier
	ds_load_b128 v[0:3], v52
	ds_load_b128 v[4:7], v52 offset:16
	v_add_co_u32 v8, s28, s70, v16
	s_delay_alu instid0(VALU_DEP_1) | instskip(SKIP_1) | instid1(VALU_DEP_2)
	v_add_co_ci_u32_e64 v9, null, s56, 0, s28
	s_waitcnt lgkmcnt(0)
	v_add_co_u32 v8, vcc_lo, v8, v93
	s_delay_alu instid0(VALU_DEP_2)
	v_add_co_ci_u32_e32 v9, vcc_lo, 0, v9, vcc_lo
	s_barrier
	buffer_gl0_inv
	s_and_saveexec_b32 s28, s12
	s_cbranch_execz .LBB48_46
; %bb.45:                               ;   in Loop: Header=BB48_12 Depth=1
	global_load_u16 v10, v[8:9], off
.LBB48_46:                              ;   in Loop: Header=BB48_12 Depth=1
	s_or_b32 exec_lo, exec_lo, s28
	v_dual_mov_b32 v11, 0 :: v_dual_mov_b32 v12, 0
	s_and_saveexec_b32 s28, s13
	s_cbranch_execz .LBB48_48
; %bb.47:                               ;   in Loop: Header=BB48_12 Depth=1
	global_load_u16 v12, v[8:9], off offset:64
.LBB48_48:                              ;   in Loop: Header=BB48_12 Depth=1
	s_or_b32 exec_lo, exec_lo, s28
	s_and_saveexec_b32 s28, s14
	s_cbranch_execz .LBB48_50
; %bb.49:                               ;   in Loop: Header=BB48_12 Depth=1
	global_load_u16 v11, v[8:9], off offset:128
.LBB48_50:                              ;   in Loop: Header=BB48_12 Depth=1
	s_or_b32 exec_lo, exec_lo, s28
	v_dual_mov_b32 v13, 0 :: v_dual_mov_b32 v14, 0
	s_and_saveexec_b32 s28, s15
	s_cbranch_execz .LBB48_52
; %bb.51:                               ;   in Loop: Header=BB48_12 Depth=1
	global_load_u16 v14, v[8:9], off offset:192
.LBB48_52:                              ;   in Loop: Header=BB48_12 Depth=1
	s_or_b32 exec_lo, exec_lo, s28
	s_and_saveexec_b32 s28, s16
	s_cbranch_execz .LBB48_54
; %bb.53:                               ;   in Loop: Header=BB48_12 Depth=1
	global_load_u16 v13, v[8:9], off offset:256
.LBB48_54:                              ;   in Loop: Header=BB48_12 Depth=1
	s_or_b32 exec_lo, exec_lo, s28
	v_mov_b32_e32 v15, 0
	v_mov_b32_e32 v17, 0
	s_and_saveexec_b32 s28, s17
	s_cbranch_execz .LBB48_56
; %bb.55:                               ;   in Loop: Header=BB48_12 Depth=1
	global_load_u16 v17, v[8:9], off offset:320
.LBB48_56:                              ;   in Loop: Header=BB48_12 Depth=1
	s_or_b32 exec_lo, exec_lo, s28
	s_and_saveexec_b32 s28, s18
	s_cbranch_execz .LBB48_58
; %bb.57:                               ;   in Loop: Header=BB48_12 Depth=1
	global_load_u16 v15, v[8:9], off offset:384
.LBB48_58:                              ;   in Loop: Header=BB48_12 Depth=1
	s_or_b32 exec_lo, exec_lo, s28
	v_dual_mov_b32 v94, 0 :: v_dual_mov_b32 v95, 0
	s_and_saveexec_b32 s28, s19
	s_cbranch_execz .LBB48_60
; %bb.59:                               ;   in Loop: Header=BB48_12 Depth=1
	global_load_u16 v95, v[8:9], off offset:448
.LBB48_60:                              ;   in Loop: Header=BB48_12 Depth=1
	s_or_b32 exec_lo, exec_lo, s28
	s_and_saveexec_b32 s28, s20
	s_cbranch_execz .LBB48_62
; %bb.61:                               ;   in Loop: Header=BB48_12 Depth=1
	global_load_u16 v94, v[8:9], off offset:512
.LBB48_62:                              ;   in Loop: Header=BB48_12 Depth=1
	s_or_b32 exec_lo, exec_lo, s28
	v_dual_mov_b32 v96, 0 :: v_dual_mov_b32 v97, 0
	;; [unrolled: 13-line block ×4, first 2 shown]
	s_and_saveexec_b32 s28, s25
	s_cbranch_execnz .LBB48_267
; %bb.71:                               ;   in Loop: Header=BB48_12 Depth=1
	s_or_b32 exec_lo, exec_lo, s28
	s_and_saveexec_b32 s28, s26
	s_cbranch_execnz .LBB48_268
.LBB48_72:                              ;   in Loop: Header=BB48_12 Depth=1
	s_or_b32 exec_lo, exec_lo, s28
	v_mov_b32_e32 v102, 0
	s_and_saveexec_b32 s28, s27
	s_cbranch_execz .LBB48_74
.LBB48_73:                              ;   in Loop: Header=BB48_12 Depth=1
	global_load_u16 v102, v[8:9], off offset:960
.LBB48_74:                              ;   in Loop: Header=BB48_12 Depth=1
	s_or_b32 exec_lo, exec_lo, s28
	s_waitcnt vmcnt(0)
	ds_store_b16 v37, v10
	ds_store_b16 v37, v12 offset:64
	ds_store_b16 v38, v11 offset:128
	;; [unrolled: 1-line block ×15, first 2 shown]
	; wave barrier
	ds_load_b128 v[12:15], v52
	ds_load_b128 v[8:11], v52 offset:16
	s_waitcnt lgkmcnt(1)
	v_lshlrev_b32_e32 v17, 16, v12
	s_delay_alu instid0(VALU_DEP_1) | instskip(NEXT) | instid1(VALU_DEP_1)
	v_add_f32_e32 v94, s66, v17
	v_cmp_ge_f32_e32 vcc_lo, 0x41a00000, v94
	s_and_b32 s28, s79, vcc_lo
	s_delay_alu instid0(SALU_CYCLE_1)
	s_and_saveexec_b32 s29, s28
	s_cbranch_execz .LBB48_76
; %bb.75:                               ;   in Loop: Header=BB48_12 Depth=1
	v_mul_f32_e32 v17, 0x3fb8aa3b, v94
	v_cmp_ngt_f32_e32 vcc_lo, 0xc2ce8ed0, v94
	s_delay_alu instid0(VALU_DEP_2) | instskip(SKIP_1) | instid1(VALU_DEP_1)
	v_rndne_f32_e32 v95, v17
	v_fma_f32 v96, 0x3fb8aa3b, v94, -v17
	v_dual_sub_f32 v17, v17, v95 :: v_dual_fmac_f32 v96, 0x32a5705f, v94
	v_cvt_i32_f32_e32 v95, v95
	s_delay_alu instid0(VALU_DEP_2) | instskip(NEXT) | instid1(VALU_DEP_1)
	v_add_f32_e32 v17, v17, v96
	v_exp_f32_e32 v17, v17
	s_waitcnt_depctr 0xfff
	v_ldexp_f32 v17, v17, v95
	s_delay_alu instid0(VALU_DEP_1) | instskip(SKIP_1) | instid1(VALU_DEP_2)
	v_cndmask_b32_e32 v17, 0, v17, vcc_lo
	v_cmp_nlt_f32_e32 vcc_lo, 0x42b17218, v94
	v_cndmask_b32_e32 v17, 0x7f800000, v17, vcc_lo
	s_delay_alu instid0(VALU_DEP_1) | instskip(NEXT) | instid1(VALU_DEP_1)
	v_add_f32_e32 v96, 1.0, v17
	v_cvt_f64_f32_e32 v[94:95], v96
	s_delay_alu instid0(VALU_DEP_1) | instskip(SKIP_1) | instid1(VALU_DEP_1)
	v_frexp_exp_i32_f64_e32 v94, v[94:95]
	v_frexp_mant_f32_e32 v95, v96
	v_cmp_gt_f32_e32 vcc_lo, 0x3f2aaaab, v95
	v_add_f32_e32 v95, -1.0, v96
	s_delay_alu instid0(VALU_DEP_1) | instskip(NEXT) | instid1(VALU_DEP_1)
	v_dual_sub_f32 v98, v95, v96 :: v_dual_sub_f32 v95, v17, v95
	v_add_f32_e32 v98, 1.0, v98
	v_subrev_co_ci_u32_e32 v94, vcc_lo, 0, v94, vcc_lo
	s_delay_alu instid0(VALU_DEP_1) | instskip(SKIP_1) | instid1(VALU_DEP_2)
	v_sub_nc_u32_e32 v97, 0, v94
	v_cvt_f32_i32_e32 v94, v94
	v_ldexp_f32 v96, v96, v97
	v_add_f32_e32 v95, v95, v98
	s_delay_alu instid0(VALU_DEP_1) | instskip(NEXT) | instid1(VALU_DEP_3)
	v_ldexp_f32 v95, v95, v97
	v_add_f32_e32 v99, 1.0, v96
	s_delay_alu instid0(VALU_DEP_1) | instskip(NEXT) | instid1(VALU_DEP_1)
	v_add_f32_e32 v98, -1.0, v99
	v_sub_f32_e32 v98, v96, v98
	v_cmp_eq_f32_e32 vcc_lo, 0x7f800000, v17
	v_cmp_gt_f32_e64 s28, 0x33800000, v17
	s_delay_alu instid0(VALU_DEP_3) | instskip(NEXT) | instid1(VALU_DEP_2)
	v_dual_add_f32 v98, v95, v98 :: v_dual_add_f32 v97, -1.0, v96
	s_or_b32 vcc_lo, s28, vcc_lo
	s_delay_alu instid0(VALU_DEP_1) | instskip(NEXT) | instid1(VALU_DEP_1)
	v_add_f32_e32 v100, 1.0, v97
	v_sub_f32_e32 v96, v96, v100
	s_delay_alu instid0(VALU_DEP_3) | instskip(NEXT) | instid1(VALU_DEP_1)
	v_add_f32_e32 v100, v99, v98
	v_sub_f32_e32 v99, v99, v100
	s_delay_alu instid0(VALU_DEP_3) | instskip(SKIP_1) | instid1(VALU_DEP_2)
	v_add_f32_e32 v95, v95, v96
	v_rcp_f32_e32 v96, v100
	v_add_f32_e32 v98, v98, v99
	s_delay_alu instid0(VALU_DEP_2) | instskip(NEXT) | instid1(VALU_DEP_1)
	v_add_f32_e32 v101, v97, v95
	v_sub_f32_e32 v97, v97, v101
	s_waitcnt_depctr 0xfff
	v_dual_mul_f32 v102, v101, v96 :: v_dual_add_f32 v95, v95, v97
	s_delay_alu instid0(VALU_DEP_1) | instskip(NEXT) | instid1(VALU_DEP_1)
	v_mul_f32_e32 v103, v100, v102
	v_fma_f32 v99, v102, v100, -v103
	s_delay_alu instid0(VALU_DEP_1) | instskip(NEXT) | instid1(VALU_DEP_1)
	v_fmac_f32_e32 v99, v102, v98
	v_add_f32_e32 v104, v103, v99
	s_delay_alu instid0(VALU_DEP_1) | instskip(NEXT) | instid1(VALU_DEP_1)
	v_sub_f32_e32 v105, v101, v104
	v_sub_f32_e32 v101, v101, v105
	;; [unrolled: 1-line block ×3, first 2 shown]
	s_delay_alu instid0(VALU_DEP_2) | instskip(NEXT) | instid1(VALU_DEP_2)
	v_sub_f32_e32 v101, v101, v104
	v_sub_f32_e32 v97, v97, v99
	s_delay_alu instid0(VALU_DEP_2) | instskip(NEXT) | instid1(VALU_DEP_1)
	v_add_f32_e32 v95, v95, v101
	v_add_f32_e32 v95, v97, v95
	s_delay_alu instid0(VALU_DEP_1) | instskip(NEXT) | instid1(VALU_DEP_1)
	v_add_f32_e32 v97, v105, v95
	v_mul_f32_e32 v99, v96, v97
	s_delay_alu instid0(VALU_DEP_1) | instskip(NEXT) | instid1(VALU_DEP_1)
	v_dual_sub_f32 v104, v105, v97 :: v_dual_mul_f32 v101, v100, v99
	v_add_f32_e32 v95, v95, v104
	s_delay_alu instid0(VALU_DEP_2) | instskip(NEXT) | instid1(VALU_DEP_1)
	v_fma_f32 v100, v99, v100, -v101
	v_fmac_f32_e32 v100, v99, v98
	s_delay_alu instid0(VALU_DEP_1) | instskip(NEXT) | instid1(VALU_DEP_1)
	v_add_f32_e32 v98, v101, v100
	v_sub_f32_e32 v103, v97, v98
	v_sub_f32_e32 v101, v98, v101
	s_delay_alu instid0(VALU_DEP_2) | instskip(NEXT) | instid1(VALU_DEP_1)
	v_sub_f32_e32 v97, v97, v103
	v_sub_f32_e32 v97, v97, v98
	s_delay_alu instid0(VALU_DEP_1) | instskip(SKIP_1) | instid1(VALU_DEP_1)
	v_dual_sub_f32 v98, v101, v100 :: v_dual_add_f32 v95, v95, v97
	v_add_f32_e32 v97, v102, v99
	v_dual_add_f32 v95, v98, v95 :: v_dual_sub_f32 v98, v97, v102
	s_delay_alu instid0(VALU_DEP_1) | instskip(NEXT) | instid1(VALU_DEP_1)
	v_add_f32_e32 v95, v103, v95
	v_dual_sub_f32 v98, v99, v98 :: v_dual_mul_f32 v95, v96, v95
	s_delay_alu instid0(VALU_DEP_1) | instskip(NEXT) | instid1(VALU_DEP_1)
	v_add_f32_e32 v95, v98, v95
	v_add_f32_e32 v96, v97, v95
	s_delay_alu instid0(VALU_DEP_1) | instskip(NEXT) | instid1(VALU_DEP_1)
	v_mul_f32_e32 v98, v96, v96
	v_fmaak_f32 v99, s83, v98, 0x3ecc95a3
	v_mul_f32_e32 v100, v96, v98
	s_delay_alu instid0(VALU_DEP_2) | instskip(SKIP_2) | instid1(VALU_DEP_3)
	v_fmaak_f32 v98, v98, v99, 0x3f2aaada
	v_ldexp_f32 v99, v96, 1
	v_sub_f32_e32 v96, v96, v97
	v_mul_f32_e32 v98, v100, v98
	s_delay_alu instid0(VALU_DEP_2) | instskip(NEXT) | instid1(VALU_DEP_2)
	v_dual_mul_f32 v100, 0x3f317218, v94 :: v_dual_sub_f32 v95, v95, v96
	v_add_f32_e32 v97, v99, v98
	s_delay_alu instid0(VALU_DEP_2) | instskip(NEXT) | instid1(VALU_DEP_2)
	v_ldexp_f32 v95, v95, 1
	v_sub_f32_e32 v96, v97, v99
	s_delay_alu instid0(VALU_DEP_4) | instskip(NEXT) | instid1(VALU_DEP_1)
	v_fma_f32 v99, 0x3f317218, v94, -v100
	v_dual_sub_f32 v96, v98, v96 :: v_dual_fmac_f32 v99, 0xb102e308, v94
	s_delay_alu instid0(VALU_DEP_1) | instskip(NEXT) | instid1(VALU_DEP_1)
	v_dual_add_f32 v94, v95, v96 :: v_dual_add_f32 v95, v100, v99
	v_add_f32_e32 v96, v97, v94
	s_delay_alu instid0(VALU_DEP_2) | instskip(NEXT) | instid1(VALU_DEP_2)
	v_sub_f32_e32 v100, v95, v100
	v_dual_add_f32 v98, v95, v96 :: v_dual_sub_f32 v97, v96, v97
	s_delay_alu instid0(VALU_DEP_2) | instskip(NEXT) | instid1(VALU_DEP_2)
	v_sub_f32_e32 v99, v99, v100
	v_sub_f32_e32 v101, v98, v95
	s_delay_alu instid0(VALU_DEP_3) | instskip(NEXT) | instid1(VALU_DEP_2)
	v_sub_f32_e32 v94, v94, v97
	v_sub_f32_e32 v102, v98, v101
	s_delay_alu instid0(VALU_DEP_2) | instskip(NEXT) | instid1(VALU_DEP_2)
	v_dual_sub_f32 v96, v96, v101 :: v_dual_add_f32 v97, v99, v94
	v_sub_f32_e32 v95, v95, v102
	s_delay_alu instid0(VALU_DEP_1) | instskip(NEXT) | instid1(VALU_DEP_3)
	v_add_f32_e32 v95, v96, v95
	v_sub_f32_e32 v96, v97, v99
	s_delay_alu instid0(VALU_DEP_2) | instskip(NEXT) | instid1(VALU_DEP_2)
	v_add_f32_e32 v95, v97, v95
	v_sub_f32_e32 v97, v97, v96
	v_sub_f32_e32 v94, v94, v96
	s_delay_alu instid0(VALU_DEP_2) | instskip(NEXT) | instid1(VALU_DEP_1)
	v_dual_add_f32 v100, v98, v95 :: v_dual_sub_f32 v97, v99, v97
	v_sub_f32_e32 v96, v100, v98
	s_delay_alu instid0(VALU_DEP_1) | instskip(NEXT) | instid1(VALU_DEP_1)
	v_dual_add_f32 v94, v94, v97 :: v_dual_sub_f32 v95, v95, v96
	v_add_f32_e32 v94, v94, v95
	s_delay_alu instid0(VALU_DEP_1) | instskip(NEXT) | instid1(VALU_DEP_1)
	v_add_f32_e32 v94, v100, v94
	v_cndmask_b32_e32 v94, v94, v17, vcc_lo
.LBB48_76:                              ;   in Loop: Header=BB48_12 Depth=1
	s_or_b32 exec_lo, exec_lo, s29
	v_and_b32_e32 v12, 0xffff0000, v12
	s_delay_alu instid0(VALU_DEP_1) | instskip(NEXT) | instid1(VALU_DEP_1)
	v_add_f32_e32 v95, s66, v12
	v_cmp_ge_f32_e32 vcc_lo, 0x41a00000, v95
	s_and_b32 s28, s79, vcc_lo
	s_delay_alu instid0(SALU_CYCLE_1)
	s_and_saveexec_b32 s29, s28
	s_cbranch_execz .LBB48_78
; %bb.77:                               ;   in Loop: Header=BB48_12 Depth=1
	v_mul_f32_e32 v12, 0x3fb8aa3b, v95
	v_cmp_ngt_f32_e32 vcc_lo, 0xc2ce8ed0, v95
	s_delay_alu instid0(VALU_DEP_2) | instskip(SKIP_1) | instid1(VALU_DEP_2)
	v_rndne_f32_e32 v17, v12
	v_fma_f32 v96, 0x3fb8aa3b, v95, -v12
	v_sub_f32_e32 v12, v12, v17
	s_delay_alu instid0(VALU_DEP_2) | instskip(SKIP_1) | instid1(VALU_DEP_2)
	v_fmac_f32_e32 v96, 0x32a5705f, v95
	v_cvt_i32_f32_e32 v17, v17
	v_add_f32_e32 v12, v12, v96
	s_delay_alu instid0(VALU_DEP_1) | instskip(SKIP_2) | instid1(VALU_DEP_1)
	v_exp_f32_e32 v12, v12
	s_waitcnt_depctr 0xfff
	v_ldexp_f32 v12, v12, v17
	v_cndmask_b32_e32 v12, 0, v12, vcc_lo
	v_cmp_nlt_f32_e32 vcc_lo, 0x42b17218, v95
	s_delay_alu instid0(VALU_DEP_2) | instskip(NEXT) | instid1(VALU_DEP_1)
	v_cndmask_b32_e32 v12, 0x7f800000, v12, vcc_lo
	v_add_f32_e32 v17, 1.0, v12
	s_delay_alu instid0(VALU_DEP_1) | instskip(NEXT) | instid1(VALU_DEP_1)
	v_cvt_f64_f32_e32 v[95:96], v17
	v_frexp_exp_i32_f64_e32 v95, v[95:96]
	v_frexp_mant_f32_e32 v96, v17
	s_delay_alu instid0(VALU_DEP_1) | instskip(SKIP_1) | instid1(VALU_DEP_1)
	v_cmp_gt_f32_e32 vcc_lo, 0x3f2aaaab, v96
	v_add_f32_e32 v96, -1.0, v17
	v_sub_f32_e32 v98, v96, v17
	v_sub_f32_e32 v96, v12, v96
	s_delay_alu instid0(VALU_DEP_2) | instskip(NEXT) | instid1(VALU_DEP_1)
	v_add_f32_e32 v98, 1.0, v98
	v_add_f32_e32 v96, v96, v98
	v_subrev_co_ci_u32_e32 v95, vcc_lo, 0, v95, vcc_lo
	s_delay_alu instid0(VALU_DEP_1) | instskip(SKIP_1) | instid1(VALU_DEP_2)
	v_sub_nc_u32_e32 v97, 0, v95
	v_cvt_f32_i32_e32 v95, v95
	v_ldexp_f32 v17, v17, v97
	v_ldexp_f32 v96, v96, v97
	s_delay_alu instid0(VALU_DEP_2) | instskip(NEXT) | instid1(VALU_DEP_1)
	v_add_f32_e32 v99, 1.0, v17
	v_dual_add_f32 v97, -1.0, v17 :: v_dual_add_f32 v98, -1.0, v99
	s_delay_alu instid0(VALU_DEP_1) | instskip(NEXT) | instid1(VALU_DEP_2)
	v_add_f32_e32 v100, 1.0, v97
	v_sub_f32_e32 v98, v17, v98
	s_delay_alu instid0(VALU_DEP_2) | instskip(NEXT) | instid1(VALU_DEP_1)
	v_sub_f32_e32 v17, v17, v100
	v_add_f32_e32 v17, v96, v17
	s_delay_alu instid0(VALU_DEP_1) | instskip(SKIP_2) | instid1(VALU_DEP_3)
	v_add_f32_e32 v101, v97, v17
	v_cmp_eq_f32_e32 vcc_lo, 0x7f800000, v12
	v_cmp_gt_f32_e64 s28, 0x33800000, v12
	v_dual_sub_f32 v97, v97, v101 :: v_dual_add_f32 v98, v96, v98
	s_delay_alu instid0(VALU_DEP_2) | instskip(NEXT) | instid1(VALU_DEP_1)
	s_or_b32 vcc_lo, s28, vcc_lo
	v_dual_add_f32 v17, v17, v97 :: v_dual_add_f32 v100, v99, v98
	s_delay_alu instid0(VALU_DEP_1) | instskip(SKIP_1) | instid1(VALU_DEP_1)
	v_rcp_f32_e32 v96, v100
	v_sub_f32_e32 v99, v99, v100
	v_add_f32_e32 v98, v98, v99
	s_waitcnt_depctr 0xfff
	v_mul_f32_e32 v102, v101, v96
	s_delay_alu instid0(VALU_DEP_1) | instskip(NEXT) | instid1(VALU_DEP_1)
	v_mul_f32_e32 v103, v100, v102
	v_fma_f32 v99, v102, v100, -v103
	s_delay_alu instid0(VALU_DEP_1) | instskip(NEXT) | instid1(VALU_DEP_1)
	v_fmac_f32_e32 v99, v102, v98
	v_add_f32_e32 v104, v103, v99
	s_delay_alu instid0(VALU_DEP_1) | instskip(SKIP_1) | instid1(VALU_DEP_2)
	v_sub_f32_e32 v105, v101, v104
	v_sub_f32_e32 v97, v104, v103
	;; [unrolled: 1-line block ×3, first 2 shown]
	s_delay_alu instid0(VALU_DEP_2) | instskip(NEXT) | instid1(VALU_DEP_2)
	v_sub_f32_e32 v97, v97, v99
	v_sub_f32_e32 v101, v101, v104
	s_delay_alu instid0(VALU_DEP_1) | instskip(NEXT) | instid1(VALU_DEP_1)
	v_add_f32_e32 v17, v17, v101
	v_add_f32_e32 v17, v97, v17
	s_delay_alu instid0(VALU_DEP_1) | instskip(NEXT) | instid1(VALU_DEP_1)
	v_add_f32_e32 v97, v105, v17
	v_mul_f32_e32 v99, v96, v97
	s_delay_alu instid0(VALU_DEP_1) | instskip(NEXT) | instid1(VALU_DEP_1)
	v_mul_f32_e32 v101, v100, v99
	v_fma_f32 v100, v99, v100, -v101
	s_delay_alu instid0(VALU_DEP_1) | instskip(SKIP_1) | instid1(VALU_DEP_2)
	v_fmac_f32_e32 v100, v99, v98
	v_sub_f32_e32 v104, v105, v97
	v_add_f32_e32 v98, v101, v100
	s_delay_alu instid0(VALU_DEP_2) | instskip(NEXT) | instid1(VALU_DEP_2)
	v_add_f32_e32 v17, v17, v104
	v_sub_f32_e32 v103, v97, v98
	s_delay_alu instid0(VALU_DEP_1) | instskip(NEXT) | instid1(VALU_DEP_1)
	v_sub_f32_e32 v97, v97, v103
	v_sub_f32_e32 v97, v97, v98
	s_delay_alu instid0(VALU_DEP_1) | instskip(SKIP_2) | instid1(VALU_DEP_1)
	v_add_f32_e32 v17, v17, v97
	v_add_f32_e32 v97, v102, v99
	v_sub_f32_e32 v101, v98, v101
	v_sub_f32_e32 v98, v101, v100
	s_delay_alu instid0(VALU_DEP_1) | instskip(NEXT) | instid1(VALU_DEP_1)
	v_dual_add_f32 v17, v98, v17 :: v_dual_sub_f32 v98, v97, v102
	v_add_f32_e32 v17, v103, v17
	s_delay_alu instid0(VALU_DEP_1) | instskip(NEXT) | instid1(VALU_DEP_1)
	v_dual_sub_f32 v98, v99, v98 :: v_dual_mul_f32 v17, v96, v17
	v_add_f32_e32 v17, v98, v17
	s_delay_alu instid0(VALU_DEP_1) | instskip(NEXT) | instid1(VALU_DEP_1)
	v_add_f32_e32 v96, v97, v17
	v_mul_f32_e32 v98, v96, v96
	s_delay_alu instid0(VALU_DEP_1) | instskip(SKIP_1) | instid1(VALU_DEP_2)
	v_fmaak_f32 v99, s83, v98, 0x3ecc95a3
	v_mul_f32_e32 v100, v96, v98
	v_fmaak_f32 v98, v98, v99, 0x3f2aaada
	v_ldexp_f32 v99, v96, 1
	s_delay_alu instid0(VALU_DEP_2) | instskip(SKIP_1) | instid1(VALU_DEP_2)
	v_mul_f32_e32 v98, v100, v98
	v_sub_f32_e32 v96, v96, v97
	v_dual_mul_f32 v100, 0x3f317218, v95 :: v_dual_add_f32 v97, v99, v98
	s_delay_alu instid0(VALU_DEP_2) | instskip(NEXT) | instid1(VALU_DEP_2)
	v_sub_f32_e32 v17, v17, v96
	v_sub_f32_e32 v96, v97, v99
	s_delay_alu instid0(VALU_DEP_3) | instskip(NEXT) | instid1(VALU_DEP_3)
	v_fma_f32 v99, 0x3f317218, v95, -v100
	v_ldexp_f32 v17, v17, 1
	s_delay_alu instid0(VALU_DEP_2) | instskip(NEXT) | instid1(VALU_DEP_1)
	v_dual_sub_f32 v96, v98, v96 :: v_dual_fmac_f32 v99, 0xb102e308, v95
	v_add_f32_e32 v17, v17, v96
	s_delay_alu instid0(VALU_DEP_1) | instskip(NEXT) | instid1(VALU_DEP_1)
	v_dual_add_f32 v95, v100, v99 :: v_dual_add_f32 v96, v97, v17
	v_sub_f32_e32 v100, v95, v100
	s_delay_alu instid0(VALU_DEP_2) | instskip(NEXT) | instid1(VALU_DEP_2)
	v_dual_add_f32 v98, v95, v96 :: v_dual_sub_f32 v97, v96, v97
	v_sub_f32_e32 v99, v99, v100
	s_delay_alu instid0(VALU_DEP_2) | instskip(NEXT) | instid1(VALU_DEP_1)
	v_sub_f32_e32 v101, v98, v95
	v_sub_f32_e32 v102, v98, v101
	;; [unrolled: 1-line block ×4, first 2 shown]
	s_delay_alu instid0(VALU_DEP_1) | instskip(NEXT) | instid1(VALU_DEP_4)
	v_add_f32_e32 v97, v99, v17
	v_sub_f32_e32 v95, v95, v102
	s_delay_alu instid0(VALU_DEP_1) | instskip(NEXT) | instid1(VALU_DEP_3)
	v_add_f32_e32 v95, v96, v95
	v_sub_f32_e32 v96, v97, v99
	s_delay_alu instid0(VALU_DEP_2) | instskip(NEXT) | instid1(VALU_DEP_2)
	v_add_f32_e32 v95, v97, v95
	v_sub_f32_e32 v97, v97, v96
	s_delay_alu instid0(VALU_DEP_2) | instskip(NEXT) | instid1(VALU_DEP_1)
	v_dual_sub_f32 v17, v17, v96 :: v_dual_add_f32 v100, v98, v95
	v_dual_sub_f32 v96, v100, v98 :: v_dual_sub_f32 v97, v99, v97
	s_delay_alu instid0(VALU_DEP_1) | instskip(NEXT) | instid1(VALU_DEP_2)
	v_sub_f32_e32 v95, v95, v96
	v_add_f32_e32 v17, v17, v97
	s_delay_alu instid0(VALU_DEP_1) | instskip(NEXT) | instid1(VALU_DEP_1)
	v_add_f32_e32 v17, v17, v95
	v_add_f32_e32 v17, v100, v17
	s_delay_alu instid0(VALU_DEP_1)
	v_cndmask_b32_e32 v95, v17, v12, vcc_lo
.LBB48_78:                              ;   in Loop: Header=BB48_12 Depth=1
	s_or_b32 exec_lo, exec_lo, s29
	v_lshlrev_b32_e32 v12, 16, v13
	s_delay_alu instid0(VALU_DEP_1) | instskip(NEXT) | instid1(VALU_DEP_1)
	v_add_f32_e32 v96, s66, v12
	v_cmp_ge_f32_e32 vcc_lo, 0x41a00000, v96
	s_and_b32 s28, s79, vcc_lo
	s_delay_alu instid0(SALU_CYCLE_1)
	s_and_saveexec_b32 s29, s28
	s_cbranch_execz .LBB48_80
; %bb.79:                               ;   in Loop: Header=BB48_12 Depth=1
	v_mul_f32_e32 v12, 0x3fb8aa3b, v96
	v_cmp_ngt_f32_e32 vcc_lo, 0xc2ce8ed0, v96
	s_delay_alu instid0(VALU_DEP_2) | instskip(SKIP_1) | instid1(VALU_DEP_1)
	v_rndne_f32_e32 v17, v12
	v_fma_f32 v97, 0x3fb8aa3b, v96, -v12
	v_dual_sub_f32 v12, v12, v17 :: v_dual_fmac_f32 v97, 0x32a5705f, v96
	v_cvt_i32_f32_e32 v17, v17
	s_delay_alu instid0(VALU_DEP_2) | instskip(NEXT) | instid1(VALU_DEP_1)
	v_add_f32_e32 v12, v12, v97
	v_exp_f32_e32 v12, v12
	s_waitcnt_depctr 0xfff
	v_ldexp_f32 v12, v12, v17
	s_delay_alu instid0(VALU_DEP_1) | instskip(SKIP_1) | instid1(VALU_DEP_2)
	v_cndmask_b32_e32 v12, 0, v12, vcc_lo
	v_cmp_nlt_f32_e32 vcc_lo, 0x42b17218, v96
	v_cndmask_b32_e32 v12, 0x7f800000, v12, vcc_lo
	s_delay_alu instid0(VALU_DEP_1) | instskip(NEXT) | instid1(VALU_DEP_1)
	v_add_f32_e32 v17, 1.0, v12
	v_cvt_f64_f32_e32 v[96:97], v17
	s_delay_alu instid0(VALU_DEP_1) | instskip(SKIP_1) | instid1(VALU_DEP_1)
	v_frexp_exp_i32_f64_e32 v96, v[96:97]
	v_frexp_mant_f32_e32 v97, v17
	v_cmp_gt_f32_e32 vcc_lo, 0x3f2aaaab, v97
	v_add_f32_e32 v97, -1.0, v17
	s_delay_alu instid0(VALU_DEP_1) | instskip(SKIP_1) | instid1(VALU_DEP_2)
	v_sub_f32_e32 v99, v97, v17
	v_sub_f32_e32 v97, v12, v97
	v_add_f32_e32 v99, 1.0, v99
	s_delay_alu instid0(VALU_DEP_1) | instskip(SKIP_3) | instid1(VALU_DEP_2)
	v_add_f32_e32 v97, v97, v99
	v_cmp_gt_f32_e64 s28, 0x33800000, v12
	v_subrev_co_ci_u32_e32 v96, vcc_lo, 0, v96, vcc_lo
	v_cmp_eq_f32_e32 vcc_lo, 0x7f800000, v12
	v_sub_nc_u32_e32 v98, 0, v96
	v_cvt_f32_i32_e32 v96, v96
	s_or_b32 vcc_lo, s28, vcc_lo
	s_delay_alu instid0(VALU_DEP_2) | instskip(SKIP_1) | instid1(VALU_DEP_2)
	v_ldexp_f32 v17, v17, v98
	v_ldexp_f32 v97, v97, v98
	v_add_f32_e32 v100, 1.0, v17
	s_delay_alu instid0(VALU_DEP_1) | instskip(NEXT) | instid1(VALU_DEP_1)
	v_dual_add_f32 v98, -1.0, v17 :: v_dual_add_f32 v99, -1.0, v100
	v_add_f32_e32 v101, 1.0, v98
	s_delay_alu instid0(VALU_DEP_2) | instskip(NEXT) | instid1(VALU_DEP_2)
	v_sub_f32_e32 v99, v17, v99
	v_sub_f32_e32 v17, v17, v101
	s_delay_alu instid0(VALU_DEP_1) | instskip(NEXT) | instid1(VALU_DEP_1)
	v_add_f32_e32 v17, v97, v17
	v_dual_add_f32 v102, v98, v17 :: v_dual_add_f32 v99, v97, v99
	s_delay_alu instid0(VALU_DEP_1) | instskip(NEXT) | instid1(VALU_DEP_1)
	v_dual_sub_f32 v98, v98, v102 :: v_dual_add_f32 v101, v100, v99
	v_rcp_f32_e32 v97, v101
	v_sub_f32_e32 v100, v100, v101
	s_delay_alu instid0(VALU_DEP_1) | instskip(SKIP_2) | instid1(VALU_DEP_1)
	v_add_f32_e32 v99, v99, v100
	s_waitcnt_depctr 0xfff
	v_mul_f32_e32 v103, v102, v97
	v_mul_f32_e32 v104, v101, v103
	s_delay_alu instid0(VALU_DEP_1) | instskip(NEXT) | instid1(VALU_DEP_1)
	v_fma_f32 v100, v103, v101, -v104
	v_fmac_f32_e32 v100, v103, v99
	s_delay_alu instid0(VALU_DEP_1) | instskip(NEXT) | instid1(VALU_DEP_1)
	v_add_f32_e32 v105, v104, v100
	v_sub_f32_e32 v106, v102, v105
	s_delay_alu instid0(VALU_DEP_1) | instskip(SKIP_2) | instid1(VALU_DEP_3)
	v_sub_f32_e32 v102, v102, v106
	v_add_f32_e32 v17, v17, v98
	v_sub_f32_e32 v98, v105, v104
	v_sub_f32_e32 v102, v102, v105
	s_delay_alu instid0(VALU_DEP_1) | instskip(NEXT) | instid1(VALU_DEP_1)
	v_dual_sub_f32 v98, v98, v100 :: v_dual_add_f32 v17, v17, v102
	v_add_f32_e32 v17, v98, v17
	s_delay_alu instid0(VALU_DEP_1) | instskip(NEXT) | instid1(VALU_DEP_1)
	v_add_f32_e32 v98, v106, v17
	v_mul_f32_e32 v100, v97, v98
	s_delay_alu instid0(VALU_DEP_1) | instskip(NEXT) | instid1(VALU_DEP_1)
	v_dual_sub_f32 v105, v106, v98 :: v_dual_mul_f32 v102, v101, v100
	v_add_f32_e32 v17, v17, v105
	s_delay_alu instid0(VALU_DEP_2) | instskip(NEXT) | instid1(VALU_DEP_1)
	v_fma_f32 v101, v100, v101, -v102
	v_fmac_f32_e32 v101, v100, v99
	s_delay_alu instid0(VALU_DEP_1) | instskip(NEXT) | instid1(VALU_DEP_1)
	v_add_f32_e32 v99, v102, v101
	v_sub_f32_e32 v104, v98, v99
	s_delay_alu instid0(VALU_DEP_1) | instskip(NEXT) | instid1(VALU_DEP_1)
	v_sub_f32_e32 v98, v98, v104
	v_sub_f32_e32 v98, v98, v99
	s_delay_alu instid0(VALU_DEP_1) | instskip(SKIP_1) | instid1(VALU_DEP_1)
	v_dual_add_f32 v17, v17, v98 :: v_dual_add_f32 v98, v103, v100
	v_sub_f32_e32 v102, v99, v102
	v_sub_f32_e32 v99, v102, v101
	s_delay_alu instid0(VALU_DEP_1) | instskip(NEXT) | instid1(VALU_DEP_4)
	v_add_f32_e32 v17, v99, v17
	v_sub_f32_e32 v99, v98, v103
	s_delay_alu instid0(VALU_DEP_2) | instskip(NEXT) | instid1(VALU_DEP_2)
	v_add_f32_e32 v17, v104, v17
	v_sub_f32_e32 v99, v100, v99
	s_delay_alu instid0(VALU_DEP_2) | instskip(NEXT) | instid1(VALU_DEP_1)
	v_mul_f32_e32 v17, v97, v17
	v_add_f32_e32 v17, v99, v17
	s_delay_alu instid0(VALU_DEP_1) | instskip(NEXT) | instid1(VALU_DEP_1)
	v_add_f32_e32 v97, v98, v17
	v_mul_f32_e32 v99, v97, v97
	s_delay_alu instid0(VALU_DEP_1) | instskip(SKIP_1) | instid1(VALU_DEP_2)
	v_fmaak_f32 v100, s83, v99, 0x3ecc95a3
	v_mul_f32_e32 v101, v97, v99
	v_fmaak_f32 v99, v99, v100, 0x3f2aaada
	v_ldexp_f32 v100, v97, 1
	v_sub_f32_e32 v97, v97, v98
	s_delay_alu instid0(VALU_DEP_3) | instskip(SKIP_1) | instid1(VALU_DEP_2)
	v_mul_f32_e32 v99, v101, v99
	v_mul_f32_e32 v101, 0x3f317218, v96
	v_dual_sub_f32 v17, v17, v97 :: v_dual_add_f32 v98, v100, v99
	s_delay_alu instid0(VALU_DEP_1) | instskip(NEXT) | instid1(VALU_DEP_2)
	v_ldexp_f32 v17, v17, 1
	v_sub_f32_e32 v97, v98, v100
	s_delay_alu instid0(VALU_DEP_4) | instskip(NEXT) | instid1(VALU_DEP_1)
	v_fma_f32 v100, 0x3f317218, v96, -v101
	v_dual_sub_f32 v97, v99, v97 :: v_dual_fmac_f32 v100, 0xb102e308, v96
	s_delay_alu instid0(VALU_DEP_1) | instskip(NEXT) | instid1(VALU_DEP_1)
	v_add_f32_e32 v17, v17, v97
	v_dual_add_f32 v96, v101, v100 :: v_dual_add_f32 v97, v98, v17
	s_delay_alu instid0(VALU_DEP_1) | instskip(NEXT) | instid1(VALU_DEP_2)
	v_sub_f32_e32 v101, v96, v101
	v_dual_add_f32 v99, v96, v97 :: v_dual_sub_f32 v98, v97, v98
	s_delay_alu instid0(VALU_DEP_2) | instskip(NEXT) | instid1(VALU_DEP_2)
	v_sub_f32_e32 v100, v100, v101
	v_dual_sub_f32 v102, v99, v96 :: v_dual_sub_f32 v17, v17, v98
	s_delay_alu instid0(VALU_DEP_1) | instskip(NEXT) | instid1(VALU_DEP_2)
	v_sub_f32_e32 v103, v99, v102
	v_dual_sub_f32 v97, v97, v102 :: v_dual_add_f32 v98, v100, v17
	s_delay_alu instid0(VALU_DEP_2) | instskip(NEXT) | instid1(VALU_DEP_1)
	v_sub_f32_e32 v96, v96, v103
	v_add_f32_e32 v96, v97, v96
	s_delay_alu instid0(VALU_DEP_3) | instskip(NEXT) | instid1(VALU_DEP_2)
	v_sub_f32_e32 v97, v98, v100
	v_add_f32_e32 v96, v98, v96
	s_delay_alu instid0(VALU_DEP_2) | instskip(SKIP_1) | instid1(VALU_DEP_2)
	v_sub_f32_e32 v98, v98, v97
	v_sub_f32_e32 v17, v17, v97
	v_dual_add_f32 v101, v99, v96 :: v_dual_sub_f32 v98, v100, v98
	s_delay_alu instid0(VALU_DEP_1) | instskip(NEXT) | instid1(VALU_DEP_1)
	v_sub_f32_e32 v97, v101, v99
	v_dual_add_f32 v17, v17, v98 :: v_dual_sub_f32 v96, v96, v97
	s_delay_alu instid0(VALU_DEP_1) | instskip(NEXT) | instid1(VALU_DEP_1)
	v_add_f32_e32 v17, v17, v96
	v_add_f32_e32 v17, v101, v17
	s_delay_alu instid0(VALU_DEP_1)
	v_cndmask_b32_e32 v96, v17, v12, vcc_lo
.LBB48_80:                              ;   in Loop: Header=BB48_12 Depth=1
	s_or_b32 exec_lo, exec_lo, s29
	v_and_b32_e32 v12, 0xffff0000, v13
	s_delay_alu instid0(VALU_DEP_1) | instskip(NEXT) | instid1(VALU_DEP_1)
	v_add_f32_e32 v97, s66, v12
	v_cmp_ge_f32_e32 vcc_lo, 0x41a00000, v97
	s_and_b32 s28, s79, vcc_lo
	s_delay_alu instid0(SALU_CYCLE_1)
	s_and_saveexec_b32 s29, s28
	s_cbranch_execz .LBB48_82
; %bb.81:                               ;   in Loop: Header=BB48_12 Depth=1
	v_mul_f32_e32 v12, 0x3fb8aa3b, v97
	v_cmp_ngt_f32_e32 vcc_lo, 0xc2ce8ed0, v97
	s_delay_alu instid0(VALU_DEP_2) | instskip(SKIP_1) | instid1(VALU_DEP_2)
	v_rndne_f32_e32 v13, v12
	v_fma_f32 v17, 0x3fb8aa3b, v97, -v12
	v_sub_f32_e32 v12, v12, v13
	s_delay_alu instid0(VALU_DEP_2) | instskip(SKIP_1) | instid1(VALU_DEP_2)
	v_fmac_f32_e32 v17, 0x32a5705f, v97
	v_cvt_i32_f32_e32 v13, v13
	v_add_f32_e32 v12, v12, v17
	s_delay_alu instid0(VALU_DEP_1) | instskip(SKIP_2) | instid1(VALU_DEP_1)
	v_exp_f32_e32 v12, v12
	s_waitcnt_depctr 0xfff
	v_ldexp_f32 v12, v12, v13
	v_cndmask_b32_e32 v12, 0, v12, vcc_lo
	v_cmp_nlt_f32_e32 vcc_lo, 0x42b17218, v97
	s_delay_alu instid0(VALU_DEP_2) | instskip(NEXT) | instid1(VALU_DEP_1)
	v_cndmask_b32_e32 v17, 0x7f800000, v12, vcc_lo
	v_add_f32_e32 v97, 1.0, v17
	s_delay_alu instid0(VALU_DEP_1) | instskip(NEXT) | instid1(VALU_DEP_1)
	v_cvt_f64_f32_e32 v[12:13], v97
	v_frexp_exp_i32_f64_e32 v12, v[12:13]
	v_frexp_mant_f32_e32 v13, v97
	s_delay_alu instid0(VALU_DEP_1) | instskip(SKIP_1) | instid1(VALU_DEP_1)
	v_cmp_gt_f32_e32 vcc_lo, 0x3f2aaaab, v13
	v_add_f32_e32 v13, -1.0, v97
	v_sub_f32_e32 v99, v13, v97
	s_delay_alu instid0(VALU_DEP_1) | instskip(SKIP_1) | instid1(VALU_DEP_1)
	v_add_f32_e32 v99, 1.0, v99
	v_subrev_co_ci_u32_e32 v12, vcc_lo, 0, v12, vcc_lo
	v_sub_nc_u32_e32 v98, 0, v12
	v_cvt_f32_i32_e32 v12, v12
	s_delay_alu instid0(VALU_DEP_2) | instskip(NEXT) | instid1(VALU_DEP_1)
	v_ldexp_f32 v97, v97, v98
	v_add_f32_e32 v100, 1.0, v97
	v_sub_f32_e32 v13, v17, v13
	v_cmp_eq_f32_e32 vcc_lo, 0x7f800000, v17
	v_cmp_gt_f32_e64 s28, 0x33800000, v17
	s_delay_alu instid0(VALU_DEP_3) | instskip(SKIP_1) | instid1(VALU_DEP_3)
	v_add_f32_e32 v13, v13, v99
	v_add_f32_e32 v99, -1.0, v100
	s_or_b32 vcc_lo, s28, vcc_lo
	s_delay_alu instid0(VALU_DEP_2) | instskip(NEXT) | instid1(VALU_DEP_2)
	v_ldexp_f32 v13, v13, v98
	v_dual_add_f32 v98, -1.0, v97 :: v_dual_sub_f32 v99, v97, v99
	s_delay_alu instid0(VALU_DEP_1) | instskip(NEXT) | instid1(VALU_DEP_2)
	v_add_f32_e32 v101, 1.0, v98
	v_add_f32_e32 v99, v13, v99
	s_delay_alu instid0(VALU_DEP_2) | instskip(NEXT) | instid1(VALU_DEP_1)
	v_sub_f32_e32 v97, v97, v101
	v_add_f32_e32 v13, v13, v97
	s_delay_alu instid0(VALU_DEP_1) | instskip(NEXT) | instid1(VALU_DEP_1)
	v_dual_add_f32 v102, v98, v13 :: v_dual_add_f32 v101, v100, v99
	v_sub_f32_e32 v98, v98, v102
	s_delay_alu instid0(VALU_DEP_2) | instskip(NEXT) | instid1(VALU_DEP_1)
	v_rcp_f32_e32 v97, v101
	v_dual_sub_f32 v100, v100, v101 :: v_dual_add_f32 v13, v13, v98
	s_delay_alu instid0(VALU_DEP_1) | instskip(SKIP_2) | instid1(VALU_DEP_1)
	v_add_f32_e32 v99, v99, v100
	s_waitcnt_depctr 0xfff
	v_mul_f32_e32 v103, v102, v97
	v_mul_f32_e32 v104, v101, v103
	s_delay_alu instid0(VALU_DEP_1) | instskip(NEXT) | instid1(VALU_DEP_1)
	v_fma_f32 v100, v103, v101, -v104
	v_fmac_f32_e32 v100, v103, v99
	s_delay_alu instid0(VALU_DEP_1) | instskip(NEXT) | instid1(VALU_DEP_1)
	v_add_f32_e32 v105, v104, v100
	v_sub_f32_e32 v106, v102, v105
	v_sub_f32_e32 v98, v105, v104
	s_delay_alu instid0(VALU_DEP_2) | instskip(NEXT) | instid1(VALU_DEP_2)
	v_sub_f32_e32 v102, v102, v106
	v_sub_f32_e32 v98, v98, v100
	s_delay_alu instid0(VALU_DEP_2) | instskip(NEXT) | instid1(VALU_DEP_1)
	v_sub_f32_e32 v102, v102, v105
	v_add_f32_e32 v13, v13, v102
	s_delay_alu instid0(VALU_DEP_1) | instskip(NEXT) | instid1(VALU_DEP_1)
	v_add_f32_e32 v13, v98, v13
	v_add_f32_e32 v98, v106, v13
	s_delay_alu instid0(VALU_DEP_1) | instskip(NEXT) | instid1(VALU_DEP_1)
	v_mul_f32_e32 v100, v97, v98
	v_dual_sub_f32 v105, v106, v98 :: v_dual_mul_f32 v102, v101, v100
	s_delay_alu instid0(VALU_DEP_1) | instskip(NEXT) | instid1(VALU_DEP_1)
	v_fma_f32 v101, v100, v101, -v102
	v_fmac_f32_e32 v101, v100, v99
	s_delay_alu instid0(VALU_DEP_1) | instskip(NEXT) | instid1(VALU_DEP_1)
	v_add_f32_e32 v99, v102, v101
	v_dual_add_f32 v13, v13, v105 :: v_dual_sub_f32 v104, v98, v99
	s_delay_alu instid0(VALU_DEP_1) | instskip(NEXT) | instid1(VALU_DEP_1)
	v_sub_f32_e32 v98, v98, v104
	v_sub_f32_e32 v98, v98, v99
	s_delay_alu instid0(VALU_DEP_1) | instskip(SKIP_1) | instid1(VALU_DEP_1)
	v_dual_add_f32 v13, v13, v98 :: v_dual_add_f32 v98, v103, v100
	v_sub_f32_e32 v102, v99, v102
	v_sub_f32_e32 v99, v102, v101
	s_delay_alu instid0(VALU_DEP_1) | instskip(NEXT) | instid1(VALU_DEP_4)
	v_add_f32_e32 v13, v99, v13
	v_sub_f32_e32 v99, v98, v103
	s_delay_alu instid0(VALU_DEP_2) | instskip(NEXT) | instid1(VALU_DEP_2)
	v_add_f32_e32 v13, v104, v13
	v_sub_f32_e32 v99, v100, v99
	s_delay_alu instid0(VALU_DEP_2) | instskip(NEXT) | instid1(VALU_DEP_1)
	v_mul_f32_e32 v13, v97, v13
	v_add_f32_e32 v13, v99, v13
	s_delay_alu instid0(VALU_DEP_1) | instskip(NEXT) | instid1(VALU_DEP_1)
	v_add_f32_e32 v97, v98, v13
	v_mul_f32_e32 v99, v97, v97
	s_delay_alu instid0(VALU_DEP_1) | instskip(SKIP_1) | instid1(VALU_DEP_2)
	v_fmaak_f32 v100, s83, v99, 0x3ecc95a3
	v_mul_f32_e32 v101, v97, v99
	v_fmaak_f32 v99, v99, v100, 0x3f2aaada
	v_ldexp_f32 v100, v97, 1
	v_sub_f32_e32 v97, v97, v98
	s_delay_alu instid0(VALU_DEP_3) | instskip(SKIP_1) | instid1(VALU_DEP_2)
	v_mul_f32_e32 v99, v101, v99
	v_mul_f32_e32 v101, 0x3f317218, v12
	v_dual_sub_f32 v13, v13, v97 :: v_dual_add_f32 v98, v100, v99
	s_delay_alu instid0(VALU_DEP_1) | instskip(NEXT) | instid1(VALU_DEP_2)
	v_ldexp_f32 v13, v13, 1
	v_sub_f32_e32 v97, v98, v100
	s_delay_alu instid0(VALU_DEP_4) | instskip(NEXT) | instid1(VALU_DEP_1)
	v_fma_f32 v100, 0x3f317218, v12, -v101
	v_dual_sub_f32 v97, v99, v97 :: v_dual_fmac_f32 v100, 0xb102e308, v12
	s_delay_alu instid0(VALU_DEP_1) | instskip(NEXT) | instid1(VALU_DEP_2)
	v_add_f32_e32 v12, v13, v97
	v_add_f32_e32 v13, v101, v100
	s_delay_alu instid0(VALU_DEP_2) | instskip(NEXT) | instid1(VALU_DEP_2)
	v_add_f32_e32 v97, v98, v12
	v_sub_f32_e32 v101, v13, v101
	s_delay_alu instid0(VALU_DEP_2) | instskip(SKIP_1) | instid1(VALU_DEP_3)
	v_add_f32_e32 v99, v13, v97
	v_sub_f32_e32 v98, v97, v98
	v_sub_f32_e32 v100, v100, v101
	s_delay_alu instid0(VALU_DEP_3) | instskip(NEXT) | instid1(VALU_DEP_3)
	v_sub_f32_e32 v102, v99, v13
	v_sub_f32_e32 v12, v12, v98
	s_delay_alu instid0(VALU_DEP_2) | instskip(NEXT) | instid1(VALU_DEP_2)
	v_sub_f32_e32 v103, v99, v102
	v_dual_sub_f32 v97, v97, v102 :: v_dual_add_f32 v98, v100, v12
	s_delay_alu instid0(VALU_DEP_2) | instskip(NEXT) | instid1(VALU_DEP_1)
	v_sub_f32_e32 v13, v13, v103
	v_add_f32_e32 v13, v97, v13
	s_delay_alu instid0(VALU_DEP_3) | instskip(NEXT) | instid1(VALU_DEP_2)
	v_sub_f32_e32 v97, v98, v100
	v_add_f32_e32 v13, v98, v13
	s_delay_alu instid0(VALU_DEP_2) | instskip(SKIP_1) | instid1(VALU_DEP_1)
	v_sub_f32_e32 v12, v12, v97
	v_sub_f32_e32 v98, v98, v97
	v_dual_add_f32 v101, v99, v13 :: v_dual_sub_f32 v98, v100, v98
	s_delay_alu instid0(VALU_DEP_1) | instskip(NEXT) | instid1(VALU_DEP_1)
	v_dual_sub_f32 v97, v101, v99 :: v_dual_add_f32 v12, v12, v98
	v_sub_f32_e32 v13, v13, v97
	s_delay_alu instid0(VALU_DEP_1) | instskip(NEXT) | instid1(VALU_DEP_1)
	v_add_f32_e32 v12, v12, v13
	v_add_f32_e32 v12, v101, v12
	s_delay_alu instid0(VALU_DEP_1)
	v_cndmask_b32_e32 v97, v12, v17, vcc_lo
.LBB48_82:                              ;   in Loop: Header=BB48_12 Depth=1
	s_or_b32 exec_lo, exec_lo, s29
	v_lshlrev_b32_e32 v12, 16, v14
	s_delay_alu instid0(VALU_DEP_1) | instskip(NEXT) | instid1(VALU_DEP_1)
	v_add_f32_e32 v98, s66, v12
	v_cmp_ge_f32_e32 vcc_lo, 0x41a00000, v98
	s_and_b32 s28, s79, vcc_lo
	s_delay_alu instid0(SALU_CYCLE_1)
	s_and_saveexec_b32 s29, s28
	s_cbranch_execz .LBB48_84
; %bb.83:                               ;   in Loop: Header=BB48_12 Depth=1
	v_mul_f32_e32 v12, 0x3fb8aa3b, v98
	v_cmp_ngt_f32_e32 vcc_lo, 0xc2ce8ed0, v98
	s_delay_alu instid0(VALU_DEP_2) | instskip(SKIP_1) | instid1(VALU_DEP_1)
	v_rndne_f32_e32 v13, v12
	v_fma_f32 v17, 0x3fb8aa3b, v98, -v12
	v_dual_sub_f32 v12, v12, v13 :: v_dual_fmac_f32 v17, 0x32a5705f, v98
	v_cvt_i32_f32_e32 v13, v13
	s_delay_alu instid0(VALU_DEP_2) | instskip(NEXT) | instid1(VALU_DEP_1)
	v_add_f32_e32 v12, v12, v17
	v_exp_f32_e32 v12, v12
	s_waitcnt_depctr 0xfff
	v_ldexp_f32 v12, v12, v13
	s_delay_alu instid0(VALU_DEP_1) | instskip(SKIP_1) | instid1(VALU_DEP_2)
	v_cndmask_b32_e32 v12, 0, v12, vcc_lo
	v_cmp_nlt_f32_e32 vcc_lo, 0x42b17218, v98
	v_cndmask_b32_e32 v17, 0x7f800000, v12, vcc_lo
	s_delay_alu instid0(VALU_DEP_1) | instskip(NEXT) | instid1(VALU_DEP_1)
	v_add_f32_e32 v98, 1.0, v17
	v_cvt_f64_f32_e32 v[12:13], v98
	s_delay_alu instid0(VALU_DEP_1) | instskip(SKIP_1) | instid1(VALU_DEP_1)
	v_frexp_exp_i32_f64_e32 v12, v[12:13]
	v_frexp_mant_f32_e32 v13, v98
	v_cmp_gt_f32_e32 vcc_lo, 0x3f2aaaab, v13
	v_add_f32_e32 v13, -1.0, v98
	s_delay_alu instid0(VALU_DEP_1) | instskip(SKIP_2) | instid1(VALU_DEP_3)
	v_sub_f32_e32 v100, v13, v98
	v_sub_f32_e32 v13, v17, v13
	v_cmp_gt_f32_e64 s28, 0x33800000, v17
	v_add_f32_e32 v100, 1.0, v100
	s_delay_alu instid0(VALU_DEP_1) | instskip(SKIP_2) | instid1(VALU_DEP_2)
	v_add_f32_e32 v13, v13, v100
	v_subrev_co_ci_u32_e32 v12, vcc_lo, 0, v12, vcc_lo
	v_cmp_eq_f32_e32 vcc_lo, 0x7f800000, v17
	v_sub_nc_u32_e32 v99, 0, v12
	v_cvt_f32_i32_e32 v12, v12
	s_or_b32 vcc_lo, s28, vcc_lo
	s_delay_alu instid0(VALU_DEP_2) | instskip(SKIP_1) | instid1(VALU_DEP_2)
	v_ldexp_f32 v98, v98, v99
	v_ldexp_f32 v13, v13, v99
	v_add_f32_e32 v99, -1.0, v98
	s_delay_alu instid0(VALU_DEP_1) | instskip(NEXT) | instid1(VALU_DEP_1)
	v_dual_add_f32 v101, 1.0, v98 :: v_dual_add_f32 v102, 1.0, v99
	v_add_f32_e32 v100, -1.0, v101
	s_delay_alu instid0(VALU_DEP_1) | instskip(NEXT) | instid1(VALU_DEP_3)
	v_sub_f32_e32 v100, v98, v100
	v_sub_f32_e32 v98, v98, v102
	s_delay_alu instid0(VALU_DEP_2) | instskip(NEXT) | instid1(VALU_DEP_2)
	v_add_f32_e32 v100, v13, v100
	v_add_f32_e32 v13, v13, v98
	s_delay_alu instid0(VALU_DEP_1) | instskip(NEXT) | instid1(VALU_DEP_1)
	v_dual_add_f32 v103, v99, v13 :: v_dual_add_f32 v102, v101, v100
	v_sub_f32_e32 v99, v99, v103
	s_delay_alu instid0(VALU_DEP_2) | instskip(SKIP_1) | instid1(VALU_DEP_1)
	v_rcp_f32_e32 v98, v102
	v_sub_f32_e32 v101, v101, v102
	v_dual_add_f32 v13, v13, v99 :: v_dual_add_f32 v100, v100, v101
	s_waitcnt_depctr 0xfff
	v_mul_f32_e32 v104, v103, v98
	s_delay_alu instid0(VALU_DEP_1) | instskip(NEXT) | instid1(VALU_DEP_1)
	v_mul_f32_e32 v105, v102, v104
	v_fma_f32 v101, v104, v102, -v105
	s_delay_alu instid0(VALU_DEP_1) | instskip(NEXT) | instid1(VALU_DEP_1)
	v_fmac_f32_e32 v101, v104, v100
	v_add_f32_e32 v106, v105, v101
	s_delay_alu instid0(VALU_DEP_1) | instskip(SKIP_1) | instid1(VALU_DEP_2)
	v_sub_f32_e32 v107, v103, v106
	v_sub_f32_e32 v99, v106, v105
	;; [unrolled: 1-line block ×3, first 2 shown]
	s_delay_alu instid0(VALU_DEP_2) | instskip(NEXT) | instid1(VALU_DEP_2)
	v_sub_f32_e32 v99, v99, v101
	v_sub_f32_e32 v103, v103, v106
	s_delay_alu instid0(VALU_DEP_1) | instskip(NEXT) | instid1(VALU_DEP_1)
	v_add_f32_e32 v13, v13, v103
	v_add_f32_e32 v13, v99, v13
	s_delay_alu instid0(VALU_DEP_1) | instskip(NEXT) | instid1(VALU_DEP_1)
	v_add_f32_e32 v99, v107, v13
	v_mul_f32_e32 v101, v98, v99
	s_delay_alu instid0(VALU_DEP_1) | instskip(NEXT) | instid1(VALU_DEP_1)
	v_dual_sub_f32 v106, v107, v99 :: v_dual_mul_f32 v103, v102, v101
	v_add_f32_e32 v13, v13, v106
	s_delay_alu instid0(VALU_DEP_2) | instskip(NEXT) | instid1(VALU_DEP_1)
	v_fma_f32 v102, v101, v102, -v103
	v_fmac_f32_e32 v102, v101, v100
	s_delay_alu instid0(VALU_DEP_1) | instskip(NEXT) | instid1(VALU_DEP_1)
	v_add_f32_e32 v100, v103, v102
	v_sub_f32_e32 v105, v99, v100
	s_delay_alu instid0(VALU_DEP_1) | instskip(NEXT) | instid1(VALU_DEP_1)
	v_sub_f32_e32 v99, v99, v105
	v_sub_f32_e32 v99, v99, v100
	s_delay_alu instid0(VALU_DEP_1) | instskip(SKIP_2) | instid1(VALU_DEP_1)
	v_add_f32_e32 v13, v13, v99
	v_add_f32_e32 v99, v104, v101
	v_sub_f32_e32 v103, v100, v103
	v_sub_f32_e32 v100, v103, v102
	s_delay_alu instid0(VALU_DEP_1) | instskip(NEXT) | instid1(VALU_DEP_1)
	v_dual_add_f32 v13, v100, v13 :: v_dual_sub_f32 v100, v99, v104
	v_add_f32_e32 v13, v105, v13
	s_delay_alu instid0(VALU_DEP_1) | instskip(NEXT) | instid1(VALU_DEP_1)
	v_dual_sub_f32 v100, v101, v100 :: v_dual_mul_f32 v13, v98, v13
	v_add_f32_e32 v13, v100, v13
	s_delay_alu instid0(VALU_DEP_1) | instskip(NEXT) | instid1(VALU_DEP_1)
	v_add_f32_e32 v98, v99, v13
	v_mul_f32_e32 v100, v98, v98
	s_delay_alu instid0(VALU_DEP_1) | instskip(SKIP_1) | instid1(VALU_DEP_2)
	v_fmaak_f32 v101, s83, v100, 0x3ecc95a3
	v_mul_f32_e32 v102, v98, v100
	v_fmaak_f32 v100, v100, v101, 0x3f2aaada
	v_ldexp_f32 v101, v98, 1
	v_sub_f32_e32 v98, v98, v99
	s_delay_alu instid0(VALU_DEP_3) | instskip(NEXT) | instid1(VALU_DEP_2)
	v_mul_f32_e32 v100, v102, v100
	v_dual_mul_f32 v102, 0x3f317218, v12 :: v_dual_sub_f32 v13, v13, v98
	s_delay_alu instid0(VALU_DEP_2) | instskip(NEXT) | instid1(VALU_DEP_2)
	v_add_f32_e32 v99, v101, v100
	v_ldexp_f32 v13, v13, 1
	s_delay_alu instid0(VALU_DEP_2) | instskip(NEXT) | instid1(VALU_DEP_4)
	v_sub_f32_e32 v98, v99, v101
	v_fma_f32 v101, 0x3f317218, v12, -v102
	s_delay_alu instid0(VALU_DEP_1) | instskip(NEXT) | instid1(VALU_DEP_1)
	v_dual_sub_f32 v98, v100, v98 :: v_dual_fmac_f32 v101, 0xb102e308, v12
	v_add_f32_e32 v12, v13, v98
	s_delay_alu instid0(VALU_DEP_1) | instskip(NEXT) | instid1(VALU_DEP_1)
	v_add_f32_e32 v98, v99, v12
	v_sub_f32_e32 v99, v98, v99
	s_delay_alu instid0(VALU_DEP_1) | instskip(NEXT) | instid1(VALU_DEP_1)
	v_dual_sub_f32 v12, v12, v99 :: v_dual_add_f32 v13, v102, v101
	v_add_f32_e32 v100, v13, v98
	s_delay_alu instid0(VALU_DEP_1) | instskip(NEXT) | instid1(VALU_DEP_1)
	v_dual_sub_f32 v102, v13, v102 :: v_dual_sub_f32 v103, v100, v13
	v_dual_sub_f32 v101, v101, v102 :: v_dual_sub_f32 v104, v100, v103
	s_delay_alu instid0(VALU_DEP_1) | instskip(NEXT) | instid1(VALU_DEP_2)
	v_dual_sub_f32 v98, v98, v103 :: v_dual_add_f32 v99, v101, v12
	v_sub_f32_e32 v13, v13, v104
	s_delay_alu instid0(VALU_DEP_1) | instskip(NEXT) | instid1(VALU_DEP_3)
	v_add_f32_e32 v13, v98, v13
	v_sub_f32_e32 v98, v99, v101
	s_delay_alu instid0(VALU_DEP_2) | instskip(NEXT) | instid1(VALU_DEP_2)
	v_add_f32_e32 v13, v99, v13
	v_sub_f32_e32 v99, v99, v98
	v_sub_f32_e32 v12, v12, v98
	s_delay_alu instid0(VALU_DEP_2) | instskip(NEXT) | instid1(VALU_DEP_1)
	v_dual_add_f32 v102, v100, v13 :: v_dual_sub_f32 v99, v101, v99
	v_sub_f32_e32 v98, v102, v100
	s_delay_alu instid0(VALU_DEP_1) | instskip(NEXT) | instid1(VALU_DEP_1)
	v_dual_add_f32 v12, v12, v99 :: v_dual_sub_f32 v13, v13, v98
	v_add_f32_e32 v12, v12, v13
	s_delay_alu instid0(VALU_DEP_1) | instskip(NEXT) | instid1(VALU_DEP_1)
	v_add_f32_e32 v12, v102, v12
	v_cndmask_b32_e32 v98, v12, v17, vcc_lo
.LBB48_84:                              ;   in Loop: Header=BB48_12 Depth=1
	s_or_b32 exec_lo, exec_lo, s29
	v_and_b32_e32 v12, 0xffff0000, v14
	s_delay_alu instid0(VALU_DEP_1) | instskip(NEXT) | instid1(VALU_DEP_1)
	v_add_f32_e32 v99, s66, v12
	v_cmp_ge_f32_e32 vcc_lo, 0x41a00000, v99
	s_and_b32 s28, s79, vcc_lo
	s_delay_alu instid0(SALU_CYCLE_1)
	s_and_saveexec_b32 s29, s28
	s_cbranch_execz .LBB48_86
; %bb.85:                               ;   in Loop: Header=BB48_12 Depth=1
	v_mul_f32_e32 v12, 0x3fb8aa3b, v99
	v_cmp_ngt_f32_e32 vcc_lo, 0xc2ce8ed0, v99
	s_delay_alu instid0(VALU_DEP_2) | instskip(SKIP_1) | instid1(VALU_DEP_2)
	v_rndne_f32_e32 v13, v12
	v_fma_f32 v14, 0x3fb8aa3b, v99, -v12
	v_sub_f32_e32 v12, v12, v13
	s_delay_alu instid0(VALU_DEP_2) | instskip(SKIP_1) | instid1(VALU_DEP_2)
	v_fmac_f32_e32 v14, 0x32a5705f, v99
	v_cvt_i32_f32_e32 v13, v13
	v_add_f32_e32 v12, v12, v14
	s_delay_alu instid0(VALU_DEP_1) | instskip(SKIP_2) | instid1(VALU_DEP_1)
	v_exp_f32_e32 v12, v12
	s_waitcnt_depctr 0xfff
	v_ldexp_f32 v12, v12, v13
	v_cndmask_b32_e32 v12, 0, v12, vcc_lo
	v_cmp_nlt_f32_e32 vcc_lo, 0x42b17218, v99
	s_delay_alu instid0(VALU_DEP_2) | instskip(NEXT) | instid1(VALU_DEP_1)
	v_cndmask_b32_e32 v14, 0x7f800000, v12, vcc_lo
	v_add_f32_e32 v17, 1.0, v14
	s_delay_alu instid0(VALU_DEP_1) | instskip(NEXT) | instid1(VALU_DEP_1)
	v_cvt_f64_f32_e32 v[12:13], v17
	v_frexp_exp_i32_f64_e32 v12, v[12:13]
	v_frexp_mant_f32_e32 v13, v17
	s_delay_alu instid0(VALU_DEP_1) | instskip(SKIP_1) | instid1(VALU_DEP_1)
	v_cmp_gt_f32_e32 vcc_lo, 0x3f2aaaab, v13
	v_add_f32_e32 v13, -1.0, v17
	v_sub_f32_e32 v100, v13, v17
	v_sub_f32_e32 v13, v14, v13
	v_subrev_co_ci_u32_e32 v12, vcc_lo, 0, v12, vcc_lo
	s_delay_alu instid0(VALU_DEP_1) | instskip(SKIP_1) | instid1(VALU_DEP_2)
	v_sub_nc_u32_e32 v99, 0, v12
	v_cvt_f32_i32_e32 v12, v12
	v_ldexp_f32 v17, v17, v99
	s_delay_alu instid0(VALU_DEP_1) | instskip(NEXT) | instid1(VALU_DEP_1)
	v_dual_add_f32 v100, 1.0, v100 :: v_dual_add_f32 v101, 1.0, v17
	v_dual_add_f32 v13, v13, v100 :: v_dual_add_f32 v100, -1.0, v101
	s_delay_alu instid0(VALU_DEP_1) | instskip(SKIP_4) | instid1(VALU_DEP_4)
	v_ldexp_f32 v13, v13, v99
	v_add_f32_e32 v99, -1.0, v17
	v_cmp_eq_f32_e32 vcc_lo, 0x7f800000, v14
	v_cmp_gt_f32_e64 s28, 0x33800000, v14
	v_sub_f32_e32 v100, v17, v100
	v_add_f32_e32 v102, 1.0, v99
	s_delay_alu instid0(VALU_DEP_3) | instskip(NEXT) | instid1(VALU_DEP_2)
	s_or_b32 vcc_lo, s28, vcc_lo
	v_add_f32_e32 v100, v13, v100
	s_delay_alu instid0(VALU_DEP_2) | instskip(NEXT) | instid1(VALU_DEP_1)
	v_sub_f32_e32 v17, v17, v102
	v_add_f32_e32 v13, v13, v17
	s_delay_alu instid0(VALU_DEP_1) | instskip(NEXT) | instid1(VALU_DEP_1)
	v_dual_add_f32 v103, v99, v13 :: v_dual_add_f32 v102, v101, v100
	v_sub_f32_e32 v99, v99, v103
	s_delay_alu instid0(VALU_DEP_2) | instskip(SKIP_1) | instid1(VALU_DEP_1)
	v_rcp_f32_e32 v17, v102
	v_sub_f32_e32 v101, v101, v102
	v_dual_add_f32 v13, v13, v99 :: v_dual_add_f32 v100, v100, v101
	s_waitcnt_depctr 0xfff
	v_mul_f32_e32 v104, v103, v17
	s_delay_alu instid0(VALU_DEP_1) | instskip(NEXT) | instid1(VALU_DEP_1)
	v_mul_f32_e32 v105, v102, v104
	v_fma_f32 v101, v104, v102, -v105
	s_delay_alu instid0(VALU_DEP_1) | instskip(NEXT) | instid1(VALU_DEP_1)
	v_fmac_f32_e32 v101, v104, v100
	v_add_f32_e32 v106, v105, v101
	s_delay_alu instid0(VALU_DEP_1) | instskip(NEXT) | instid1(VALU_DEP_1)
	v_sub_f32_e32 v107, v103, v106
	v_sub_f32_e32 v103, v103, v107
	v_sub_f32_e32 v99, v106, v105
	s_delay_alu instid0(VALU_DEP_2) | instskip(NEXT) | instid1(VALU_DEP_2)
	v_sub_f32_e32 v103, v103, v106
	v_sub_f32_e32 v99, v99, v101
	s_delay_alu instid0(VALU_DEP_2) | instskip(NEXT) | instid1(VALU_DEP_1)
	v_add_f32_e32 v13, v13, v103
	v_add_f32_e32 v13, v99, v13
	s_delay_alu instid0(VALU_DEP_1) | instskip(NEXT) | instid1(VALU_DEP_1)
	v_add_f32_e32 v99, v107, v13
	v_mul_f32_e32 v101, v17, v99
	s_delay_alu instid0(VALU_DEP_1) | instskip(NEXT) | instid1(VALU_DEP_1)
	v_dual_sub_f32 v106, v107, v99 :: v_dual_mul_f32 v103, v102, v101
	v_add_f32_e32 v13, v13, v106
	s_delay_alu instid0(VALU_DEP_2) | instskip(NEXT) | instid1(VALU_DEP_1)
	v_fma_f32 v102, v101, v102, -v103
	v_fmac_f32_e32 v102, v101, v100
	s_delay_alu instid0(VALU_DEP_1) | instskip(NEXT) | instid1(VALU_DEP_1)
	v_add_f32_e32 v100, v103, v102
	v_sub_f32_e32 v105, v99, v100
	v_sub_f32_e32 v103, v100, v103
	s_delay_alu instid0(VALU_DEP_2) | instskip(NEXT) | instid1(VALU_DEP_1)
	v_sub_f32_e32 v99, v99, v105
	v_sub_f32_e32 v99, v99, v100
	s_delay_alu instid0(VALU_DEP_1) | instskip(SKIP_1) | instid1(VALU_DEP_1)
	v_dual_sub_f32 v100, v103, v102 :: v_dual_add_f32 v13, v13, v99
	v_add_f32_e32 v99, v104, v101
	v_dual_add_f32 v13, v100, v13 :: v_dual_sub_f32 v100, v99, v104
	s_delay_alu instid0(VALU_DEP_1) | instskip(NEXT) | instid1(VALU_DEP_2)
	v_add_f32_e32 v13, v105, v13
	v_sub_f32_e32 v100, v101, v100
	s_delay_alu instid0(VALU_DEP_2) | instskip(NEXT) | instid1(VALU_DEP_1)
	v_mul_f32_e32 v13, v17, v13
	v_add_f32_e32 v13, v100, v13
	s_delay_alu instid0(VALU_DEP_1) | instskip(NEXT) | instid1(VALU_DEP_1)
	v_add_f32_e32 v17, v99, v13
	v_mul_f32_e32 v100, v17, v17
	s_delay_alu instid0(VALU_DEP_1) | instskip(SKIP_1) | instid1(VALU_DEP_2)
	v_fmaak_f32 v101, s83, v100, 0x3ecc95a3
	v_mul_f32_e32 v102, v17, v100
	v_fmaak_f32 v100, v100, v101, 0x3f2aaada
	v_ldexp_f32 v101, v17, 1
	s_delay_alu instid0(VALU_DEP_2) | instskip(NEXT) | instid1(VALU_DEP_1)
	v_dual_sub_f32 v17, v17, v99 :: v_dual_mul_f32 v100, v102, v100
	v_dual_mul_f32 v102, 0x3f317218, v12 :: v_dual_sub_f32 v13, v13, v17
	s_delay_alu instid0(VALU_DEP_2) | instskip(NEXT) | instid1(VALU_DEP_2)
	v_add_f32_e32 v99, v101, v100
	v_ldexp_f32 v13, v13, 1
	s_delay_alu instid0(VALU_DEP_2) | instskip(NEXT) | instid1(VALU_DEP_4)
	v_sub_f32_e32 v17, v99, v101
	v_fma_f32 v101, 0x3f317218, v12, -v102
	s_delay_alu instid0(VALU_DEP_2) | instskip(NEXT) | instid1(VALU_DEP_1)
	v_sub_f32_e32 v17, v100, v17
	v_dual_fmac_f32 v101, 0xb102e308, v12 :: v_dual_add_f32 v12, v13, v17
	s_delay_alu instid0(VALU_DEP_1) | instskip(NEXT) | instid1(VALU_DEP_1)
	v_add_f32_e32 v13, v102, v101
	v_dual_add_f32 v17, v99, v12 :: v_dual_sub_f32 v102, v13, v102
	s_delay_alu instid0(VALU_DEP_1) | instskip(SKIP_1) | instid1(VALU_DEP_3)
	v_add_f32_e32 v100, v13, v17
	v_sub_f32_e32 v99, v17, v99
	v_sub_f32_e32 v101, v101, v102
	s_delay_alu instid0(VALU_DEP_3) | instskip(NEXT) | instid1(VALU_DEP_3)
	v_sub_f32_e32 v103, v100, v13
	v_sub_f32_e32 v12, v12, v99
	s_delay_alu instid0(VALU_DEP_2) | instskip(SKIP_1) | instid1(VALU_DEP_3)
	v_sub_f32_e32 v104, v100, v103
	v_sub_f32_e32 v17, v17, v103
	v_add_f32_e32 v99, v101, v12
	s_delay_alu instid0(VALU_DEP_3) | instskip(NEXT) | instid1(VALU_DEP_1)
	v_sub_f32_e32 v13, v13, v104
	v_add_f32_e32 v13, v17, v13
	s_delay_alu instid0(VALU_DEP_3) | instskip(NEXT) | instid1(VALU_DEP_2)
	v_sub_f32_e32 v17, v99, v101
	v_add_f32_e32 v13, v99, v13
	s_delay_alu instid0(VALU_DEP_2) | instskip(SKIP_1) | instid1(VALU_DEP_2)
	v_sub_f32_e32 v99, v99, v17
	v_sub_f32_e32 v12, v12, v17
	v_dual_add_f32 v102, v100, v13 :: v_dual_sub_f32 v99, v101, v99
	s_delay_alu instid0(VALU_DEP_1) | instskip(NEXT) | instid1(VALU_DEP_1)
	v_dual_sub_f32 v17, v102, v100 :: v_dual_add_f32 v12, v12, v99
	v_sub_f32_e32 v13, v13, v17
	s_delay_alu instid0(VALU_DEP_1) | instskip(NEXT) | instid1(VALU_DEP_1)
	v_add_f32_e32 v12, v12, v13
	v_add_f32_e32 v12, v102, v12
	s_delay_alu instid0(VALU_DEP_1)
	v_cndmask_b32_e32 v99, v12, v14, vcc_lo
.LBB48_86:                              ;   in Loop: Header=BB48_12 Depth=1
	s_or_b32 exec_lo, exec_lo, s29
	v_lshlrev_b32_e32 v12, 16, v15
	s_delay_alu instid0(VALU_DEP_1) | instskip(NEXT) | instid1(VALU_DEP_1)
	v_add_f32_e32 v100, s66, v12
	v_cmp_ge_f32_e32 vcc_lo, 0x41a00000, v100
	s_and_b32 s28, s79, vcc_lo
	s_delay_alu instid0(SALU_CYCLE_1)
	s_and_saveexec_b32 s29, s28
	s_cbranch_execz .LBB48_88
; %bb.87:                               ;   in Loop: Header=BB48_12 Depth=1
	v_mul_f32_e32 v12, 0x3fb8aa3b, v100
	v_cmp_ngt_f32_e32 vcc_lo, 0xc2ce8ed0, v100
	s_delay_alu instid0(VALU_DEP_2) | instskip(SKIP_1) | instid1(VALU_DEP_2)
	v_rndne_f32_e32 v13, v12
	v_fma_f32 v14, 0x3fb8aa3b, v100, -v12
	v_sub_f32_e32 v12, v12, v13
	s_delay_alu instid0(VALU_DEP_2) | instskip(SKIP_1) | instid1(VALU_DEP_2)
	v_fmac_f32_e32 v14, 0x32a5705f, v100
	v_cvt_i32_f32_e32 v13, v13
	v_add_f32_e32 v12, v12, v14
	s_delay_alu instid0(VALU_DEP_1) | instskip(SKIP_2) | instid1(VALU_DEP_1)
	v_exp_f32_e32 v12, v12
	s_waitcnt_depctr 0xfff
	v_ldexp_f32 v12, v12, v13
	v_cndmask_b32_e32 v12, 0, v12, vcc_lo
	v_cmp_nlt_f32_e32 vcc_lo, 0x42b17218, v100
	s_delay_alu instid0(VALU_DEP_2) | instskip(NEXT) | instid1(VALU_DEP_1)
	v_cndmask_b32_e32 v14, 0x7f800000, v12, vcc_lo
	v_add_f32_e32 v17, 1.0, v14
	s_delay_alu instid0(VALU_DEP_1) | instskip(NEXT) | instid1(VALU_DEP_1)
	v_cvt_f64_f32_e32 v[12:13], v17
	v_frexp_exp_i32_f64_e32 v12, v[12:13]
	v_frexp_mant_f32_e32 v13, v17
	s_delay_alu instid0(VALU_DEP_1) | instskip(SKIP_1) | instid1(VALU_DEP_1)
	v_cmp_gt_f32_e32 vcc_lo, 0x3f2aaaab, v13
	v_add_f32_e32 v13, -1.0, v17
	v_sub_f32_e32 v101, v13, v17
	s_delay_alu instid0(VALU_DEP_1) | instskip(SKIP_2) | instid1(VALU_DEP_2)
	v_add_f32_e32 v101, 1.0, v101
	v_sub_f32_e32 v13, v14, v13
	v_cmp_gt_f32_e64 s28, 0x33800000, v14
	v_add_f32_e32 v13, v13, v101
	v_subrev_co_ci_u32_e32 v12, vcc_lo, 0, v12, vcc_lo
	v_cmp_eq_f32_e32 vcc_lo, 0x7f800000, v14
	s_delay_alu instid0(VALU_DEP_2) | instskip(SKIP_2) | instid1(VALU_DEP_2)
	v_sub_nc_u32_e32 v100, 0, v12
	v_cvt_f32_i32_e32 v12, v12
	s_or_b32 vcc_lo, s28, vcc_lo
	v_ldexp_f32 v17, v17, v100
	v_ldexp_f32 v13, v13, v100
	s_delay_alu instid0(VALU_DEP_2) | instskip(NEXT) | instid1(VALU_DEP_1)
	v_add_f32_e32 v100, -1.0, v17
	v_dual_add_f32 v102, 1.0, v17 :: v_dual_add_f32 v103, 1.0, v100
	s_delay_alu instid0(VALU_DEP_1) | instskip(NEXT) | instid1(VALU_DEP_1)
	v_add_f32_e32 v101, -1.0, v102
	v_sub_f32_e32 v101, v17, v101
	s_delay_alu instid0(VALU_DEP_3) | instskip(NEXT) | instid1(VALU_DEP_2)
	v_sub_f32_e32 v17, v17, v103
	v_add_f32_e32 v101, v13, v101
	s_delay_alu instid0(VALU_DEP_2) | instskip(NEXT) | instid1(VALU_DEP_1)
	v_add_f32_e32 v13, v13, v17
	v_add_f32_e32 v104, v100, v13
	s_delay_alu instid0(VALU_DEP_1) | instskip(NEXT) | instid1(VALU_DEP_1)
	v_dual_sub_f32 v100, v100, v104 :: v_dual_add_f32 v103, v102, v101
	v_add_f32_e32 v13, v13, v100
	s_delay_alu instid0(VALU_DEP_2) | instskip(SKIP_1) | instid1(VALU_DEP_1)
	v_rcp_f32_e32 v17, v103
	v_sub_f32_e32 v102, v102, v103
	v_add_f32_e32 v101, v101, v102
	s_waitcnt_depctr 0xfff
	v_mul_f32_e32 v105, v104, v17
	s_delay_alu instid0(VALU_DEP_1) | instskip(NEXT) | instid1(VALU_DEP_1)
	v_mul_f32_e32 v106, v103, v105
	v_fma_f32 v102, v105, v103, -v106
	s_delay_alu instid0(VALU_DEP_1) | instskip(NEXT) | instid1(VALU_DEP_1)
	v_fmac_f32_e32 v102, v105, v101
	v_add_f32_e32 v107, v106, v102
	s_delay_alu instid0(VALU_DEP_1) | instskip(SKIP_1) | instid1(VALU_DEP_2)
	v_sub_f32_e32 v108, v104, v107
	v_sub_f32_e32 v100, v107, v106
	;; [unrolled: 1-line block ×3, first 2 shown]
	s_delay_alu instid0(VALU_DEP_1) | instskip(NEXT) | instid1(VALU_DEP_1)
	v_sub_f32_e32 v104, v104, v107
	v_dual_sub_f32 v100, v100, v102 :: v_dual_add_f32 v13, v13, v104
	s_delay_alu instid0(VALU_DEP_1) | instskip(NEXT) | instid1(VALU_DEP_1)
	v_add_f32_e32 v13, v100, v13
	v_add_f32_e32 v100, v108, v13
	s_delay_alu instid0(VALU_DEP_1) | instskip(NEXT) | instid1(VALU_DEP_1)
	v_mul_f32_e32 v102, v17, v100
	v_dual_sub_f32 v107, v108, v100 :: v_dual_mul_f32 v104, v103, v102
	s_delay_alu instid0(VALU_DEP_1) | instskip(NEXT) | instid1(VALU_DEP_2)
	v_add_f32_e32 v13, v13, v107
	v_fma_f32 v103, v102, v103, -v104
	s_delay_alu instid0(VALU_DEP_1) | instskip(NEXT) | instid1(VALU_DEP_1)
	v_fmac_f32_e32 v103, v102, v101
	v_add_f32_e32 v101, v104, v103
	s_delay_alu instid0(VALU_DEP_1) | instskip(NEXT) | instid1(VALU_DEP_1)
	v_sub_f32_e32 v106, v100, v101
	v_sub_f32_e32 v100, v100, v106
	s_delay_alu instid0(VALU_DEP_1) | instskip(NEXT) | instid1(VALU_DEP_1)
	v_sub_f32_e32 v100, v100, v101
	v_add_f32_e32 v13, v13, v100
	v_add_f32_e32 v100, v105, v102
	v_sub_f32_e32 v104, v101, v104
	s_delay_alu instid0(VALU_DEP_1) | instskip(NEXT) | instid1(VALU_DEP_1)
	v_sub_f32_e32 v101, v104, v103
	v_add_f32_e32 v13, v101, v13
	s_delay_alu instid0(VALU_DEP_4) | instskip(NEXT) | instid1(VALU_DEP_2)
	v_sub_f32_e32 v101, v100, v105
	v_add_f32_e32 v13, v106, v13
	s_delay_alu instid0(VALU_DEP_2) | instskip(NEXT) | instid1(VALU_DEP_2)
	v_sub_f32_e32 v101, v102, v101
	v_mul_f32_e32 v13, v17, v13
	s_delay_alu instid0(VALU_DEP_1) | instskip(NEXT) | instid1(VALU_DEP_1)
	v_add_f32_e32 v13, v101, v13
	v_add_f32_e32 v17, v100, v13
	s_delay_alu instid0(VALU_DEP_1) | instskip(NEXT) | instid1(VALU_DEP_1)
	v_mul_f32_e32 v101, v17, v17
	v_fmaak_f32 v102, s83, v101, 0x3ecc95a3
	v_mul_f32_e32 v103, v17, v101
	s_delay_alu instid0(VALU_DEP_2) | instskip(SKIP_1) | instid1(VALU_DEP_2)
	v_fmaak_f32 v101, v101, v102, 0x3f2aaada
	v_ldexp_f32 v102, v17, 1
	v_mul_f32_e32 v101, v103, v101
	s_delay_alu instid0(VALU_DEP_1) | instskip(NEXT) | instid1(VALU_DEP_1)
	v_dual_sub_f32 v17, v17, v100 :: v_dual_add_f32 v100, v102, v101
	v_sub_f32_e32 v13, v13, v17
	s_delay_alu instid0(VALU_DEP_2) | instskip(NEXT) | instid1(VALU_DEP_2)
	v_sub_f32_e32 v17, v100, v102
	v_ldexp_f32 v13, v13, 1
	s_delay_alu instid0(VALU_DEP_2) | instskip(SKIP_1) | instid1(VALU_DEP_1)
	v_sub_f32_e32 v17, v101, v17
	v_mul_f32_e32 v103, 0x3f317218, v12
	v_fma_f32 v102, 0x3f317218, v12, -v103
	s_delay_alu instid0(VALU_DEP_1) | instskip(NEXT) | instid1(VALU_DEP_1)
	v_fmac_f32_e32 v102, 0xb102e308, v12
	v_dual_add_f32 v12, v13, v17 :: v_dual_add_f32 v13, v103, v102
	s_delay_alu instid0(VALU_DEP_1) | instskip(NEXT) | instid1(VALU_DEP_1)
	v_add_f32_e32 v17, v100, v12
	v_add_f32_e32 v101, v13, v17
	v_sub_f32_e32 v100, v17, v100
	s_delay_alu instid0(VALU_DEP_2) | instskip(NEXT) | instid1(VALU_DEP_2)
	v_sub_f32_e32 v104, v101, v13
	v_dual_sub_f32 v12, v12, v100 :: v_dual_sub_f32 v103, v13, v103
	s_delay_alu instid0(VALU_DEP_2) | instskip(NEXT) | instid1(VALU_DEP_2)
	v_sub_f32_e32 v105, v101, v104
	v_dual_sub_f32 v17, v17, v104 :: v_dual_sub_f32 v102, v102, v103
	s_delay_alu instid0(VALU_DEP_1) | instskip(NEXT) | instid1(VALU_DEP_1)
	v_dual_sub_f32 v13, v13, v105 :: v_dual_add_f32 v100, v102, v12
	v_add_f32_e32 v13, v17, v13
	s_delay_alu instid0(VALU_DEP_2) | instskip(NEXT) | instid1(VALU_DEP_2)
	v_sub_f32_e32 v17, v100, v102
	v_add_f32_e32 v13, v100, v13
	s_delay_alu instid0(VALU_DEP_2) | instskip(SKIP_1) | instid1(VALU_DEP_2)
	v_sub_f32_e32 v100, v100, v17
	v_sub_f32_e32 v12, v12, v17
	v_dual_add_f32 v103, v101, v13 :: v_dual_sub_f32 v100, v102, v100
	s_delay_alu instid0(VALU_DEP_1) | instskip(NEXT) | instid1(VALU_DEP_1)
	v_dual_sub_f32 v17, v103, v101 :: v_dual_add_f32 v12, v12, v100
	v_sub_f32_e32 v13, v13, v17
	s_delay_alu instid0(VALU_DEP_1) | instskip(NEXT) | instid1(VALU_DEP_1)
	v_add_f32_e32 v12, v12, v13
	v_add_f32_e32 v12, v103, v12
	s_delay_alu instid0(VALU_DEP_1)
	v_cndmask_b32_e32 v100, v12, v14, vcc_lo
.LBB48_88:                              ;   in Loop: Header=BB48_12 Depth=1
	s_or_b32 exec_lo, exec_lo, s29
	v_and_b32_e32 v12, 0xffff0000, v15
	s_delay_alu instid0(VALU_DEP_1) | instskip(NEXT) | instid1(VALU_DEP_1)
	v_add_f32_e32 v105, s66, v12
	v_cmp_ge_f32_e32 vcc_lo, 0x41a00000, v105
	s_and_b32 s28, s79, vcc_lo
	s_delay_alu instid0(SALU_CYCLE_1)
	s_and_saveexec_b32 s29, s28
	s_cbranch_execz .LBB48_90
; %bb.89:                               ;   in Loop: Header=BB48_12 Depth=1
	v_mul_f32_e32 v12, 0x3fb8aa3b, v105
	v_cmp_ngt_f32_e32 vcc_lo, 0xc2ce8ed0, v105
	s_delay_alu instid0(VALU_DEP_2) | instskip(SKIP_1) | instid1(VALU_DEP_2)
	v_rndne_f32_e32 v13, v12
	v_fma_f32 v14, 0x3fb8aa3b, v105, -v12
	v_sub_f32_e32 v12, v12, v13
	s_delay_alu instid0(VALU_DEP_2) | instskip(SKIP_1) | instid1(VALU_DEP_2)
	v_fmac_f32_e32 v14, 0x32a5705f, v105
	v_cvt_i32_f32_e32 v13, v13
	v_add_f32_e32 v12, v12, v14
	s_delay_alu instid0(VALU_DEP_1) | instskip(SKIP_2) | instid1(VALU_DEP_1)
	v_exp_f32_e32 v12, v12
	s_waitcnt_depctr 0xfff
	v_ldexp_f32 v12, v12, v13
	v_cndmask_b32_e32 v12, 0, v12, vcc_lo
	v_cmp_nlt_f32_e32 vcc_lo, 0x42b17218, v105
	s_delay_alu instid0(VALU_DEP_2) | instskip(NEXT) | instid1(VALU_DEP_1)
	v_cndmask_b32_e32 v14, 0x7f800000, v12, vcc_lo
	v_add_f32_e32 v15, 1.0, v14
	s_delay_alu instid0(VALU_DEP_1) | instskip(NEXT) | instid1(VALU_DEP_1)
	v_cvt_f64_f32_e32 v[12:13], v15
	v_frexp_exp_i32_f64_e32 v12, v[12:13]
	v_frexp_mant_f32_e32 v13, v15
	s_delay_alu instid0(VALU_DEP_1) | instskip(SKIP_1) | instid1(VALU_DEP_1)
	v_cmp_gt_f32_e32 vcc_lo, 0x3f2aaaab, v13
	v_add_f32_e32 v13, -1.0, v15
	v_sub_f32_e32 v101, v13, v15
	v_sub_f32_e32 v13, v14, v13
	s_delay_alu instid0(VALU_DEP_2) | instskip(NEXT) | instid1(VALU_DEP_1)
	v_add_f32_e32 v101, 1.0, v101
	v_add_f32_e32 v13, v13, v101
	v_cmp_gt_f32_e64 s28, 0x33800000, v14
	v_subrev_co_ci_u32_e32 v12, vcc_lo, 0, v12, vcc_lo
	v_cmp_eq_f32_e32 vcc_lo, 0x7f800000, v14
	s_delay_alu instid0(VALU_DEP_2) | instskip(SKIP_2) | instid1(VALU_DEP_2)
	v_sub_nc_u32_e32 v17, 0, v12
	v_cvt_f32_i32_e32 v12, v12
	s_or_b32 vcc_lo, s28, vcc_lo
	v_ldexp_f32 v15, v15, v17
	v_ldexp_f32 v13, v13, v17
	s_delay_alu instid0(VALU_DEP_2) | instskip(SKIP_1) | instid1(VALU_DEP_2)
	v_add_f32_e32 v102, 1.0, v15
	v_add_f32_e32 v17, -1.0, v15
	v_add_f32_e32 v101, -1.0, v102
	s_delay_alu instid0(VALU_DEP_2) | instskip(NEXT) | instid1(VALU_DEP_2)
	v_add_f32_e32 v103, 1.0, v17
	v_sub_f32_e32 v101, v15, v101
	s_delay_alu instid0(VALU_DEP_2) | instskip(NEXT) | instid1(VALU_DEP_2)
	v_sub_f32_e32 v15, v15, v103
	v_add_f32_e32 v101, v13, v101
	s_delay_alu instid0(VALU_DEP_2) | instskip(NEXT) | instid1(VALU_DEP_1)
	v_add_f32_e32 v13, v13, v15
	v_add_f32_e32 v104, v17, v13
	s_delay_alu instid0(VALU_DEP_3) | instskip(NEXT) | instid1(VALU_DEP_1)
	v_add_f32_e32 v103, v102, v101
	v_rcp_f32_e32 v15, v103
	v_sub_f32_e32 v102, v102, v103
	s_delay_alu instid0(VALU_DEP_1) | instskip(SKIP_2) | instid1(VALU_DEP_1)
	v_add_f32_e32 v101, v101, v102
	s_waitcnt_depctr 0xfff
	v_mul_f32_e32 v105, v104, v15
	v_dual_mul_f32 v106, v103, v105 :: v_dual_sub_f32 v17, v17, v104
	s_delay_alu instid0(VALU_DEP_1) | instskip(NEXT) | instid1(VALU_DEP_2)
	v_fma_f32 v102, v105, v103, -v106
	v_add_f32_e32 v13, v13, v17
	s_delay_alu instid0(VALU_DEP_2) | instskip(NEXT) | instid1(VALU_DEP_1)
	v_fmac_f32_e32 v102, v105, v101
	v_add_f32_e32 v107, v106, v102
	s_delay_alu instid0(VALU_DEP_1) | instskip(NEXT) | instid1(VALU_DEP_1)
	v_dual_sub_f32 v108, v104, v107 :: v_dual_sub_f32 v17, v107, v106
	v_dual_sub_f32 v104, v104, v108 :: v_dual_sub_f32 v17, v17, v102
	s_delay_alu instid0(VALU_DEP_1) | instskip(NEXT) | instid1(VALU_DEP_1)
	v_sub_f32_e32 v104, v104, v107
	v_add_f32_e32 v13, v13, v104
	s_delay_alu instid0(VALU_DEP_1) | instskip(NEXT) | instid1(VALU_DEP_1)
	v_add_f32_e32 v13, v17, v13
	v_add_f32_e32 v17, v108, v13
	s_delay_alu instid0(VALU_DEP_1) | instskip(NEXT) | instid1(VALU_DEP_1)
	v_mul_f32_e32 v102, v15, v17
	v_dual_sub_f32 v107, v108, v17 :: v_dual_mul_f32 v104, v103, v102
	s_delay_alu instid0(VALU_DEP_1) | instskip(NEXT) | instid1(VALU_DEP_2)
	v_add_f32_e32 v13, v13, v107
	v_fma_f32 v103, v102, v103, -v104
	s_delay_alu instid0(VALU_DEP_1) | instskip(NEXT) | instid1(VALU_DEP_1)
	v_fmac_f32_e32 v103, v102, v101
	v_add_f32_e32 v101, v104, v103
	s_delay_alu instid0(VALU_DEP_1) | instskip(SKIP_1) | instid1(VALU_DEP_2)
	v_sub_f32_e32 v106, v17, v101
	v_sub_f32_e32 v104, v101, v104
	;; [unrolled: 1-line block ×3, first 2 shown]
	s_delay_alu instid0(VALU_DEP_1) | instskip(NEXT) | instid1(VALU_DEP_3)
	v_sub_f32_e32 v17, v17, v101
	v_sub_f32_e32 v101, v104, v103
	s_delay_alu instid0(VALU_DEP_2) | instskip(SKIP_1) | instid1(VALU_DEP_2)
	v_add_f32_e32 v13, v13, v17
	v_add_f32_e32 v17, v105, v102
	;; [unrolled: 1-line block ×3, first 2 shown]
	s_delay_alu instid0(VALU_DEP_2) | instskip(NEXT) | instid1(VALU_DEP_2)
	v_sub_f32_e32 v101, v17, v105
	v_add_f32_e32 v13, v106, v13
	s_delay_alu instid0(VALU_DEP_2) | instskip(NEXT) | instid1(VALU_DEP_2)
	v_sub_f32_e32 v101, v102, v101
	v_mul_f32_e32 v13, v15, v13
	s_delay_alu instid0(VALU_DEP_1) | instskip(NEXT) | instid1(VALU_DEP_1)
	v_add_f32_e32 v13, v101, v13
	v_add_f32_e32 v15, v17, v13
	s_delay_alu instid0(VALU_DEP_1) | instskip(NEXT) | instid1(VALU_DEP_1)
	v_mul_f32_e32 v101, v15, v15
	v_fmaak_f32 v102, s83, v101, 0x3ecc95a3
	v_mul_f32_e32 v103, v15, v101
	s_delay_alu instid0(VALU_DEP_2) | instskip(SKIP_2) | instid1(VALU_DEP_3)
	v_fmaak_f32 v101, v101, v102, 0x3f2aaada
	v_ldexp_f32 v102, v15, 1
	v_sub_f32_e32 v15, v15, v17
	v_mul_f32_e32 v101, v103, v101
	v_mul_f32_e32 v103, 0x3f317218, v12
	s_delay_alu instid0(VALU_DEP_3) | instskip(NEXT) | instid1(VALU_DEP_3)
	v_sub_f32_e32 v13, v13, v15
	v_add_f32_e32 v17, v102, v101
	s_delay_alu instid0(VALU_DEP_2) | instskip(NEXT) | instid1(VALU_DEP_2)
	v_ldexp_f32 v13, v13, 1
	v_sub_f32_e32 v15, v17, v102
	v_fma_f32 v102, 0x3f317218, v12, -v103
	s_delay_alu instid0(VALU_DEP_1) | instskip(NEXT) | instid1(VALU_DEP_1)
	v_dual_sub_f32 v15, v101, v15 :: v_dual_fmac_f32 v102, 0xb102e308, v12
	v_dual_add_f32 v12, v13, v15 :: v_dual_add_f32 v13, v103, v102
	s_delay_alu instid0(VALU_DEP_1) | instskip(NEXT) | instid1(VALU_DEP_1)
	v_add_f32_e32 v15, v17, v12
	v_add_f32_e32 v101, v13, v15
	v_sub_f32_e32 v17, v15, v17
	s_delay_alu instid0(VALU_DEP_2) | instskip(NEXT) | instid1(VALU_DEP_2)
	v_sub_f32_e32 v104, v101, v13
	v_dual_sub_f32 v103, v13, v103 :: v_dual_sub_f32 v12, v12, v17
	s_delay_alu instid0(VALU_DEP_1) | instskip(SKIP_1) | instid1(VALU_DEP_2)
	v_dual_sub_f32 v105, v101, v104 :: v_dual_sub_f32 v102, v102, v103
	v_sub_f32_e32 v15, v15, v104
	v_sub_f32_e32 v13, v13, v105
	s_delay_alu instid0(VALU_DEP_3) | instskip(NEXT) | instid1(VALU_DEP_2)
	v_add_f32_e32 v17, v102, v12
	v_add_f32_e32 v13, v15, v13
	s_delay_alu instid0(VALU_DEP_2) | instskip(NEXT) | instid1(VALU_DEP_2)
	v_sub_f32_e32 v15, v17, v102
	v_add_f32_e32 v13, v17, v13
	s_delay_alu instid0(VALU_DEP_2) | instskip(NEXT) | instid1(VALU_DEP_2)
	v_sub_f32_e32 v17, v17, v15
	v_dual_sub_f32 v12, v12, v15 :: v_dual_add_f32 v103, v101, v13
	s_delay_alu instid0(VALU_DEP_2) | instskip(NEXT) | instid1(VALU_DEP_2)
	v_sub_f32_e32 v17, v102, v17
	v_sub_f32_e32 v15, v103, v101
	s_delay_alu instid0(VALU_DEP_1) | instskip(NEXT) | instid1(VALU_DEP_1)
	v_dual_add_f32 v12, v12, v17 :: v_dual_sub_f32 v13, v13, v15
	v_add_f32_e32 v12, v12, v13
	s_delay_alu instid0(VALU_DEP_1) | instskip(NEXT) | instid1(VALU_DEP_1)
	v_add_f32_e32 v12, v103, v12
	v_cndmask_b32_e32 v105, v12, v14, vcc_lo
.LBB48_90:                              ;   in Loop: Header=BB48_12 Depth=1
	s_or_b32 exec_lo, exec_lo, s29
	s_waitcnt lgkmcnt(0)
	v_lshlrev_b32_e32 v12, 16, v8
	s_delay_alu instid0(VALU_DEP_1) | instskip(NEXT) | instid1(VALU_DEP_1)
	v_add_f32_e32 v108, s66, v12
	v_cmp_ge_f32_e32 vcc_lo, 0x41a00000, v108
	s_and_b32 s28, s79, vcc_lo
	s_delay_alu instid0(SALU_CYCLE_1)
	s_and_saveexec_b32 s29, s28
	s_cbranch_execz .LBB48_92
; %bb.91:                               ;   in Loop: Header=BB48_12 Depth=1
	v_mul_f32_e32 v12, 0x3fb8aa3b, v108
	v_cmp_ngt_f32_e32 vcc_lo, 0xc2ce8ed0, v108
	s_delay_alu instid0(VALU_DEP_2) | instskip(SKIP_1) | instid1(VALU_DEP_2)
	v_rndne_f32_e32 v13, v12
	v_fma_f32 v14, 0x3fb8aa3b, v108, -v12
	v_sub_f32_e32 v12, v12, v13
	s_delay_alu instid0(VALU_DEP_2) | instskip(SKIP_1) | instid1(VALU_DEP_2)
	v_fmac_f32_e32 v14, 0x32a5705f, v108
	v_cvt_i32_f32_e32 v13, v13
	v_add_f32_e32 v12, v12, v14
	s_delay_alu instid0(VALU_DEP_1) | instskip(SKIP_2) | instid1(VALU_DEP_1)
	v_exp_f32_e32 v12, v12
	s_waitcnt_depctr 0xfff
	v_ldexp_f32 v12, v12, v13
	v_cndmask_b32_e32 v12, 0, v12, vcc_lo
	v_cmp_nlt_f32_e32 vcc_lo, 0x42b17218, v108
	s_delay_alu instid0(VALU_DEP_2) | instskip(NEXT) | instid1(VALU_DEP_1)
	v_cndmask_b32_e32 v14, 0x7f800000, v12, vcc_lo
	v_add_f32_e32 v15, 1.0, v14
	s_delay_alu instid0(VALU_DEP_1) | instskip(NEXT) | instid1(VALU_DEP_1)
	v_cvt_f64_f32_e32 v[12:13], v15
	v_frexp_exp_i32_f64_e32 v12, v[12:13]
	v_frexp_mant_f32_e32 v13, v15
	s_delay_alu instid0(VALU_DEP_1) | instskip(SKIP_1) | instid1(VALU_DEP_1)
	v_cmp_gt_f32_e32 vcc_lo, 0x3f2aaaab, v13
	v_add_f32_e32 v13, -1.0, v15
	v_sub_f32_e32 v101, v13, v15
	v_sub_f32_e32 v13, v14, v13
	s_delay_alu instid0(VALU_DEP_2) | instskip(NEXT) | instid1(VALU_DEP_1)
	v_add_f32_e32 v101, 1.0, v101
	v_add_f32_e32 v13, v13, v101
	v_cmp_gt_f32_e64 s28, 0x33800000, v14
	v_subrev_co_ci_u32_e32 v12, vcc_lo, 0, v12, vcc_lo
	v_cmp_eq_f32_e32 vcc_lo, 0x7f800000, v14
	s_delay_alu instid0(VALU_DEP_2) | instskip(SKIP_2) | instid1(VALU_DEP_2)
	v_sub_nc_u32_e32 v17, 0, v12
	v_cvt_f32_i32_e32 v12, v12
	s_or_b32 vcc_lo, s28, vcc_lo
	v_ldexp_f32 v15, v15, v17
	v_ldexp_f32 v13, v13, v17
	s_delay_alu instid0(VALU_DEP_2) | instskip(SKIP_1) | instid1(VALU_DEP_2)
	v_add_f32_e32 v102, 1.0, v15
	v_add_f32_e32 v17, -1.0, v15
	v_add_f32_e32 v101, -1.0, v102
	s_delay_alu instid0(VALU_DEP_2) | instskip(NEXT) | instid1(VALU_DEP_2)
	v_add_f32_e32 v103, 1.0, v17
	v_sub_f32_e32 v101, v15, v101
	s_delay_alu instid0(VALU_DEP_2) | instskip(NEXT) | instid1(VALU_DEP_2)
	v_sub_f32_e32 v15, v15, v103
	v_add_f32_e32 v101, v13, v101
	s_delay_alu instid0(VALU_DEP_2) | instskip(NEXT) | instid1(VALU_DEP_2)
	v_add_f32_e32 v13, v13, v15
	v_add_f32_e32 v103, v102, v101
	s_delay_alu instid0(VALU_DEP_2) | instskip(NEXT) | instid1(VALU_DEP_2)
	v_add_f32_e32 v104, v17, v13
	v_rcp_f32_e32 v15, v103
	v_sub_f32_e32 v102, v102, v103
	s_waitcnt_depctr 0xfff
	v_dual_add_f32 v101, v101, v102 :: v_dual_mul_f32 v106, v104, v15
	s_delay_alu instid0(VALU_DEP_1) | instskip(NEXT) | instid1(VALU_DEP_1)
	v_mul_f32_e32 v107, v103, v106
	v_fma_f32 v102, v106, v103, -v107
	s_delay_alu instid0(VALU_DEP_1) | instskip(NEXT) | instid1(VALU_DEP_1)
	v_dual_fmac_f32 v102, v106, v101 :: v_dual_sub_f32 v17, v17, v104
	v_add_f32_e32 v108, v107, v102
	s_delay_alu instid0(VALU_DEP_1) | instskip(NEXT) | instid1(VALU_DEP_1)
	v_sub_f32_e32 v109, v104, v108
	v_sub_f32_e32 v104, v104, v109
	s_delay_alu instid0(VALU_DEP_1) | instskip(SKIP_1) | instid1(VALU_DEP_2)
	v_dual_sub_f32 v104, v104, v108 :: v_dual_add_f32 v13, v13, v17
	v_sub_f32_e32 v17, v108, v107
	v_add_f32_e32 v13, v13, v104
	s_delay_alu instid0(VALU_DEP_2) | instskip(NEXT) | instid1(VALU_DEP_1)
	v_sub_f32_e32 v17, v17, v102
	v_add_f32_e32 v13, v17, v13
	s_delay_alu instid0(VALU_DEP_1) | instskip(NEXT) | instid1(VALU_DEP_1)
	v_add_f32_e32 v17, v109, v13
	v_mul_f32_e32 v102, v15, v17
	s_delay_alu instid0(VALU_DEP_1) | instskip(SKIP_1) | instid1(VALU_DEP_2)
	v_mul_f32_e32 v104, v103, v102
	v_sub_f32_e32 v108, v109, v17
	v_fma_f32 v103, v102, v103, -v104
	s_delay_alu instid0(VALU_DEP_2) | instskip(NEXT) | instid1(VALU_DEP_2)
	v_add_f32_e32 v13, v13, v108
	v_fmac_f32_e32 v103, v102, v101
	s_delay_alu instid0(VALU_DEP_1) | instskip(NEXT) | instid1(VALU_DEP_1)
	v_add_f32_e32 v101, v104, v103
	v_sub_f32_e32 v107, v17, v101
	v_sub_f32_e32 v104, v101, v104
	s_delay_alu instid0(VALU_DEP_2) | instskip(NEXT) | instid1(VALU_DEP_1)
	v_sub_f32_e32 v17, v17, v107
	v_sub_f32_e32 v17, v17, v101
	s_delay_alu instid0(VALU_DEP_3) | instskip(NEXT) | instid1(VALU_DEP_2)
	v_sub_f32_e32 v101, v104, v103
	v_add_f32_e32 v13, v13, v17
	v_add_f32_e32 v17, v106, v102
	s_delay_alu instid0(VALU_DEP_2) | instskip(NEXT) | instid1(VALU_DEP_2)
	v_add_f32_e32 v13, v101, v13
	v_sub_f32_e32 v101, v17, v106
	s_delay_alu instid0(VALU_DEP_2) | instskip(NEXT) | instid1(VALU_DEP_2)
	v_add_f32_e32 v13, v107, v13
	v_sub_f32_e32 v101, v102, v101
	s_delay_alu instid0(VALU_DEP_2) | instskip(NEXT) | instid1(VALU_DEP_1)
	v_mul_f32_e32 v13, v15, v13
	v_add_f32_e32 v13, v101, v13
	s_delay_alu instid0(VALU_DEP_1) | instskip(NEXT) | instid1(VALU_DEP_1)
	v_add_f32_e32 v15, v17, v13
	v_mul_f32_e32 v101, v15, v15
	s_delay_alu instid0(VALU_DEP_1) | instskip(SKIP_1) | instid1(VALU_DEP_2)
	v_fmaak_f32 v102, s83, v101, 0x3ecc95a3
	v_mul_f32_e32 v103, v15, v101
	v_fmaak_f32 v101, v101, v102, 0x3f2aaada
	v_ldexp_f32 v102, v15, 1
	v_sub_f32_e32 v15, v15, v17
	s_delay_alu instid0(VALU_DEP_3) | instskip(SKIP_1) | instid1(VALU_DEP_3)
	v_mul_f32_e32 v101, v103, v101
	v_mul_f32_e32 v103, 0x3f317218, v12
	v_sub_f32_e32 v13, v13, v15
	s_delay_alu instid0(VALU_DEP_3) | instskip(NEXT) | instid1(VALU_DEP_2)
	v_add_f32_e32 v17, v102, v101
	v_ldexp_f32 v13, v13, 1
	s_delay_alu instid0(VALU_DEP_2) | instskip(SKIP_1) | instid1(VALU_DEP_1)
	v_sub_f32_e32 v15, v17, v102
	v_fma_f32 v102, 0x3f317218, v12, -v103
	v_dual_sub_f32 v15, v101, v15 :: v_dual_fmac_f32 v102, 0xb102e308, v12
	s_delay_alu instid0(VALU_DEP_1) | instskip(NEXT) | instid1(VALU_DEP_1)
	v_dual_add_f32 v12, v13, v15 :: v_dual_add_f32 v13, v103, v102
	v_add_f32_e32 v15, v17, v12
	s_delay_alu instid0(VALU_DEP_2) | instskip(NEXT) | instid1(VALU_DEP_2)
	v_sub_f32_e32 v103, v13, v103
	v_add_f32_e32 v101, v13, v15
	s_delay_alu instid0(VALU_DEP_2) | instskip(NEXT) | instid1(VALU_DEP_2)
	v_dual_sub_f32 v17, v15, v17 :: v_dual_sub_f32 v102, v102, v103
	v_sub_f32_e32 v104, v101, v13
	s_delay_alu instid0(VALU_DEP_2) | instskip(NEXT) | instid1(VALU_DEP_2)
	v_sub_f32_e32 v12, v12, v17
	v_sub_f32_e32 v106, v101, v104
	;; [unrolled: 1-line block ×3, first 2 shown]
	s_delay_alu instid0(VALU_DEP_3) | instskip(NEXT) | instid1(VALU_DEP_3)
	v_add_f32_e32 v17, v102, v12
	v_sub_f32_e32 v13, v13, v106
	s_delay_alu instid0(VALU_DEP_1) | instskip(NEXT) | instid1(VALU_DEP_3)
	v_add_f32_e32 v13, v15, v13
	v_sub_f32_e32 v15, v17, v102
	s_delay_alu instid0(VALU_DEP_2) | instskip(NEXT) | instid1(VALU_DEP_2)
	v_add_f32_e32 v13, v17, v13
	v_sub_f32_e32 v17, v17, v15
	s_delay_alu instid0(VALU_DEP_2) | instskip(NEXT) | instid1(VALU_DEP_2)
	v_dual_sub_f32 v12, v12, v15 :: v_dual_add_f32 v103, v101, v13
	v_sub_f32_e32 v17, v102, v17
	s_delay_alu instid0(VALU_DEP_2) | instskip(NEXT) | instid1(VALU_DEP_1)
	v_sub_f32_e32 v15, v103, v101
	v_dual_add_f32 v12, v12, v17 :: v_dual_sub_f32 v13, v13, v15
	s_delay_alu instid0(VALU_DEP_1) | instskip(NEXT) | instid1(VALU_DEP_1)
	v_add_f32_e32 v12, v12, v13
	v_add_f32_e32 v12, v103, v12
	s_delay_alu instid0(VALU_DEP_1)
	v_cndmask_b32_e32 v108, v12, v14, vcc_lo
.LBB48_92:                              ;   in Loop: Header=BB48_12 Depth=1
	s_or_b32 exec_lo, exec_lo, s29
	v_and_b32_e32 v8, 0xffff0000, v8
	s_delay_alu instid0(VALU_DEP_1) | instskip(NEXT) | instid1(VALU_DEP_1)
	v_add_f32_e32 v113, s66, v8
	v_cmp_ge_f32_e32 vcc_lo, 0x41a00000, v113
	s_and_b32 s28, s79, vcc_lo
	s_delay_alu instid0(SALU_CYCLE_1)
	s_and_saveexec_b32 s29, s28
	s_cbranch_execz .LBB48_94
; %bb.93:                               ;   in Loop: Header=BB48_12 Depth=1
	v_mul_f32_e32 v8, 0x3fb8aa3b, v113
	v_cmp_ngt_f32_e32 vcc_lo, 0xc2ce8ed0, v113
	s_delay_alu instid0(VALU_DEP_2) | instskip(SKIP_1) | instid1(VALU_DEP_1)
	v_rndne_f32_e32 v12, v8
	v_fma_f32 v13, 0x3fb8aa3b, v113, -v8
	v_dual_sub_f32 v8, v8, v12 :: v_dual_fmac_f32 v13, 0x32a5705f, v113
	v_cvt_i32_f32_e32 v12, v12
	s_delay_alu instid0(VALU_DEP_2) | instskip(NEXT) | instid1(VALU_DEP_1)
	v_add_f32_e32 v8, v8, v13
	v_exp_f32_e32 v8, v8
	s_waitcnt_depctr 0xfff
	v_ldexp_f32 v8, v8, v12
	s_delay_alu instid0(VALU_DEP_1) | instskip(SKIP_1) | instid1(VALU_DEP_2)
	v_cndmask_b32_e32 v8, 0, v8, vcc_lo
	v_cmp_nlt_f32_e32 vcc_lo, 0x42b17218, v113
	v_cndmask_b32_e32 v8, 0x7f800000, v8, vcc_lo
	s_delay_alu instid0(VALU_DEP_1) | instskip(NEXT) | instid1(VALU_DEP_1)
	v_add_f32_e32 v14, 1.0, v8
	v_cvt_f64_f32_e32 v[12:13], v14
	s_delay_alu instid0(VALU_DEP_1) | instskip(SKIP_1) | instid1(VALU_DEP_1)
	v_frexp_exp_i32_f64_e32 v12, v[12:13]
	v_frexp_mant_f32_e32 v13, v14
	v_cmp_gt_f32_e32 vcc_lo, 0x3f2aaaab, v13
	v_add_f32_e32 v13, -1.0, v14
	s_delay_alu instid0(VALU_DEP_1) | instskip(NEXT) | instid1(VALU_DEP_1)
	v_sub_f32_e32 v17, v13, v14
	v_add_f32_e32 v17, 1.0, v17
	v_subrev_co_ci_u32_e32 v12, vcc_lo, 0, v12, vcc_lo
	s_delay_alu instid0(VALU_DEP_1) | instskip(SKIP_1) | instid1(VALU_DEP_2)
	v_sub_nc_u32_e32 v15, 0, v12
	v_cvt_f32_i32_e32 v12, v12
	v_ldexp_f32 v14, v14, v15
	s_delay_alu instid0(VALU_DEP_1) | instskip(SKIP_3) | instid1(VALU_DEP_3)
	v_add_f32_e32 v101, 1.0, v14
	v_sub_f32_e32 v13, v8, v13
	v_cmp_eq_f32_e32 vcc_lo, 0x7f800000, v8
	v_cmp_gt_f32_e64 s28, 0x33800000, v8
	v_add_f32_e32 v13, v13, v17
	s_delay_alu instid0(VALU_DEP_2) | instskip(NEXT) | instid1(VALU_DEP_1)
	s_or_b32 vcc_lo, s28, vcc_lo
	v_ldexp_f32 v13, v13, v15
	v_add_f32_e32 v15, -1.0, v14
	s_delay_alu instid0(VALU_DEP_1) | instskip(NEXT) | instid1(VALU_DEP_1)
	v_dual_add_f32 v102, 1.0, v15 :: v_dual_add_f32 v17, -1.0, v101
	v_sub_f32_e32 v17, v14, v17
	s_delay_alu instid0(VALU_DEP_1) | instskip(NEXT) | instid1(VALU_DEP_1)
	v_dual_sub_f32 v14, v14, v102 :: v_dual_add_f32 v17, v13, v17
	v_add_f32_e32 v13, v13, v14
	s_delay_alu instid0(VALU_DEP_2) | instskip(NEXT) | instid1(VALU_DEP_2)
	v_add_f32_e32 v102, v101, v17
	v_add_f32_e32 v103, v15, v13
	s_delay_alu instid0(VALU_DEP_2) | instskip(SKIP_1) | instid1(VALU_DEP_2)
	v_rcp_f32_e32 v14, v102
	v_sub_f32_e32 v101, v101, v102
	v_sub_f32_e32 v15, v15, v103
	s_waitcnt_depctr 0xfff
	v_dual_add_f32 v13, v13, v15 :: v_dual_mul_f32 v104, v103, v14
	s_delay_alu instid0(VALU_DEP_1) | instskip(NEXT) | instid1(VALU_DEP_1)
	v_dual_mul_f32 v106, v102, v104 :: v_dual_add_f32 v17, v17, v101
	v_fma_f32 v101, v104, v102, -v106
	s_delay_alu instid0(VALU_DEP_1) | instskip(NEXT) | instid1(VALU_DEP_1)
	v_fmac_f32_e32 v101, v104, v17
	v_add_f32_e32 v107, v106, v101
	s_delay_alu instid0(VALU_DEP_1) | instskip(SKIP_1) | instid1(VALU_DEP_2)
	v_sub_f32_e32 v109, v103, v107
	v_sub_f32_e32 v15, v107, v106
	;; [unrolled: 1-line block ×3, first 2 shown]
	s_delay_alu instid0(VALU_DEP_2) | instskip(NEXT) | instid1(VALU_DEP_2)
	v_sub_f32_e32 v15, v15, v101
	v_sub_f32_e32 v103, v103, v107
	s_delay_alu instid0(VALU_DEP_1) | instskip(NEXT) | instid1(VALU_DEP_1)
	v_add_f32_e32 v13, v13, v103
	v_add_f32_e32 v13, v15, v13
	s_delay_alu instid0(VALU_DEP_1) | instskip(NEXT) | instid1(VALU_DEP_1)
	v_add_f32_e32 v15, v109, v13
	v_mul_f32_e32 v101, v14, v15
	s_delay_alu instid0(VALU_DEP_1) | instskip(NEXT) | instid1(VALU_DEP_1)
	v_mul_f32_e32 v103, v102, v101
	v_fma_f32 v102, v101, v102, -v103
	s_delay_alu instid0(VALU_DEP_1) | instskip(SKIP_1) | instid1(VALU_DEP_2)
	v_fmac_f32_e32 v102, v101, v17
	v_sub_f32_e32 v107, v109, v15
	v_add_f32_e32 v17, v103, v102
	s_delay_alu instid0(VALU_DEP_1) | instskip(SKIP_1) | instid1(VALU_DEP_2)
	v_dual_add_f32 v13, v13, v107 :: v_dual_sub_f32 v106, v15, v17
	v_sub_f32_e32 v103, v17, v103
	v_sub_f32_e32 v15, v15, v106
	s_delay_alu instid0(VALU_DEP_1) | instskip(NEXT) | instid1(VALU_DEP_3)
	v_sub_f32_e32 v15, v15, v17
	v_sub_f32_e32 v17, v103, v102
	s_delay_alu instid0(VALU_DEP_2) | instskip(SKIP_1) | instid1(VALU_DEP_2)
	v_add_f32_e32 v13, v13, v15
	v_add_f32_e32 v15, v104, v101
	;; [unrolled: 1-line block ×3, first 2 shown]
	s_delay_alu instid0(VALU_DEP_2) | instskip(NEXT) | instid1(VALU_DEP_2)
	v_sub_f32_e32 v17, v15, v104
	v_add_f32_e32 v13, v106, v13
	s_delay_alu instid0(VALU_DEP_2) | instskip(NEXT) | instid1(VALU_DEP_2)
	v_sub_f32_e32 v17, v101, v17
	v_mul_f32_e32 v13, v14, v13
	s_delay_alu instid0(VALU_DEP_1) | instskip(NEXT) | instid1(VALU_DEP_1)
	v_add_f32_e32 v13, v17, v13
	v_add_f32_e32 v14, v15, v13
	s_delay_alu instid0(VALU_DEP_1) | instskip(NEXT) | instid1(VALU_DEP_1)
	v_mul_f32_e32 v17, v14, v14
	v_fmaak_f32 v101, s83, v17, 0x3ecc95a3
	v_mul_f32_e32 v102, v14, v17
	s_delay_alu instid0(VALU_DEP_2) | instskip(SKIP_2) | instid1(VALU_DEP_3)
	v_fmaak_f32 v17, v17, v101, 0x3f2aaada
	v_ldexp_f32 v101, v14, 1
	v_sub_f32_e32 v14, v14, v15
	v_dual_mul_f32 v17, v102, v17 :: v_dual_mul_f32 v102, 0x3f317218, v12
	s_delay_alu instid0(VALU_DEP_2) | instskip(NEXT) | instid1(VALU_DEP_2)
	v_sub_f32_e32 v13, v13, v14
	v_add_f32_e32 v15, v101, v17
	s_delay_alu instid0(VALU_DEP_2) | instskip(NEXT) | instid1(VALU_DEP_2)
	v_ldexp_f32 v13, v13, 1
	v_sub_f32_e32 v14, v15, v101
	v_fma_f32 v101, 0x3f317218, v12, -v102
	s_delay_alu instid0(VALU_DEP_1) | instskip(NEXT) | instid1(VALU_DEP_1)
	v_dual_sub_f32 v14, v17, v14 :: v_dual_fmac_f32 v101, 0xb102e308, v12
	v_dual_add_f32 v12, v13, v14 :: v_dual_add_f32 v13, v102, v101
	s_delay_alu instid0(VALU_DEP_1) | instskip(NEXT) | instid1(VALU_DEP_2)
	v_add_f32_e32 v14, v15, v12
	v_sub_f32_e32 v102, v13, v102
	s_delay_alu instid0(VALU_DEP_2) | instskip(SKIP_1) | instid1(VALU_DEP_3)
	v_add_f32_e32 v17, v13, v14
	v_sub_f32_e32 v15, v14, v15
	v_sub_f32_e32 v101, v101, v102
	s_delay_alu instid0(VALU_DEP_2) | instskip(NEXT) | instid1(VALU_DEP_1)
	v_dual_sub_f32 v103, v17, v13 :: v_dual_sub_f32 v12, v12, v15
	v_sub_f32_e32 v104, v17, v103
	s_delay_alu instid0(VALU_DEP_2) | instskip(NEXT) | instid1(VALU_DEP_2)
	v_dual_sub_f32 v14, v14, v103 :: v_dual_add_f32 v15, v101, v12
	v_sub_f32_e32 v13, v13, v104
	s_delay_alu instid0(VALU_DEP_1) | instskip(NEXT) | instid1(VALU_DEP_3)
	v_add_f32_e32 v13, v14, v13
	v_sub_f32_e32 v14, v15, v101
	s_delay_alu instid0(VALU_DEP_2) | instskip(NEXT) | instid1(VALU_DEP_2)
	v_add_f32_e32 v13, v15, v13
	v_sub_f32_e32 v15, v15, v14
	v_sub_f32_e32 v12, v12, v14
	s_delay_alu instid0(VALU_DEP_3) | instskip(NEXT) | instid1(VALU_DEP_1)
	v_add_f32_e32 v102, v17, v13
	v_dual_sub_f32 v15, v101, v15 :: v_dual_sub_f32 v14, v102, v17
	s_delay_alu instid0(VALU_DEP_1) | instskip(NEXT) | instid1(VALU_DEP_1)
	v_dual_add_f32 v12, v12, v15 :: v_dual_sub_f32 v13, v13, v14
	v_add_f32_e32 v12, v12, v13
	s_delay_alu instid0(VALU_DEP_1) | instskip(NEXT) | instid1(VALU_DEP_1)
	v_add_f32_e32 v12, v102, v12
	v_cndmask_b32_e32 v113, v12, v8, vcc_lo
.LBB48_94:                              ;   in Loop: Header=BB48_12 Depth=1
	s_or_b32 exec_lo, exec_lo, s29
	v_lshlrev_b32_e32 v8, 16, v9
	s_delay_alu instid0(VALU_DEP_1) | instskip(NEXT) | instid1(VALU_DEP_1)
	v_add_f32_e32 v116, s66, v8
	v_cmp_ge_f32_e32 vcc_lo, 0x41a00000, v116
	s_and_b32 s28, s79, vcc_lo
	s_delay_alu instid0(SALU_CYCLE_1)
	s_and_saveexec_b32 s29, s28
	s_cbranch_execz .LBB48_96
; %bb.95:                               ;   in Loop: Header=BB48_12 Depth=1
	v_mul_f32_e32 v8, 0x3fb8aa3b, v116
	v_cmp_ngt_f32_e32 vcc_lo, 0xc2ce8ed0, v116
	s_delay_alu instid0(VALU_DEP_2) | instskip(SKIP_1) | instid1(VALU_DEP_2)
	v_rndne_f32_e32 v12, v8
	v_fma_f32 v13, 0x3fb8aa3b, v116, -v8
	v_sub_f32_e32 v8, v8, v12
	s_delay_alu instid0(VALU_DEP_2) | instskip(SKIP_1) | instid1(VALU_DEP_2)
	v_fmac_f32_e32 v13, 0x32a5705f, v116
	v_cvt_i32_f32_e32 v12, v12
	v_add_f32_e32 v8, v8, v13
	s_delay_alu instid0(VALU_DEP_1) | instskip(SKIP_2) | instid1(VALU_DEP_1)
	v_exp_f32_e32 v8, v8
	s_waitcnt_depctr 0xfff
	v_ldexp_f32 v8, v8, v12
	v_cndmask_b32_e32 v8, 0, v8, vcc_lo
	v_cmp_nlt_f32_e32 vcc_lo, 0x42b17218, v116
	s_delay_alu instid0(VALU_DEP_2) | instskip(NEXT) | instid1(VALU_DEP_1)
	v_cndmask_b32_e32 v8, 0x7f800000, v8, vcc_lo
	v_add_f32_e32 v14, 1.0, v8
	s_delay_alu instid0(VALU_DEP_1) | instskip(NEXT) | instid1(VALU_DEP_1)
	v_cvt_f64_f32_e32 v[12:13], v14
	v_frexp_exp_i32_f64_e32 v12, v[12:13]
	v_frexp_mant_f32_e32 v13, v14
	s_delay_alu instid0(VALU_DEP_1) | instskip(SKIP_1) | instid1(VALU_DEP_1)
	v_cmp_gt_f32_e32 vcc_lo, 0x3f2aaaab, v13
	v_add_f32_e32 v13, -1.0, v14
	v_sub_f32_e32 v17, v13, v14
	v_sub_f32_e32 v13, v8, v13
	s_delay_alu instid0(VALU_DEP_2) | instskip(NEXT) | instid1(VALU_DEP_1)
	v_add_f32_e32 v17, 1.0, v17
	v_add_f32_e32 v13, v13, v17
	v_cmp_gt_f32_e64 s28, 0x33800000, v8
	v_subrev_co_ci_u32_e32 v12, vcc_lo, 0, v12, vcc_lo
	v_cmp_eq_f32_e32 vcc_lo, 0x7f800000, v8
	s_delay_alu instid0(VALU_DEP_2) | instskip(SKIP_2) | instid1(VALU_DEP_2)
	v_sub_nc_u32_e32 v15, 0, v12
	v_cvt_f32_i32_e32 v12, v12
	s_or_b32 vcc_lo, s28, vcc_lo
	v_ldexp_f32 v14, v14, v15
	v_ldexp_f32 v13, v13, v15
	s_delay_alu instid0(VALU_DEP_2) | instskip(SKIP_1) | instid1(VALU_DEP_1)
	v_add_f32_e32 v101, 1.0, v14
	v_add_f32_e32 v15, -1.0, v14
	v_dual_add_f32 v102, 1.0, v15 :: v_dual_add_f32 v17, -1.0, v101
	s_delay_alu instid0(VALU_DEP_1) | instskip(NEXT) | instid1(VALU_DEP_1)
	v_sub_f32_e32 v17, v14, v17
	v_dual_sub_f32 v14, v14, v102 :: v_dual_add_f32 v17, v13, v17
	s_delay_alu instid0(VALU_DEP_1) | instskip(NEXT) | instid1(VALU_DEP_2)
	v_add_f32_e32 v13, v13, v14
	v_add_f32_e32 v102, v101, v17
	s_delay_alu instid0(VALU_DEP_2) | instskip(NEXT) | instid1(VALU_DEP_2)
	v_add_f32_e32 v103, v15, v13
	v_rcp_f32_e32 v14, v102
	v_sub_f32_e32 v101, v101, v102
	s_delay_alu instid0(VALU_DEP_2) | instskip(SKIP_2) | instid1(VALU_DEP_1)
	v_sub_f32_e32 v15, v15, v103
	s_waitcnt_depctr 0xfff
	v_dual_add_f32 v13, v13, v15 :: v_dual_mul_f32 v104, v103, v14
	v_dual_mul_f32 v106, v102, v104 :: v_dual_add_f32 v17, v17, v101
	s_delay_alu instid0(VALU_DEP_1) | instskip(NEXT) | instid1(VALU_DEP_1)
	v_fma_f32 v101, v104, v102, -v106
	v_fmac_f32_e32 v101, v104, v17
	s_delay_alu instid0(VALU_DEP_1) | instskip(NEXT) | instid1(VALU_DEP_1)
	v_add_f32_e32 v107, v106, v101
	v_sub_f32_e32 v109, v103, v107
	v_sub_f32_e32 v15, v107, v106
	s_delay_alu instid0(VALU_DEP_2) | instskip(NEXT) | instid1(VALU_DEP_2)
	v_sub_f32_e32 v103, v103, v109
	v_sub_f32_e32 v15, v15, v101
	s_delay_alu instid0(VALU_DEP_2) | instskip(NEXT) | instid1(VALU_DEP_1)
	v_sub_f32_e32 v103, v103, v107
	v_add_f32_e32 v13, v13, v103
	s_delay_alu instid0(VALU_DEP_1) | instskip(NEXT) | instid1(VALU_DEP_1)
	v_add_f32_e32 v13, v15, v13
	v_add_f32_e32 v15, v109, v13
	s_delay_alu instid0(VALU_DEP_1) | instskip(NEXT) | instid1(VALU_DEP_1)
	v_mul_f32_e32 v101, v14, v15
	v_mul_f32_e32 v103, v102, v101
	s_delay_alu instid0(VALU_DEP_1) | instskip(NEXT) | instid1(VALU_DEP_1)
	v_fma_f32 v102, v101, v102, -v103
	v_fmac_f32_e32 v102, v101, v17
	v_sub_f32_e32 v107, v109, v15
	s_delay_alu instid0(VALU_DEP_2) | instskip(NEXT) | instid1(VALU_DEP_1)
	v_add_f32_e32 v17, v103, v102
	v_dual_add_f32 v13, v13, v107 :: v_dual_sub_f32 v106, v15, v17
	v_sub_f32_e32 v103, v17, v103
	s_delay_alu instid0(VALU_DEP_2) | instskip(NEXT) | instid1(VALU_DEP_1)
	v_sub_f32_e32 v15, v15, v106
	v_sub_f32_e32 v15, v15, v17
	s_delay_alu instid0(VALU_DEP_3) | instskip(NEXT) | instid1(VALU_DEP_2)
	v_sub_f32_e32 v17, v103, v102
	v_add_f32_e32 v13, v13, v15
	v_add_f32_e32 v15, v104, v101
	s_delay_alu instid0(VALU_DEP_2) | instskip(NEXT) | instid1(VALU_DEP_2)
	v_add_f32_e32 v13, v17, v13
	v_sub_f32_e32 v17, v15, v104
	s_delay_alu instid0(VALU_DEP_2) | instskip(NEXT) | instid1(VALU_DEP_2)
	v_add_f32_e32 v13, v106, v13
	v_sub_f32_e32 v17, v101, v17
	s_delay_alu instid0(VALU_DEP_2) | instskip(NEXT) | instid1(VALU_DEP_1)
	v_mul_f32_e32 v13, v14, v13
	v_add_f32_e32 v13, v17, v13
	s_delay_alu instid0(VALU_DEP_1) | instskip(NEXT) | instid1(VALU_DEP_1)
	v_add_f32_e32 v14, v15, v13
	v_mul_f32_e32 v17, v14, v14
	s_delay_alu instid0(VALU_DEP_1) | instskip(SKIP_1) | instid1(VALU_DEP_2)
	v_fmaak_f32 v101, s83, v17, 0x3ecc95a3
	v_mul_f32_e32 v102, v14, v17
	v_fmaak_f32 v17, v17, v101, 0x3f2aaada
	v_ldexp_f32 v101, v14, 1
	v_sub_f32_e32 v14, v14, v15
	s_delay_alu instid0(VALU_DEP_3) | instskip(NEXT) | instid1(VALU_DEP_2)
	v_dual_mul_f32 v17, v102, v17 :: v_dual_mul_f32 v102, 0x3f317218, v12
	v_sub_f32_e32 v13, v13, v14
	s_delay_alu instid0(VALU_DEP_2) | instskip(NEXT) | instid1(VALU_DEP_2)
	v_add_f32_e32 v15, v101, v17
	v_ldexp_f32 v13, v13, 1
	s_delay_alu instid0(VALU_DEP_2) | instskip(SKIP_1) | instid1(VALU_DEP_1)
	v_sub_f32_e32 v14, v15, v101
	v_fma_f32 v101, 0x3f317218, v12, -v102
	v_dual_sub_f32 v14, v17, v14 :: v_dual_fmac_f32 v101, 0xb102e308, v12
	s_delay_alu instid0(VALU_DEP_1) | instskip(NEXT) | instid1(VALU_DEP_1)
	v_dual_add_f32 v12, v13, v14 :: v_dual_add_f32 v13, v102, v101
	v_add_f32_e32 v14, v15, v12
	s_delay_alu instid0(VALU_DEP_2) | instskip(NEXT) | instid1(VALU_DEP_2)
	v_sub_f32_e32 v102, v13, v102
	v_add_f32_e32 v17, v13, v14
	v_sub_f32_e32 v15, v14, v15
	s_delay_alu instid0(VALU_DEP_3) | instskip(NEXT) | instid1(VALU_DEP_2)
	v_sub_f32_e32 v101, v101, v102
	v_dual_sub_f32 v103, v17, v13 :: v_dual_sub_f32 v12, v12, v15
	s_delay_alu instid0(VALU_DEP_1) | instskip(NEXT) | instid1(VALU_DEP_2)
	v_sub_f32_e32 v104, v17, v103
	v_dual_sub_f32 v14, v14, v103 :: v_dual_add_f32 v15, v101, v12
	s_delay_alu instid0(VALU_DEP_2) | instskip(NEXT) | instid1(VALU_DEP_1)
	v_sub_f32_e32 v13, v13, v104
	v_add_f32_e32 v13, v14, v13
	s_delay_alu instid0(VALU_DEP_3) | instskip(NEXT) | instid1(VALU_DEP_2)
	v_sub_f32_e32 v14, v15, v101
	v_add_f32_e32 v13, v15, v13
	s_delay_alu instid0(VALU_DEP_2) | instskip(SKIP_1) | instid1(VALU_DEP_3)
	v_sub_f32_e32 v15, v15, v14
	v_sub_f32_e32 v12, v12, v14
	v_add_f32_e32 v102, v17, v13
	s_delay_alu instid0(VALU_DEP_1) | instskip(NEXT) | instid1(VALU_DEP_1)
	v_dual_sub_f32 v15, v101, v15 :: v_dual_sub_f32 v14, v102, v17
	v_dual_add_f32 v12, v12, v15 :: v_dual_sub_f32 v13, v13, v14
	s_delay_alu instid0(VALU_DEP_1) | instskip(NEXT) | instid1(VALU_DEP_1)
	v_add_f32_e32 v12, v12, v13
	v_add_f32_e32 v12, v102, v12
	s_delay_alu instid0(VALU_DEP_1)
	v_cndmask_b32_e32 v116, v12, v8, vcc_lo
.LBB48_96:                              ;   in Loop: Header=BB48_12 Depth=1
	s_or_b32 exec_lo, exec_lo, s29
	v_and_b32_e32 v8, 0xffff0000, v9
	s_delay_alu instid0(VALU_DEP_1) | instskip(NEXT) | instid1(VALU_DEP_1)
	v_add_f32_e32 v121, s66, v8
	v_cmp_ge_f32_e32 vcc_lo, 0x41a00000, v121
	s_and_b32 s28, s79, vcc_lo
	s_delay_alu instid0(SALU_CYCLE_1)
	s_and_saveexec_b32 s29, s28
	s_cbranch_execz .LBB48_98
; %bb.97:                               ;   in Loop: Header=BB48_12 Depth=1
	v_mul_f32_e32 v8, 0x3fb8aa3b, v121
	v_cmp_ngt_f32_e32 vcc_lo, 0xc2ce8ed0, v121
	s_delay_alu instid0(VALU_DEP_2) | instskip(SKIP_1) | instid1(VALU_DEP_2)
	v_rndne_f32_e32 v9, v8
	v_fma_f32 v12, 0x3fb8aa3b, v121, -v8
	v_sub_f32_e32 v8, v8, v9
	s_delay_alu instid0(VALU_DEP_2) | instskip(SKIP_1) | instid1(VALU_DEP_2)
	v_fmac_f32_e32 v12, 0x32a5705f, v121
	v_cvt_i32_f32_e32 v9, v9
	v_add_f32_e32 v8, v8, v12
	s_delay_alu instid0(VALU_DEP_1) | instskip(SKIP_2) | instid1(VALU_DEP_1)
	v_exp_f32_e32 v8, v8
	s_waitcnt_depctr 0xfff
	v_ldexp_f32 v8, v8, v9
	v_cndmask_b32_e32 v8, 0, v8, vcc_lo
	v_cmp_nlt_f32_e32 vcc_lo, 0x42b17218, v121
	s_delay_alu instid0(VALU_DEP_2) | instskip(NEXT) | instid1(VALU_DEP_1)
	v_cndmask_b32_e32 v12, 0x7f800000, v8, vcc_lo
	v_add_f32_e32 v13, 1.0, v12
	s_delay_alu instid0(VALU_DEP_1) | instskip(NEXT) | instid1(VALU_DEP_1)
	v_cvt_f64_f32_e32 v[8:9], v13
	v_frexp_exp_i32_f64_e32 v8, v[8:9]
	v_frexp_mant_f32_e32 v9, v13
	s_delay_alu instid0(VALU_DEP_1) | instskip(SKIP_1) | instid1(VALU_DEP_1)
	v_cmp_gt_f32_e32 vcc_lo, 0x3f2aaaab, v9
	v_add_f32_e32 v9, -1.0, v13
	v_sub_f32_e32 v15, v9, v13
	s_delay_alu instid0(VALU_DEP_1) | instskip(SKIP_1) | instid1(VALU_DEP_1)
	v_add_f32_e32 v15, 1.0, v15
	v_subrev_co_ci_u32_e32 v8, vcc_lo, 0, v8, vcc_lo
	v_sub_nc_u32_e32 v14, 0, v8
	v_cvt_f32_i32_e32 v8, v8
	s_delay_alu instid0(VALU_DEP_2) | instskip(NEXT) | instid1(VALU_DEP_1)
	v_ldexp_f32 v13, v13, v14
	v_add_f32_e32 v17, 1.0, v13
	v_sub_f32_e32 v9, v12, v9
	v_cmp_eq_f32_e32 vcc_lo, 0x7f800000, v12
	v_cmp_gt_f32_e64 s28, 0x33800000, v12
	s_delay_alu instid0(VALU_DEP_3) | instskip(NEXT) | instid1(VALU_DEP_2)
	v_add_f32_e32 v9, v9, v15
	s_or_b32 vcc_lo, s28, vcc_lo
	s_delay_alu instid0(VALU_DEP_1) | instskip(SKIP_2) | instid1(VALU_DEP_1)
	v_ldexp_f32 v9, v9, v14
	v_add_f32_e32 v14, -1.0, v13
	v_add_f32_e32 v15, -1.0, v17
	v_sub_f32_e32 v15, v13, v15
	s_delay_alu instid0(VALU_DEP_3) | instskip(NEXT) | instid1(VALU_DEP_2)
	v_add_f32_e32 v101, 1.0, v14
	v_add_f32_e32 v15, v9, v15
	s_delay_alu instid0(VALU_DEP_2) | instskip(NEXT) | instid1(VALU_DEP_2)
	v_sub_f32_e32 v13, v13, v101
	v_add_f32_e32 v101, v17, v15
	s_delay_alu instid0(VALU_DEP_2) | instskip(NEXT) | instid1(VALU_DEP_2)
	v_add_f32_e32 v9, v9, v13
	v_rcp_f32_e32 v13, v101
	s_delay_alu instid0(VALU_DEP_1) | instskip(NEXT) | instid1(VALU_DEP_1)
	v_add_f32_e32 v102, v14, v9
	v_dual_sub_f32 v17, v17, v101 :: v_dual_sub_f32 v14, v14, v102
	s_delay_alu instid0(VALU_DEP_1) | instskip(SKIP_2) | instid1(VALU_DEP_1)
	v_add_f32_e32 v15, v15, v17
	s_waitcnt_depctr 0xfff
	v_mul_f32_e32 v103, v102, v13
	v_mul_f32_e32 v104, v101, v103
	s_delay_alu instid0(VALU_DEP_1) | instskip(NEXT) | instid1(VALU_DEP_1)
	v_fma_f32 v17, v103, v101, -v104
	v_fmac_f32_e32 v17, v103, v15
	s_delay_alu instid0(VALU_DEP_1) | instskip(NEXT) | instid1(VALU_DEP_1)
	v_add_f32_e32 v106, v104, v17
	v_sub_f32_e32 v107, v102, v106
	s_delay_alu instid0(VALU_DEP_1) | instskip(NEXT) | instid1(VALU_DEP_1)
	v_sub_f32_e32 v102, v102, v107
	v_sub_f32_e32 v102, v102, v106
	v_dual_add_f32 v9, v9, v14 :: v_dual_sub_f32 v14, v106, v104
	s_delay_alu instid0(VALU_DEP_1) | instskip(NEXT) | instid1(VALU_DEP_1)
	v_dual_sub_f32 v14, v14, v17 :: v_dual_add_f32 v9, v9, v102
	v_add_f32_e32 v9, v14, v9
	s_delay_alu instid0(VALU_DEP_1) | instskip(NEXT) | instid1(VALU_DEP_1)
	v_add_f32_e32 v14, v107, v9
	v_mul_f32_e32 v17, v13, v14
	s_delay_alu instid0(VALU_DEP_1) | instskip(NEXT) | instid1(VALU_DEP_1)
	v_mul_f32_e32 v102, v101, v17
	v_fma_f32 v101, v17, v101, -v102
	s_delay_alu instid0(VALU_DEP_1) | instskip(NEXT) | instid1(VALU_DEP_1)
	v_dual_fmac_f32 v101, v17, v15 :: v_dual_sub_f32 v106, v107, v14
	v_add_f32_e32 v15, v102, v101
	s_delay_alu instid0(VALU_DEP_1) | instskip(SKIP_1) | instid1(VALU_DEP_2)
	v_sub_f32_e32 v104, v14, v15
	v_sub_f32_e32 v102, v15, v102
	v_dual_add_f32 v9, v9, v106 :: v_dual_sub_f32 v14, v14, v104
	s_delay_alu instid0(VALU_DEP_1) | instskip(NEXT) | instid1(VALU_DEP_3)
	v_sub_f32_e32 v14, v14, v15
	v_sub_f32_e32 v15, v102, v101
	s_delay_alu instid0(VALU_DEP_2) | instskip(NEXT) | instid1(VALU_DEP_1)
	v_dual_add_f32 v9, v9, v14 :: v_dual_add_f32 v14, v103, v17
	v_add_f32_e32 v9, v15, v9
	s_delay_alu instid0(VALU_DEP_2) | instskip(NEXT) | instid1(VALU_DEP_2)
	v_sub_f32_e32 v15, v14, v103
	v_add_f32_e32 v9, v104, v9
	s_delay_alu instid0(VALU_DEP_2) | instskip(NEXT) | instid1(VALU_DEP_2)
	v_sub_f32_e32 v15, v17, v15
	v_mul_f32_e32 v9, v13, v9
	s_delay_alu instid0(VALU_DEP_1) | instskip(NEXT) | instid1(VALU_DEP_1)
	v_add_f32_e32 v9, v15, v9
	v_add_f32_e32 v13, v14, v9
	s_delay_alu instid0(VALU_DEP_1) | instskip(NEXT) | instid1(VALU_DEP_1)
	v_mul_f32_e32 v15, v13, v13
	v_fmaak_f32 v17, s83, v15, 0x3ecc95a3
	v_mul_f32_e32 v101, v13, v15
	s_delay_alu instid0(VALU_DEP_2) | instskip(SKIP_2) | instid1(VALU_DEP_3)
	v_fmaak_f32 v15, v15, v17, 0x3f2aaada
	v_ldexp_f32 v17, v13, 1
	v_sub_f32_e32 v13, v13, v14
	v_mul_f32_e32 v15, v101, v15
	v_mul_f32_e32 v101, 0x3f317218, v8
	s_delay_alu instid0(VALU_DEP_3) | instskip(NEXT) | instid1(VALU_DEP_3)
	v_sub_f32_e32 v9, v9, v13
	v_add_f32_e32 v14, v17, v15
	s_delay_alu instid0(VALU_DEP_2) | instskip(NEXT) | instid1(VALU_DEP_2)
	v_ldexp_f32 v9, v9, 1
	v_sub_f32_e32 v13, v14, v17
	v_fma_f32 v17, 0x3f317218, v8, -v101
	s_delay_alu instid0(VALU_DEP_2) | instskip(NEXT) | instid1(VALU_DEP_1)
	v_sub_f32_e32 v13, v15, v13
	v_dual_fmac_f32 v17, 0xb102e308, v8 :: v_dual_add_f32 v8, v9, v13
	s_delay_alu instid0(VALU_DEP_1) | instskip(NEXT) | instid1(VALU_DEP_2)
	v_add_f32_e32 v9, v101, v17
	v_add_f32_e32 v13, v14, v8
	s_delay_alu instid0(VALU_DEP_2) | instskip(NEXT) | instid1(VALU_DEP_2)
	v_sub_f32_e32 v101, v9, v101
	v_add_f32_e32 v15, v9, v13
	v_sub_f32_e32 v14, v13, v14
	s_delay_alu instid0(VALU_DEP_3) | instskip(NEXT) | instid1(VALU_DEP_3)
	v_sub_f32_e32 v17, v17, v101
	v_sub_f32_e32 v102, v15, v9
	s_delay_alu instid0(VALU_DEP_3) | instskip(NEXT) | instid1(VALU_DEP_2)
	v_sub_f32_e32 v8, v8, v14
	v_sub_f32_e32 v103, v15, v102
	;; [unrolled: 1-line block ×3, first 2 shown]
	s_delay_alu instid0(VALU_DEP_3) | instskip(NEXT) | instid1(VALU_DEP_3)
	v_add_f32_e32 v14, v17, v8
	v_sub_f32_e32 v9, v9, v103
	s_delay_alu instid0(VALU_DEP_1) | instskip(NEXT) | instid1(VALU_DEP_3)
	v_add_f32_e32 v9, v13, v9
	v_sub_f32_e32 v13, v14, v17
	s_delay_alu instid0(VALU_DEP_2) | instskip(NEXT) | instid1(VALU_DEP_2)
	v_add_f32_e32 v9, v14, v9
	v_sub_f32_e32 v14, v14, v13
	v_sub_f32_e32 v8, v8, v13
	s_delay_alu instid0(VALU_DEP_2) | instskip(NEXT) | instid1(VALU_DEP_1)
	v_dual_add_f32 v101, v15, v9 :: v_dual_sub_f32 v14, v17, v14
	v_dual_sub_f32 v13, v101, v15 :: v_dual_add_f32 v8, v8, v14
	s_delay_alu instid0(VALU_DEP_1) | instskip(NEXT) | instid1(VALU_DEP_1)
	v_sub_f32_e32 v9, v9, v13
	v_add_f32_e32 v8, v8, v9
	s_delay_alu instid0(VALU_DEP_1) | instskip(NEXT) | instid1(VALU_DEP_1)
	v_add_f32_e32 v8, v101, v8
	v_cndmask_b32_e32 v121, v8, v12, vcc_lo
.LBB48_98:                              ;   in Loop: Header=BB48_12 Depth=1
	s_or_b32 exec_lo, exec_lo, s29
	v_lshlrev_b32_e32 v8, 16, v10
	s_delay_alu instid0(VALU_DEP_1) | instskip(NEXT) | instid1(VALU_DEP_1)
	v_add_f32_e32 v122, s66, v8
	v_cmp_ge_f32_e32 vcc_lo, 0x41a00000, v122
	s_and_b32 s28, s79, vcc_lo
	s_delay_alu instid0(SALU_CYCLE_1)
	s_and_saveexec_b32 s29, s28
	s_cbranch_execz .LBB48_100
; %bb.99:                               ;   in Loop: Header=BB48_12 Depth=1
	v_mul_f32_e32 v8, 0x3fb8aa3b, v122
	v_cmp_ngt_f32_e32 vcc_lo, 0xc2ce8ed0, v122
	s_delay_alu instid0(VALU_DEP_2) | instskip(SKIP_1) | instid1(VALU_DEP_2)
	v_rndne_f32_e32 v9, v8
	v_fma_f32 v12, 0x3fb8aa3b, v122, -v8
	v_sub_f32_e32 v8, v8, v9
	s_delay_alu instid0(VALU_DEP_2) | instskip(SKIP_1) | instid1(VALU_DEP_2)
	v_fmac_f32_e32 v12, 0x32a5705f, v122
	v_cvt_i32_f32_e32 v9, v9
	v_add_f32_e32 v8, v8, v12
	s_delay_alu instid0(VALU_DEP_1) | instskip(SKIP_2) | instid1(VALU_DEP_1)
	v_exp_f32_e32 v8, v8
	s_waitcnt_depctr 0xfff
	v_ldexp_f32 v8, v8, v9
	v_cndmask_b32_e32 v8, 0, v8, vcc_lo
	v_cmp_nlt_f32_e32 vcc_lo, 0x42b17218, v122
	s_delay_alu instid0(VALU_DEP_2) | instskip(NEXT) | instid1(VALU_DEP_1)
	v_cndmask_b32_e32 v12, 0x7f800000, v8, vcc_lo
	v_add_f32_e32 v13, 1.0, v12
	s_delay_alu instid0(VALU_DEP_1) | instskip(NEXT) | instid1(VALU_DEP_1)
	v_cvt_f64_f32_e32 v[8:9], v13
	v_frexp_exp_i32_f64_e32 v8, v[8:9]
	v_frexp_mant_f32_e32 v9, v13
	s_delay_alu instid0(VALU_DEP_1) | instskip(SKIP_1) | instid1(VALU_DEP_1)
	v_cmp_gt_f32_e32 vcc_lo, 0x3f2aaaab, v9
	v_add_f32_e32 v9, -1.0, v13
	v_sub_f32_e32 v15, v9, v13
	s_delay_alu instid0(VALU_DEP_1) | instskip(SKIP_1) | instid1(VALU_DEP_1)
	v_add_f32_e32 v15, 1.0, v15
	v_subrev_co_ci_u32_e32 v8, vcc_lo, 0, v8, vcc_lo
	v_sub_nc_u32_e32 v14, 0, v8
	v_cvt_f32_i32_e32 v8, v8
	s_delay_alu instid0(VALU_DEP_2) | instskip(NEXT) | instid1(VALU_DEP_1)
	v_ldexp_f32 v13, v13, v14
	v_add_f32_e32 v17, 1.0, v13
	v_sub_f32_e32 v9, v12, v9
	v_cmp_eq_f32_e32 vcc_lo, 0x7f800000, v12
	v_cmp_gt_f32_e64 s28, 0x33800000, v12
	s_delay_alu instid0(VALU_DEP_3) | instskip(SKIP_1) | instid1(VALU_DEP_3)
	v_add_f32_e32 v9, v9, v15
	v_add_f32_e32 v15, -1.0, v17
	s_or_b32 vcc_lo, s28, vcc_lo
	s_delay_alu instid0(VALU_DEP_2) | instskip(NEXT) | instid1(VALU_DEP_2)
	v_ldexp_f32 v9, v9, v14
	v_dual_add_f32 v14, -1.0, v13 :: v_dual_sub_f32 v15, v13, v15
	s_delay_alu instid0(VALU_DEP_1) | instskip(NEXT) | instid1(VALU_DEP_2)
	v_add_f32_e32 v101, 1.0, v14
	v_add_f32_e32 v15, v9, v15
	s_delay_alu instid0(VALU_DEP_2) | instskip(NEXT) | instid1(VALU_DEP_1)
	v_sub_f32_e32 v13, v13, v101
	v_add_f32_e32 v9, v9, v13
	s_delay_alu instid0(VALU_DEP_1) | instskip(NEXT) | instid1(VALU_DEP_1)
	v_add_f32_e32 v102, v14, v9
	v_dual_sub_f32 v14, v14, v102 :: v_dual_add_f32 v101, v17, v15
	s_delay_alu instid0(VALU_DEP_1) | instskip(SKIP_1) | instid1(VALU_DEP_1)
	v_rcp_f32_e32 v13, v101
	v_sub_f32_e32 v17, v17, v101
	v_add_f32_e32 v15, v15, v17
	s_waitcnt_depctr 0xfff
	v_mul_f32_e32 v103, v102, v13
	s_delay_alu instid0(VALU_DEP_1) | instskip(NEXT) | instid1(VALU_DEP_1)
	v_mul_f32_e32 v104, v101, v103
	v_fma_f32 v17, v103, v101, -v104
	s_delay_alu instid0(VALU_DEP_1) | instskip(NEXT) | instid1(VALU_DEP_1)
	v_fmac_f32_e32 v17, v103, v15
	v_add_f32_e32 v106, v104, v17
	s_delay_alu instid0(VALU_DEP_1) | instskip(NEXT) | instid1(VALU_DEP_1)
	v_sub_f32_e32 v107, v102, v106
	v_sub_f32_e32 v102, v102, v107
	s_delay_alu instid0(VALU_DEP_1) | instskip(SKIP_1) | instid1(VALU_DEP_1)
	v_sub_f32_e32 v102, v102, v106
	v_dual_add_f32 v9, v9, v14 :: v_dual_sub_f32 v14, v106, v104
	v_dual_sub_f32 v14, v14, v17 :: v_dual_add_f32 v9, v9, v102
	s_delay_alu instid0(VALU_DEP_1) | instskip(NEXT) | instid1(VALU_DEP_1)
	v_add_f32_e32 v9, v14, v9
	v_add_f32_e32 v14, v107, v9
	s_delay_alu instid0(VALU_DEP_1) | instskip(NEXT) | instid1(VALU_DEP_1)
	v_mul_f32_e32 v17, v13, v14
	v_mul_f32_e32 v102, v101, v17
	s_delay_alu instid0(VALU_DEP_1) | instskip(NEXT) | instid1(VALU_DEP_1)
	v_fma_f32 v101, v17, v101, -v102
	v_dual_fmac_f32 v101, v17, v15 :: v_dual_sub_f32 v106, v107, v14
	s_delay_alu instid0(VALU_DEP_1) | instskip(NEXT) | instid1(VALU_DEP_1)
	v_add_f32_e32 v15, v102, v101
	v_sub_f32_e32 v104, v14, v15
	v_sub_f32_e32 v102, v15, v102
	s_delay_alu instid0(VALU_DEP_2) | instskip(NEXT) | instid1(VALU_DEP_1)
	v_dual_add_f32 v9, v9, v106 :: v_dual_sub_f32 v14, v14, v104
	v_sub_f32_e32 v14, v14, v15
	s_delay_alu instid0(VALU_DEP_3) | instskip(NEXT) | instid1(VALU_DEP_2)
	v_sub_f32_e32 v15, v102, v101
	v_dual_add_f32 v9, v9, v14 :: v_dual_add_f32 v14, v103, v17
	s_delay_alu instid0(VALU_DEP_1) | instskip(NEXT) | instid1(VALU_DEP_2)
	v_add_f32_e32 v9, v15, v9
	v_sub_f32_e32 v15, v14, v103
	s_delay_alu instid0(VALU_DEP_2) | instskip(NEXT) | instid1(VALU_DEP_2)
	v_add_f32_e32 v9, v104, v9
	v_sub_f32_e32 v15, v17, v15
	s_delay_alu instid0(VALU_DEP_2) | instskip(NEXT) | instid1(VALU_DEP_1)
	v_mul_f32_e32 v9, v13, v9
	v_add_f32_e32 v9, v15, v9
	s_delay_alu instid0(VALU_DEP_1) | instskip(NEXT) | instid1(VALU_DEP_1)
	v_add_f32_e32 v13, v14, v9
	v_mul_f32_e32 v15, v13, v13
	s_delay_alu instid0(VALU_DEP_1) | instskip(SKIP_1) | instid1(VALU_DEP_2)
	v_fmaak_f32 v17, s83, v15, 0x3ecc95a3
	v_mul_f32_e32 v101, v13, v15
	v_fmaak_f32 v15, v15, v17, 0x3f2aaada
	v_ldexp_f32 v17, v13, 1
	v_sub_f32_e32 v13, v13, v14
	s_delay_alu instid0(VALU_DEP_3) | instskip(SKIP_1) | instid1(VALU_DEP_3)
	v_mul_f32_e32 v15, v101, v15
	v_mul_f32_e32 v101, 0x3f317218, v8
	v_sub_f32_e32 v9, v9, v13
	s_delay_alu instid0(VALU_DEP_3) | instskip(NEXT) | instid1(VALU_DEP_2)
	v_add_f32_e32 v14, v17, v15
	v_ldexp_f32 v9, v9, 1
	s_delay_alu instid0(VALU_DEP_2) | instskip(SKIP_1) | instid1(VALU_DEP_2)
	v_sub_f32_e32 v13, v14, v17
	v_fma_f32 v17, 0x3f317218, v8, -v101
	v_sub_f32_e32 v13, v15, v13
	s_delay_alu instid0(VALU_DEP_1) | instskip(NEXT) | instid1(VALU_DEP_1)
	v_dual_fmac_f32 v17, 0xb102e308, v8 :: v_dual_add_f32 v8, v9, v13
	v_add_f32_e32 v9, v101, v17
	s_delay_alu instid0(VALU_DEP_2) | instskip(NEXT) | instid1(VALU_DEP_2)
	v_add_f32_e32 v13, v14, v8
	v_sub_f32_e32 v101, v9, v101
	s_delay_alu instid0(VALU_DEP_2) | instskip(SKIP_1) | instid1(VALU_DEP_3)
	v_add_f32_e32 v15, v9, v13
	v_sub_f32_e32 v14, v13, v14
	v_sub_f32_e32 v17, v17, v101
	s_delay_alu instid0(VALU_DEP_3) | instskip(NEXT) | instid1(VALU_DEP_3)
	v_sub_f32_e32 v102, v15, v9
	v_sub_f32_e32 v8, v8, v14
	s_delay_alu instid0(VALU_DEP_2) | instskip(SKIP_1) | instid1(VALU_DEP_3)
	v_sub_f32_e32 v103, v15, v102
	v_sub_f32_e32 v13, v13, v102
	v_add_f32_e32 v14, v17, v8
	s_delay_alu instid0(VALU_DEP_3) | instskip(NEXT) | instid1(VALU_DEP_1)
	v_sub_f32_e32 v9, v9, v103
	v_add_f32_e32 v9, v13, v9
	s_delay_alu instid0(VALU_DEP_3) | instskip(NEXT) | instid1(VALU_DEP_2)
	v_sub_f32_e32 v13, v14, v17
	v_add_f32_e32 v9, v14, v9
	s_delay_alu instid0(VALU_DEP_2) | instskip(SKIP_1) | instid1(VALU_DEP_2)
	v_sub_f32_e32 v14, v14, v13
	v_sub_f32_e32 v8, v8, v13
	v_dual_add_f32 v101, v15, v9 :: v_dual_sub_f32 v14, v17, v14
	s_delay_alu instid0(VALU_DEP_1) | instskip(NEXT) | instid1(VALU_DEP_1)
	v_dual_sub_f32 v13, v101, v15 :: v_dual_add_f32 v8, v8, v14
	v_sub_f32_e32 v9, v9, v13
	s_delay_alu instid0(VALU_DEP_1) | instskip(NEXT) | instid1(VALU_DEP_1)
	v_add_f32_e32 v8, v8, v9
	v_add_f32_e32 v8, v101, v8
	s_delay_alu instid0(VALU_DEP_1)
	v_cndmask_b32_e32 v122, v8, v12, vcc_lo
.LBB48_100:                             ;   in Loop: Header=BB48_12 Depth=1
	s_or_b32 exec_lo, exec_lo, s29
	v_and_b32_e32 v8, 0xffff0000, v10
	s_delay_alu instid0(VALU_DEP_1) | instskip(NEXT) | instid1(VALU_DEP_1)
	v_add_f32_e32 v123, s66, v8
	v_cmp_ge_f32_e32 vcc_lo, 0x41a00000, v123
	s_and_b32 s28, s79, vcc_lo
	s_delay_alu instid0(SALU_CYCLE_1)
	s_and_saveexec_b32 s29, s28
	s_cbranch_execz .LBB48_102
; %bb.101:                              ;   in Loop: Header=BB48_12 Depth=1
	v_mul_f32_e32 v8, 0x3fb8aa3b, v123
	v_cmp_ngt_f32_e32 vcc_lo, 0xc2ce8ed0, v123
	s_delay_alu instid0(VALU_DEP_2) | instskip(SKIP_1) | instid1(VALU_DEP_2)
	v_rndne_f32_e32 v9, v8
	v_fma_f32 v10, 0x3fb8aa3b, v123, -v8
	v_sub_f32_e32 v8, v8, v9
	s_delay_alu instid0(VALU_DEP_2) | instskip(SKIP_1) | instid1(VALU_DEP_2)
	v_fmac_f32_e32 v10, 0x32a5705f, v123
	v_cvt_i32_f32_e32 v9, v9
	v_add_f32_e32 v8, v8, v10
	s_delay_alu instid0(VALU_DEP_1) | instskip(SKIP_2) | instid1(VALU_DEP_1)
	v_exp_f32_e32 v8, v8
	s_waitcnt_depctr 0xfff
	v_ldexp_f32 v8, v8, v9
	v_cndmask_b32_e32 v8, 0, v8, vcc_lo
	v_cmp_nlt_f32_e32 vcc_lo, 0x42b17218, v123
	s_delay_alu instid0(VALU_DEP_2) | instskip(NEXT) | instid1(VALU_DEP_1)
	v_cndmask_b32_e32 v10, 0x7f800000, v8, vcc_lo
	v_add_f32_e32 v12, 1.0, v10
	s_delay_alu instid0(VALU_DEP_1) | instskip(NEXT) | instid1(VALU_DEP_1)
	v_cvt_f64_f32_e32 v[8:9], v12
	v_frexp_exp_i32_f64_e32 v8, v[8:9]
	v_frexp_mant_f32_e32 v9, v12
	s_delay_alu instid0(VALU_DEP_1) | instskip(SKIP_1) | instid1(VALU_DEP_1)
	v_cmp_gt_f32_e32 vcc_lo, 0x3f2aaaab, v9
	v_add_f32_e32 v9, -1.0, v12
	v_dual_sub_f32 v14, v9, v12 :: v_dual_sub_f32 v9, v10, v9
	v_subrev_co_ci_u32_e32 v8, vcc_lo, 0, v8, vcc_lo
	s_delay_alu instid0(VALU_DEP_1) | instskip(SKIP_1) | instid1(VALU_DEP_2)
	v_sub_nc_u32_e32 v13, 0, v8
	v_cvt_f32_i32_e32 v8, v8
	v_ldexp_f32 v12, v12, v13
	s_delay_alu instid0(VALU_DEP_1) | instskip(NEXT) | instid1(VALU_DEP_1)
	v_dual_add_f32 v14, 1.0, v14 :: v_dual_add_f32 v15, 1.0, v12
	v_add_f32_e32 v9, v9, v14
	s_delay_alu instid0(VALU_DEP_1) | instskip(NEXT) | instid1(VALU_DEP_3)
	v_ldexp_f32 v9, v9, v13
	v_dual_add_f32 v13, -1.0, v12 :: v_dual_add_f32 v14, -1.0, v15
	s_delay_alu instid0(VALU_DEP_1) | instskip(NEXT) | instid1(VALU_DEP_1)
	v_dual_add_f32 v17, 1.0, v13 :: v_dual_sub_f32 v14, v12, v14
	v_sub_f32_e32 v12, v12, v17
	s_delay_alu instid0(VALU_DEP_2) | instskip(NEXT) | instid1(VALU_DEP_2)
	v_add_f32_e32 v14, v9, v14
	v_add_f32_e32 v9, v9, v12
	s_delay_alu instid0(VALU_DEP_2) | instskip(SKIP_2) | instid1(VALU_DEP_4)
	v_add_f32_e32 v17, v15, v14
	v_cmp_eq_f32_e32 vcc_lo, 0x7f800000, v10
	v_cmp_gt_f32_e64 s28, 0x33800000, v10
	v_add_f32_e32 v101, v13, v9
	s_delay_alu instid0(VALU_DEP_4) | instskip(SKIP_1) | instid1(VALU_DEP_3)
	v_rcp_f32_e32 v12, v17
	v_sub_f32_e32 v15, v15, v17
	s_or_b32 vcc_lo, s28, vcc_lo
	s_delay_alu instid0(VALU_DEP_1) | instskip(NEXT) | instid1(VALU_DEP_1)
	v_dual_sub_f32 v13, v13, v101 :: v_dual_add_f32 v14, v14, v15
	v_add_f32_e32 v9, v9, v13
	s_waitcnt_depctr 0xfff
	v_mul_f32_e32 v102, v101, v12
	s_delay_alu instid0(VALU_DEP_1) | instskip(NEXT) | instid1(VALU_DEP_1)
	v_mul_f32_e32 v103, v17, v102
	v_fma_f32 v15, v102, v17, -v103
	s_delay_alu instid0(VALU_DEP_1) | instskip(NEXT) | instid1(VALU_DEP_1)
	v_fmac_f32_e32 v15, v102, v14
	v_add_f32_e32 v104, v103, v15
	s_delay_alu instid0(VALU_DEP_1) | instskip(NEXT) | instid1(VALU_DEP_1)
	v_dual_sub_f32 v106, v101, v104 :: v_dual_sub_f32 v13, v104, v103
	v_sub_f32_e32 v101, v101, v106
	s_delay_alu instid0(VALU_DEP_2) | instskip(NEXT) | instid1(VALU_DEP_2)
	v_sub_f32_e32 v13, v13, v15
	v_sub_f32_e32 v101, v101, v104
	s_delay_alu instid0(VALU_DEP_1) | instskip(NEXT) | instid1(VALU_DEP_1)
	v_add_f32_e32 v9, v9, v101
	v_add_f32_e32 v9, v13, v9
	s_delay_alu instid0(VALU_DEP_1) | instskip(NEXT) | instid1(VALU_DEP_1)
	v_add_f32_e32 v13, v106, v9
	v_mul_f32_e32 v15, v12, v13
	s_delay_alu instid0(VALU_DEP_1) | instskip(NEXT) | instid1(VALU_DEP_1)
	v_dual_sub_f32 v104, v106, v13 :: v_dual_mul_f32 v101, v17, v15
	v_add_f32_e32 v9, v9, v104
	s_delay_alu instid0(VALU_DEP_2) | instskip(NEXT) | instid1(VALU_DEP_1)
	v_fma_f32 v17, v15, v17, -v101
	v_fmac_f32_e32 v17, v15, v14
	s_delay_alu instid0(VALU_DEP_1) | instskip(NEXT) | instid1(VALU_DEP_1)
	v_add_f32_e32 v14, v101, v17
	v_sub_f32_e32 v103, v13, v14
	s_delay_alu instid0(VALU_DEP_1) | instskip(NEXT) | instid1(VALU_DEP_1)
	v_sub_f32_e32 v13, v13, v103
	v_sub_f32_e32 v13, v13, v14
	s_delay_alu instid0(VALU_DEP_1) | instskip(SKIP_2) | instid1(VALU_DEP_1)
	v_add_f32_e32 v9, v9, v13
	v_add_f32_e32 v13, v102, v15
	v_sub_f32_e32 v101, v14, v101
	v_sub_f32_e32 v14, v101, v17
	s_delay_alu instid0(VALU_DEP_1) | instskip(NEXT) | instid1(VALU_DEP_1)
	v_dual_add_f32 v9, v14, v9 :: v_dual_sub_f32 v14, v13, v102
	v_add_f32_e32 v9, v103, v9
	s_delay_alu instid0(VALU_DEP_1) | instskip(NEXT) | instid1(VALU_DEP_1)
	v_dual_sub_f32 v14, v15, v14 :: v_dual_mul_f32 v9, v12, v9
	v_add_f32_e32 v9, v14, v9
	s_delay_alu instid0(VALU_DEP_1) | instskip(NEXT) | instid1(VALU_DEP_1)
	v_add_f32_e32 v12, v13, v9
	v_mul_f32_e32 v14, v12, v12
	s_delay_alu instid0(VALU_DEP_1) | instskip(NEXT) | instid1(VALU_DEP_1)
	v_fmaak_f32 v15, s83, v14, 0x3ecc95a3
	v_dual_mul_f32 v17, v12, v14 :: v_dual_fmaak_f32 v14, v14, v15, 0x3f2aaada
	v_ldexp_f32 v15, v12, 1
	v_sub_f32_e32 v12, v12, v13
	s_delay_alu instid0(VALU_DEP_3) | instskip(NEXT) | instid1(VALU_DEP_2)
	v_dual_mul_f32 v14, v17, v14 :: v_dual_mul_f32 v17, 0x3f317218, v8
	v_sub_f32_e32 v9, v9, v12
	s_delay_alu instid0(VALU_DEP_2) | instskip(NEXT) | instid1(VALU_DEP_2)
	v_add_f32_e32 v13, v15, v14
	v_ldexp_f32 v9, v9, 1
	s_delay_alu instid0(VALU_DEP_2) | instskip(SKIP_1) | instid1(VALU_DEP_2)
	v_sub_f32_e32 v12, v13, v15
	v_fma_f32 v15, 0x3f317218, v8, -v17
	v_sub_f32_e32 v12, v14, v12
	s_delay_alu instid0(VALU_DEP_2) | instskip(NEXT) | instid1(VALU_DEP_2)
	v_fmac_f32_e32 v15, 0xb102e308, v8
	v_add_f32_e32 v8, v9, v12
	s_delay_alu instid0(VALU_DEP_2) | instskip(NEXT) | instid1(VALU_DEP_2)
	v_add_f32_e32 v9, v17, v15
	v_add_f32_e32 v12, v13, v8
	s_delay_alu instid0(VALU_DEP_2) | instskip(NEXT) | instid1(VALU_DEP_2)
	v_sub_f32_e32 v17, v9, v17
	v_dual_add_f32 v14, v9, v12 :: v_dual_sub_f32 v13, v12, v13
	s_delay_alu instid0(VALU_DEP_2) | instskip(NEXT) | instid1(VALU_DEP_2)
	v_sub_f32_e32 v15, v15, v17
	v_sub_f32_e32 v101, v14, v9
	s_delay_alu instid0(VALU_DEP_3) | instskip(NEXT) | instid1(VALU_DEP_2)
	v_sub_f32_e32 v8, v8, v13
	v_sub_f32_e32 v102, v14, v101
	s_delay_alu instid0(VALU_DEP_2) | instskip(NEXT) | instid1(VALU_DEP_2)
	v_dual_sub_f32 v12, v12, v101 :: v_dual_add_f32 v13, v15, v8
	v_sub_f32_e32 v9, v9, v102
	s_delay_alu instid0(VALU_DEP_1) | instskip(NEXT) | instid1(VALU_DEP_1)
	v_dual_add_f32 v9, v12, v9 :: v_dual_sub_f32 v12, v13, v15
	v_add_f32_e32 v9, v13, v9
	s_delay_alu instid0(VALU_DEP_2) | instskip(NEXT) | instid1(VALU_DEP_2)
	v_sub_f32_e32 v13, v13, v12
	v_dual_sub_f32 v8, v8, v12 :: v_dual_add_f32 v17, v14, v9
	s_delay_alu instid0(VALU_DEP_1) | instskip(NEXT) | instid1(VALU_DEP_1)
	v_dual_sub_f32 v13, v15, v13 :: v_dual_sub_f32 v12, v17, v14
	v_dual_add_f32 v8, v8, v13 :: v_dual_sub_f32 v9, v9, v12
	s_delay_alu instid0(VALU_DEP_1) | instskip(NEXT) | instid1(VALU_DEP_1)
	v_add_f32_e32 v8, v8, v9
	v_add_f32_e32 v8, v17, v8
	s_delay_alu instid0(VALU_DEP_1)
	v_cndmask_b32_e32 v123, v8, v10, vcc_lo
.LBB48_102:                             ;   in Loop: Header=BB48_12 Depth=1
	s_or_b32 exec_lo, exec_lo, s29
	v_lshlrev_b32_e32 v8, 16, v11
	s_delay_alu instid0(VALU_DEP_1) | instskip(NEXT) | instid1(VALU_DEP_1)
	v_add_f32_e32 v124, s66, v8
	v_cmp_ge_f32_e32 vcc_lo, 0x41a00000, v124
	s_and_b32 s28, s79, vcc_lo
	s_delay_alu instid0(SALU_CYCLE_1)
	s_and_saveexec_b32 s29, s28
	s_cbranch_execz .LBB48_104
; %bb.103:                              ;   in Loop: Header=BB48_12 Depth=1
	v_mul_f32_e32 v8, 0x3fb8aa3b, v124
	v_cmp_ngt_f32_e32 vcc_lo, 0xc2ce8ed0, v124
	s_delay_alu instid0(VALU_DEP_2) | instskip(SKIP_1) | instid1(VALU_DEP_2)
	v_rndne_f32_e32 v9, v8
	v_fma_f32 v10, 0x3fb8aa3b, v124, -v8
	v_sub_f32_e32 v8, v8, v9
	s_delay_alu instid0(VALU_DEP_2) | instskip(SKIP_1) | instid1(VALU_DEP_2)
	v_fmac_f32_e32 v10, 0x32a5705f, v124
	v_cvt_i32_f32_e32 v9, v9
	v_add_f32_e32 v8, v8, v10
	s_delay_alu instid0(VALU_DEP_1) | instskip(SKIP_2) | instid1(VALU_DEP_1)
	v_exp_f32_e32 v8, v8
	s_waitcnt_depctr 0xfff
	v_ldexp_f32 v8, v8, v9
	v_cndmask_b32_e32 v8, 0, v8, vcc_lo
	v_cmp_nlt_f32_e32 vcc_lo, 0x42b17218, v124
	s_delay_alu instid0(VALU_DEP_2) | instskip(NEXT) | instid1(VALU_DEP_1)
	v_cndmask_b32_e32 v10, 0x7f800000, v8, vcc_lo
	v_add_f32_e32 v12, 1.0, v10
	s_delay_alu instid0(VALU_DEP_1) | instskip(NEXT) | instid1(VALU_DEP_1)
	v_cvt_f64_f32_e32 v[8:9], v12
	v_frexp_exp_i32_f64_e32 v8, v[8:9]
	v_frexp_mant_f32_e32 v9, v12
	s_delay_alu instid0(VALU_DEP_1) | instskip(SKIP_1) | instid1(VALU_DEP_1)
	v_cmp_gt_f32_e32 vcc_lo, 0x3f2aaaab, v9
	v_add_f32_e32 v9, -1.0, v12
	v_dual_sub_f32 v14, v9, v12 :: v_dual_sub_f32 v9, v10, v9
	v_subrev_co_ci_u32_e32 v8, vcc_lo, 0, v8, vcc_lo
	s_delay_alu instid0(VALU_DEP_1) | instskip(SKIP_1) | instid1(VALU_DEP_2)
	v_sub_nc_u32_e32 v13, 0, v8
	v_cvt_f32_i32_e32 v8, v8
	v_ldexp_f32 v12, v12, v13
	s_delay_alu instid0(VALU_DEP_1) | instskip(NEXT) | instid1(VALU_DEP_1)
	v_dual_add_f32 v14, 1.0, v14 :: v_dual_add_f32 v15, 1.0, v12
	v_add_f32_e32 v9, v9, v14
	s_delay_alu instid0(VALU_DEP_1) | instskip(NEXT) | instid1(VALU_DEP_3)
	v_ldexp_f32 v9, v9, v13
	v_dual_add_f32 v13, -1.0, v12 :: v_dual_add_f32 v14, -1.0, v15
	s_delay_alu instid0(VALU_DEP_1) | instskip(NEXT) | instid1(VALU_DEP_1)
	v_dual_add_f32 v17, 1.0, v13 :: v_dual_sub_f32 v14, v12, v14
	v_sub_f32_e32 v12, v12, v17
	s_delay_alu instid0(VALU_DEP_2) | instskip(NEXT) | instid1(VALU_DEP_2)
	v_add_f32_e32 v14, v9, v14
	v_add_f32_e32 v9, v9, v12
	s_delay_alu instid0(VALU_DEP_2) | instskip(SKIP_2) | instid1(VALU_DEP_4)
	v_add_f32_e32 v17, v15, v14
	v_cmp_eq_f32_e32 vcc_lo, 0x7f800000, v10
	v_cmp_gt_f32_e64 s28, 0x33800000, v10
	v_add_f32_e32 v101, v13, v9
	s_delay_alu instid0(VALU_DEP_4) | instskip(SKIP_1) | instid1(VALU_DEP_3)
	v_rcp_f32_e32 v12, v17
	v_sub_f32_e32 v15, v15, v17
	s_or_b32 vcc_lo, s28, vcc_lo
	s_delay_alu instid0(VALU_DEP_1) | instskip(NEXT) | instid1(VALU_DEP_1)
	v_dual_sub_f32 v13, v13, v101 :: v_dual_add_f32 v14, v14, v15
	v_add_f32_e32 v9, v9, v13
	s_waitcnt_depctr 0xfff
	v_mul_f32_e32 v102, v101, v12
	s_delay_alu instid0(VALU_DEP_1) | instskip(NEXT) | instid1(VALU_DEP_1)
	v_mul_f32_e32 v103, v17, v102
	v_fma_f32 v15, v102, v17, -v103
	s_delay_alu instid0(VALU_DEP_1) | instskip(NEXT) | instid1(VALU_DEP_1)
	v_fmac_f32_e32 v15, v102, v14
	v_add_f32_e32 v104, v103, v15
	s_delay_alu instid0(VALU_DEP_1) | instskip(NEXT) | instid1(VALU_DEP_1)
	v_dual_sub_f32 v106, v101, v104 :: v_dual_sub_f32 v13, v104, v103
	v_sub_f32_e32 v101, v101, v106
	s_delay_alu instid0(VALU_DEP_2) | instskip(NEXT) | instid1(VALU_DEP_2)
	v_sub_f32_e32 v13, v13, v15
	v_sub_f32_e32 v101, v101, v104
	s_delay_alu instid0(VALU_DEP_1) | instskip(NEXT) | instid1(VALU_DEP_1)
	v_add_f32_e32 v9, v9, v101
	v_add_f32_e32 v9, v13, v9
	s_delay_alu instid0(VALU_DEP_1) | instskip(NEXT) | instid1(VALU_DEP_1)
	v_add_f32_e32 v13, v106, v9
	v_mul_f32_e32 v15, v12, v13
	s_delay_alu instid0(VALU_DEP_1) | instskip(NEXT) | instid1(VALU_DEP_1)
	v_dual_sub_f32 v104, v106, v13 :: v_dual_mul_f32 v101, v17, v15
	v_add_f32_e32 v9, v9, v104
	s_delay_alu instid0(VALU_DEP_2) | instskip(NEXT) | instid1(VALU_DEP_1)
	v_fma_f32 v17, v15, v17, -v101
	v_fmac_f32_e32 v17, v15, v14
	s_delay_alu instid0(VALU_DEP_1) | instskip(NEXT) | instid1(VALU_DEP_1)
	v_add_f32_e32 v14, v101, v17
	v_sub_f32_e32 v103, v13, v14
	s_delay_alu instid0(VALU_DEP_1) | instskip(NEXT) | instid1(VALU_DEP_1)
	v_sub_f32_e32 v13, v13, v103
	v_sub_f32_e32 v13, v13, v14
	s_delay_alu instid0(VALU_DEP_1) | instskip(SKIP_2) | instid1(VALU_DEP_1)
	v_add_f32_e32 v9, v9, v13
	v_add_f32_e32 v13, v102, v15
	v_sub_f32_e32 v101, v14, v101
	v_sub_f32_e32 v14, v101, v17
	s_delay_alu instid0(VALU_DEP_1) | instskip(NEXT) | instid1(VALU_DEP_1)
	v_dual_add_f32 v9, v14, v9 :: v_dual_sub_f32 v14, v13, v102
	v_add_f32_e32 v9, v103, v9
	s_delay_alu instid0(VALU_DEP_1) | instskip(NEXT) | instid1(VALU_DEP_1)
	v_dual_sub_f32 v14, v15, v14 :: v_dual_mul_f32 v9, v12, v9
	v_add_f32_e32 v9, v14, v9
	s_delay_alu instid0(VALU_DEP_1) | instskip(NEXT) | instid1(VALU_DEP_1)
	v_add_f32_e32 v12, v13, v9
	v_mul_f32_e32 v14, v12, v12
	s_delay_alu instid0(VALU_DEP_1) | instskip(NEXT) | instid1(VALU_DEP_1)
	v_fmaak_f32 v15, s83, v14, 0x3ecc95a3
	v_dual_mul_f32 v17, v12, v14 :: v_dual_fmaak_f32 v14, v14, v15, 0x3f2aaada
	v_ldexp_f32 v15, v12, 1
	v_sub_f32_e32 v12, v12, v13
	s_delay_alu instid0(VALU_DEP_3) | instskip(NEXT) | instid1(VALU_DEP_2)
	v_dual_mul_f32 v14, v17, v14 :: v_dual_mul_f32 v17, 0x3f317218, v8
	v_sub_f32_e32 v9, v9, v12
	s_delay_alu instid0(VALU_DEP_2) | instskip(NEXT) | instid1(VALU_DEP_2)
	v_add_f32_e32 v13, v15, v14
	v_ldexp_f32 v9, v9, 1
	s_delay_alu instid0(VALU_DEP_2) | instskip(SKIP_1) | instid1(VALU_DEP_2)
	v_sub_f32_e32 v12, v13, v15
	v_fma_f32 v15, 0x3f317218, v8, -v17
	v_sub_f32_e32 v12, v14, v12
	s_delay_alu instid0(VALU_DEP_2) | instskip(NEXT) | instid1(VALU_DEP_2)
	v_fmac_f32_e32 v15, 0xb102e308, v8
	v_add_f32_e32 v8, v9, v12
	s_delay_alu instid0(VALU_DEP_2) | instskip(NEXT) | instid1(VALU_DEP_2)
	v_add_f32_e32 v9, v17, v15
	v_add_f32_e32 v12, v13, v8
	s_delay_alu instid0(VALU_DEP_2) | instskip(NEXT) | instid1(VALU_DEP_2)
	v_sub_f32_e32 v17, v9, v17
	v_dual_add_f32 v14, v9, v12 :: v_dual_sub_f32 v13, v12, v13
	s_delay_alu instid0(VALU_DEP_2) | instskip(NEXT) | instid1(VALU_DEP_2)
	v_sub_f32_e32 v15, v15, v17
	v_sub_f32_e32 v101, v14, v9
	s_delay_alu instid0(VALU_DEP_3) | instskip(NEXT) | instid1(VALU_DEP_2)
	v_sub_f32_e32 v8, v8, v13
	v_sub_f32_e32 v102, v14, v101
	s_delay_alu instid0(VALU_DEP_2) | instskip(NEXT) | instid1(VALU_DEP_2)
	v_dual_sub_f32 v12, v12, v101 :: v_dual_add_f32 v13, v15, v8
	v_sub_f32_e32 v9, v9, v102
	s_delay_alu instid0(VALU_DEP_1) | instskip(NEXT) | instid1(VALU_DEP_1)
	v_dual_add_f32 v9, v12, v9 :: v_dual_sub_f32 v12, v13, v15
	v_add_f32_e32 v9, v13, v9
	s_delay_alu instid0(VALU_DEP_2) | instskip(NEXT) | instid1(VALU_DEP_2)
	v_sub_f32_e32 v13, v13, v12
	v_dual_sub_f32 v8, v8, v12 :: v_dual_add_f32 v17, v14, v9
	s_delay_alu instid0(VALU_DEP_1) | instskip(NEXT) | instid1(VALU_DEP_1)
	v_dual_sub_f32 v13, v15, v13 :: v_dual_sub_f32 v12, v17, v14
	v_dual_add_f32 v8, v8, v13 :: v_dual_sub_f32 v9, v9, v12
	s_delay_alu instid0(VALU_DEP_1) | instskip(NEXT) | instid1(VALU_DEP_1)
	v_add_f32_e32 v8, v8, v9
	v_add_f32_e32 v8, v17, v8
	s_delay_alu instid0(VALU_DEP_1)
	v_cndmask_b32_e32 v124, v8, v10, vcc_lo
.LBB48_104:                             ;   in Loop: Header=BB48_12 Depth=1
	s_or_b32 exec_lo, exec_lo, s29
	v_and_b32_e32 v8, 0xffff0000, v11
	s_delay_alu instid0(VALU_DEP_1) | instskip(NEXT) | instid1(VALU_DEP_1)
	v_add_f32_e32 v125, s66, v8
	v_cmp_ge_f32_e32 vcc_lo, 0x41a00000, v125
	s_and_b32 s28, s79, vcc_lo
	s_delay_alu instid0(SALU_CYCLE_1)
	s_and_saveexec_b32 s29, s28
	s_cbranch_execz .LBB48_106
; %bb.105:                              ;   in Loop: Header=BB48_12 Depth=1
	v_mul_f32_e32 v8, 0x3fb8aa3b, v125
	v_cmp_ngt_f32_e32 vcc_lo, 0xc2ce8ed0, v125
	s_delay_alu instid0(VALU_DEP_2) | instskip(SKIP_1) | instid1(VALU_DEP_2)
	v_rndne_f32_e32 v9, v8
	v_fma_f32 v10, 0x3fb8aa3b, v125, -v8
	v_sub_f32_e32 v8, v8, v9
	s_delay_alu instid0(VALU_DEP_2) | instskip(SKIP_1) | instid1(VALU_DEP_2)
	v_fmac_f32_e32 v10, 0x32a5705f, v125
	v_cvt_i32_f32_e32 v9, v9
	v_add_f32_e32 v8, v8, v10
	s_delay_alu instid0(VALU_DEP_1) | instskip(SKIP_2) | instid1(VALU_DEP_1)
	v_exp_f32_e32 v8, v8
	s_waitcnt_depctr 0xfff
	v_ldexp_f32 v8, v8, v9
	v_cndmask_b32_e32 v8, 0, v8, vcc_lo
	v_cmp_nlt_f32_e32 vcc_lo, 0x42b17218, v125
	s_delay_alu instid0(VALU_DEP_2) | instskip(NEXT) | instid1(VALU_DEP_1)
	v_cndmask_b32_e32 v10, 0x7f800000, v8, vcc_lo
	v_add_f32_e32 v11, 1.0, v10
	s_delay_alu instid0(VALU_DEP_1) | instskip(NEXT) | instid1(VALU_DEP_1)
	v_cvt_f64_f32_e32 v[8:9], v11
	v_frexp_exp_i32_f64_e32 v8, v[8:9]
	v_frexp_mant_f32_e32 v9, v11
	s_delay_alu instid0(VALU_DEP_1) | instskip(SKIP_1) | instid1(VALU_DEP_1)
	v_cmp_gt_f32_e32 vcc_lo, 0x3f2aaaab, v9
	v_add_f32_e32 v9, -1.0, v11
	v_sub_f32_e32 v13, v9, v11
	v_sub_f32_e32 v9, v10, v9
	s_delay_alu instid0(VALU_DEP_2) | instskip(NEXT) | instid1(VALU_DEP_1)
	v_add_f32_e32 v13, 1.0, v13
	v_add_f32_e32 v9, v9, v13
	v_cmp_gt_f32_e64 s28, 0x33800000, v10
	v_subrev_co_ci_u32_e32 v8, vcc_lo, 0, v8, vcc_lo
	v_cmp_eq_f32_e32 vcc_lo, 0x7f800000, v10
	s_delay_alu instid0(VALU_DEP_2) | instskip(SKIP_2) | instid1(VALU_DEP_2)
	v_sub_nc_u32_e32 v12, 0, v8
	v_cvt_f32_i32_e32 v8, v8
	s_or_b32 vcc_lo, s28, vcc_lo
	v_ldexp_f32 v11, v11, v12
	v_ldexp_f32 v9, v9, v12
	s_delay_alu instid0(VALU_DEP_2) | instskip(NEXT) | instid1(VALU_DEP_1)
	v_add_f32_e32 v14, 1.0, v11
	v_dual_add_f32 v12, -1.0, v11 :: v_dual_add_f32 v13, -1.0, v14
	s_delay_alu instid0(VALU_DEP_1) | instskip(NEXT) | instid1(VALU_DEP_2)
	v_add_f32_e32 v15, 1.0, v12
	v_sub_f32_e32 v13, v11, v13
	s_delay_alu instid0(VALU_DEP_2) | instskip(NEXT) | instid1(VALU_DEP_2)
	v_sub_f32_e32 v11, v11, v15
	v_add_f32_e32 v13, v9, v13
	s_delay_alu instid0(VALU_DEP_2) | instskip(NEXT) | instid1(VALU_DEP_1)
	v_add_f32_e32 v9, v9, v11
	v_add_f32_e32 v17, v12, v9
	s_delay_alu instid0(VALU_DEP_3) | instskip(NEXT) | instid1(VALU_DEP_2)
	v_add_f32_e32 v15, v14, v13
	v_sub_f32_e32 v12, v12, v17
	s_delay_alu instid0(VALU_DEP_2) | instskip(SKIP_1) | instid1(VALU_DEP_1)
	v_rcp_f32_e32 v11, v15
	v_sub_f32_e32 v14, v14, v15
	v_add_f32_e32 v13, v13, v14
	s_waitcnt_depctr 0xfff
	v_mul_f32_e32 v101, v17, v11
	s_delay_alu instid0(VALU_DEP_1) | instskip(NEXT) | instid1(VALU_DEP_1)
	v_dual_mul_f32 v102, v15, v101 :: v_dual_add_f32 v9, v9, v12
	v_fma_f32 v14, v101, v15, -v102
	s_delay_alu instid0(VALU_DEP_1) | instskip(NEXT) | instid1(VALU_DEP_1)
	v_fmac_f32_e32 v14, v101, v13
	v_add_f32_e32 v103, v102, v14
	s_delay_alu instid0(VALU_DEP_1) | instskip(SKIP_1) | instid1(VALU_DEP_1)
	v_sub_f32_e32 v12, v103, v102
	v_sub_f32_e32 v104, v17, v103
	v_dual_sub_f32 v12, v12, v14 :: v_dual_sub_f32 v17, v17, v104
	s_delay_alu instid0(VALU_DEP_1) | instskip(NEXT) | instid1(VALU_DEP_1)
	v_sub_f32_e32 v17, v17, v103
	v_add_f32_e32 v9, v9, v17
	s_delay_alu instid0(VALU_DEP_1) | instskip(NEXT) | instid1(VALU_DEP_1)
	v_add_f32_e32 v9, v12, v9
	v_add_f32_e32 v12, v104, v9
	s_delay_alu instid0(VALU_DEP_1) | instskip(SKIP_1) | instid1(VALU_DEP_2)
	v_mul_f32_e32 v14, v11, v12
	v_sub_f32_e32 v103, v104, v12
	v_mul_f32_e32 v17, v15, v14
	s_delay_alu instid0(VALU_DEP_2) | instskip(NEXT) | instid1(VALU_DEP_2)
	v_add_f32_e32 v9, v9, v103
	v_fma_f32 v15, v14, v15, -v17
	s_delay_alu instid0(VALU_DEP_1) | instskip(NEXT) | instid1(VALU_DEP_1)
	v_fmac_f32_e32 v15, v14, v13
	v_add_f32_e32 v13, v17, v15
	s_delay_alu instid0(VALU_DEP_1) | instskip(NEXT) | instid1(VALU_DEP_1)
	v_sub_f32_e32 v102, v12, v13
	v_dual_sub_f32 v17, v13, v17 :: v_dual_sub_f32 v12, v12, v102
	s_delay_alu instid0(VALU_DEP_1) | instskip(NEXT) | instid1(VALU_DEP_1)
	v_dual_sub_f32 v12, v12, v13 :: v_dual_sub_f32 v13, v17, v15
	v_add_f32_e32 v9, v9, v12
	v_add_f32_e32 v12, v101, v14
	s_delay_alu instid0(VALU_DEP_2) | instskip(NEXT) | instid1(VALU_DEP_2)
	v_add_f32_e32 v9, v13, v9
	v_sub_f32_e32 v13, v12, v101
	s_delay_alu instid0(VALU_DEP_2) | instskip(NEXT) | instid1(VALU_DEP_2)
	v_add_f32_e32 v9, v102, v9
	v_sub_f32_e32 v13, v14, v13
	s_delay_alu instid0(VALU_DEP_2) | instskip(NEXT) | instid1(VALU_DEP_1)
	v_mul_f32_e32 v9, v11, v9
	v_add_f32_e32 v9, v13, v9
	s_delay_alu instid0(VALU_DEP_1) | instskip(NEXT) | instid1(VALU_DEP_1)
	v_add_f32_e32 v11, v12, v9
	v_mul_f32_e32 v13, v11, v11
	s_delay_alu instid0(VALU_DEP_1) | instskip(SKIP_1) | instid1(VALU_DEP_2)
	v_fmaak_f32 v14, s83, v13, 0x3ecc95a3
	v_mul_f32_e32 v15, v11, v13
	v_fmaak_f32 v13, v13, v14, 0x3f2aaada
	v_ldexp_f32 v14, v11, 1
	v_sub_f32_e32 v11, v11, v12
	s_delay_alu instid0(VALU_DEP_3) | instskip(SKIP_1) | instid1(VALU_DEP_2)
	v_mul_f32_e32 v13, v15, v13
	v_mul_f32_e32 v15, 0x3f317218, v8
	v_dual_sub_f32 v9, v9, v11 :: v_dual_add_f32 v12, v14, v13
	s_delay_alu instid0(VALU_DEP_1) | instskip(NEXT) | instid1(VALU_DEP_2)
	v_ldexp_f32 v9, v9, 1
	v_sub_f32_e32 v11, v12, v14
	s_delay_alu instid0(VALU_DEP_4) | instskip(NEXT) | instid1(VALU_DEP_1)
	v_fma_f32 v14, 0x3f317218, v8, -v15
	v_dual_sub_f32 v11, v13, v11 :: v_dual_fmac_f32 v14, 0xb102e308, v8
	s_delay_alu instid0(VALU_DEP_1) | instskip(NEXT) | instid1(VALU_DEP_1)
	v_dual_add_f32 v8, v9, v11 :: v_dual_add_f32 v9, v15, v14
	v_add_f32_e32 v11, v12, v8
	s_delay_alu instid0(VALU_DEP_2) | instskip(NEXT) | instid1(VALU_DEP_2)
	v_sub_f32_e32 v15, v9, v15
	v_dual_add_f32 v13, v9, v11 :: v_dual_sub_f32 v12, v11, v12
	s_delay_alu instid0(VALU_DEP_1) | instskip(NEXT) | instid1(VALU_DEP_1)
	v_dual_sub_f32 v14, v14, v15 :: v_dual_sub_f32 v17, v13, v9
	v_dual_sub_f32 v8, v8, v12 :: v_dual_sub_f32 v101, v13, v17
	s_delay_alu instid0(VALU_DEP_1) | instskip(NEXT) | instid1(VALU_DEP_2)
	v_dual_sub_f32 v11, v11, v17 :: v_dual_add_f32 v12, v14, v8
	v_sub_f32_e32 v9, v9, v101
	s_delay_alu instid0(VALU_DEP_1) | instskip(NEXT) | instid1(VALU_DEP_3)
	v_add_f32_e32 v9, v11, v9
	v_sub_f32_e32 v11, v12, v14
	s_delay_alu instid0(VALU_DEP_2) | instskip(NEXT) | instid1(VALU_DEP_2)
	v_add_f32_e32 v9, v12, v9
	v_sub_f32_e32 v12, v12, v11
	s_delay_alu instid0(VALU_DEP_2) | instskip(NEXT) | instid1(VALU_DEP_1)
	v_dual_sub_f32 v8, v8, v11 :: v_dual_add_f32 v15, v13, v9
	v_dual_sub_f32 v12, v14, v12 :: v_dual_sub_f32 v11, v15, v13
	s_delay_alu instid0(VALU_DEP_1) | instskip(NEXT) | instid1(VALU_DEP_1)
	v_dual_add_f32 v8, v8, v12 :: v_dual_sub_f32 v9, v9, v11
	v_add_f32_e32 v8, v8, v9
	s_delay_alu instid0(VALU_DEP_1) | instskip(NEXT) | instid1(VALU_DEP_1)
	v_add_f32_e32 v8, v15, v8
	v_cndmask_b32_e32 v125, v8, v10, vcc_lo
.LBB48_106:                             ;   in Loop: Header=BB48_12 Depth=1
	s_or_b32 exec_lo, exec_lo, s29
	v_and_b32_e32 v10, 0xffff0000, v5
	v_lshlrev_b32_e32 v5, 16, v5
	v_and_b32_e32 v9, 0xffff0000, v6
	v_and_b32_e32 v14, 0xffff0000, v7
	;; [unrolled: 1-line block ×4, first 2 shown]
	v_lshlrev_b32_e32 v1, 16, v1
	v_and_b32_e32 v12, 0xffff0000, v2
	v_lshlrev_b32_e32 v0, 16, v0
	v_lshlrev_b32_e32 v2, 16, v2
	v_mul_f32_e32 v106, s67, v5
	v_dual_mul_f32 v103, s67, v9 :: v_dual_lshlrev_b32 v8, 16, v7
	v_lshlrev_b32_e32 v6, 16, v6
	v_mul_f32_e32 v120, s67, v15
	s_delay_alu instid0(VALU_DEP_3)
	v_dual_mul_f32 v118, s67, v13 :: v_dual_mul_f32 v101, s67, v8
	v_mul_f32_e32 v119, s67, v0
	v_dual_mul_f32 v114, s67, v2 :: v_dual_and_b32 v11, 0xffff0000, v3
	v_and_b32_e32 v7, 0xffff0000, v4
	v_lshlrev_b32_e32 v3, 16, v3
	v_lshlrev_b32_e32 v4, 16, v4
	v_mul_f32_e32 v102, s67, v6
	v_mul_f32_e32 v112, s67, v11
	s_and_b32 vcc_lo, exec_lo, s80
	v_mul_f32_e32 v111, s67, v3
	v_mul_f32_e32 v109, s67, v4
	;; [unrolled: 1-line block ×3, first 2 shown]
	v_dual_mul_f32 v104, s67, v14 :: v_dual_mul_f32 v117, s67, v1
	v_dual_mul_f32 v110, s67, v7 :: v_dual_mul_f32 v115, s67, v12
	s_barrier
	buffer_gl0_inv
	s_cbranch_vccz .LBB48_202
; %bb.107:                              ;   in Loop: Header=BB48_12 Depth=1
	v_dual_mul_f32 v126, v125, v14 :: v_dual_mul_f32 v131, v124, v8
	v_add_co_u32 v14, s28, s61, v16
	s_delay_alu instid0(VALU_DEP_1) | instskip(SKIP_1) | instid1(VALU_DEP_1)
	v_add_co_ci_u32_e64 v17, null, s62, 0, s28
	v_add_co_u32 v16, s28, s49, v16
	v_add_co_ci_u32_e64 v130, null, s73, 0, s28
	s_delay_alu instid0(VALU_DEP_4) | instskip(NEXT) | instid1(VALU_DEP_4)
	v_add_co_u32 v127, vcc_lo, v14, v93
	v_add_co_ci_u32_e32 v128, vcc_lo, 0, v17, vcc_lo
	s_delay_alu instid0(VALU_DEP_4) | instskip(NEXT) | instid1(VALU_DEP_4)
	v_add_co_u32 v129, vcc_lo, v16, v93
	v_add_co_ci_u32_e32 v130, vcc_lo, 0, v130, vcc_lo
	v_cmp_gt_u32_e32 vcc_lo, s40, v18
	s_cmp_lg_u32 s85, 0
	v_cmp_gt_u32_e64 s30, s40, v79
	s_cselect_b32 s51, -1, 0
	s_cmp_eq_u32 s85, s82
	v_cmp_gt_u32_e64 s31, s40, v80
	s_cselect_b32 s86, -1, 0
	s_or_b32 s28, s81, vcc_lo
	v_cmp_gt_u32_e32 vcc_lo, s40, v78
	v_cmp_gt_u32_e64 s33, s40, v81
	v_cmp_gt_u32_e64 s34, s40, v82
	;; [unrolled: 1-line block ×4, first 2 shown]
	s_or_b32 s29, s81, vcc_lo
	v_cmp_gt_u32_e32 vcc_lo, s40, v83
	v_cmp_gt_u32_e64 s38, s40, v86
	v_cmp_gt_u32_e64 s39, s40, v87
	;; [unrolled: 1-line block ×4, first 2 shown]
	s_or_b32 s35, s81, vcc_lo
	v_cmp_gt_u32_e32 vcc_lo, s40, v88
	v_cmp_gt_u32_e64 s43, s40, v91
	v_cmp_gt_u32_e64 s44, s40, v92
	v_dual_mul_f32 v132, v123, v9 :: v_dual_mul_f32 v133, v122, v6
	v_dual_mul_f32 v134, v121, v10 :: v_dual_mul_f32 v135, v116, v5
	;; [unrolled: 1-line block ×7, first 2 shown]
	s_mov_b32 s64, 0
	s_or_b32 s30, s81, s30
	s_or_b32 s31, s81, s31
	s_or_b32 s33, s81, s33
	s_or_b32 s34, s81, s34
	s_or_b32 s36, s81, s36
	s_or_b32 s37, s81, s37
	s_or_b32 s38, s81, s38
	s_or_b32 s39, s81, s39
	s_or_b32 s40, s81, vcc_lo
	s_or_b32 s41, s81, s41
	s_or_b32 s42, s81, s42
	;; [unrolled: 1-line block ×4, first 2 shown]
	s_mov_b32 s52, s64
	s_mov_b32 s54, s64
	;; [unrolled: 1-line block ×5, first 2 shown]
	s_branch .LBB48_109
.LBB48_108:                             ;   in Loop: Header=BB48_109 Depth=2
	s_or_b32 exec_lo, exec_lo, s45
	v_cndmask_b32_e64 v9, v175, v11, s11
	v_cndmask_b32_e64 v10, v174, v10, s11
	s_add_i32 s87, s87, -1
	s_add_i32 s88, s88, 8
	s_add_i32 s58, s58, s74
	v_fma_f32 v9, v9, v149, v148
	v_mul_f32_e32 v10, v10, v149
	s_add_i32 s54, s54, s48
	s_add_i32 s52, s52, s60
	;; [unrolled: 1-line block ×3, first 2 shown]
	v_cndmask_b32_e64 v9, v9, v148, s10
	v_cndmask_b32_e64 v10, v10, v149, s10
	s_cmp_eq_u32 s87, 0
	s_waitcnt lgkmcnt(0)
	s_delay_alu instid0(VALU_DEP_1) | instskip(NEXT) | instid1(VALU_DEP_1)
	v_dual_fmac_f32 v9, v8, v10 :: v_dual_and_b32 v10, 0xffff0000, v5
	v_dual_fmac_f32 v12, v9, v151 :: v_dual_lshlrev_b32 v5, 16, v5
	s_delay_alu instid0(VALU_DEP_1) | instskip(NEXT) | instid1(VALU_DEP_1)
	v_fmac_f32_e32 v13, v12, v152
	v_fmac_f32_e32 v14, v13, v154
	s_delay_alu instid0(VALU_DEP_3) | instskip(NEXT) | instid1(VALU_DEP_2)
	v_fmac_f32_e32 v117, v13, v5
	v_fmac_f32_e32 v15, v14, v157
	s_delay_alu instid0(VALU_DEP_1) | instskip(NEXT) | instid1(VALU_DEP_1)
	v_fmac_f32_e32 v146, v15, v158
	v_fmac_f32_e32 v147, v146, v159
	s_delay_alu instid0(VALU_DEP_1) | instskip(NEXT) | instid1(VALU_DEP_1)
	v_fmac_f32_e32 v150, v147, v160
	v_dual_fmac_f32 v153, v150, v162 :: v_dual_and_b32 v8, 0xffff0000, v4
	v_lshlrev_b32_e32 v4, 16, v4
	s_delay_alu instid0(VALU_DEP_2) | instskip(SKIP_1) | instid1(VALU_DEP_3)
	v_dual_fmac_f32 v120, v12, v8 :: v_dual_fmac_f32 v155, v153, v163
	v_and_b32_e32 v11, 0xffff0000, v6
	v_dual_fmac_f32 v119, v9, v4 :: v_dual_and_b32 v16, 0xffff0000, v7
	s_delay_alu instid0(VALU_DEP_3) | instskip(NEXT) | instid1(VALU_DEP_3)
	v_dual_fmac_f32 v156, v155, v164 :: v_dual_lshlrev_b32 v7, 16, v7
	v_dual_fmac_f32 v115, v146, v11 :: v_dual_and_b32 v148, 0xffff0000, v1
	s_delay_alu instid0(VALU_DEP_2) | instskip(NEXT) | instid1(VALU_DEP_3)
	v_dual_fmac_f32 v112, v150, v16 :: v_dual_fmac_f32 v111, v147, v7
	v_dual_fmac_f32 v161, v156, v172 :: v_dual_lshlrev_b32 v6, 16, v6
	v_dual_fmac_f32 v118, v14, v10 :: v_dual_lshlrev_b32 v1, 16, v1
	s_delay_alu instid0(VALU_DEP_2) | instskip(SKIP_3) | instid1(VALU_DEP_4)
	v_fmac_f32_e32 v165, v161, v167
	v_and_b32_e32 v17, 0xffff0000, v0
	v_lshlrev_b32_e32 v0, 16, v0
	v_dual_fmac_f32 v114, v15, v6 :: v_dual_and_b32 v151, 0xffff0000, v3
	v_dual_fmac_f32 v166, v165, v169 :: v_dual_and_b32 v149, 0xffff0000, v2
	v_lshlrev_b32_e32 v2, 16, v2
	v_lshlrev_b32_e32 v3, 16, v3
	v_dual_fmac_f32 v109, v153, v0 :: v_dual_fmac_f32 v110, v155, v17
	s_delay_alu instid0(VALU_DEP_4) | instskip(SKIP_2) | instid1(VALU_DEP_3)
	v_fmac_f32_e32 v168, v166, v171
	v_dual_fmac_f32 v106, v156, v1 :: v_dual_fmac_f32 v107, v161, v148
	v_dual_fmac_f32 v102, v165, v2 :: v_dual_fmac_f32 v103, v166, v149
	v_fmac_f32_e32 v170, v168, v173
	v_fmac_f32_e32 v101, v168, v3
	s_delay_alu instid0(VALU_DEP_2)
	v_fmac_f32_e32 v104, v170, v151
	s_cbranch_scc1 .LBB48_202
.LBB48_109:                             ;   Parent Loop BB48_12 Depth=1
                                        ; =>  This Inner Loop Header: Depth=2
	s_lshl_b64 s[90:91], s[64:65], 2
	s_mov_b32 s53, s65
	s_add_u32 s90, s71, s90
	s_addc_u32 s91, s72, s91
	v_dual_mov_b32 v2, 0 :: v_dual_mov_b32 v3, 0
	global_load_b32 v146, v21, s[90:91]
	s_lshl_b64 s[90:91], s[52:53], 1
	s_delay_alu instid0(SALU_CYCLE_1)
	v_add_co_u32 v0, vcc_lo, v127, s90
	v_add_co_ci_u32_e32 v1, vcc_lo, s91, v128, vcc_lo
	s_and_saveexec_b32 s45, s12
	s_cbranch_execz .LBB48_111
; %bb.110:                              ;   in Loop: Header=BB48_109 Depth=2
	global_load_u16 v3, v[0:1], off
.LBB48_111:                             ;   in Loop: Header=BB48_109 Depth=2
	s_or_b32 exec_lo, exec_lo, s45
	s_and_saveexec_b32 s45, s13
	s_cbranch_execz .LBB48_113
; %bb.112:                              ;   in Loop: Header=BB48_109 Depth=2
	global_load_u16 v2, v[0:1], off offset:64
.LBB48_113:                             ;   in Loop: Header=BB48_109 Depth=2
	s_or_b32 exec_lo, exec_lo, s45
	v_dual_mov_b32 v4, 0 :: v_dual_mov_b32 v5, 0
	s_and_saveexec_b32 s45, s14
	s_cbranch_execz .LBB48_115
; %bb.114:                              ;   in Loop: Header=BB48_109 Depth=2
	global_load_u16 v5, v[0:1], off offset:128
.LBB48_115:                             ;   in Loop: Header=BB48_109 Depth=2
	s_or_b32 exec_lo, exec_lo, s45
	s_and_saveexec_b32 s45, s15
	s_cbranch_execz .LBB48_117
; %bb.116:                              ;   in Loop: Header=BB48_109 Depth=2
	global_load_u16 v4, v[0:1], off offset:192
.LBB48_117:                             ;   in Loop: Header=BB48_109 Depth=2
	s_or_b32 exec_lo, exec_lo, s45
	v_dual_mov_b32 v6, 0 :: v_dual_mov_b32 v7, 0
	s_and_saveexec_b32 s45, s16
	s_cbranch_execz .LBB48_119
; %bb.118:                              ;   in Loop: Header=BB48_109 Depth=2
	global_load_u16 v7, v[0:1], off offset:256
.LBB48_119:                             ;   in Loop: Header=BB48_109 Depth=2
	s_or_b32 exec_lo, exec_lo, s45
	s_and_saveexec_b32 s45, s17
	s_cbranch_execz .LBB48_121
; %bb.120:                              ;   in Loop: Header=BB48_109 Depth=2
	global_load_u16 v6, v[0:1], off offset:320
.LBB48_121:                             ;   in Loop: Header=BB48_109 Depth=2
	s_or_b32 exec_lo, exec_lo, s45
	v_dual_mov_b32 v8, 0 :: v_dual_mov_b32 v9, 0
	s_and_saveexec_b32 s45, s18
	s_cbranch_execz .LBB48_123
; %bb.122:                              ;   in Loop: Header=BB48_109 Depth=2
	global_load_u16 v9, v[0:1], off offset:384
.LBB48_123:                             ;   in Loop: Header=BB48_109 Depth=2
	s_or_b32 exec_lo, exec_lo, s45
	s_and_saveexec_b32 s45, s19
	s_cbranch_execz .LBB48_125
; %bb.124:                              ;   in Loop: Header=BB48_109 Depth=2
	global_load_u16 v8, v[0:1], off offset:448
.LBB48_125:                             ;   in Loop: Header=BB48_109 Depth=2
	s_or_b32 exec_lo, exec_lo, s45
	v_dual_mov_b32 v10, 0 :: v_dual_mov_b32 v11, 0
	s_and_saveexec_b32 s45, s20
	s_cbranch_execz .LBB48_127
; %bb.126:                              ;   in Loop: Header=BB48_109 Depth=2
	global_load_u16 v11, v[0:1], off offset:512
.LBB48_127:                             ;   in Loop: Header=BB48_109 Depth=2
	s_or_b32 exec_lo, exec_lo, s45
	s_and_saveexec_b32 s45, s21
	s_cbranch_execz .LBB48_129
; %bb.128:                              ;   in Loop: Header=BB48_109 Depth=2
	global_load_u16 v10, v[0:1], off offset:576
.LBB48_129:                             ;   in Loop: Header=BB48_109 Depth=2
	s_or_b32 exec_lo, exec_lo, s45
	v_dual_mov_b32 v12, 0 :: v_dual_mov_b32 v13, 0
	s_and_saveexec_b32 s45, s22
	s_cbranch_execz .LBB48_131
; %bb.130:                              ;   in Loop: Header=BB48_109 Depth=2
	global_load_u16 v13, v[0:1], off offset:640
.LBB48_131:                             ;   in Loop: Header=BB48_109 Depth=2
	s_or_b32 exec_lo, exec_lo, s45
	s_and_saveexec_b32 s45, s23
	s_cbranch_execz .LBB48_133
; %bb.132:                              ;   in Loop: Header=BB48_109 Depth=2
	global_load_u16 v12, v[0:1], off offset:704
.LBB48_133:                             ;   in Loop: Header=BB48_109 Depth=2
	s_or_b32 exec_lo, exec_lo, s45
	v_dual_mov_b32 v14, 0 :: v_dual_mov_b32 v15, 0
	s_and_saveexec_b32 s45, s24
	s_cbranch_execz .LBB48_135
; %bb.134:                              ;   in Loop: Header=BB48_109 Depth=2
	global_load_u16 v15, v[0:1], off offset:768
.LBB48_135:                             ;   in Loop: Header=BB48_109 Depth=2
	s_or_b32 exec_lo, exec_lo, s45
	s_and_saveexec_b32 s45, s25
	s_cbranch_execz .LBB48_137
; %bb.136:                              ;   in Loop: Header=BB48_109 Depth=2
	global_load_u16 v14, v[0:1], off offset:832
.LBB48_137:                             ;   in Loop: Header=BB48_109 Depth=2
	s_or_b32 exec_lo, exec_lo, s45
	v_dual_mov_b32 v16, 0 :: v_dual_mov_b32 v17, 0
	s_and_saveexec_b32 s45, s26
	s_cbranch_execz .LBB48_139
; %bb.138:                              ;   in Loop: Header=BB48_109 Depth=2
	global_load_u16 v17, v[0:1], off offset:896
.LBB48_139:                             ;   in Loop: Header=BB48_109 Depth=2
	s_or_b32 exec_lo, exec_lo, s45
	s_and_saveexec_b32 s45, s27
	s_cbranch_execz .LBB48_141
; %bb.140:                              ;   in Loop: Header=BB48_109 Depth=2
	global_load_u16 v16, v[0:1], off offset:960
.LBB48_141:                             ;   in Loop: Header=BB48_109 Depth=2
	s_or_b32 exec_lo, exec_lo, s45
	s_waitcnt vmcnt(0)
	ds_store_b16 v37, v3
	ds_store_b16 v37, v2 offset:64
	ds_store_b16 v38, v5 offset:128
	;; [unrolled: 1-line block ×15, first 2 shown]
	; wave barrier
	ds_load_b128 v[12:15], v52
	ds_load_b128 v[8:11], v52 offset:16
	s_mov_b32 s55, s65
	v_dual_mov_b32 v2, 0 :: v_dual_mov_b32 v3, 0
	s_lshl_b64 s[90:91], s[54:55], 1
	s_delay_alu instid0(SALU_CYCLE_1)
	v_add_co_u32 v0, vcc_lo, v129, s90
	v_add_co_ci_u32_e32 v1, vcc_lo, s91, v130, vcc_lo
	s_and_saveexec_b32 s45, s12
	s_cbranch_execz .LBB48_143
; %bb.142:                              ;   in Loop: Header=BB48_109 Depth=2
	global_load_u16 v3, v[0:1], off
.LBB48_143:                             ;   in Loop: Header=BB48_109 Depth=2
	s_or_b32 exec_lo, exec_lo, s45
	s_and_saveexec_b32 s45, s13
	s_cbranch_execz .LBB48_145
; %bb.144:                              ;   in Loop: Header=BB48_109 Depth=2
	global_load_u16 v2, v[0:1], off offset:64
.LBB48_145:                             ;   in Loop: Header=BB48_109 Depth=2
	s_or_b32 exec_lo, exec_lo, s45
	v_dual_mov_b32 v4, 0 :: v_dual_mov_b32 v5, 0
	s_and_saveexec_b32 s45, s14
	s_cbranch_execz .LBB48_147
; %bb.146:                              ;   in Loop: Header=BB48_109 Depth=2
	global_load_u16 v5, v[0:1], off offset:128
.LBB48_147:                             ;   in Loop: Header=BB48_109 Depth=2
	s_or_b32 exec_lo, exec_lo, s45
	s_and_saveexec_b32 s45, s15
	s_cbranch_execz .LBB48_149
; %bb.148:                              ;   in Loop: Header=BB48_109 Depth=2
	global_load_u16 v4, v[0:1], off offset:192
.LBB48_149:                             ;   in Loop: Header=BB48_109 Depth=2
	s_or_b32 exec_lo, exec_lo, s45
	v_dual_mov_b32 v6, 0 :: v_dual_mov_b32 v7, 0
	s_and_saveexec_b32 s45, s16
	s_cbranch_execz .LBB48_151
; %bb.150:                              ;   in Loop: Header=BB48_109 Depth=2
	global_load_u16 v7, v[0:1], off offset:256
.LBB48_151:                             ;   in Loop: Header=BB48_109 Depth=2
	;; [unrolled: 13-line block ×7, first 2 shown]
	s_or_b32 exec_lo, exec_lo, s45
	s_and_saveexec_b32 s45, s27
	s_cbranch_execz .LBB48_173
; %bb.172:                              ;   in Loop: Header=BB48_109 Depth=2
	global_load_u16 v153, v[0:1], off offset:960
.LBB48_173:                             ;   in Loop: Header=BB48_109 Depth=2
	s_or_b32 exec_lo, exec_lo, s45
	s_waitcnt vmcnt(0)
	ds_store_b16 v37, v3 offset:2112
	ds_store_b16 v53, v2 offset:64
	;; [unrolled: 1-line block ×16, first 2 shown]
	; wave barrier
	ds_load_b128 v[4:7], v52 offset:2112
	ds_load_b128 v[0:3], v68 offset:16
	s_and_not1_b32 vcc_lo, exec_lo, s51
	s_cbranch_vccnz .LBB48_175
; %bb.174:                              ;   in Loop: Header=BB48_109 Depth=2
	v_mov_b32_e32 v16, s88
	ds_load_b64 v[16:17], v16
	s_cbranch_execz .LBB48_176
	s_branch .LBB48_179
.LBB48_175:                             ;   in Loop: Header=BB48_109 Depth=2
                                        ; implicit-def: $vgpr16
.LBB48_176:                             ;   in Loop: Header=BB48_109 Depth=2
	s_waitcnt lgkmcnt(0)
	v_mov_b32_e32 v17, 0
	s_and_not1_b32 vcc_lo, exec_lo, s47
	s_cbranch_vccnz .LBB48_178
; %bb.177:                              ;   in Loop: Header=BB48_109 Depth=2
	s_mov_b32 s59, s65
	s_delay_alu instid0(SALU_CYCLE_1) | instskip(NEXT) | instid1(SALU_CYCLE_1)
	s_lshl_b64 s[90:91], s[58:59], 2
	s_add_u32 s90, s75, s90
	s_addc_u32 s91, s76, s91
	global_load_b32 v17, v21, s[90:91]
.LBB48_178:                             ;   in Loop: Header=BB48_109 Depth=2
	v_mov_b32_e32 v16, 1.0
.LBB48_179:                             ;   in Loop: Header=BB48_109 Depth=2
	s_waitcnt lgkmcnt(19)
	v_dual_mul_f32 v168, 0x3fb8aa3b, v146 :: v_dual_lshlrev_b32 v147, 16, v12
	v_and_b32_e32 v12, 0xffff0000, v12
	v_lshlrev_b32_e32 v146, 16, v13
	v_and_b32_e32 v150, 0xffff0000, v13
	v_lshlrev_b32_e32 v153, 16, v14
	v_mul_f32_e32 v13, v168, v94
	v_dual_mul_f32 v14, v168, v95 :: v_dual_and_b32 v155, 0xffff0000, v14
	v_dual_mul_f32 v149, v168, v97 :: v_dual_lshlrev_b32 v156, 16, v15
	s_delay_alu instid0(VALU_DEP_3) | instskip(SKIP_1) | instid1(VALU_DEP_4)
	v_cmp_gt_f32_e32 vcc_lo, 0xc2fc0000, v13
	v_dual_mul_f32 v12, v144, v12 :: v_dual_and_b32 v159, 0xffff0000, v15
	v_cmp_gt_f32_e64 s45, 0xc2fc0000, v14
	v_mul_f32_e32 v15, v168, v96
	v_cndmask_b32_e64 v13, 0, 0x42800000, vcc_lo
	v_cndmask_b32_e64 v148, 1.0, 0x1f800000, vcc_lo
	s_waitcnt lgkmcnt(18)
	v_lshlrev_b32_e32 v165, 16, v10
	v_cndmask_b32_e64 v14, 0, 0x42800000, s45
	v_mul_f32_e32 v147, v145, v147
	v_fmac_f32_e32 v13, v168, v94
	v_dual_mul_f32 v146, v143, v146 :: v_dual_lshlrev_b32 v161, 16, v8
	v_and_b32_e32 v8, 0xffff0000, v8
	v_fmac_f32_e32 v14, v168, v95
	s_delay_alu instid0(VALU_DEP_4) | instskip(SKIP_2) | instid1(VALU_DEP_3)
	v_exp_f32_e32 v13, v13
	v_cmp_gt_f32_e32 vcc_lo, 0xc2fc0000, v15
	v_dual_mul_f32 v155, v140, v155 :: v_dual_and_b32 v10, 0xffff0000, v10
	v_exp_f32_e32 v14, v14
	v_dual_mul_f32 v161, v137, v161 :: v_dual_mul_f32 v8, v136, v8
	v_cndmask_b32_e64 v15, 0, 0x42800000, vcc_lo
	v_lshlrev_b32_e32 v170, 16, v11
	v_and_b32_e32 v11, 0xffff0000, v11
	s_delay_alu instid0(TRANS32_DEP_2)
	v_mul_f32_e32 v13, v13, v148
	v_cndmask_b32_e64 v148, 0, v147, s28
	v_cndmask_b32_e64 v147, 1.0, 0x1f800000, s45
	v_cmp_gt_f32_e64 s45, 0xc2fc0000, v149
	v_fmac_f32_e32 v15, v168, v96
	v_cndmask_b32_e64 v149, 1.0, v13, s28
	v_cndmask_b32_e64 v12, 0, v12, s29
	v_mul_f32_e32 v13, v14, v147
	v_cndmask_b32_e64 v151, 0, 0x42800000, s45
	v_exp_f32_e32 v14, v15
	v_cndmask_b32_e64 v147, 1.0, 0x1f800000, vcc_lo
	v_lshlrev_b32_e32 v163, 16, v9
	v_mul_f32_e32 v15, v168, v98
	v_fmac_f32_e32 v151, v168, v97
	v_and_b32_e32 v9, 0xffff0000, v9
	v_mul_f32_e32 v171, v168, v123
	v_mul_f32_e32 v173, v168, v125
	v_cmp_gt_f32_e32 vcc_lo, 0xc2fc0000, v15
	v_exp_f32_e32 v154, v151
	v_mul_f32_e32 v14, v14, v147
	v_cndmask_b32_e64 v147, 1.0, 0x1f800000, s45
	v_mul_f32_e32 v157, v168, v105
	v_cndmask_b32_e64 v15, 0, 0x42800000, vcc_lo
	v_mul_f32_e32 v160, v168, v108
	v_cndmask_b32_e64 v152, 1.0, v14, s30
	v_mul_f32_e32 v14, v142, v150
	v_mul_f32_e32 v150, v168, v100
	v_fmac_f32_e32 v15, v168, v98
	v_mul_f32_e32 v147, v154, v147
	v_cmp_gt_f32_e64 s46, 0xc2fc0000, v157
	v_cndmask_b32_e64 v14, 0, v14, s31
	v_mul_f32_e32 v162, v168, v116
	v_exp_f32_e32 v15, v15
	v_cndmask_b32_e64 v154, 1.0, v147, s31
	v_cndmask_b32_e64 v147, 1.0, 0x1f800000, vcc_lo
	v_cmp_gt_f32_e32 vcc_lo, 0xc2fc0000, v150
	v_mul_f32_e32 v170, v131, v170
	v_dual_mul_f32 v10, v132, v10 :: v_dual_mul_f32 v11, v126, v11
	v_cndmask_b32_e64 v150, 0, 0x42800000, vcc_lo
	s_delay_alu instid0(TRANS32_DEP_1) | instskip(SKIP_2) | instid1(VALU_DEP_4)
	v_mul_f32_e32 v147, v15, v147
	v_mul_f32_e32 v15, v141, v153
	v_cndmask_b32_e64 v153, 0, 0x42800000, s46
	v_fmac_f32_e32 v150, v168, v100
	v_cndmask_b32_e64 v151, 1.0, v13, s29
	v_cndmask_b32_e64 v13, 0, v146, s30
	v_mul_f32_e32 v146, v168, v99
	v_cndmask_b32_e64 v157, 1.0, v147, s33
	v_exp_f32_e32 v150, v150
	v_fma_f32 v169, v151, v148, v12
	v_cndmask_b32_e64 v15, 0, v15, s33
	v_cmp_gt_f32_e64 s45, 0xc2fc0000, v146
	s_delay_alu instid0(VALU_DEP_1) | instskip(SKIP_1) | instid1(VALU_DEP_2)
	v_cndmask_b32_e64 v146, 0, 0x42800000, s45
	v_cndmask_b32_e64 v158, 1.0, 0x1f800000, s45
	v_fmac_f32_e32 v146, v168, v99
	s_delay_alu instid0(VALU_DEP_1)
	v_exp_f32_e32 v146, v146
	s_waitcnt_depctr 0xfff
	v_mul_f32_e32 v147, v146, v158
	v_cndmask_b32_e64 v146, 0, v155, s34
	v_cndmask_b32_e64 v155, 1.0, 0x1f800000, vcc_lo
	v_cmp_gt_f32_e32 vcc_lo, 0xc2fc0000, v160
	v_mul_f32_e32 v160, v138, v159
	v_cndmask_b32_e64 v158, 1.0, v147, s34
	s_delay_alu instid0(VALU_DEP_4)
	v_dual_mul_f32 v147, v139, v156 :: v_dual_mul_f32 v150, v150, v155
	v_cndmask_b32_e64 v155, 1.0, 0x1f800000, s46
	v_cmp_gt_f32_e64 s46, 0xc2fc0000, v162
	v_mul_f32_e32 v162, v168, v121
	v_cndmask_b32_e64 v156, 0, 0x42800000, vcc_lo
	v_cndmask_b32_e64 v164, 1.0, 0x1f800000, vcc_lo
	v_cndmask_b32_e64 v159, 1.0, v150, s35
	v_cndmask_b32_e64 v150, 0, v160, s36
	v_cmp_gt_f32_e32 vcc_lo, 0xc2fc0000, v162
	v_fmac_f32_e32 v156, v168, v108
	v_cndmask_b32_e64 v147, 0, v147, s35
	v_cndmask_b32_e64 v166, 0, 0x42800000, vcc_lo
	v_cndmask_b32_e64 v167, 1.0, 0x1f800000, vcc_lo
	s_delay_alu instid0(VALU_DEP_2) | instskip(NEXT) | instid1(VALU_DEP_1)
	v_fmac_f32_e32 v166, v168, v121
	v_exp_f32_e32 v166, v166
	v_fmac_f32_e32 v153, v168, v105
	s_delay_alu instid0(VALU_DEP_1) | instskip(SKIP_3) | instid1(VALU_DEP_2)
	v_exp_f32_e32 v153, v153
	s_waitcnt_depctr 0xfff
	v_mul_f32_e32 v153, v153, v155
	v_mul_f32_e32 v155, v168, v113
	v_cndmask_b32_e64 v160, 1.0, v153, s36
	s_delay_alu instid0(VALU_DEP_2) | instskip(SKIP_2) | instid1(VALU_DEP_2)
	v_cmp_gt_f32_e64 s45, 0xc2fc0000, v155
	v_exp_f32_e32 v153, v156
	v_cndmask_b32_e64 v156, 0, 0x42800000, s46
	v_cndmask_b32_e64 v155, 0, 0x42800000, s45
	s_delay_alu instid0(VALU_DEP_2)
	v_fmac_f32_e32 v156, v168, v116
	s_waitcnt_depctr 0xfff
	v_dual_fmac_f32 v155, v168, v113 :: v_dual_mul_f32 v162, v153, v164
	v_cndmask_b32_e64 v153, 0, v161, s37
	v_exp_f32_e32 v156, v156
	v_cndmask_b32_e64 v161, 1.0, 0x1f800000, s45
	s_delay_alu instid0(VALU_DEP_3) | instskip(SKIP_3) | instid1(VALU_DEP_2)
	v_exp_f32_e32 v155, v155
	v_cndmask_b32_e64 v164, 1.0, 0x1f800000, s46
	v_cmp_gt_f32_e64 s45, 0xc2fc0000, v171
	v_cndmask_b32_e64 v162, 1.0, v162, s37
	v_cndmask_b32_e64 v171, 1.0, 0x1f800000, s45
	s_waitcnt_depctr 0xfff
	v_dual_mul_f32 v164, v156, v164 :: v_dual_mul_f32 v161, v155, v161
	v_cndmask_b32_e64 v155, 0, v8, s38
	v_mul_f32_e32 v8, v135, v163
	s_delay_alu instid0(VALU_DEP_3) | instskip(NEXT) | instid1(VALU_DEP_4)
	v_cndmask_b32_e64 v164, 1.0, v164, s39
	v_cndmask_b32_e64 v163, 1.0, v161, s38
	v_mul_f32_e32 v161, v168, v122
	s_delay_alu instid0(VALU_DEP_4) | instskip(SKIP_1) | instid1(VALU_DEP_3)
	v_cndmask_b32_e64 v156, 0, v8, s39
	v_dual_mul_f32 v8, v166, v167 :: v_dual_mul_f32 v167, v151, v149
	v_cmp_gt_f32_e32 vcc_lo, 0xc2fc0000, v161
	s_delay_alu instid0(VALU_DEP_2) | instskip(SKIP_3) | instid1(VALU_DEP_3)
	v_cndmask_b32_e64 v172, 1.0, v8, s40
	v_cndmask_b32_e64 v166, 0, 0x42800000, vcc_lo
	v_mul_f32_e32 v9, v134, v9
	v_cndmask_b32_e64 v8, 1.0, 0x1f800000, vcc_lo
	v_fmac_f32_e32 v166, v168, v122
	s_delay_alu instid0(VALU_DEP_3)
	v_cndmask_b32_e64 v161, 0, v9, s40
	v_mul_f32_e32 v9, v167, v152
	v_fma_f32 v167, v169, v152, v13
	v_cndmask_b32_e64 v169, 0, 0x42800000, s45
	v_exp_f32_e32 v166, v166
	v_cmp_gt_f32_e64 s45, 0xc2fc0000, v173
	v_mul_f32_e32 v9, v9, v154
	v_fma_f32 v167, v167, v154, v14
	v_fmac_f32_e32 v169, v168, v123
	s_delay_alu instid0(VALU_DEP_3) | instskip(NEXT) | instid1(VALU_DEP_3)
	v_mul_f32_e32 v9, v9, v157
	v_fma_f32 v167, v167, v157, v15
	s_delay_alu instid0(VALU_DEP_3)
	v_exp_f32_e32 v169, v169
	s_delay_alu instid0(TRANS32_DEP_2) | instid1(VALU_DEP_2)
	v_dual_mul_f32 v8, v166, v8 :: v_dual_mul_f32 v9, v9, v158
	s_delay_alu instid0(VALU_DEP_2) | instskip(NEXT) | instid1(VALU_DEP_2)
	v_fma_f32 v166, v167, v158, v146
	v_cndmask_b32_e64 v167, 1.0, v8, s41
	s_delay_alu instid0(VALU_DEP_3) | instskip(NEXT) | instid1(VALU_DEP_3)
	v_mul_f32_e32 v8, v9, v159
	v_fma_f32 v9, v166, v159, v147
	v_mul_f32_e32 v166, v168, v124
	s_delay_alu instid0(VALU_DEP_3) | instskip(NEXT) | instid1(VALU_DEP_3)
	v_mul_f32_e32 v8, v8, v160
	v_fma_f32 v9, v9, v160, v150
	s_delay_alu instid0(VALU_DEP_3)
	v_cmp_gt_f32_e32 vcc_lo, 0xc2fc0000, v166
	v_mul_f32_e32 v165, v133, v165
	v_cndmask_b32_e64 v166, 0, v10, s42
	v_mul_f32_e32 v8, v8, v162
	v_fma_f32 v9, v9, v162, v153
	v_cndmask_b32_e64 v10, 0, 0x42800000, s45
	v_mul_f32_e32 v169, v169, v171
	v_cndmask_b32_e64 v171, 0, 0x42800000, vcc_lo
	v_mul_f32_e32 v8, v8, v163
	v_fma_f32 v9, v9, v163, v155
	v_fmac_f32_e32 v10, v168, v125
	v_cndmask_b32_e64 v165, 0, v165, s41
	v_fmac_f32_e32 v171, v168, v124
	v_mul_f32_e32 v8, v8, v164
	v_fma_f32 v9, v9, v164, v156
	v_cndmask_b32_e64 v168, 1.0, 0x1f800000, vcc_lo
	v_exp_f32_e32 v10, v10
	v_exp_f32_e32 v171, v171
	v_mul_f32_e32 v8, v8, v172
	v_fma_f32 v9, v9, v172, v161
	v_cndmask_b32_e64 v169, 1.0, v169, s42
	s_delay_alu instid0(VALU_DEP_3) | instskip(NEXT) | instid1(VALU_DEP_3)
	v_mul_f32_e32 v8, v8, v167
	v_fma_f32 v9, v9, v167, v165
	s_waitcnt_depctr 0xfff
	v_mul_f32_e32 v171, v171, v168
	v_cndmask_b32_e64 v168, 0, v170, s43
	v_cndmask_b32_e64 v170, 1.0, 0x1f800000, s45
	v_mul_f32_e32 v8, v8, v169
	v_fma_f32 v9, v9, v169, v166
	v_cndmask_b32_e64 v171, 1.0, v171, s43
	s_delay_alu instid0(VALU_DEP_4) | instskip(SKIP_1) | instid1(VALU_DEP_3)
	v_mul_f32_e32 v10, v10, v170
	v_cndmask_b32_e64 v170, 0, v11, s44
	v_mul_f32_e32 v8, v8, v171
	v_fma_f32 v9, v9, v171, v168
	s_delay_alu instid0(VALU_DEP_4) | instskip(NEXT) | instid1(VALU_DEP_1)
	v_cndmask_b32_e64 v173, 1.0, v10, s44
	v_mul_f32_e32 v8, v8, v173
	s_delay_alu instid0(VALU_DEP_3) | instskip(NEXT) | instid1(VALU_DEP_2)
	v_fma_f32 v9, v9, v173, v170
	v_mov_b32_dpp v11, v8 row_shr:1 row_mask:0xf bank_mask:0xf
	s_delay_alu instid0(VALU_DEP_2)
	v_mov_b32_dpp v10, v9 row_shr:1 row_mask:0xf bank_mask:0xf
	s_and_saveexec_b32 s45, s0
; %bb.180:                              ;   in Loop: Header=BB48_109 Depth=2
	s_delay_alu instid0(VALU_DEP_2) | instskip(NEXT) | instid1(VALU_DEP_1)
	v_mul_f32_e32 v11, v8, v11
	v_dual_fmac_f32 v9, v8, v10 :: v_dual_mov_b32 v8, v11
; %bb.181:                              ;   in Loop: Header=BB48_109 Depth=2
	s_or_b32 exec_lo, exec_lo, s45
	s_delay_alu instid0(VALU_DEP_1) | instskip(NEXT) | instid1(VALU_DEP_2)
	v_mov_b32_dpp v10, v8 row_shr:2 row_mask:0xf bank_mask:0xf
	v_mov_b32_dpp v11, v9 row_shr:2 row_mask:0xf bank_mask:0xf
	s_and_saveexec_b32 s45, s1
; %bb.182:                              ;   in Loop: Header=BB48_109 Depth=2
	s_delay_alu instid0(VALU_DEP_1) | instskip(NEXT) | instid1(VALU_DEP_3)
	v_fmac_f32_e32 v9, v8, v11
	v_mul_f32_e32 v8, v8, v10
; %bb.183:                              ;   in Loop: Header=BB48_109 Depth=2
	s_or_b32 exec_lo, exec_lo, s45
	s_delay_alu instid0(VALU_DEP_1) | instskip(NEXT) | instid1(VALU_DEP_3)
	v_mov_b32_dpp v10, v8 row_shr:4 row_mask:0xf bank_mask:0xf
	v_mov_b32_dpp v11, v9 row_shr:4 row_mask:0xf bank_mask:0xf
	s_and_saveexec_b32 s45, s2
; %bb.184:                              ;   in Loop: Header=BB48_109 Depth=2
	s_delay_alu instid0(VALU_DEP_1) | instskip(NEXT) | instid1(VALU_DEP_3)
	v_fmac_f32_e32 v9, v8, v11
	v_mul_f32_e32 v8, v8, v10
; %bb.185:                              ;   in Loop: Header=BB48_109 Depth=2
	s_or_b32 exec_lo, exec_lo, s45
	s_delay_alu instid0(VALU_DEP_1) | instskip(NEXT) | instid1(VALU_DEP_3)
	v_mov_b32_dpp v10, v8 row_shr:8 row_mask:0xf bank_mask:0xf
	v_mov_b32_dpp v11, v9 row_shr:8 row_mask:0xf bank_mask:0xf
	s_and_saveexec_b32 s45, s3
; %bb.186:                              ;   in Loop: Header=BB48_109 Depth=2
	s_delay_alu instid0(VALU_DEP_1) | instskip(NEXT) | instid1(VALU_DEP_3)
	v_fmac_f32_e32 v9, v8, v11
	v_mul_f32_e32 v8, v8, v10
; %bb.187:                              ;   in Loop: Header=BB48_109 Depth=2
	s_or_b32 exec_lo, exec_lo, s45
	ds_swizzle_b32 v11, v8 offset:swizzle(BROADCAST,32,15)
	ds_swizzle_b32 v10, v9 offset:swizzle(BROADCAST,32,15)
	s_and_saveexec_b32 s45, s4
	s_cbranch_execz .LBB48_189
; %bb.188:                              ;   in Loop: Header=BB48_109 Depth=2
	s_waitcnt lgkmcnt(1)
	v_mul_f32_e32 v11, v8, v11
	s_waitcnt lgkmcnt(0)
	s_delay_alu instid0(VALU_DEP_1)
	v_dual_fmac_f32 v9, v8, v10 :: v_dual_mov_b32 v8, v11
.LBB48_189:                             ;   in Loop: Header=BB48_109 Depth=2
	s_or_b32 exec_lo, exec_lo, s45
	s_and_saveexec_b32 s45, s5
	s_cbranch_execz .LBB48_191
; %bb.190:                              ;   in Loop: Header=BB48_109 Depth=2
	ds_store_b64 v69, v[8:9] offset:4224
.LBB48_191:                             ;   in Loop: Header=BB48_109 Depth=2
	s_or_b32 exec_lo, exec_lo, s45
	s_waitcnt vmcnt(0) lgkmcnt(0)
	s_waitcnt_vscnt null, 0x0
	s_barrier
	buffer_gl0_inv
	s_and_saveexec_b32 s45, s6
	s_cbranch_execz .LBB48_193
; %bb.192:                              ;   in Loop: Header=BB48_109 Depth=2
	ds_load_b64 v[10:11], v70 offset:4224
	s_waitcnt lgkmcnt(0)
	v_mov_b32_dpp v174, v10 row_shr:1 row_mask:0xf bank_mask:0xf
	v_mov_b32_dpp v175, v11 row_shr:1 row_mask:0xf bank_mask:0xf
	s_delay_alu instid0(VALU_DEP_2) | instskip(NEXT) | instid1(VALU_DEP_2)
	v_mul_f32_e32 v174, v10, v174
	v_fma_f32 v175, v10, v175, v11
	s_delay_alu instid0(VALU_DEP_2) | instskip(NEXT) | instid1(VALU_DEP_2)
	v_cndmask_b32_e64 v10, v174, v10, s7
	v_cndmask_b32_e64 v11, v175, v11, s7
	ds_store_b64 v70, v[10:11] offset:4224
.LBB48_193:                             ;   in Loop: Header=BB48_109 Depth=2
	s_or_b32 exec_lo, exec_lo, s45
	s_waitcnt lgkmcnt(0)
	s_barrier
	buffer_gl0_inv
                                        ; implicit-def: $vgpr11
	s_and_saveexec_b32 s45, s9
	s_cbranch_execz .LBB48_195
; %bb.194:                              ;   in Loop: Header=BB48_109 Depth=2
	ds_load_b64 v[10:11], v69 offset:4216
	s_waitcnt lgkmcnt(0)
	v_mul_f32_e32 v174, v8, v10
	s_delay_alu instid0(VALU_DEP_1)
	v_dual_fmac_f32 v9, v8, v11 :: v_dual_mov_b32 v8, v174
.LBB48_195:                             ;   in Loop: Header=BB48_109 Depth=2
	s_or_b32 exec_lo, exec_lo, s45
	ds_bpermute_b32 v174, v71, v8
	ds_bpermute_b32 v175, v71, v9
	s_and_saveexec_b32 s45, s8
	s_cbranch_execz .LBB48_199
; %bb.196:                              ;   in Loop: Header=BB48_109 Depth=2
	ds_load_b64 v[8:9], v21 offset:4232
	s_and_saveexec_b32 s46, s10
	s_cbranch_execz .LBB48_198
; %bb.197:                              ;   in Loop: Header=BB48_109 Depth=2
	ds_store_b64 v21, v[16:17] offset:4232
.LBB48_198:                             ;   in Loop: Header=BB48_109 Depth=2
	s_or_b32 exec_lo, exec_lo, s46
	s_waitcnt lgkmcnt(0)
	v_fmac_f32_e32 v9, v17, v8
	s_delay_alu instid0(VALU_DEP_1)
	v_dual_mul_f32 v16, v16, v8 :: v_dual_mov_b32 v17, v9
.LBB48_199:                             ;   in Loop: Header=BB48_109 Depth=2
	s_or_b32 exec_lo, exec_lo, s45
	s_waitcnt lgkmcnt(0)
	s_barrier
	buffer_gl0_inv
	ds_load_b32 v8, v21 offset:4236
	s_and_saveexec_b32 s45, s10
	s_cbranch_execz .LBB48_108
; %bb.200:                              ;   in Loop: Header=BB48_109 Depth=2
	v_mov_b32_e32 v9, s88
	s_and_not1_b32 vcc_lo, exec_lo, s86
	ds_store_b64 v9, v[16:17]
	s_cbranch_vccnz .LBB48_108
; %bb.201:                              ;   in Loop: Header=BB48_109 Depth=2
	s_mov_b32 s59, s65
	s_delay_alu instid0(SALU_CYCLE_1) | instskip(NEXT) | instid1(SALU_CYCLE_1)
	s_lshl_b64 s[90:91], s[58:59], 2
	s_add_u32 s90, s75, s90
	s_addc_u32 s91, s76, s91
	global_store_b32 v21, v17, s[90:91]
	s_branch .LBB48_108
.LBB48_202:                             ;   in Loop: Header=BB48_12 Depth=1
	v_bfe_u32 v0, v119, 16, 1
	v_bfe_u32 v1, v120, 16, 1
	v_cmp_o_f32_e32 vcc_lo, v119, v119
	v_bfe_u32 v2, v117, 16, 1
	v_bfe_u32 v4, v115, 16, 1
	v_add3_u32 v0, v119, v0, 0x7fff
	v_add3_u32 v1, v120, v1, 0x7fff
	v_bfe_u32 v7, v111, 16, 1
	v_add3_u32 v2, v117, v2, 0x7fff
	v_bfe_u32 v6, v112, 16, 1
	v_lshrrev_b32_e32 v0, 16, v0
	v_lshrrev_b32_e32 v1, 16, v1
	v_add3_u32 v4, v115, v4, 0x7fff
	v_lshrrev_b32_e32 v2, 16, v2
	v_add3_u32 v7, v111, v7, 0x7fff
	v_cndmask_b32_e32 v0, 0x7fc0, v0, vcc_lo
	v_cmp_o_f32_e32 vcc_lo, v120, v120
	v_add3_u32 v6, v112, v6, 0x7fff
	v_bfe_u32 v3, v118, 16, 1
	v_bfe_u32 v10, v107, 16, 1
	;; [unrolled: 1-line block ×3, first 2 shown]
	v_cndmask_b32_e32 v5, 0x7fc0, v1, vcc_lo
	v_bfe_u32 v1, v114, 16, 1
	v_cmp_o_f32_e32 vcc_lo, v117, v117
	v_lshrrev_b32_e32 v6, 16, v6
	v_add3_u32 v3, v118, v3, 0x7fff
	v_bfe_u32 v12, v104, 16, 1
	v_add3_u32 v1, v114, v1, 0x7fff
	v_cndmask_b32_e32 v8, 0x7fc0, v2, vcc_lo
	v_cmp_o_f32_e32 vcc_lo, v114, v114
	v_lshrrev_b32_e32 v2, 16, v4
	v_lshrrev_b32_e32 v4, 16, v7
	;; [unrolled: 1-line block ×4, first 2 shown]
	v_bfe_u32 v7, v109, 16, 1
	v_add3_u32 v11, v101, v11, 0x7fff
	v_perm_b32 v0, v5, v0, 0x5040100
	v_cndmask_b32_e32 v1, 0x7fc0, v1, vcc_lo
	v_cmp_o_f32_e32 vcc_lo, v111, v111
	s_waitcnt_vscnt null, 0x0
	s_barrier
	buffer_gl0_inv
	s_mov_b32 s51, s65
	v_cndmask_b32_e32 v4, 0x7fc0, v4, vcc_lo
	v_cmp_o_f32_e32 vcc_lo, v112, v112
	s_lshl_b64 s[34:35], s[50:51], 1
	v_cndmask_b32_e32 v6, 0x7fc0, v6, vcc_lo
	v_cmp_o_f32_e32 vcc_lo, v115, v115
	v_cndmask_b32_e32 v2, 0x7fc0, v2, vcc_lo
	v_cmp_o_f32_e32 vcc_lo, v118, v118
	s_delay_alu instid0(VALU_DEP_2)
	v_perm_b32 v2, v2, v1, 0x5040100
	v_cndmask_b32_e32 v9, 0x7fc0, v3, vcc_lo
	v_perm_b32 v3, v6, v4, 0x5040100
	v_add3_u32 v6, v109, v7, 0x7fff
	v_bfe_u32 v7, v106, 16, 1
	v_cmp_o_f32_e32 vcc_lo, v109, v109
	v_perm_b32 v1, v9, v8, 0x5040100
	v_add3_u32 v8, v107, v10, 0x7fff
	v_lshrrev_b32_e32 v6, 16, v6
	v_add3_u32 v7, v106, v7, 0x7fff
	v_bfe_u32 v10, v103, 16, 1
	v_bfe_u32 v4, v110, 16, 1
	s_delay_alu instid0(VALU_DEP_4) | instskip(NEXT) | instid1(VALU_DEP_4)
	v_cndmask_b32_e32 v9, 0x7fc0, v6, vcc_lo
	v_lshrrev_b32_e32 v6, 16, v7
	v_lshrrev_b32_e32 v7, 16, v8
	v_bfe_u32 v8, v102, 16, 1
	v_cmp_o_f32_e32 vcc_lo, v106, v106
	v_add3_u32 v4, v110, v4, 0x7fff
	s_delay_alu instid0(VALU_DEP_3)
	v_add3_u32 v8, v102, v8, 0x7fff
	v_cndmask_b32_e32 v13, 0x7fc0, v6, vcc_lo
	v_cmp_o_f32_e32 vcc_lo, v107, v107
	v_add3_u32 v6, v103, v10, 0x7fff
	v_add3_u32 v10, v104, v12, 0x7fff
	v_lshrrev_b32_e32 v4, 16, v4
	v_cndmask_b32_e32 v12, 0x7fc0, v7, vcc_lo
	v_lshrrev_b32_e32 v7, 16, v8
	v_cmp_o_f32_e32 vcc_lo, v102, v102
	v_lshrrev_b32_e32 v8, 16, v11
	v_lshrrev_b32_e32 v10, 16, v10
	v_lshrrev_b32_e32 v6, 16, v6
	v_perm_b32 v5, v12, v13, 0x5040100
	v_cndmask_b32_e32 v11, 0x7fc0, v7, vcc_lo
	v_cmp_o_f32_e32 vcc_lo, v101, v101
	v_cndmask_b32_e32 v7, 0x7fc0, v8, vcc_lo
	v_cmp_o_f32_e32 vcc_lo, v104, v104
	;; [unrolled: 2-line block ×3, first 2 shown]
	s_delay_alu instid0(VALU_DEP_2) | instskip(SKIP_2) | instid1(VALU_DEP_2)
	v_perm_b32 v7, v8, v7, 0x5040100
	v_cndmask_b32_e32 v6, 0x7fc0, v6, vcc_lo
	v_cmp_o_f32_e32 vcc_lo, v110, v110
	v_perm_b32 v6, v6, v11, 0x5040100
	v_cndmask_b32_e32 v4, 0x7fc0, v4, vcc_lo
	s_delay_alu instid0(VALU_DEP_1)
	v_perm_b32 v4, v4, v9, 0x5040100
	ds_store_b128 v52, v[0:3]
	ds_store_b128 v52, v[4:7] offset:16
	; wave barrier
	ds_load_u16 v16, v37 offset:64
	ds_load_u16 v15, v38 offset:128
	;; [unrolled: 1-line block ×15, first 2 shown]
	v_add_co_u32 v0, vcc_lo, v72, s34
	v_add_co_ci_u32_e32 v1, vcc_lo, s35, v73, vcc_lo
	s_and_saveexec_b32 s28, s12
	s_cbranch_execnz .LBB48_269
; %bb.203:                              ;   in Loop: Header=BB48_12 Depth=1
	s_or_b32 exec_lo, exec_lo, s28
	s_and_saveexec_b32 s28, s13
	s_cbranch_execnz .LBB48_270
.LBB48_204:                             ;   in Loop: Header=BB48_12 Depth=1
	s_or_b32 exec_lo, exec_lo, s28
	s_and_saveexec_b32 s28, s14
	s_cbranch_execnz .LBB48_271
.LBB48_205:                             ;   in Loop: Header=BB48_12 Depth=1
	s_or_b32 exec_lo, exec_lo, s28
	s_and_saveexec_b32 s28, s15
	s_cbranch_execnz .LBB48_272
.LBB48_206:                             ;   in Loop: Header=BB48_12 Depth=1
	s_or_b32 exec_lo, exec_lo, s28
	s_and_saveexec_b32 s28, s16
	s_cbranch_execnz .LBB48_273
.LBB48_207:                             ;   in Loop: Header=BB48_12 Depth=1
	s_or_b32 exec_lo, exec_lo, s28
	s_and_saveexec_b32 s28, s17
	s_cbranch_execnz .LBB48_274
.LBB48_208:                             ;   in Loop: Header=BB48_12 Depth=1
	s_or_b32 exec_lo, exec_lo, s28
	s_and_saveexec_b32 s28, s18
	s_cbranch_execnz .LBB48_275
.LBB48_209:                             ;   in Loop: Header=BB48_12 Depth=1
	s_or_b32 exec_lo, exec_lo, s28
	s_and_saveexec_b32 s28, s19
	s_cbranch_execnz .LBB48_276
.LBB48_210:                             ;   in Loop: Header=BB48_12 Depth=1
	s_or_b32 exec_lo, exec_lo, s28
	s_and_saveexec_b32 s28, s20
	s_cbranch_execnz .LBB48_277
.LBB48_211:                             ;   in Loop: Header=BB48_12 Depth=1
	s_or_b32 exec_lo, exec_lo, s28
	s_and_saveexec_b32 s28, s21
	s_cbranch_execnz .LBB48_278
.LBB48_212:                             ;   in Loop: Header=BB48_12 Depth=1
	s_or_b32 exec_lo, exec_lo, s28
	s_and_saveexec_b32 s28, s22
	s_cbranch_execnz .LBB48_279
.LBB48_213:                             ;   in Loop: Header=BB48_12 Depth=1
	s_or_b32 exec_lo, exec_lo, s28
	s_and_saveexec_b32 s28, s23
	s_cbranch_execnz .LBB48_280
.LBB48_214:                             ;   in Loop: Header=BB48_12 Depth=1
	s_or_b32 exec_lo, exec_lo, s28
	s_and_saveexec_b32 s28, s24
	s_cbranch_execnz .LBB48_281
.LBB48_215:                             ;   in Loop: Header=BB48_12 Depth=1
	s_or_b32 exec_lo, exec_lo, s28
	s_and_saveexec_b32 s28, s25
	s_cbranch_execnz .LBB48_282
.LBB48_216:                             ;   in Loop: Header=BB48_12 Depth=1
	s_or_b32 exec_lo, exec_lo, s28
	s_and_saveexec_b32 s28, s26
	s_cbranch_execnz .LBB48_283
.LBB48_217:                             ;   in Loop: Header=BB48_12 Depth=1
	s_or_b32 exec_lo, exec_lo, s28
	s_and_saveexec_b32 s28, s27
	s_cbranch_execz .LBB48_219
.LBB48_218:                             ;   in Loop: Header=BB48_12 Depth=1
	s_waitcnt lgkmcnt(0)
	global_store_b16 v[0:1], v2, off offset:960
.LBB48_219:                             ;   in Loop: Header=BB48_12 Depth=1
	s_or_b32 exec_lo, exec_lo, s28
	v_add_co_u32 v0, vcc_lo, v74, s34
	v_add_co_ci_u32_e32 v1, vcc_lo, s35, v75, vcc_lo
	s_waitcnt lgkmcnt(0)
	v_dual_mov_b32 v2, 0 :: v_dual_mov_b32 v3, 0
	s_waitcnt_vscnt null, 0x0
	s_barrier
	buffer_gl0_inv
	s_and_saveexec_b32 s28, s12
	s_cbranch_execz .LBB48_221
; %bb.220:                              ;   in Loop: Header=BB48_12 Depth=1
	global_load_u16 v3, v[0:1], off
.LBB48_221:                             ;   in Loop: Header=BB48_12 Depth=1
	s_or_b32 exec_lo, exec_lo, s28
	s_and_saveexec_b32 s28, s13
	s_cbranch_execz .LBB48_223
; %bb.222:                              ;   in Loop: Header=BB48_12 Depth=1
	global_load_u16 v2, v[0:1], off offset:64
.LBB48_223:                             ;   in Loop: Header=BB48_12 Depth=1
	s_or_b32 exec_lo, exec_lo, s28
	v_dual_mov_b32 v4, 0 :: v_dual_mov_b32 v5, 0
	s_and_saveexec_b32 s28, s14
	s_cbranch_execz .LBB48_225
; %bb.224:                              ;   in Loop: Header=BB48_12 Depth=1
	global_load_u16 v5, v[0:1], off offset:128
.LBB48_225:                             ;   in Loop: Header=BB48_12 Depth=1
	s_or_b32 exec_lo, exec_lo, s28
	s_and_saveexec_b32 s28, s15
	s_cbranch_execz .LBB48_227
; %bb.226:                              ;   in Loop: Header=BB48_12 Depth=1
	global_load_u16 v4, v[0:1], off offset:192
.LBB48_227:                             ;   in Loop: Header=BB48_12 Depth=1
	s_or_b32 exec_lo, exec_lo, s28
	v_dual_mov_b32 v6, 0 :: v_dual_mov_b32 v7, 0
	s_and_saveexec_b32 s28, s16
	s_cbranch_execz .LBB48_229
; %bb.228:                              ;   in Loop: Header=BB48_12 Depth=1
	global_load_u16 v7, v[0:1], off offset:256
.LBB48_229:                             ;   in Loop: Header=BB48_12 Depth=1
	s_or_b32 exec_lo, exec_lo, s28
	s_and_saveexec_b32 s28, s17
	s_cbranch_execz .LBB48_231
; %bb.230:                              ;   in Loop: Header=BB48_12 Depth=1
	global_load_u16 v6, v[0:1], off offset:320
.LBB48_231:                             ;   in Loop: Header=BB48_12 Depth=1
	s_or_b32 exec_lo, exec_lo, s28
	v_dual_mov_b32 v8, 0 :: v_dual_mov_b32 v9, 0
	s_and_saveexec_b32 s28, s18
	s_cbranch_execz .LBB48_233
; %bb.232:                              ;   in Loop: Header=BB48_12 Depth=1
	global_load_u16 v9, v[0:1], off offset:384
.LBB48_233:                             ;   in Loop: Header=BB48_12 Depth=1
	s_or_b32 exec_lo, exec_lo, s28
	s_and_saveexec_b32 s28, s19
	s_cbranch_execz .LBB48_235
; %bb.234:                              ;   in Loop: Header=BB48_12 Depth=1
	global_load_u16 v8, v[0:1], off offset:448
.LBB48_235:                             ;   in Loop: Header=BB48_12 Depth=1
	s_or_b32 exec_lo, exec_lo, s28
	v_dual_mov_b32 v10, 0 :: v_dual_mov_b32 v11, 0
	s_and_saveexec_b32 s28, s20
	s_cbranch_execz .LBB48_237
; %bb.236:                              ;   in Loop: Header=BB48_12 Depth=1
	global_load_u16 v11, v[0:1], off offset:512
.LBB48_237:                             ;   in Loop: Header=BB48_12 Depth=1
	s_or_b32 exec_lo, exec_lo, s28
	s_and_saveexec_b32 s28, s21
	s_cbranch_execz .LBB48_239
; %bb.238:                              ;   in Loop: Header=BB48_12 Depth=1
	global_load_u16 v10, v[0:1], off offset:576
.LBB48_239:                             ;   in Loop: Header=BB48_12 Depth=1
	s_or_b32 exec_lo, exec_lo, s28
	v_dual_mov_b32 v12, 0 :: v_dual_mov_b32 v13, 0
	s_and_saveexec_b32 s28, s22
	s_cbranch_execz .LBB48_241
; %bb.240:                              ;   in Loop: Header=BB48_12 Depth=1
	global_load_u16 v13, v[0:1], off offset:640
.LBB48_241:                             ;   in Loop: Header=BB48_12 Depth=1
	s_or_b32 exec_lo, exec_lo, s28
	s_and_saveexec_b32 s28, s23
	s_cbranch_execz .LBB48_243
; %bb.242:                              ;   in Loop: Header=BB48_12 Depth=1
	global_load_u16 v12, v[0:1], off offset:704
.LBB48_243:                             ;   in Loop: Header=BB48_12 Depth=1
	s_or_b32 exec_lo, exec_lo, s28
	v_dual_mov_b32 v14, 0 :: v_dual_mov_b32 v15, 0
	s_and_saveexec_b32 s28, s24
	s_cbranch_execz .LBB48_245
; %bb.244:                              ;   in Loop: Header=BB48_12 Depth=1
	global_load_u16 v15, v[0:1], off offset:768
.LBB48_245:                             ;   in Loop: Header=BB48_12 Depth=1
	s_or_b32 exec_lo, exec_lo, s28
	s_and_saveexec_b32 s28, s25
	s_cbranch_execz .LBB48_247
; %bb.246:                              ;   in Loop: Header=BB48_12 Depth=1
	global_load_u16 v14, v[0:1], off offset:832
.LBB48_247:                             ;   in Loop: Header=BB48_12 Depth=1
	s_or_b32 exec_lo, exec_lo, s28
	v_dual_mov_b32 v16, 0 :: v_dual_mov_b32 v17, 0
	s_and_saveexec_b32 s28, s26
	s_cbranch_execz .LBB48_249
; %bb.248:                              ;   in Loop: Header=BB48_12 Depth=1
	global_load_u16 v17, v[0:1], off offset:896
.LBB48_249:                             ;   in Loop: Header=BB48_12 Depth=1
	s_or_b32 exec_lo, exec_lo, s28
	s_and_saveexec_b32 s28, s27
	s_cbranch_execz .LBB48_251
; %bb.250:                              ;   in Loop: Header=BB48_12 Depth=1
	global_load_u16 v16, v[0:1], off offset:960
.LBB48_251:                             ;   in Loop: Header=BB48_12 Depth=1
	s_or_b32 exec_lo, exec_lo, s28
	s_waitcnt vmcnt(0)
	ds_store_b16 v37, v3
	ds_store_b16 v37, v2 offset:64
	ds_store_b16 v38, v5 offset:128
	;; [unrolled: 1-line block ×15, first 2 shown]
	; wave barrier
	ds_load_b128 v[4:7], v52
	ds_load_b128 v[0:3], v52 offset:16
	s_waitcnt lgkmcnt(0)
	s_barrier
	buffer_gl0_inv
	v_and_b32_e32 v8, 0xffff0000, v4
	v_and_b32_e32 v15, 0xffff0000, v5
	;; [unrolled: 1-line block ×3, first 2 shown]
	v_lshlrev_b32_e32 v5, 16, v5
	s_delay_alu instid0(VALU_DEP_4) | instskip(NEXT) | instid1(VALU_DEP_3)
	v_mul_f32_e32 v9, 0xbfb8aa3b, v8
	v_mul_f32_e32 v17, 0xbfb8aa3b, v16
	s_delay_alu instid0(VALU_DEP_3) | instskip(NEXT) | instid1(VALU_DEP_3)
	v_cmp_nlt_f32_e64 s29, 0x42ce8ed0, v5
	v_fma_f32 v11, 0xbfb8aa3b, v8, -v9
	v_rndne_f32_e32 v12, v9
	s_delay_alu instid0(VALU_DEP_4) | instskip(NEXT) | instid1(VALU_DEP_3)
	v_rndne_f32_e32 v100, v17
	v_fmac_f32_e32 v11, 0xb2a5705f, v8
	s_delay_alu instid0(VALU_DEP_3) | instskip(SKIP_1) | instid1(VALU_DEP_2)
	v_sub_f32_e32 v9, v9, v12
	v_cvt_i32_f32_e32 v12, v12
	v_add_f32_e32 v9, v9, v11
	v_cmp_nlt_f32_e32 vcc_lo, 0x42ce8ed0, v8
	v_lshlrev_b32_e32 v11, 16, v6
	s_delay_alu instid0(VALU_DEP_3) | instskip(SKIP_2) | instid1(VALU_DEP_1)
	v_exp_f32_e32 v9, v9
	s_waitcnt_depctr 0xfff
	v_ldexp_f32 v9, v9, v12
	v_dual_cndmask_b32 v9, 0, v9 :: v_dual_lshlrev_b32 v4, 16, v4
	s_delay_alu instid0(VALU_DEP_1) | instskip(SKIP_1) | instid1(VALU_DEP_2)
	v_mul_f32_e32 v10, 0xbfb8aa3b, v4
	v_cmp_nlt_f32_e32 vcc_lo, 0x42ce8ed0, v4
	v_rndne_f32_e32 v13, v10
	v_fma_f32 v14, 0xbfb8aa3b, v4, -v10
	s_delay_alu instid0(VALU_DEP_2) | instskip(NEXT) | instid1(VALU_DEP_2)
	v_sub_f32_e32 v10, v10, v13
	v_fmac_f32_e32 v14, 0xb2a5705f, v4
	v_cvt_i32_f32_e32 v13, v13
	s_delay_alu instid0(VALU_DEP_2) | instskip(SKIP_2) | instid1(VALU_DEP_3)
	v_add_f32_e32 v6, v10, v14
	v_mul_f32_e32 v14, 0xbfb8aa3b, v5
	v_mul_f32_e32 v10, 0xbfb8aa3b, v15
	v_exp_f32_e32 v6, v6
	s_delay_alu instid0(VALU_DEP_1) | instskip(SKIP_1) | instid1(VALU_DEP_2)
	v_fma_f32 v94, 0xbfb8aa3b, v15, -v10
	v_rndne_f32_e32 v95, v10
	v_fmac_f32_e32 v94, 0xb2a5705f, v15
	s_waitcnt_depctr 0xfff
	v_ldexp_f32 v6, v6, v13
	v_mul_f32_e32 v13, 0xbfb8aa3b, v11
	v_rndne_f32_e32 v96, v14
	v_fma_f32 v97, 0xbfb8aa3b, v5, -v14
	v_sub_f32_e32 v10, v10, v95
	v_cndmask_b32_e32 v6, 0, v6, vcc_lo
	v_cmp_ngt_f32_e32 vcc_lo, 0xc2b17218, v8
	s_delay_alu instid0(VALU_DEP_4) | instskip(SKIP_4) | instid1(VALU_DEP_2)
	v_dual_sub_f32 v12, v14, v96 :: v_dual_fmac_f32 v97, 0xb2a5705f, v5
	v_cvt_i32_f32_e32 v95, v95
	v_cvt_i32_f32_e32 v96, v96
	v_cndmask_b32_e32 v9, 0x7f800000, v9, vcc_lo
	v_cmp_ngt_f32_e32 vcc_lo, 0xc2b17218, v4
	v_dual_add_f32 v9, 1.0, v9 :: v_dual_cndmask_b32 v6, 0x7f800000, v6
	v_cmp_nlt_f32_e32 vcc_lo, 0x42ce8ed0, v15
	s_delay_alu instid0(VALU_DEP_2) | instskip(NEXT) | instid1(VALU_DEP_3)
	v_div_scale_f32 v14, null, v9, v9, v8
	v_add_f32_e32 v6, 1.0, v6
	s_delay_alu instid0(VALU_DEP_2) | instskip(NEXT) | instid1(VALU_DEP_1)
	v_rcp_f32_e32 v98, v14
	v_div_scale_f32 v113, s28, v4, v6, v4
	v_add_f32_e32 v12, v12, v97
	v_fma_f32 v97, 0xbfb8aa3b, v16, -v17
	v_dual_add_f32 v10, v10, v94 :: v_dual_sub_f32 v17, v17, v100
	v_div_scale_f32 v94, null, v6, v6, v4
	s_delay_alu instid0(VALU_DEP_3) | instskip(NEXT) | instid1(VALU_DEP_3)
	v_fmac_f32_e32 v97, 0xb2a5705f, v16
	v_exp_f32_e32 v10, v10
	v_cvt_i32_f32_e32 v100, v100
	s_delay_alu instid0(VALU_DEP_3) | instskip(NEXT) | instid1(VALU_DEP_2)
	v_rcp_f32_e32 v99, v94
	v_add_f32_e32 v17, v17, v97
	s_waitcnt_depctr 0xfff
	v_ldexp_f32 v10, v10, v95
	v_rndne_f32_e32 v95, v13
	v_fma_f32 v105, -v94, v99, 1.0
	s_delay_alu instid0(VALU_DEP_1) | instskip(NEXT) | instid1(VALU_DEP_1)
	v_fmac_f32_e32 v99, v105, v99
	v_mul_f32_e32 v105, v113, v99
	v_exp_f32_e32 v12, v12
	s_delay_alu instid0(VALU_DEP_1) | instskip(SKIP_2) | instid1(VALU_DEP_3)
	v_fma_f32 v121, -v94, v105, v113
	v_cndmask_b32_e32 v10, 0, v10, vcc_lo
	v_div_scale_f32 v108, vcc_lo, v8, v9, v8
	v_fmac_f32_e32 v105, v121, v99
	s_waitcnt_depctr 0xfff
	v_ldexp_f32 v12, v12, v96
	v_fma_f32 v96, -v14, v98, 1.0
	v_fma_f32 v94, -v94, v105, v113
	s_delay_alu instid0(VALU_DEP_3) | instskip(SKIP_1) | instid1(VALU_DEP_4)
	v_cndmask_b32_e64 v12, 0, v12, s29
	v_cmp_ngt_f32_e64 s29, 0xc2b17218, v15
	v_fmac_f32_e32 v98, v96, v98
	s_delay_alu instid0(VALU_DEP_2) | instskip(SKIP_1) | instid1(VALU_DEP_2)
	v_cndmask_b32_e64 v10, 0x7f800000, v10, s29
	v_cmp_ngt_f32_e64 s29, 0xc2b17218, v5
	v_add_f32_e32 v10, 1.0, v10
	s_delay_alu instid0(VALU_DEP_2) | instskip(SKIP_1) | instid1(VALU_DEP_3)
	v_cndmask_b32_e64 v12, 0x7f800000, v12, s29
	v_cmp_nlt_f32_e64 s29, 0x42ce8ed0, v16
	v_div_scale_f32 v122, null, v10, v10, v15
	s_delay_alu instid0(VALU_DEP_1) | instskip(SKIP_1) | instid1(VALU_DEP_1)
	v_rcp_f32_e32 v121, v122
	v_mul_f32_e32 v96, v108, v98
	v_fma_f32 v116, -v14, v96, v108
	s_delay_alu instid0(VALU_DEP_1) | instskip(NEXT) | instid1(VALU_DEP_1)
	v_fmac_f32_e32 v96, v116, v98
	v_fma_f32 v14, -v14, v96, v108
	v_sub_f32_e32 v108, v13, v95
	v_fma_f32 v13, 0xbfb8aa3b, v11, -v13
	v_add_f32_e32 v12, 1.0, v12
	v_cvt_i32_f32_e32 v95, v95
	v_div_fmas_f32 v14, v14, v98, v96
	s_mov_b32 vcc_lo, s28
	v_fmac_f32_e32 v13, 0xb2a5705f, v11
	v_div_scale_f32 v116, null, v12, v12, v5
	v_div_fmas_f32 v94, v94, v99, v105
	v_div_fixup_f32 v8, v14, v9, v8
	v_fma_f32 v9, -v122, v121, 1.0
	s_delay_alu instid0(VALU_DEP_4) | instskip(SKIP_2) | instid1(VALU_DEP_3)
	v_rcp_f32_e32 v96, v116
	v_div_scale_f32 v98, s28, v5, v12, v5
	v_div_fixup_f32 v4, v94, v6, v4
	v_fmac_f32_e32 v121, v9, v121
	s_delay_alu instid0(VALU_DEP_2)
	v_mul_f32_e32 v9, v119, v4
	v_div_scale_f32 v6, vcc_lo, v15, v10, v15
	s_waitcnt_depctr 0xfff
	v_fma_f32 v14, -v116, v96, 1.0
	v_exp_f32_e32 v4, v17
	v_bfe_u32 v97, v9, 16, 1
	s_delay_alu instid0(VALU_DEP_2) | instskip(NEXT) | instid1(VALU_DEP_2)
	v_fmac_f32_e32 v96, v14, v96
	v_add3_u32 v14, v9, v97, 0x7fff
	s_delay_alu instid0(VALU_DEP_2) | instskip(SKIP_2) | instid1(VALU_DEP_4)
	v_mul_f32_e32 v97, v98, v96
	v_add_f32_e32 v13, v108, v13
	v_mul_f32_e32 v94, v6, v121
	v_lshrrev_b32_e32 v14, 16, v14
	s_delay_alu instid0(TRANS32_DEP_1) | instskip(NEXT) | instid1(VALU_DEP_4)
	v_ldexp_f32 v4, v4, v100
	v_exp_f32_e32 v13, v13
	s_delay_alu instid0(VALU_DEP_3) | instskip(NEXT) | instid1(VALU_DEP_2)
	v_fma_f32 v99, -v122, v94, v6
	v_cndmask_b32_e64 v4, 0, v4, s29
	s_delay_alu instid0(VALU_DEP_2) | instskip(SKIP_1) | instid1(VALU_DEP_2)
	v_fmac_f32_e32 v94, v99, v121
	v_fma_f32 v99, -v116, v97, v98
	v_fma_f32 v6, -v122, v94, v6
	s_delay_alu instid0(VALU_DEP_2) | instskip(SKIP_1) | instid1(VALU_DEP_3)
	v_fmac_f32_e32 v97, v99, v96
	v_lshlrev_b32_e32 v99, 16, v7
	v_div_fmas_f32 v6, v6, v121, v94
	v_cmp_ngt_f32_e32 vcc_lo, 0xc2b17218, v16
	s_delay_alu instid0(VALU_DEP_3) | instskip(NEXT) | instid1(VALU_DEP_3)
	v_mul_f32_e32 v100, 0xbfb8aa3b, v99
	v_div_fixup_f32 v6, v6, v10, v15
	v_cndmask_b32_e32 v94, 0x7f800000, v4, vcc_lo
	v_mul_f32_e32 v8, v120, v8
	v_ldexp_f32 v10, v13, v95
	v_fma_f32 v113, 0xbfb8aa3b, v99, -v100
	s_delay_alu instid0(VALU_DEP_4) | instskip(NEXT) | instid1(VALU_DEP_4)
	v_add_f32_e32 v13, 1.0, v94
	v_bfe_u32 v17, v8, 16, 1
	v_cmp_o_f32_e32 vcc_lo, v8, v8
	s_delay_alu instid0(VALU_DEP_4) | instskip(NEXT) | instid1(VALU_DEP_4)
	v_fmac_f32_e32 v113, 0xb2a5705f, v99
	v_div_scale_f32 v15, null, v13, v13, v16
	s_delay_alu instid0(VALU_DEP_4) | instskip(SKIP_1) | instid1(VALU_DEP_2)
	v_add3_u32 v17, v8, v17, 0x7fff
	v_fma_f32 v8, -v116, v97, v98
	v_lshrrev_b32_e32 v17, 16, v17
	s_delay_alu instid0(VALU_DEP_1) | instskip(SKIP_1) | instid1(VALU_DEP_3)
	v_cndmask_b32_e32 v4, 0x7fc0, v17, vcc_lo
	s_mov_b32 vcc_lo, s28
	v_div_fmas_f32 v8, v8, v96, v97
	v_cmp_nlt_f32_e32 vcc_lo, 0x42ce8ed0, v11
	s_delay_alu instid0(VALU_DEP_2) | instskip(SKIP_3) | instid1(VALU_DEP_3)
	v_div_fixup_f32 v5, v8, v12, v5
	v_cndmask_b32_e32 v10, 0, v10, vcc_lo
	v_cmp_ngt_f32_e32 vcc_lo, 0xc2b17218, v11
	v_rcp_f32_e32 v8, v15
	v_mul_f32_e32 v12, v117, v5
	s_delay_alu instid0(VALU_DEP_3)
	v_cndmask_b32_e32 v10, 0x7f800000, v10, vcc_lo
	v_cmp_o_f32_e32 vcc_lo, v9, v9
	v_cndmask_b32_e32 v5, 0x7fc0, v14, vcc_lo
	v_and_b32_e32 v14, 0xffff0000, v7
	s_waitcnt_depctr 0xfff
	v_fma_f32 v94, -v15, v8, 1.0
	v_div_scale_f32 v7, vcc_lo, v16, v13, v16
	v_mul_f32_e32 v96, 0xbfb8aa3b, v14
	s_delay_alu instid0(VALU_DEP_3) | instskip(NEXT) | instid1(VALU_DEP_2)
	v_fmac_f32_e32 v8, v94, v8
	v_fma_f32 v97, 0xbfb8aa3b, v14, -v96
	v_rndne_f32_e32 v98, v96
	s_delay_alu instid0(VALU_DEP_3) | instskip(NEXT) | instid1(VALU_DEP_3)
	v_mul_f32_e32 v105, v7, v8
	v_fmac_f32_e32 v97, 0xb2a5705f, v14
	v_bfe_u32 v17, v12, 16, 1
	s_delay_alu instid0(VALU_DEP_3) | instskip(SKIP_1) | instid1(VALU_DEP_3)
	v_fma_f32 v116, -v15, v105, v7
	v_mul_f32_e32 v6, v118, v6
	v_add3_u32 v17, v12, v17, 0x7fff
	s_delay_alu instid0(VALU_DEP_3) | instskip(NEXT) | instid1(VALU_DEP_3)
	v_fmac_f32_e32 v105, v116, v8
	v_bfe_u32 v9, v6, 16, 1
	v_cmp_o_f32_e64 s29, v6, v6
	s_delay_alu instid0(VALU_DEP_4) | instskip(SKIP_1) | instid1(VALU_DEP_4)
	v_lshrrev_b32_e32 v17, 16, v17
	v_sub_f32_e32 v96, v96, v98
	v_add3_u32 v9, v6, v9, 0x7fff
	v_cvt_i32_f32_e32 v98, v98
	v_fma_f32 v7, -v15, v105, v7
	s_delay_alu instid0(VALU_DEP_4) | instskip(NEXT) | instid1(VALU_DEP_4)
	v_add_f32_e32 v96, v96, v97
	v_lshrrev_b32_e32 v9, 16, v9
	v_rndne_f32_e32 v97, v100
	s_delay_alu instid0(VALU_DEP_4)
	v_div_fmas_f32 v7, v7, v8, v105
	v_cmp_ngt_f32_e32 vcc_lo, 0xc2b17218, v14
	v_exp_f32_e32 v96, v96
	v_cndmask_b32_e64 v6, 0x7fc0, v9, s29
	v_cmp_nlt_f32_e64 s29, 0x42ce8ed0, v14
	v_sub_f32_e32 v100, v100, v97
	v_cvt_i32_f32_e32 v97, v97
	v_div_fixup_f32 v13, v7, v13, v16
	s_delay_alu instid0(VALU_DEP_3) | instskip(NEXT) | instid1(TRANS32_DEP_1)
	v_add_f32_e32 v100, v100, v113
	v_ldexp_f32 v9, v96, v98
	s_delay_alu instid0(VALU_DEP_2) | instskip(NEXT) | instid1(VALU_DEP_1)
	v_exp_f32_e32 v96, v100
	v_cndmask_b32_e64 v9, 0, v9, s29
	s_delay_alu instid0(VALU_DEP_1) | instskip(NEXT) | instid1(VALU_DEP_1)
	v_dual_add_f32 v10, 1.0, v10 :: v_dual_cndmask_b32 v9, 0x7f800000, v9
	v_div_scale_f32 v95, null, v10, v10, v11
	s_waitcnt_depctr 0xfff
	v_ldexp_f32 v8, v96, v97
	v_cmp_nlt_f32_e32 vcc_lo, 0x42ce8ed0, v99
	v_add_f32_e32 v9, 1.0, v9
	v_rcp_f32_e32 v94, v95
	s_delay_alu instid0(VALU_DEP_3) | instskip(SKIP_2) | instid1(VALU_DEP_1)
	v_cndmask_b32_e32 v8, 0, v8, vcc_lo
	s_waitcnt_depctr 0xfff
	v_fma_f32 v108, -v95, v94, 1.0
	v_fmac_f32_e32 v94, v108, v94
	v_div_scale_f32 v108, s28, v11, v10, v11
	s_delay_alu instid0(VALU_DEP_1) | instskip(NEXT) | instid1(VALU_DEP_1)
	s_mov_b32 vcc_lo, s28
	v_mul_f32_e32 v113, v108, v94
	v_div_scale_f32 v16, null, v9, v9, v14
	s_delay_alu instid0(VALU_DEP_2) | instskip(NEXT) | instid1(VALU_DEP_1)
	v_fma_f32 v15, -v95, v113, v108
	v_fmac_f32_e32 v113, v15, v94
	s_delay_alu instid0(VALU_DEP_1) | instskip(NEXT) | instid1(VALU_DEP_1)
	v_fma_f32 v7, -v95, v113, v108
	v_div_fmas_f32 v15, v7, v94, v113
	v_cmp_ngt_f32_e32 vcc_lo, 0xc2b17218, v99
	s_delay_alu instid0(VALU_DEP_2)
	v_div_fixup_f32 v10, v15, v10, v11
	v_cndmask_b32_e32 v8, 0x7f800000, v8, vcc_lo
	v_cmp_o_f32_e32 vcc_lo, v12, v12
	v_mul_f32_e32 v11, v115, v13
	v_rcp_f32_e32 v12, v16
	v_and_b32_e32 v13, 0xffff0000, v0
	v_dual_cndmask_b32 v7, 0x7fc0, v17 :: v_dual_lshlrev_b32 v0, 16, v0
	v_div_scale_f32 v105, vcc_lo, v14, v9, v14
	s_delay_alu instid0(VALU_DEP_3) | instskip(SKIP_3) | instid1(TRANS32_DEP_1)
	v_mul_f32_e32 v94, 0xbfb8aa3b, v13
	v_mul_f32_e32 v10, v114, v10
	v_cmp_nlt_f32_e64 s29, 0x42ce8ed0, v13
	v_bfe_u32 v15, v11, 16, 1
	v_fma_f32 v96, -v16, v12, 1.0
	v_fma_f32 v98, 0xbfb8aa3b, v13, -v94
	v_rndne_f32_e32 v100, v94
	s_delay_alu instid0(VALU_DEP_4) | instskip(NEXT) | instid1(VALU_DEP_4)
	v_add3_u32 v15, v11, v15, 0x7fff
	v_fmac_f32_e32 v12, v96, v12
	s_delay_alu instid0(VALU_DEP_4) | instskip(NEXT) | instid1(VALU_DEP_4)
	v_fmac_f32_e32 v98, 0xb2a5705f, v13
	v_sub_f32_e32 v94, v94, v100
	v_mul_f32_e32 v96, 0xbfb8aa3b, v0
	v_cvt_i32_f32_e32 v100, v100
	v_lshrrev_b32_e32 v15, 16, v15
	s_delay_alu instid0(VALU_DEP_4) | instskip(NEXT) | instid1(VALU_DEP_4)
	v_add_f32_e32 v94, v94, v98
	v_rndne_f32_e32 v98, v96
	v_fma_f32 v113, 0xbfb8aa3b, v0, -v96
	s_delay_alu instid0(VALU_DEP_1) | instskip(SKIP_1) | instid1(VALU_DEP_2)
	v_dual_sub_f32 v96, v96, v98 :: v_dual_fmac_f32 v113, 0xb2a5705f, v0
	v_cvt_i32_f32_e32 v98, v98
	v_add_f32_e32 v96, v96, v113
	s_delay_alu instid0(VALU_DEP_1) | instskip(SKIP_4) | instid1(VALU_DEP_1)
	v_exp_f32_e32 v96, v96
	s_waitcnt_depctr 0xfff
	v_ldexp_f32 v96, v96, v98
	v_and_b32_e32 v98, 0xffff0000, v1
	v_dual_mul_f32 v114, v105, v12 :: v_dual_lshlrev_b32 v1, 16, v1
	v_fma_f32 v113, -v16, v114, v105
	s_delay_alu instid0(VALU_DEP_1) | instskip(NEXT) | instid1(VALU_DEP_1)
	v_fmac_f32_e32 v114, v113, v12
	v_fma_f32 v16, -v16, v114, v105
	s_delay_alu instid0(VALU_DEP_1) | instskip(SKIP_1) | instid1(VALU_DEP_2)
	v_div_fmas_f32 v12, v16, v12, v114
	v_cmp_nlt_f32_e32 vcc_lo, 0x42ce8ed0, v0
	v_div_fixup_f32 v9, v12, v9, v14
	s_delay_alu instid0(VALU_DEP_1) | instskip(NEXT) | instid1(VALU_DEP_1)
	v_dual_add_f32 v8, 1.0, v8 :: v_dual_mul_f32 v9, v112, v9
	v_div_scale_f32 v17, null, v8, v8, v99
	v_mul_f32_e32 v112, 0xbfb8aa3b, v1
	s_delay_alu instid0(VALU_DEP_2) | instskip(NEXT) | instid1(VALU_DEP_1)
	v_rcp_f32_e32 v97, v17
	v_fma_f32 v113, 0xbfb8aa3b, v1, -v112
	s_delay_alu instid0(VALU_DEP_1) | instskip(SKIP_3) | instid1(VALU_DEP_1)
	v_fmac_f32_e32 v113, 0xb2a5705f, v1
	v_exp_f32_e32 v94, v94
	s_waitcnt_depctr 0xfff
	v_fma_f32 v108, -v17, v97, 1.0
	v_fmac_f32_e32 v97, v108, v97
	v_div_scale_f32 v108, s28, v99, v8, v99
	v_ldexp_f32 v94, v94, v100
	s_delay_alu instid0(VALU_DEP_2) | instskip(NEXT) | instid1(VALU_DEP_2)
	v_mul_f32_e32 v115, v108, v97
	v_cndmask_b32_e64 v94, 0, v94, s29
	v_cmp_ngt_f32_e64 s29, 0xc2b17218, v13
	s_delay_alu instid0(VALU_DEP_3) | instskip(NEXT) | instid1(VALU_DEP_2)
	v_fma_f32 v100, -v17, v115, v108
	v_cndmask_b32_e64 v94, 0x7f800000, v94, s29
	v_cmp_nlt_f32_e64 s29, 0x42ce8ed0, v98
	s_delay_alu instid0(VALU_DEP_3) | instskip(NEXT) | instid1(VALU_DEP_3)
	v_dual_fmac_f32 v115, v100, v97 :: v_dual_mul_f32 v100, 0xbfb8aa3b, v98
	v_add_f32_e32 v16, 1.0, v94
	v_cndmask_b32_e32 v94, 0, v96, vcc_lo
	s_delay_alu instid0(VALU_DEP_3) | instskip(SKIP_3) | instid1(VALU_DEP_3)
	v_fma_f32 v17, -v17, v115, v108
	s_mov_b32 vcc_lo, s28
	v_fma_f32 v14, 0xbfb8aa3b, v98, -v100
	v_div_scale_f32 v96, null, v16, v16, v13
	v_div_fmas_f32 v17, v17, v97, v115
	v_cmp_ngt_f32_e32 vcc_lo, 0xc2b17218, v0
	s_delay_alu instid0(VALU_DEP_4) | instskip(NEXT) | instid1(VALU_DEP_4)
	v_fmac_f32_e32 v14, 0xb2a5705f, v98
	v_rcp_f32_e32 v97, v96
	s_delay_alu instid0(VALU_DEP_3) | instskip(SKIP_2) | instid1(VALU_DEP_3)
	v_div_fixup_f32 v8, v17, v8, v99
	v_cndmask_b32_e32 v94, 0x7f800000, v94, vcc_lo
	v_cmp_o_f32_e32 vcc_lo, v11, v11
	v_mul_f32_e32 v8, v111, v8
	s_delay_alu instid0(VALU_DEP_3) | instskip(SKIP_1) | instid1(TRANS32_DEP_1)
	v_dual_add_f32 v12, 1.0, v94 :: v_dual_cndmask_b32 v11, 0x7fc0, v15
	v_rndne_f32_e32 v15, v100
	v_fma_f32 v17, -v96, v97, 1.0
	s_delay_alu instid0(VALU_DEP_2) | instskip(NEXT) | instid1(VALU_DEP_2)
	v_sub_f32_e32 v99, v100, v15
	v_fmac_f32_e32 v97, v17, v97
	v_bfe_u32 v95, v10, 16, 1
	v_cmp_o_f32_e64 s28, v10, v10
	v_cvt_i32_f32_e32 v15, v15
	v_add_f32_e32 v14, v99, v14
	v_div_scale_f32 v99, vcc_lo, v13, v16, v13
	v_add3_u32 v95, v10, v95, 0x7fff
	v_bfe_u32 v100, v8, 16, 1
	s_delay_alu instid0(VALU_DEP_4) | instskip(NEXT) | instid1(VALU_DEP_3)
	v_exp_f32_e32 v14, v14
	v_mul_f32_e32 v105, v99, v97
	v_div_scale_f32 v94, null, v12, v12, v0
	v_lshrrev_b32_e32 v95, 16, v95
	v_add3_u32 v100, v8, v100, 0x7fff
	s_delay_alu instid0(VALU_DEP_4) | instskip(NEXT) | instid1(VALU_DEP_4)
	v_fma_f32 v111, -v96, v105, v99
	v_rcp_f32_e32 v17, v94
	s_delay_alu instid0(VALU_DEP_3) | instskip(NEXT) | instid1(TRANS32_DEP_2)
	v_cndmask_b32_e64 v10, 0x7fc0, v95, s28
	v_ldexp_f32 v14, v14, v15
	v_div_scale_f32 v15, s28, v0, v12, v0
	v_fmac_f32_e32 v105, v111, v97
	v_bfe_u32 v95, v9, 16, 1
	s_delay_alu instid0(VALU_DEP_4) | instskip(SKIP_1) | instid1(TRANS32_DEP_1)
	v_cndmask_b32_e64 v14, 0, v14, s29
	v_cmp_ngt_f32_e64 s29, 0xc2b17218, v98
	v_fma_f32 v108, -v94, v17, 1.0
	v_fma_f32 v96, -v96, v105, v99
	v_add3_u32 v95, v9, v95, 0x7fff
	s_delay_alu instid0(VALU_DEP_4) | instskip(NEXT) | instid1(VALU_DEP_4)
	v_cndmask_b32_e64 v14, 0x7f800000, v14, s29
	v_fmac_f32_e32 v17, v108, v17
	v_rndne_f32_e32 v108, v112
	v_div_fmas_f32 v96, v96, v97, v105
	s_mov_b32 vcc_lo, s28
	v_add_f32_e32 v14, 1.0, v14
	v_mul_f32_e32 v114, v15, v17
	v_sub_f32_e32 v112, v112, v108
	v_div_fixup_f32 v13, v96, v16, v13
	v_lshrrev_b32_e32 v16, 16, v95
	v_cmp_o_f32_e64 s28, v9, v9
	v_fma_f32 v111, -v94, v114, v15
	v_add_f32_e32 v112, v112, v113
	s_delay_alu instid0(VALU_DEP_3) | instskip(NEXT) | instid1(VALU_DEP_3)
	v_cndmask_b32_e64 v9, 0x7fc0, v16, s28
	v_fmac_f32_e32 v114, v111, v17
	s_delay_alu instid0(VALU_DEP_3) | instskip(SKIP_2) | instid1(VALU_DEP_3)
	v_exp_f32_e32 v99, v112
	v_div_scale_f32 v111, null, v14, v14, v98
	v_cmp_o_f32_e64 s28, v8, v8
	v_fma_f32 v15, -v94, v114, v15
	v_cvt_i32_f32_e32 v94, v108
	s_delay_alu instid0(VALU_DEP_4) | instskip(NEXT) | instid1(VALU_DEP_2)
	v_rcp_f32_e32 v97, v111
	v_div_fmas_f32 v15, v15, v17, v114
	s_delay_alu instid0(TRANS32_DEP_2) | instid1(VALU_DEP_2)
	v_ldexp_f32 v17, v99, v94
	v_cmp_nlt_f32_e32 vcc_lo, 0x42ce8ed0, v1
	v_lshrrev_b32_e32 v94, 16, v100
	v_and_b32_e32 v100, 0xffff0000, v2
	v_div_fixup_f32 v0, v15, v12, v0
	v_mul_f32_e32 v12, v110, v13
	v_cndmask_b32_e32 v13, 0, v17, vcc_lo
	v_cmp_ngt_f32_e32 vcc_lo, 0xc2b17218, v1
	v_fma_f32 v15, -v111, v97, 1.0
	v_mul_f32_e32 v0, v109, v0
	v_bfe_u32 v17, v12, 16, 1
	v_cndmask_b32_e64 v8, 0x7fc0, v94, s28
	v_cndmask_b32_e32 v13, 0x7f800000, v13, vcc_lo
	v_fmac_f32_e32 v97, v15, v97
	v_div_scale_f32 v15, vcc_lo, v98, v14, v98
	v_add3_u32 v17, v12, v17, 0x7fff
	s_delay_alu instid0(VALU_DEP_4) | instskip(SKIP_1) | instid1(VALU_DEP_4)
	v_add_f32_e32 v13, 1.0, v13
	v_bfe_u32 v16, v0, 16, 1
	v_mul_f32_e32 v95, v15, v97
	v_cmp_o_f32_e64 s28, v12, v12
	v_lshrrev_b32_e32 v17, 16, v17
	v_div_scale_f32 v96, null, v13, v13, v1
	s_delay_alu instid0(VALU_DEP_4) | instskip(SKIP_1) | instid1(VALU_DEP_4)
	v_fma_f32 v94, -v111, v95, v15
	v_add3_u32 v16, v0, v16, 0x7fff
	v_cndmask_b32_e64 v12, 0x7fc0, v17, s28
	s_delay_alu instid0(VALU_DEP_4) | instskip(SKIP_4) | instid1(VALU_DEP_3)
	v_rcp_f32_e32 v99, v96
	v_cmp_o_f32_e64 s28, v0, v0
	v_fmac_f32_e32 v95, v94, v97
	v_mul_f32_e32 v17, 0xbfb8aa3b, v100
	v_lshrrev_b32_e32 v16, 16, v16
	v_fma_f32 v0, -v111, v95, v15
	s_delay_alu instid0(VALU_DEP_3) | instskip(SKIP_1) | instid1(TRANS32_DEP_1)
	v_fma_f32 v94, 0xbfb8aa3b, v100, -v17
	v_rndne_f32_e32 v105, v17
	v_fma_f32 v15, -v96, v99, 1.0
	v_cndmask_b32_e64 v16, 0x7fc0, v16, s28
	v_div_fmas_f32 v0, v0, v97, v95
	v_div_scale_f32 v95, vcc_lo, v1, v13, v1
	s_delay_alu instid0(VALU_DEP_4) | instskip(SKIP_3) | instid1(VALU_DEP_4)
	v_dual_fmac_f32 v99, v15, v99 :: v_dual_fmac_f32 v94, 0xb2a5705f, v100
	v_sub_f32_e32 v17, v17, v105
	v_cvt_i32_f32_e32 v105, v105
	v_cmp_nlt_f32_e64 s28, 0x42ce8ed0, v100
	v_mul_f32_e32 v97, v95, v99
	v_div_fixup_f32 v0, v0, v14, v98
	v_dual_add_f32 v17, v17, v94 :: v_dual_and_b32 v98, 0xffff0000, v3
	v_lshlrev_b32_e32 v3, 16, v3
	s_delay_alu instid0(VALU_DEP_4) | instskip(NEXT) | instid1(VALU_DEP_4)
	v_fma_f32 v108, -v96, v97, v95
	v_mul_f32_e32 v0, v107, v0
	s_delay_alu instid0(VALU_DEP_4) | instskip(SKIP_1) | instid1(VALU_DEP_3)
	v_exp_f32_e32 v17, v17
	v_mul_f32_e32 v109, 0xbfb8aa3b, v98
	v_fmac_f32_e32 v97, v108, v99
	s_delay_alu instid0(VALU_DEP_2) | instskip(NEXT) | instid1(VALU_DEP_2)
	v_rndne_f32_e32 v108, v109
	v_fma_f32 v95, -v96, v97, v95
	s_waitcnt_depctr 0xfff
	v_ldexp_f32 v17, v17, v105
	v_mul_f32_e32 v105, 0xbfb8aa3b, v3
	v_div_fmas_f32 v95, v95, v99, v97
	s_delay_alu instid0(VALU_DEP_3) | instskip(SKIP_1) | instid1(VALU_DEP_4)
	v_cndmask_b32_e64 v17, 0, v17, s28
	v_cmp_ngt_f32_e64 s28, 0xc2b17218, v100
	v_rndne_f32_e32 v110, v105
	s_delay_alu instid0(VALU_DEP_4)
	v_div_fixup_f32 v1, v95, v13, v1
	v_lshlrev_b32_e32 v2, 16, v2
	v_fma_f32 v111, 0xbfb8aa3b, v3, -v105
	v_cndmask_b32_e64 v17, 0x7f800000, v17, s28
	v_sub_f32_e32 v105, v105, v110
	v_mul_f32_e32 v1, v106, v1
	v_mul_f32_e32 v15, 0xbfb8aa3b, v2
	v_fmac_f32_e32 v111, 0xb2a5705f, v3
	v_add_f32_e32 v17, 1.0, v17
	v_cmp_nlt_f32_e64 s28, 0x42ce8ed0, v2
	v_bfe_u32 v116, v1, 16, 1
	v_rndne_f32_e32 v14, v15
	v_fma_f32 v94, 0xbfb8aa3b, v2, -v15
	v_div_scale_f32 v99, vcc_lo, v100, v17, v100
	s_delay_alu instid0(VALU_DEP_3) | instskip(NEXT) | instid1(VALU_DEP_3)
	v_sub_f32_e32 v15, v15, v14
	v_fmac_f32_e32 v94, 0xb2a5705f, v2
	v_cvt_i32_f32_e32 v14, v14
	s_delay_alu instid0(VALU_DEP_2) | instskip(SKIP_2) | instid1(VALU_DEP_3)
	v_add_f32_e32 v15, v15, v94
	v_fma_f32 v94, 0xbfb8aa3b, v98, -v109
	v_sub_f32_e32 v109, v109, v108
	v_exp_f32_e32 v15, v15
	s_delay_alu instid0(VALU_DEP_2)
	v_fmac_f32_e32 v94, 0xb2a5705f, v98
	s_waitcnt_depctr 0xfff
	v_ldexp_f32 v14, v15, v14
	v_add_f32_e32 v15, v109, v94
	v_add_f32_e32 v94, v105, v111
	v_cvt_i32_f32_e32 v105, v108
	v_div_scale_f32 v108, null, v17, v17, v100
	v_cvt_i32_f32_e32 v109, v110
	s_delay_alu instid0(VALU_DEP_4) | instskip(SKIP_1) | instid1(VALU_DEP_2)
	v_exp_f32_e32 v94, v94
	v_exp_f32_e32 v15, v15
	v_rcp_f32_e32 v96, v108
	v_cndmask_b32_e64 v14, 0, v14, s28
	v_cmp_ngt_f32_e64 s28, 0xc2b17218, v2
	s_delay_alu instid0(VALU_DEP_1) | instskip(NEXT) | instid1(TRANS32_DEP_3)
	v_cndmask_b32_e64 v14, 0x7f800000, v14, s28
	v_ldexp_f32 v94, v94, v109
	s_waitcnt_depctr 0xfff
	v_ldexp_f32 v15, v15, v105
	v_fma_f32 v109, -v108, v96, 1.0
	s_delay_alu instid0(VALU_DEP_1) | instskip(NEXT) | instid1(VALU_DEP_1)
	v_fmac_f32_e32 v96, v109, v96
	v_mul_f32_e32 v13, v99, v96
	s_delay_alu instid0(VALU_DEP_1) | instskip(NEXT) | instid1(VALU_DEP_1)
	v_fma_f32 v113, -v108, v13, v99
	v_fmac_f32_e32 v13, v113, v96
	v_cmp_nlt_f32_e64 s28, 0x42ce8ed0, v98
	s_delay_alu instid0(VALU_DEP_2) | instskip(NEXT) | instid1(VALU_DEP_2)
	v_fma_f32 v99, -v108, v13, v99
	v_cndmask_b32_e64 v15, 0, v15, s28
	v_cmp_nlt_f32_e64 s28, 0x42ce8ed0, v3
	s_delay_alu instid0(VALU_DEP_1) | instskip(SKIP_1) | instid1(VALU_DEP_1)
	v_cndmask_b32_e64 v94, 0, v94, s28
	v_cmp_ngt_f32_e64 s28, 0xc2b17218, v98
	v_cndmask_b32_e64 v15, 0x7f800000, v15, s28
	v_cmp_ngt_f32_e64 s28, 0xc2b17218, v3
	s_delay_alu instid0(VALU_DEP_2) | instskip(NEXT) | instid1(VALU_DEP_2)
	v_add_f32_e32 v15, 1.0, v15
	v_cndmask_b32_e64 v94, 0x7f800000, v94, s28
	s_delay_alu instid0(VALU_DEP_2) | instskip(NEXT) | instid1(VALU_DEP_2)
	v_div_scale_f32 v97, null, v15, v15, v98
	v_add_f32_e32 v94, 1.0, v94
	s_delay_alu instid0(VALU_DEP_2) | instskip(NEXT) | instid1(VALU_DEP_1)
	v_rcp_f32_e32 v111, v97
	v_div_scale_f32 v112, null, v94, v94, v3
	s_delay_alu instid0(VALU_DEP_1) | instskip(SKIP_2) | instid1(VALU_DEP_1)
	v_rcp_f32_e32 v95, v112
	s_waitcnt_depctr 0xfff
	v_fma_f32 v115, -v112, v95, 1.0
	v_fmac_f32_e32 v95, v115, v95
	v_div_scale_f32 v115, s30, v3, v94, v3
	v_add_f32_e32 v14, 1.0, v14
	s_delay_alu instid0(VALU_DEP_1) | instskip(SKIP_1) | instid1(VALU_DEP_2)
	v_div_scale_f32 v105, null, v14, v14, v2
	v_div_scale_f32 v107, s28, v2, v14, v2
	v_rcp_f32_e32 v110, v105
	s_waitcnt_depctr 0xfff
	v_fma_f32 v109, -v105, v110, 1.0
	s_delay_alu instid0(VALU_DEP_1) | instskip(SKIP_1) | instid1(VALU_DEP_1)
	v_fmac_f32_e32 v110, v109, v110
	v_fma_f32 v109, -v97, v111, 1.0
	v_dual_mul_f32 v114, v107, v110 :: v_dual_fmac_f32 v111, v109, v111
	v_div_scale_f32 v109, s29, v98, v15, v98
	s_delay_alu instid0(VALU_DEP_2) | instskip(NEXT) | instid1(VALU_DEP_2)
	v_fma_f32 v113, -v105, v114, v107
	v_mul_f32_e32 v117, v109, v111
	s_delay_alu instid0(VALU_DEP_2) | instskip(NEXT) | instid1(VALU_DEP_2)
	v_dual_fmac_f32 v114, v113, v110 :: v_dual_mul_f32 v113, v115, v95
	v_fma_f32 v108, -v97, v117, v109
	s_delay_alu instid0(VALU_DEP_1) | instskip(SKIP_1) | instid1(VALU_DEP_4)
	v_fmac_f32_e32 v117, v108, v111
	v_div_fmas_f32 v13, v99, v96, v13
	v_fma_f32 v96, -v105, v114, v107
	s_mov_b32 vcc_lo, s28
	v_fma_f32 v99, -v112, v113, v115
	s_delay_alu instid0(VALU_DEP_3)
	v_div_fixup_f32 v13, v13, v17, v100
	v_fma_f32 v17, -v97, v117, v109
	v_div_fmas_f32 v96, v96, v110, v114
	s_mov_b32 vcc_lo, s29
	v_fmac_f32_e32 v113, v99, v95
	v_mul_f32_e32 v13, v103, v13
	v_div_fmas_f32 v17, v17, v111, v117
	v_div_fixup_f32 v2, v96, v14, v2
	s_mov_b32 vcc_lo, s30
	v_fma_f32 v14, -v112, v113, v115
	v_add3_u32 v99, v1, v116, 0x7fff
	v_div_fixup_f32 v15, v17, v15, v98
	v_mul_f32_e32 v2, v102, v2
	v_bfe_u32 v17, v13, 16, 1
	v_div_fmas_f32 v14, v14, v95, v113
	s_delay_alu instid0(VALU_DEP_4) | instskip(SKIP_2) | instid1(VALU_DEP_4)
	v_mul_f32_e32 v15, v104, v15
	v_bfe_u32 v106, v0, 16, 1
	v_cmp_o_f32_e32 vcc_lo, v0, v0
	v_div_fixup_f32 v3, v14, v94, v3
	v_lshrrev_b32_e32 v14, 16, v99
	v_bfe_u32 v94, v2, 16, 1
	v_add3_u32 v106, v0, v106, 0x7fff
	v_add3_u32 v0, v13, v17, 0x7fff
	v_mul_f32_e32 v3, v101, v3
	s_delay_alu instid0(VALU_DEP_4) | instskip(NEXT) | instid1(VALU_DEP_4)
	v_add3_u32 v17, v2, v94, 0x7fff
	v_lshrrev_b32_e32 v95, 16, v106
	v_bfe_u32 v94, v15, 16, 1
	v_lshrrev_b32_e32 v0, 16, v0
	v_bfe_u32 v96, v3, 16, 1
	v_lshrrev_b32_e32 v17, 16, v17
	v_cndmask_b32_e32 v95, 0x7fc0, v95, vcc_lo
	v_cmp_o_f32_e32 vcc_lo, v1, v1
	v_add3_u32 v1, v15, v94, 0x7fff
	v_add3_u32 v94, v3, v96, 0x7fff
	v_cndmask_b32_e32 v14, 0x7fc0, v14, vcc_lo
	v_cmp_o_f32_e32 vcc_lo, v13, v13
	v_cndmask_b32_e32 v13, 0x7fc0, v0, vcc_lo
	v_cmp_o_f32_e32 vcc_lo, v2, v2
	v_lshrrev_b32_e32 v0, 16, v1
	v_lshrrev_b32_e32 v1, 16, v94
	v_perm_b32 v2, v11, v10, 0x5040100
	v_cndmask_b32_e32 v17, 0x7fc0, v17, vcc_lo
	v_cmp_o_f32_e32 vcc_lo, v15, v15
	v_cndmask_b32_e32 v15, 0x7fc0, v0, vcc_lo
	v_cmp_o_f32_e32 vcc_lo, v3, v3
	v_perm_b32 v3, v9, v8, 0x5040100
	v_perm_b32 v0, v4, v5, 0x5040100
	;; [unrolled: 1-line block ×4, first 2 shown]
	v_cndmask_b32_e32 v94, 0x7fc0, v1, vcc_lo
	v_perm_b32 v1, v6, v7, 0x5040100
	v_perm_b32 v6, v13, v17, 0x5040100
	s_delay_alu instid0(VALU_DEP_3)
	v_perm_b32 v7, v15, v94, 0x5040100
	ds_store_b128 v52, v[0:3]
	ds_store_b128 v52, v[4:7] offset:16
	; wave barrier
	ds_load_u16 v16, v37 offset:64
	ds_load_u16 v15, v38 offset:128
	;; [unrolled: 1-line block ×15, first 2 shown]
	v_add_co_u32 v0, vcc_lo, v76, s34
	v_add_co_ci_u32_e32 v1, vcc_lo, s35, v77, vcc_lo
	s_and_saveexec_b32 s28, s12
	s_cbranch_execnz .LBB48_284
; %bb.252:                              ;   in Loop: Header=BB48_12 Depth=1
	s_or_b32 exec_lo, exec_lo, s28
	s_and_saveexec_b32 s12, s13
	s_cbranch_execnz .LBB48_285
.LBB48_253:                             ;   in Loop: Header=BB48_12 Depth=1
	s_or_b32 exec_lo, exec_lo, s12
	s_and_saveexec_b32 s12, s14
	s_cbranch_execnz .LBB48_286
.LBB48_254:                             ;   in Loop: Header=BB48_12 Depth=1
	s_or_b32 exec_lo, exec_lo, s12
	s_and_saveexec_b32 s12, s15
	s_cbranch_execnz .LBB48_287
.LBB48_255:                             ;   in Loop: Header=BB48_12 Depth=1
	s_or_b32 exec_lo, exec_lo, s12
	s_and_saveexec_b32 s12, s16
	s_cbranch_execnz .LBB48_288
.LBB48_256:                             ;   in Loop: Header=BB48_12 Depth=1
	s_or_b32 exec_lo, exec_lo, s12
	s_and_saveexec_b32 s12, s17
	s_cbranch_execnz .LBB48_289
.LBB48_257:                             ;   in Loop: Header=BB48_12 Depth=1
	s_or_b32 exec_lo, exec_lo, s12
	s_and_saveexec_b32 s12, s18
	s_cbranch_execnz .LBB48_290
.LBB48_258:                             ;   in Loop: Header=BB48_12 Depth=1
	s_or_b32 exec_lo, exec_lo, s12
	s_and_saveexec_b32 s12, s19
	s_cbranch_execnz .LBB48_291
.LBB48_259:                             ;   in Loop: Header=BB48_12 Depth=1
	s_or_b32 exec_lo, exec_lo, s12
	s_and_saveexec_b32 s12, s20
	s_cbranch_execnz .LBB48_292
.LBB48_260:                             ;   in Loop: Header=BB48_12 Depth=1
	s_or_b32 exec_lo, exec_lo, s12
	s_and_saveexec_b32 s12, s21
	s_cbranch_execnz .LBB48_293
.LBB48_261:                             ;   in Loop: Header=BB48_12 Depth=1
	s_or_b32 exec_lo, exec_lo, s12
	s_and_saveexec_b32 s12, s22
	s_cbranch_execnz .LBB48_294
.LBB48_262:                             ;   in Loop: Header=BB48_12 Depth=1
	s_or_b32 exec_lo, exec_lo, s12
	s_and_saveexec_b32 s12, s23
	s_cbranch_execnz .LBB48_295
.LBB48_263:                             ;   in Loop: Header=BB48_12 Depth=1
	s_or_b32 exec_lo, exec_lo, s12
	s_and_saveexec_b32 s12, s24
	s_cbranch_execnz .LBB48_296
.LBB48_264:                             ;   in Loop: Header=BB48_12 Depth=1
	s_or_b32 exec_lo, exec_lo, s12
	s_and_saveexec_b32 s12, s25
	s_cbranch_execnz .LBB48_297
.LBB48_265:                             ;   in Loop: Header=BB48_12 Depth=1
	s_or_b32 exec_lo, exec_lo, s12
	s_and_saveexec_b32 s12, s26
	s_cbranch_execnz .LBB48_298
.LBB48_266:                             ;   in Loop: Header=BB48_12 Depth=1
	s_or_b32 exec_lo, exec_lo, s12
	s_and_saveexec_b32 s12, s27
	s_cbranch_execz .LBB48_11
	s_branch .LBB48_299
.LBB48_267:                             ;   in Loop: Header=BB48_12 Depth=1
	global_load_u16 v101, v[8:9], off offset:832
	s_or_b32 exec_lo, exec_lo, s28
	s_and_saveexec_b32 s28, s26
	s_cbranch_execz .LBB48_72
.LBB48_268:                             ;   in Loop: Header=BB48_12 Depth=1
	global_load_u16 v100, v[8:9], off offset:896
	s_or_b32 exec_lo, exec_lo, s28
	v_mov_b32_e32 v102, 0
	s_and_saveexec_b32 s28, s27
	s_cbranch_execnz .LBB48_73
	s_branch .LBB48_74
.LBB48_269:                             ;   in Loop: Header=BB48_12 Depth=1
	ds_load_u16 v17, v37
	s_waitcnt lgkmcnt(0)
	global_store_b16 v[0:1], v17, off
	s_or_b32 exec_lo, exec_lo, s28
	s_and_saveexec_b32 s28, s13
	s_cbranch_execz .LBB48_204
.LBB48_270:                             ;   in Loop: Header=BB48_12 Depth=1
	s_waitcnt lgkmcnt(14)
	global_store_b16 v[0:1], v16, off offset:64
	s_or_b32 exec_lo, exec_lo, s28
	s_and_saveexec_b32 s28, s14
	s_cbranch_execz .LBB48_205
.LBB48_271:                             ;   in Loop: Header=BB48_12 Depth=1
	s_waitcnt lgkmcnt(13)
	global_store_b16 v[0:1], v15, off offset:128
	s_or_b32 exec_lo, exec_lo, s28
	s_and_saveexec_b32 s28, s15
	s_cbranch_execz .LBB48_206
.LBB48_272:                             ;   in Loop: Header=BB48_12 Depth=1
	s_waitcnt lgkmcnt(12)
	global_store_b16 v[0:1], v14, off offset:192
	s_or_b32 exec_lo, exec_lo, s28
	s_and_saveexec_b32 s28, s16
	s_cbranch_execz .LBB48_207
.LBB48_273:                             ;   in Loop: Header=BB48_12 Depth=1
	s_waitcnt lgkmcnt(11)
	global_store_b16 v[0:1], v13, off offset:256
	s_or_b32 exec_lo, exec_lo, s28
	s_and_saveexec_b32 s28, s17
	s_cbranch_execz .LBB48_208
.LBB48_274:                             ;   in Loop: Header=BB48_12 Depth=1
	s_waitcnt lgkmcnt(10)
	global_store_b16 v[0:1], v12, off offset:320
	s_or_b32 exec_lo, exec_lo, s28
	s_and_saveexec_b32 s28, s18
	s_cbranch_execz .LBB48_209
.LBB48_275:                             ;   in Loop: Header=BB48_12 Depth=1
	s_waitcnt lgkmcnt(9)
	global_store_b16 v[0:1], v11, off offset:384
	s_or_b32 exec_lo, exec_lo, s28
	s_and_saveexec_b32 s28, s19
	s_cbranch_execz .LBB48_210
.LBB48_276:                             ;   in Loop: Header=BB48_12 Depth=1
	s_waitcnt lgkmcnt(8)
	global_store_b16 v[0:1], v10, off offset:448
	s_or_b32 exec_lo, exec_lo, s28
	s_and_saveexec_b32 s28, s20
	s_cbranch_execz .LBB48_211
.LBB48_277:                             ;   in Loop: Header=BB48_12 Depth=1
	s_waitcnt lgkmcnt(7)
	global_store_b16 v[0:1], v9, off offset:512
	s_or_b32 exec_lo, exec_lo, s28
	s_and_saveexec_b32 s28, s21
	s_cbranch_execz .LBB48_212
.LBB48_278:                             ;   in Loop: Header=BB48_12 Depth=1
	s_waitcnt lgkmcnt(6)
	global_store_b16 v[0:1], v8, off offset:576
	s_or_b32 exec_lo, exec_lo, s28
	s_and_saveexec_b32 s28, s22
	s_cbranch_execz .LBB48_213
.LBB48_279:                             ;   in Loop: Header=BB48_12 Depth=1
	s_waitcnt lgkmcnt(5)
	global_store_b16 v[0:1], v7, off offset:640
	s_or_b32 exec_lo, exec_lo, s28
	s_and_saveexec_b32 s28, s23
	s_cbranch_execz .LBB48_214
.LBB48_280:                             ;   in Loop: Header=BB48_12 Depth=1
	s_waitcnt lgkmcnt(4)
	global_store_b16 v[0:1], v6, off offset:704
	s_or_b32 exec_lo, exec_lo, s28
	s_and_saveexec_b32 s28, s24
	s_cbranch_execz .LBB48_215
.LBB48_281:                             ;   in Loop: Header=BB48_12 Depth=1
	s_waitcnt lgkmcnt(3)
	global_store_b16 v[0:1], v5, off offset:768
	s_or_b32 exec_lo, exec_lo, s28
	s_and_saveexec_b32 s28, s25
	s_cbranch_execz .LBB48_216
.LBB48_282:                             ;   in Loop: Header=BB48_12 Depth=1
	s_waitcnt lgkmcnt(2)
	global_store_b16 v[0:1], v4, off offset:832
	s_or_b32 exec_lo, exec_lo, s28
	s_and_saveexec_b32 s28, s26
	s_cbranch_execz .LBB48_217
.LBB48_283:                             ;   in Loop: Header=BB48_12 Depth=1
	s_waitcnt lgkmcnt(1)
	global_store_b16 v[0:1], v3, off offset:896
	s_or_b32 exec_lo, exec_lo, s28
	s_and_saveexec_b32 s28, s27
	s_cbranch_execnz .LBB48_218
	s_branch .LBB48_219
.LBB48_284:                             ;   in Loop: Header=BB48_12 Depth=1
	ds_load_u16 v17, v37
	s_waitcnt lgkmcnt(0)
	global_store_b16 v[0:1], v17, off
	s_or_b32 exec_lo, exec_lo, s28
	s_and_saveexec_b32 s12, s13
	s_cbranch_execz .LBB48_253
.LBB48_285:                             ;   in Loop: Header=BB48_12 Depth=1
	s_waitcnt lgkmcnt(14)
	global_store_b16 v[0:1], v16, off offset:64
	s_or_b32 exec_lo, exec_lo, s12
	s_and_saveexec_b32 s12, s14
	s_cbranch_execz .LBB48_254
.LBB48_286:                             ;   in Loop: Header=BB48_12 Depth=1
	s_waitcnt lgkmcnt(13)
	global_store_b16 v[0:1], v15, off offset:128
	s_or_b32 exec_lo, exec_lo, s12
	s_and_saveexec_b32 s12, s15
	s_cbranch_execz .LBB48_255
.LBB48_287:                             ;   in Loop: Header=BB48_12 Depth=1
	s_waitcnt lgkmcnt(12)
	global_store_b16 v[0:1], v14, off offset:192
	s_or_b32 exec_lo, exec_lo, s12
	s_and_saveexec_b32 s12, s16
	s_cbranch_execz .LBB48_256
.LBB48_288:                             ;   in Loop: Header=BB48_12 Depth=1
	s_waitcnt lgkmcnt(11)
	global_store_b16 v[0:1], v13, off offset:256
	s_or_b32 exec_lo, exec_lo, s12
	s_and_saveexec_b32 s12, s17
	s_cbranch_execz .LBB48_257
.LBB48_289:                             ;   in Loop: Header=BB48_12 Depth=1
	s_waitcnt lgkmcnt(10)
	global_store_b16 v[0:1], v12, off offset:320
	s_or_b32 exec_lo, exec_lo, s12
	s_and_saveexec_b32 s12, s18
	s_cbranch_execz .LBB48_258
.LBB48_290:                             ;   in Loop: Header=BB48_12 Depth=1
	s_waitcnt lgkmcnt(9)
	global_store_b16 v[0:1], v11, off offset:384
	s_or_b32 exec_lo, exec_lo, s12
	s_and_saveexec_b32 s12, s19
	s_cbranch_execz .LBB48_259
.LBB48_291:                             ;   in Loop: Header=BB48_12 Depth=1
	s_waitcnt lgkmcnt(8)
	global_store_b16 v[0:1], v10, off offset:448
	s_or_b32 exec_lo, exec_lo, s12
	s_and_saveexec_b32 s12, s20
	s_cbranch_execz .LBB48_260
.LBB48_292:                             ;   in Loop: Header=BB48_12 Depth=1
	s_waitcnt lgkmcnt(7)
	global_store_b16 v[0:1], v9, off offset:512
	s_or_b32 exec_lo, exec_lo, s12
	s_and_saveexec_b32 s12, s21
	s_cbranch_execz .LBB48_261
.LBB48_293:                             ;   in Loop: Header=BB48_12 Depth=1
	s_waitcnt lgkmcnt(6)
	global_store_b16 v[0:1], v8, off offset:576
	s_or_b32 exec_lo, exec_lo, s12
	s_and_saveexec_b32 s12, s22
	s_cbranch_execz .LBB48_262
.LBB48_294:                             ;   in Loop: Header=BB48_12 Depth=1
	s_waitcnt lgkmcnt(5)
	global_store_b16 v[0:1], v7, off offset:640
	s_or_b32 exec_lo, exec_lo, s12
	s_and_saveexec_b32 s12, s23
	s_cbranch_execz .LBB48_263
.LBB48_295:                             ;   in Loop: Header=BB48_12 Depth=1
	s_waitcnt lgkmcnt(4)
	global_store_b16 v[0:1], v6, off offset:704
	s_or_b32 exec_lo, exec_lo, s12
	s_and_saveexec_b32 s12, s24
	s_cbranch_execz .LBB48_264
.LBB48_296:                             ;   in Loop: Header=BB48_12 Depth=1
	s_waitcnt lgkmcnt(3)
	global_store_b16 v[0:1], v5, off offset:768
	s_or_b32 exec_lo, exec_lo, s12
	s_and_saveexec_b32 s12, s25
	s_cbranch_execz .LBB48_265
.LBB48_297:                             ;   in Loop: Header=BB48_12 Depth=1
	s_waitcnt lgkmcnt(2)
	global_store_b16 v[0:1], v4, off offset:832
	s_or_b32 exec_lo, exec_lo, s12
	s_and_saveexec_b32 s12, s26
	s_cbranch_execz .LBB48_266
.LBB48_298:                             ;   in Loop: Header=BB48_12 Depth=1
	s_waitcnt lgkmcnt(1)
	global_store_b16 v[0:1], v3, off offset:896
	s_or_b32 exec_lo, exec_lo, s12
	s_and_saveexec_b32 s12, s27
	s_cbranch_execz .LBB48_11
.LBB48_299:                             ;   in Loop: Header=BB48_12 Depth=1
	s_waitcnt lgkmcnt(0)
	global_store_b16 v[0:1], v2, off offset:960
	s_branch .LBB48_11
.LBB48_300:
	s_nop 0
	s_sendmsg sendmsg(MSG_DEALLOC_VGPRS)
	s_endpgm
	.section	.rodata,"a",@progbits
	.p2align	6, 0x0
	.amdhsa_kernel _Z25selective_scan_fwd_kernelI32Selective_Scan_fwd_kernel_traitsILi64ELi16ELi1ELb1ELb1ELb1ELb1ELb1EN3c108BFloat16EffEEv13SSMParamsBase
		.amdhsa_group_segment_fixed_size 0
		.amdhsa_private_segment_fixed_size 0
		.amdhsa_kernarg_size 248
		.amdhsa_user_sgpr_count 14
		.amdhsa_user_sgpr_dispatch_ptr 0
		.amdhsa_user_sgpr_queue_ptr 0
		.amdhsa_user_sgpr_kernarg_segment_ptr 1
		.amdhsa_user_sgpr_dispatch_id 0
		.amdhsa_user_sgpr_private_segment_size 0
		.amdhsa_wavefront_size32 1
		.amdhsa_uses_dynamic_stack 0
		.amdhsa_enable_private_segment 0
		.amdhsa_system_sgpr_workgroup_id_x 1
		.amdhsa_system_sgpr_workgroup_id_y 1
		.amdhsa_system_sgpr_workgroup_id_z 0
		.amdhsa_system_sgpr_workgroup_info 0
		.amdhsa_system_vgpr_workitem_id 0
		.amdhsa_next_free_vgpr 176
		.amdhsa_next_free_sgpr 92
		.amdhsa_reserve_vcc 1
		.amdhsa_float_round_mode_32 0
		.amdhsa_float_round_mode_16_64 0
		.amdhsa_float_denorm_mode_32 3
		.amdhsa_float_denorm_mode_16_64 3
		.amdhsa_dx10_clamp 1
		.amdhsa_ieee_mode 1
		.amdhsa_fp16_overflow 0
		.amdhsa_workgroup_processor_mode 1
		.amdhsa_memory_ordered 1
		.amdhsa_forward_progress 0
		.amdhsa_shared_vgpr_count 0
		.amdhsa_exception_fp_ieee_invalid_op 0
		.amdhsa_exception_fp_denorm_src 0
		.amdhsa_exception_fp_ieee_div_zero 0
		.amdhsa_exception_fp_ieee_overflow 0
		.amdhsa_exception_fp_ieee_underflow 0
		.amdhsa_exception_fp_ieee_inexact 0
		.amdhsa_exception_int_div_zero 0
	.end_amdhsa_kernel
	.section	.text._Z25selective_scan_fwd_kernelI32Selective_Scan_fwd_kernel_traitsILi64ELi16ELi1ELb1ELb1ELb1ELb1ELb1EN3c108BFloat16EffEEv13SSMParamsBase,"axG",@progbits,_Z25selective_scan_fwd_kernelI32Selective_Scan_fwd_kernel_traitsILi64ELi16ELi1ELb1ELb1ELb1ELb1ELb1EN3c108BFloat16EffEEv13SSMParamsBase,comdat
.Lfunc_end48:
	.size	_Z25selective_scan_fwd_kernelI32Selective_Scan_fwd_kernel_traitsILi64ELi16ELi1ELb1ELb1ELb1ELb1ELb1EN3c108BFloat16EffEEv13SSMParamsBase, .Lfunc_end48-_Z25selective_scan_fwd_kernelI32Selective_Scan_fwd_kernel_traitsILi64ELi16ELi1ELb1ELb1ELb1ELb1ELb1EN3c108BFloat16EffEEv13SSMParamsBase
                                        ; -- End function
	.section	.AMDGPU.csdata,"",@progbits
; Kernel info:
; codeLenInByte = 26964
; NumSgprs: 94
; NumVgprs: 176
; ScratchSize: 0
; MemoryBound: 0
; FloatMode: 240
; IeeeMode: 1
; LDSByteSize: 0 bytes/workgroup (compile time only)
; SGPRBlocks: 11
; VGPRBlocks: 21
; NumSGPRsForWavesPerEU: 94
; NumVGPRsForWavesPerEU: 176
; Occupancy: 8
; WaveLimiterHint : 1
; COMPUTE_PGM_RSRC2:SCRATCH_EN: 0
; COMPUTE_PGM_RSRC2:USER_SGPR: 14
; COMPUTE_PGM_RSRC2:TRAP_HANDLER: 0
; COMPUTE_PGM_RSRC2:TGID_X_EN: 1
; COMPUTE_PGM_RSRC2:TGID_Y_EN: 1
; COMPUTE_PGM_RSRC2:TGID_Z_EN: 0
; COMPUTE_PGM_RSRC2:TIDIG_COMP_CNT: 0
	.section	.text._Z25selective_scan_fwd_kernelI32Selective_Scan_fwd_kernel_traitsILi64ELi16ELi1ELb1ELb1ELb1ELb1ELb0EN3c108BFloat16EffEEv13SSMParamsBase,"axG",@progbits,_Z25selective_scan_fwd_kernelI32Selective_Scan_fwd_kernel_traitsILi64ELi16ELi1ELb1ELb1ELb1ELb1ELb0EN3c108BFloat16EffEEv13SSMParamsBase,comdat
	.protected	_Z25selective_scan_fwd_kernelI32Selective_Scan_fwd_kernel_traitsILi64ELi16ELi1ELb1ELb1ELb1ELb1ELb0EN3c108BFloat16EffEEv13SSMParamsBase ; -- Begin function _Z25selective_scan_fwd_kernelI32Selective_Scan_fwd_kernel_traitsILi64ELi16ELi1ELb1ELb1ELb1ELb1ELb0EN3c108BFloat16EffEEv13SSMParamsBase
	.globl	_Z25selective_scan_fwd_kernelI32Selective_Scan_fwd_kernel_traitsILi64ELi16ELi1ELb1ELb1ELb1ELb1ELb0EN3c108BFloat16EffEEv13SSMParamsBase
	.p2align	8
	.type	_Z25selective_scan_fwd_kernelI32Selective_Scan_fwd_kernel_traitsILi64ELi16ELi1ELb1ELb1ELb1ELb1ELb0EN3c108BFloat16EffEEv13SSMParamsBase,@function
_Z25selective_scan_fwd_kernelI32Selective_Scan_fwd_kernel_traitsILi64ELi16ELi1ELb1ELb1ELb1ELb1ELb0EN3c108BFloat16EffEEv13SSMParamsBase: ; @_Z25selective_scan_fwd_kernelI32Selective_Scan_fwd_kernel_traitsILi64ELi16ELi1ELb1ELb1ELb1ELb1ELb0EN3c108BFloat16EffEEv13SSMParamsBase
; %bb.0:
	s_clause 0x1
	s_load_b32 s9, s[0:1], 0x18
	s_load_b128 s[4:7], s[0:1], 0xe8
	s_mov_b32 s54, s15
	s_mov_b32 s33, 0
	s_waitcnt lgkmcnt(0)
	s_abs_i32 s8, s9
	s_cmp_eq_u64 s[6:7], 0
	v_cvt_f32_u32_e32 v1, s8
	s_delay_alu instid0(VALU_DEP_1) | instskip(SKIP_2) | instid1(VALU_DEP_1)
	v_rcp_iflag_f32_e32 v1, v1
	s_waitcnt_depctr 0xfff
	v_mul_f32_e32 v1, 0x4f7ffffe, v1
	v_cvt_u32_f32_e32 v1, v1
	s_delay_alu instid0(VALU_DEP_1)
	v_readfirstlane_b32 s10, v1
	s_cbranch_scc1 .LBB49_2
; %bb.1:
	v_mov_b32_e32 v1, 0
	s_ashr_i32 s3, s14, 31
	s_add_u32 s2, s6, s14
	s_addc_u32 s3, s7, s3
	global_load_u8 v1, v1, s[2:3]
	s_waitcnt vmcnt(0)
	v_and_b32_e32 v1, 1, v1
	s_delay_alu instid0(VALU_DEP_1)
	v_cmp_eq_u32_e64 s33, 1, v1
.LBB49_2:
	s_load_b64 s[6:7], s[0:1], 0x20
	s_cmp_eq_u64 s[4:5], 0
	s_cbranch_scc1 .LBB49_4
; %bb.3:
	s_ashr_i32 s15, s14, 31
	s_delay_alu instid0(SALU_CYCLE_1) | instskip(NEXT) | instid1(SALU_CYCLE_1)
	s_lshl_b64 s[2:3], s[14:15], 2
	s_add_u32 s2, s4, s2
	s_addc_u32 s3, s5, s3
	s_load_b32 s2, s[2:3], 0x0
	s_waitcnt lgkmcnt(0)
	s_ashr_i32 s3, s2, 31
	s_delay_alu instid0(SALU_CYCLE_1)
	s_cmp_eq_u64 s[6:7], s[2:3]
	s_cbranch_scc0 .LBB49_5
	s_branch .LBB49_88
.LBB49_4:
	s_mov_b32 s2, s14
	s_delay_alu instid0(SALU_CYCLE_1)
	s_ashr_i32 s3, s2, 31
	s_waitcnt lgkmcnt(0)
	s_cmp_eq_u64 s[6:7], s[2:3]
	s_cbranch_scc1 .LBB49_88
.LBB49_5:
	s_clause 0x1
	s_load_b512 s[16:31], s[0:1], 0x88
	s_load_b64 s[34:35], s[0:1], 0x8
	s_mov_b32 s56, 0
	s_mov_b32 s57, 0
	s_waitcnt lgkmcnt(0)
	s_cmp_eq_u64 s[22:23], 0
	s_cbranch_scc1 .LBB49_7
; %bb.6:
	s_ashr_i32 s55, s54, 31
	s_delay_alu instid0(SALU_CYCLE_1) | instskip(NEXT) | instid1(SALU_CYCLE_1)
	s_lshl_b64 s[4:5], s[54:55], 2
	s_add_u32 s4, s22, s4
	s_addc_u32 s5, s23, s5
	s_load_b32 s57, s[4:5], 0x0
.LBB49_7:
	s_cmp_eq_u64 s[28:29], 0
	s_cbranch_scc1 .LBB49_9
; %bb.8:
	s_ashr_i32 s55, s54, 31
	s_delay_alu instid0(SALU_CYCLE_1) | instskip(NEXT) | instid1(SALU_CYCLE_1)
	s_lshl_b64 s[4:5], s[54:55], 2
	s_add_u32 s4, s28, s4
	s_addc_u32 s5, s29, s5
	s_load_b32 s56, s[4:5], 0x0
.LBB49_9:
	s_cmp_lt_i32 s34, 1
	s_cbranch_scc1 .LBB49_88
; %bb.10:
	s_sub_i32 s3, 0, s8
	s_load_b256 s[36:43], s[0:1], 0x4c
	s_mul_i32 s3, s3, s10
	s_abs_i32 s4, s54
	s_mul_hi_u32 s3, s10, s3
	s_ashr_i32 s6, s9, 31
	s_add_i32 s10, s10, s3
	s_ashr_i32 s3, s54, 31
	s_mul_hi_u32 s5, s4, s10
	s_xor_b32 s3, s3, s6
	s_mul_i32 s7, s5, s8
	s_add_i32 s6, s5, 1
	s_sub_i32 s4, s4, s7
	s_load_b256 s[44:51], s[0:1], 0x2c
	s_sub_i32 s7, s4, s8
	s_cmp_ge_u32 s4, s8
	s_mov_b32 s53, 0
	s_cselect_b32 s5, s6, s5
	s_cselect_b32 s4, s7, s4
	s_add_i32 s6, s5, 1
	s_cmp_ge_u32 s4, s8
	s_waitcnt lgkmcnt(0)
	s_mul_i32 s52, s38, s14
	s_cselect_b32 s6, s6, s5
	s_lshl_b64 s[4:5], s[52:53], 1
	s_xor_b32 s6, s6, s3
	s_mul_i32 s52, s39, s54
	s_sub_i32 s3, s6, s3
	s_add_u32 s6, s24, s4
	s_addc_u32 s7, s25, s5
	s_lshl_b64 s[4:5], s[52:53], 1
	s_mul_i32 s52, s40, s14
	s_add_u32 s51, s6, s4
	s_addc_u32 s55, s7, s5
	s_lshl_b64 s[4:5], s[52:53], 1
	s_mul_i32 s52, s41, s54
	;; [unrolled: 4-line block ×3, first 2 shown]
	s_add_u32 s58, s6, s4
	s_addc_u32 s44, s7, s5
	s_clause 0x1
	s_load_b64 s[6:7], s[0:1], 0x7c
	s_load_b32 s62, s[0:1], 0x84
	s_lshl_b64 s[4:5], s[52:53], 2
	s_mul_i32 s52, s46, s14
	s_add_u32 s59, s16, s4
	s_addc_u32 s60, s17, s5
	s_lshl_b64 s[4:5], s[52:53], 1
	s_mul_i32 s52, s3, s49
	s_load_b128 s[24:27], s[0:1], 0xc8
	s_add_u32 s8, s18, s4
	s_addc_u32 s9, s19, s5
	s_lshl_b64 s[4:5], s[52:53], 1
	s_mul_i32 s52, s50, s14
	s_add_u32 s49, s8, s4
	v_dual_mov_b32 v42, 0 :: v_dual_lshlrev_b32 v1, 1, v0
	s_addc_u32 s50, s9, s5
	s_lshl_b64 s[4:5], s[52:53], 1
	s_mul_i32 s52, s3, s37
	s_add_u32 s8, s20, s4
	s_addc_u32 s3, s21, s5
	s_lshl_b64 s[4:5], s[52:53], 1
	s_load_b128 s[16:19], s[0:1], 0x6c
	s_waitcnt lgkmcnt(0)
	s_mul_i32 s52, s2, s6
	s_load_b32 s6, s[0:1], 0x28
	v_mbcnt_lo_u32_b32 v2, -1, 0
	v_and_b32_e32 v1, 64, v1
	s_add_u32 s37, s8, s4
	s_addc_u32 s61, s3, s5
	s_lshl_b64 s[2:3], s[52:53], 2
	v_and_b32_e32 v4, 32, v0
	v_or_b32_e32 v3, v2, v1
	s_mul_i32 s52, s7, s54
	s_load_b64 s[20:21], s[0:1], 0xd8
	s_add_u32 s4, s24, s2
	s_addc_u32 s5, s25, s3
	v_or_b32_e32 v6, 32, v3
	s_lshl_b64 s[2:3], s[52:53], 2
	v_lshrrev_b32_e32 v5, 5, v1
	s_add_u32 s63, s4, s2
	v_or_b32_e32 v7, v2, v4
	v_lshrrev_b32_e32 v8, 5, v6
	s_addc_u32 s64, s5, s3
	s_add_i32 s2, s34, 0x7ff
	v_cmp_gt_u32_e64 s0, 0x80, v3
	s_lshr_b32 s65, s2, 11
	s_waitcnt lgkmcnt(0)
	s_bitcmp1_b32 s6, 0
	v_add_nc_u32_e32 v5, v5, v3
	v_lshlrev_b32_e32 v9, 1, v7
	v_bfe_u32 v7, v7, 4, 27
	v_add_lshl_u32 v3, v8, v3, 4
	s_cselect_b32 s66, -1, 0
	s_cmp_gt_i32 s35, 0
	v_lshl_add_u32 v43, v5, 4, 0
	s_cselect_b32 s67, -1, 0
	s_add_i32 s2, 0, 0x840
	v_add_lshl_u32 v5, v7, v9, 4
	v_add_nc_u32_e32 v44, 0, v3
	v_add_nc_u32_e32 v46, s2, v3
	v_and_b32_e32 v3, 15, v2
	s_and_b32 s3, s34, 0x3ff
	v_add_nc_u32_e32 v47, s2, v5
	s_cmp_eq_u32 s3, 0
	s_mul_i32 s52, s16, s14
	v_cmp_ne_u32_e64 s2, 0, v3
	v_cmp_lt_u32_e64 s3, 1, v3
	v_cmp_lt_u32_e64 s4, 3, v3
	;; [unrolled: 1-line block ×3, first 2 shown]
	v_add_nc_u32_e32 v3, -1, v2
	s_cselect_b32 s68, -1, 0
	s_lshl_b64 s[22:23], s[52:53], 1
	v_add_nc_u32_e32 v45, 0, v5
	v_lshrrev_b32_e32 v5, 2, v0
	v_cmp_gt_i32_e32 vcc_lo, 0, v3
	s_add_i32 s69, s65, -1
	s_mul_i32 s52, s17, s54
	s_add_u32 s15, s30, s22
	s_addc_u32 s22, s31, s23
	v_cndmask_b32_e32 v3, v3, v2, vcc_lo
	v_or_b32_e32 v4, 31, v4
	s_lshl_b64 s[16:17], s[52:53], 1
	s_mul_i32 s52, s42, s14
	v_lshlrev_b32_e32 v48, 4, v0
	v_cmp_gt_u32_e64 s8, 2, v0
	v_cmp_eq_u32_e64 s7, v4, v0
	v_lshl_add_u32 v50, v0, 3, 0
	v_cmp_gt_u32_e64 s10, 32, v0
	v_cmp_lt_u32_e64 s11, 31, v0
	v_cmp_eq_u32_e64 s12, 0, v0
	s_add_u32 s15, s15, s16
	v_lshlrev_b32_e32 v0, 4, v2
	v_and_b32_e32 v5, 8, v5
	s_addc_u32 s22, s22, s17
	s_lshl_b64 s[16:17], s[52:53], 1
	v_and_b32_e32 v4, 1, v2
	s_mul_i32 s52, s43, s54
	s_add_u32 s23, s26, s16
	s_addc_u32 s24, s27, s17
	s_lshl_b64 s[16:17], s[52:53], 1
	v_lshlrev_b32_e32 v51, 2, v3
	v_add_co_u32 v3, s15, s15, v0
	s_mul_i32 s52, s18, s14
	v_add_nc_u32_e32 v49, 0, v5
	s_add_u32 s16, s23, s16
	v_lshlrev_b32_e32 v5, 4, v1
	v_cmp_eq_u32_e64 s9, 0, v4
	v_add_co_ci_u32_e64 v4, null, s22, 0, s15
	s_addc_u32 s17, s24, s17
	s_lshl_b64 s[14:15], s[52:53], 1
	s_mul_i32 s52, s19, s54
	s_add_u32 s18, s20, s14
	s_addc_u32 s19, s21, s15
	s_lshl_b64 s[14:15], s[52:53], 1
	v_cmp_gt_u32_e64 s1, 0x80, v6
	v_and_b32_e32 v6, 16, v2
	v_add_co_u32 v52, vcc_lo, v3, v5
	v_add_co_u32 v3, s16, s16, v0
	s_add_u32 s14, s18, s14
	v_add_co_ci_u32_e32 v53, vcc_lo, 0, v4, vcc_lo
	v_add_co_ci_u32_e64 v4, null, s17, 0, s16
	s_addc_u32 s15, s19, s15
	v_add_co_u32 v0, s14, s14, v0
	v_cmp_ne_u32_e64 s6, 0, v6
	v_add_co_ci_u32_e64 v6, null, s15, 0, s14
	v_add_co_u32 v54, vcc_lo, v3, v5
	v_add_co_ci_u32_e32 v55, vcc_lo, 0, v4, vcc_lo
	v_add_co_u32 v56, vcc_lo, v0, v5
	v_cmp_eq_u32_e64 s13, 0, v2
	v_add_co_ci_u32_e32 v57, vcc_lo, 0, v6, vcc_lo
	v_or_b32_e32 v58, 1, v48
	v_or_b32_e32 v59, 2, v48
	;; [unrolled: 1-line block ×15, first 2 shown]
	v_lshlrev_b32_e32 v73, 4, v2
	v_lshlrev_b32_e32 v74, 4, v1
	s_mov_b32 s54, 0x3e9b6dac
	s_add_i32 s70, 0, 0x1090
	s_mov_b32 s71, 0
                                        ; implicit-def: $vgpr4
                                        ; implicit-def: $vgpr0
                                        ; implicit-def: $vgpr12
                                        ; implicit-def: $vgpr8
                                        ; implicit-def: $vgpr20
                                        ; implicit-def: $vgpr16
	s_branch .LBB49_12
.LBB49_11:                              ;   in Loop: Header=BB49_12 Depth=1
	s_or_b32 exec_lo, exec_lo, s14
	s_waitcnt vmcnt(0)
	ds_store_b128 v43, v[4:7]
	ds_store_b128 v44, v[0:3] offset:512
	; wave barrier
	ds_load_b128 v[4:7], v45
	ds_load_b128 v[0:3], v45 offset:16
	s_waitcnt lgkmcnt(0)
	s_barrier
	buffer_gl0_inv
	s_add_u32 s58, s58, 0x800
	s_addc_u32 s44, s44, 0
	s_add_u32 s51, s51, 0x800
	s_addc_u32 s55, s55, 0
	;; [unrolled: 2-line block ×4, first 2 shown]
	s_add_i32 s71, s71, 1
	s_delay_alu instid0(SALU_CYCLE_1) | instskip(SKIP_1) | instid1(VALU_DEP_1)
	s_cmp_eq_u32 s71, s65
	v_and_b32_e32 v26, 0xffff0000, v5
	v_dual_mul_f32 v32, 0xbfb8aa3b, v26 :: v_dual_lshlrev_b32 v25, 16, v4
	s_delay_alu instid0(VALU_DEP_1) | instskip(NEXT) | instid1(VALU_DEP_2)
	v_mul_f32_e32 v31, 0xbfb8aa3b, v25
	v_rndne_f32_e32 v41, v32
	s_delay_alu instid0(VALU_DEP_2) | instskip(SKIP_2) | instid1(VALU_DEP_3)
	v_rndne_f32_e32 v38, v31
	v_and_b32_e32 v24, 0xffff0000, v4
	v_fma_f32 v39, 0xbfb8aa3b, v25, -v31
	v_sub_f32_e32 v31, v31, v38
	s_delay_alu instid0(VALU_DEP_3) | instskip(SKIP_1) | instid1(VALU_DEP_4)
	v_dual_mul_f32 v30, 0xbfb8aa3b, v24 :: v_dual_lshlrev_b32 v27, 16, v5
	v_cmp_nlt_f32_e32 vcc_lo, 0x42ce8ed0, v24
	v_fmac_f32_e32 v39, 0xb2a5705f, v25
	s_delay_alu instid0(VALU_DEP_3) | instskip(SKIP_2) | instid1(VALU_DEP_4)
	v_fma_f32 v36, 0xbfb8aa3b, v24, -v30
	v_rndne_f32_e32 v37, v30
	v_mul_f32_e32 v33, 0xbfb8aa3b, v27
	v_add_f32_e32 v31, v31, v39
	v_fma_f32 v40, 0xbfb8aa3b, v26, -v32
	v_fmac_f32_e32 v36, 0xb2a5705f, v24
	v_sub_f32_e32 v30, v30, v37
	v_rndne_f32_e32 v75, v33
	v_and_b32_e32 v28, 0xffff0000, v6
	v_fma_f32 v76, 0xbfb8aa3b, v27, -v33
	v_exp_f32_e32 v31, v31
	s_delay_alu instid0(VALU_DEP_3) | instskip(NEXT) | instid1(VALU_DEP_3)
	v_dual_add_f32 v30, v30, v36 :: v_dual_sub_f32 v33, v33, v75
	v_dual_mul_f32 v34, 0xbfb8aa3b, v28 :: v_dual_lshlrev_b32 v29, 16, v6
	v_cvt_i32_f32_e32 v36, v37
	s_delay_alu instid0(VALU_DEP_3)
	v_exp_f32_e32 v30, v30
	v_cvt_i32_f32_e32 v37, v38
	v_fmac_f32_e32 v76, 0xb2a5705f, v27
	v_fma_f32 v77, 0xbfb8aa3b, v28, -v34
	v_fmac_f32_e32 v40, 0xb2a5705f, v26
	v_sub_f32_e32 v32, v32, v41
	v_rndne_f32_e32 v78, v34
	v_add_f32_e32 v33, v33, v76
	v_fmac_f32_e32 v77, 0xb2a5705f, v28
	s_delay_alu instid0(VALU_DEP_4) | instskip(SKIP_3) | instid1(VALU_DEP_4)
	v_dual_mul_f32 v35, 0xbfb8aa3b, v29 :: v_dual_add_f32 v32, v32, v40
	v_ldexp_f32 v30, v30, v36
	v_ldexp_f32 v31, v31, v37
	v_cvt_i32_f32_e32 v38, v41
	v_rndne_f32_e32 v79, v35
	v_exp_f32_e32 v32, v32
	v_cndmask_b32_e32 v30, 0, v30, vcc_lo
	v_cmp_nlt_f32_e32 vcc_lo, 0x42ce8ed0, v25
	v_sub_f32_e32 v34, v34, v78
	v_exp_f32_e32 v33, v33
	v_cvt_i32_f32_e32 v39, v75
	v_fma_f32 v80, 0xbfb8aa3b, v29, -v35
	v_cndmask_b32_e32 v31, 0, v31, vcc_lo
	v_cmp_ngt_f32_e32 vcc_lo, 0xc2b17218, v24
	v_add_f32_e32 v34, v34, v77
	v_ldexp_f32 v32, v32, v38
	v_sub_f32_e32 v35, v35, v79
	v_cvt_i32_f32_e32 v36, v78
	v_cndmask_b32_e32 v30, 0x7f800000, v30, vcc_lo
	v_cmp_ngt_f32_e32 vcc_lo, 0xc2b17218, v25
	v_ldexp_f32 v33, v33, v39
	v_cvt_i32_f32_e32 v79, v79
	v_exp_f32_e32 v34, v34
	v_cndmask_b32_e32 v31, 0x7f800000, v31, vcc_lo
	v_cmp_nlt_f32_e32 vcc_lo, 0x42ce8ed0, v26
	s_delay_alu instid0(VALU_DEP_2)
	v_dual_add_f32 v31, 1.0, v31 :: v_dual_cndmask_b32 v32, 0, v32
	v_cmp_nlt_f32_e32 vcc_lo, 0x42ce8ed0, v27
	s_waitcnt_depctr 0xfff
	v_ldexp_f32 v34, v34, v36
	v_div_scale_f32 v38, null, v31, v31, v25
	v_cndmask_b32_e32 v33, 0, v33, vcc_lo
	v_cmp_ngt_f32_e32 vcc_lo, 0xc2b17218, v26
	v_div_scale_f32 v77, s14, v25, v31, v25
	s_delay_alu instid0(VALU_DEP_4) | instskip(SKIP_3) | instid1(VALU_DEP_1)
	v_rcp_f32_e32 v40, v38
	v_cndmask_b32_e32 v32, 0x7f800000, v32, vcc_lo
	v_cmp_ngt_f32_e32 vcc_lo, 0xc2b17218, v27
	v_dual_add_f32 v30, 1.0, v30 :: v_dual_cndmask_b32 v33, 0x7f800000, v33
	v_div_scale_f32 v37, null, v30, v30, v24
	s_waitcnt_depctr 0xfff
	v_fma_f32 v75, -v38, v40, 1.0
	v_div_scale_f32 v76, vcc_lo, v24, v30, v24
	v_rcp_f32_e32 v39, v37
	s_delay_alu instid0(VALU_DEP_2) | instskip(SKIP_1) | instid1(VALU_DEP_2)
	v_dual_add_f32 v33, 1.0, v33 :: v_dual_fmac_f32 v40, v75, v40
	v_fmac_f32_e32 v80, 0xb2a5705f, v29
	v_div_scale_f32 v75, null, v33, v33, v27
	s_delay_alu instid0(VALU_DEP_3) | instskip(NEXT) | instid1(VALU_DEP_3)
	v_mul_f32_e32 v81, v77, v40
	v_add_f32_e32 v35, v35, v80
	s_waitcnt_depctr 0xfff
	v_fma_f32 v41, -v37, v39, 1.0
	v_rcp_f32_e32 v82, v75
	v_fma_f32 v90, -v38, v81, v77
	v_exp_f32_e32 v35, v35
	s_delay_alu instid0(VALU_DEP_2) | instskip(NEXT) | instid1(VALU_DEP_1)
	v_fmac_f32_e32 v39, v41, v39
	v_dual_fmac_f32 v81, v90, v40 :: v_dual_mul_f32 v78, v76, v39
	s_delay_alu instid0(VALU_DEP_1) | instskip(NEXT) | instid1(VALU_DEP_2)
	v_fma_f32 v38, -v38, v81, v77
	v_fma_f32 v83, -v37, v78, v76
	s_delay_alu instid0(VALU_DEP_1) | instskip(NEXT) | instid1(VALU_DEP_1)
	v_fmac_f32_e32 v78, v83, v39
	v_fma_f32 v37, -v37, v78, v76
	s_delay_alu instid0(TRANS32_DEP_2) | instskip(NEXT) | instid1(VALU_DEP_2)
	v_fma_f32 v76, -v75, v82, 1.0
	v_div_fmas_f32 v37, v37, v39, v78
	s_mov_b32 vcc_lo, s14
	s_delay_alu instid0(VALU_DEP_2)
	v_fmac_f32_e32 v82, v76, v82
	v_div_fmas_f32 v38, v38, v40, v81
	v_cmp_nlt_f32_e32 vcc_lo, 0x42ce8ed0, v28
	v_div_fixup_f32 v24, v37, v30, v24
	v_div_scale_f32 v30, s14, v27, v33, v27
	v_add_f32_e32 v32, 1.0, v32
	v_div_fixup_f32 v25, v38, v31, v25
	v_ldexp_f32 v31, v35, v79
	s_delay_alu instid0(VALU_DEP_4) | instskip(SKIP_3) | instid1(VALU_DEP_4)
	v_mul_f32_e32 v35, v30, v82
	v_cndmask_b32_e32 v34, 0, v34, vcc_lo
	v_div_scale_f32 v41, null, v32, v32, v26
	v_div_scale_f32 v36, s15, v26, v32, v26
	v_fma_f32 v40, -v75, v35, v30
	s_delay_alu instid0(VALU_DEP_3) | instskip(SKIP_2) | instid1(VALU_DEP_3)
	v_rcp_f32_e32 v80, v41
	v_cmp_ngt_f32_e32 vcc_lo, 0xc2b17218, v28
	v_mul_f32_e32 v25, v102, v25
	v_fmac_f32_e32 v35, v40, v82
	v_cndmask_b32_e32 v34, 0x7f800000, v34, vcc_lo
	v_cmp_nlt_f32_e32 vcc_lo, 0x42ce8ed0, v29
	v_mul_f32_e32 v24, v103, v24
	s_delay_alu instid0(VALU_DEP_4) | instskip(NEXT) | instid1(TRANS32_DEP_1)
	v_fma_f32 v30, -v75, v35, v30
	v_fma_f32 v83, -v41, v80, 1.0
	v_cndmask_b32_e32 v31, 0, v31, vcc_lo
	s_mov_b32 vcc_lo, s15
	v_bfe_u32 v39, v24, 16, 1
	s_delay_alu instid0(VALU_DEP_3) | instskip(NEXT) | instid1(VALU_DEP_2)
	v_fmac_f32_e32 v80, v83, v80
	v_add3_u32 v39, v24, v39, 0x7fff
	s_delay_alu instid0(VALU_DEP_2) | instskip(NEXT) | instid1(VALU_DEP_2)
	v_mul_f32_e32 v37, v36, v80
	v_lshrrev_b32_e32 v39, 16, v39
	s_delay_alu instid0(VALU_DEP_2) | instskip(NEXT) | instid1(VALU_DEP_1)
	v_fma_f32 v38, -v41, v37, v36
	v_fmac_f32_e32 v37, v38, v80
	v_bfe_u32 v38, v25, 16, 1
	s_delay_alu instid0(VALU_DEP_2) | instskip(NEXT) | instid1(VALU_DEP_2)
	v_fma_f32 v36, -v41, v37, v36
	v_add3_u32 v38, v25, v38, 0x7fff
	s_delay_alu instid0(VALU_DEP_2) | instskip(SKIP_1) | instid1(VALU_DEP_2)
	v_div_fmas_f32 v36, v36, v80, v37
	v_cmp_ngt_f32_e32 vcc_lo, 0xc2b17218, v29
	v_div_fixup_f32 v26, v36, v32, v26
	v_cndmask_b32_e32 v31, 0x7f800000, v31, vcc_lo
	s_mov_b32 vcc_lo, s14
	v_div_fmas_f32 v30, v30, v82, v35
	s_delay_alu instid0(VALU_DEP_2) | instskip(SKIP_2) | instid1(VALU_DEP_4)
	v_dual_mul_f32 v26, v100, v26 :: v_dual_add_f32 v31, 1.0, v31
	v_lshrrev_b32_e32 v35, 16, v38
	v_cmp_o_f32_e32 vcc_lo, v24, v24
	v_div_fixup_f32 v27, v30, v33, v27
	v_add_f32_e32 v34, 1.0, v34
	v_div_scale_f32 v30, null, v31, v31, v29
	v_div_scale_f32 v78, s14, v29, v31, v29
	s_delay_alu instid0(VALU_DEP_4) | instskip(NEXT) | instid1(VALU_DEP_4)
	v_mul_f32_e32 v27, v99, v27
	v_div_scale_f32 v37, null, v34, v34, v28
	s_delay_alu instid0(VALU_DEP_4) | instskip(NEXT) | instid1(VALU_DEP_2)
	v_rcp_f32_e32 v32, v30
	v_bfe_u32 v36, v27, 16, 1
	s_delay_alu instid0(VALU_DEP_2) | instskip(NEXT) | instid1(VALU_DEP_1)
	v_rcp_f32_e32 v38, v37
	v_add3_u32 v36, v27, v36, 0x7fff
	s_waitcnt_depctr 0xfff
	v_fma_f32 v40, -v30, v32, 1.0
	v_lshrrev_b32_e32 v36, 16, v36
	v_fma_f32 v33, -v37, v38, 1.0
	s_delay_alu instid0(VALU_DEP_3) | instskip(SKIP_1) | instid1(VALU_DEP_3)
	v_fmac_f32_e32 v32, v40, v32
	v_lshlrev_b32_e32 v40, 16, v7
	v_dual_fmac_f32 v38, v33, v38 :: v_dual_and_b32 v33, 0xffff0000, v7
	v_cndmask_b32_e32 v24, 0x7fc0, v39, vcc_lo
	v_cmp_o_f32_e32 vcc_lo, v25, v25
	v_mul_f32_e32 v81, v78, v32
	s_delay_alu instid0(VALU_DEP_4) | instskip(SKIP_2) | instid1(VALU_DEP_3)
	v_mul_f32_e32 v41, 0xbfb8aa3b, v33
	v_cndmask_b32_e32 v25, 0x7fc0, v35, vcc_lo
	v_div_scale_f32 v39, vcc_lo, v28, v34, v28
	v_fma_f32 v76, 0xbfb8aa3b, v33, -v41
	v_rndne_f32_e32 v77, v41
	v_bfe_u32 v35, v26, 16, 1
	s_delay_alu instid0(VALU_DEP_4)
	v_mul_f32_e32 v75, v39, v38
	v_perm_b32 v25, v24, v25, 0x5040100
	v_fmac_f32_e32 v76, 0xb2a5705f, v33
	v_sub_f32_e32 v41, v41, v77
	v_add3_u32 v35, v26, v35, 0x7fff
	v_fma_f32 v80, -v37, v75, v39
	s_delay_alu instid0(VALU_DEP_3) | instskip(SKIP_1) | instid1(VALU_DEP_3)
	v_add_f32_e32 v41, v41, v76
	v_fma_f32 v76, -v30, v81, v78
	v_fmac_f32_e32 v75, v80, v38
	v_lshrrev_b32_e32 v35, 16, v35
	s_delay_alu instid0(VALU_DEP_4) | instskip(NEXT) | instid1(VALU_DEP_3)
	v_exp_f32_e32 v41, v41
	v_fmac_f32_e32 v81, v76, v32
	s_delay_alu instid0(VALU_DEP_3) | instskip(SKIP_1) | instid1(VALU_DEP_3)
	v_fma_f32 v37, -v37, v75, v39
	v_cvt_i32_f32_e32 v76, v77
	v_fma_f32 v30, -v30, v81, v78
	s_delay_alu instid0(VALU_DEP_3) | instskip(SKIP_1) | instid1(VALU_DEP_2)
	v_div_fmas_f32 v37, v37, v38, v75
	s_mov_b32 vcc_lo, s14
	v_div_fmas_f32 v30, v30, v32, v81
	v_cmp_nlt_f32_e32 vcc_lo, 0x42ce8ed0, v33
	v_mul_f32_e32 v79, 0xbfb8aa3b, v40
	v_div_fixup_f32 v28, v37, v34, v28
	s_delay_alu instid0(VALU_DEP_4) | instskip(NEXT) | instid1(VALU_DEP_3)
	v_div_fixup_f32 v29, v30, v31, v29
	v_rndne_f32_e32 v82, v79
	v_fma_f32 v83, 0xbfb8aa3b, v40, -v79
	s_delay_alu instid0(VALU_DEP_2) | instskip(NEXT) | instid1(VALU_DEP_2)
	v_dual_mul_f32 v28, v97, v28 :: v_dual_sub_f32 v79, v79, v82
	v_fmac_f32_e32 v83, 0xb2a5705f, v40
	s_delay_alu instid0(VALU_DEP_1) | instskip(NEXT) | instid1(VALU_DEP_1)
	v_add_f32_e32 v39, v79, v83
	v_exp_f32_e32 v38, v39
	v_ldexp_f32 v39, v41, v76
	v_cvt_i32_f32_e32 v41, v82
	s_delay_alu instid0(VALU_DEP_2)
	v_cndmask_b32_e32 v32, 0, v39, vcc_lo
	v_cmp_ngt_f32_e32 vcc_lo, 0xc2b17218, v33
	s_waitcnt_depctr 0xfff
	v_ldexp_f32 v34, v38, v41
	v_cndmask_b32_e32 v30, 0x7f800000, v32, vcc_lo
	v_cmp_nlt_f32_e32 vcc_lo, 0x42ce8ed0, v40
	v_bfe_u32 v32, v28, 16, 1
	s_delay_alu instid0(VALU_DEP_3) | instskip(SKIP_2) | instid1(VALU_DEP_4)
	v_add_f32_e32 v30, 1.0, v30
	v_cndmask_b32_e32 v31, 0, v34, vcc_lo
	v_cmp_ngt_f32_e32 vcc_lo, 0xc2b17218, v40
	v_add3_u32 v32, v28, v32, 0x7fff
	s_delay_alu instid0(VALU_DEP_4) | instskip(NEXT) | instid1(VALU_DEP_4)
	v_div_scale_f32 v34, null, v30, v30, v33
	v_cndmask_b32_e32 v31, 0x7f800000, v31, vcc_lo
	v_cmp_o_f32_e32 vcc_lo, v26, v26
	s_delay_alu instid0(VALU_DEP_4) | instskip(NEXT) | instid1(VALU_DEP_4)
	v_lshrrev_b32_e32 v32, 16, v32
	v_rcp_f32_e32 v38, v34
	v_cndmask_b32_e32 v26, 0x7fc0, v35, vcc_lo
	v_cmp_o_f32_e32 vcc_lo, v27, v27
	v_cndmask_b32_e32 v36, 0x7fc0, v36, vcc_lo
	v_cmp_o_f32_e32 vcc_lo, v28, v28
	v_dual_mul_f32 v29, v98, v29 :: v_dual_and_b32 v28, 0xffff0000, v0
	s_waitcnt_depctr 0xfff
	v_fma_f32 v27, -v34, v38, 1.0
	v_perm_b32 v26, v26, v36, 0x5040100
	v_cndmask_b32_e32 v32, 0x7fc0, v32, vcc_lo
	v_mul_f32_e32 v75, 0xbfb8aa3b, v28
	v_bfe_u32 v37, v29, 16, 1
	v_fmac_f32_e32 v38, v27, v38
	v_div_scale_f32 v27, vcc_lo, v33, v30, v33
	s_delay_alu instid0(VALU_DEP_4)
	v_fma_f32 v76, 0xbfb8aa3b, v28, -v75
	v_add_f32_e32 v31, 1.0, v31
	v_add3_u32 v35, v29, v37, 0x7fff
	v_cmp_o_f32_e64 s14, v29, v29
	v_rndne_f32_e32 v77, v75
	v_fmac_f32_e32 v76, 0xb2a5705f, v28
	v_div_scale_f32 v39, null, v31, v31, v40
	v_lshrrev_b32_e32 v35, 16, v35
	s_delay_alu instid0(VALU_DEP_4) | instskip(NEXT) | instid1(VALU_DEP_3)
	v_sub_f32_e32 v75, v75, v77
	v_rcp_f32_e32 v37, v39
	s_delay_alu instid0(VALU_DEP_2) | instskip(SKIP_3) | instid1(VALU_DEP_3)
	v_cndmask_b32_e64 v29, 0x7fc0, v35, s14
	v_mul_f32_e32 v35, v27, v38
	v_div_scale_f32 v78, s14, v40, v31, v40
	v_add_f32_e32 v75, v75, v76
	v_fma_f32 v80, -v34, v35, v27
	s_waitcnt_depctr 0xfff
	v_fma_f32 v41, -v39, v37, 1.0
	v_fmac_f32_e32 v35, v80, v38
	s_delay_alu instid0(VALU_DEP_2) | instskip(NEXT) | instid1(VALU_DEP_2)
	v_fmac_f32_e32 v37, v41, v37
	v_fma_f32 v27, -v34, v35, v27
	v_cvt_i32_f32_e32 v34, v77
	s_delay_alu instid0(VALU_DEP_3) | instskip(NEXT) | instid1(VALU_DEP_3)
	v_mul_f32_e32 v81, v78, v37
	v_div_fmas_f32 v27, v27, v38, v35
	s_mov_b32 vcc_lo, s14
	s_delay_alu instid0(VALU_DEP_2) | instskip(NEXT) | instid1(VALU_DEP_2)
	v_fma_f32 v76, -v39, v81, v78
	v_div_fixup_f32 v27, v27, v30, v33
	s_delay_alu instid0(VALU_DEP_2) | instskip(NEXT) | instid1(VALU_DEP_1)
	v_fmac_f32_e32 v81, v76, v37
	v_fma_f32 v35, -v39, v81, v78
	v_lshlrev_b32_e32 v78, 16, v1
	v_exp_f32_e32 v75, v75
	s_delay_alu instid0(VALU_DEP_1) | instskip(NEXT) | instid1(VALU_DEP_3)
	v_mul_f32_e32 v80, 0xbfb8aa3b, v78
	v_div_fmas_f32 v35, v35, v37, v81
	v_cmp_nlt_f32_e32 vcc_lo, 0x42ce8ed0, v28
	s_delay_alu instid0(VALU_DEP_3) | instskip(SKIP_4) | instid1(VALU_DEP_3)
	v_rndne_f32_e32 v81, v80
	s_waitcnt_depctr 0xfff
	v_ldexp_f32 v34, v75, v34
	v_lshlrev_b32_e32 v41, 16, v0
	v_div_fixup_f32 v30, v35, v31, v40
	v_cndmask_b32_e32 v34, 0, v34, vcc_lo
	v_cmp_ngt_f32_e32 vcc_lo, 0xc2b17218, v28
	s_delay_alu instid0(VALU_DEP_3) | instskip(NEXT) | instid1(VALU_DEP_3)
	v_mul_f32_e32 v30, v94, v30
	v_cndmask_b32_e32 v33, 0x7f800000, v34, vcc_lo
	v_and_b32_e32 v34, 0xffff0000, v1
	s_delay_alu instid0(VALU_DEP_3) | instskip(NEXT) | instid1(VALU_DEP_3)
	v_bfe_u32 v39, v30, 16, 1
	v_add_f32_e32 v33, 1.0, v33
	s_delay_alu instid0(VALU_DEP_3) | instskip(NEXT) | instid1(VALU_DEP_3)
	v_cmp_nlt_f32_e64 s15, 0x42ce8ed0, v34
	v_add3_u32 v39, v30, v39, 0x7fff
	s_delay_alu instid0(VALU_DEP_3) | instskip(NEXT) | instid1(VALU_DEP_2)
	v_div_scale_f32 v35, null, v33, v33, v28
	v_lshrrev_b32_e32 v39, 16, v39
	s_delay_alu instid0(VALU_DEP_2) | instskip(SKIP_1) | instid1(VALU_DEP_1)
	v_rcp_f32_e32 v40, v35
	v_mul_f32_e32 v79, 0xbfb8aa3b, v41
	v_rndne_f32_e32 v82, v79
	v_fma_f32 v83, 0xbfb8aa3b, v41, -v79
	s_delay_alu instid0(VALU_DEP_2)
	v_sub_f32_e32 v79, v79, v82
	v_cvt_i32_f32_e32 v37, v82
	v_fma_f32 v82, 0xbfb8aa3b, v78, -v80
	v_sub_f32_e32 v80, v80, v81
	v_fmac_f32_e32 v83, 0xb2a5705f, v41
	v_cmp_nlt_f32_e32 vcc_lo, 0x42ce8ed0, v41
	v_cvt_i32_f32_e32 v81, v81
	v_fmac_f32_e32 v82, 0xb2a5705f, v78
	s_delay_alu instid0(VALU_DEP_4) | instskip(NEXT) | instid1(VALU_DEP_1)
	v_add_f32_e32 v76, v79, v83
	v_exp_f32_e32 v38, v76
	s_waitcnt_depctr 0xfff
	v_ldexp_f32 v31, v38, v37
	v_mul_f32_e32 v37, 0xbfb8aa3b, v34
	s_delay_alu instid0(VALU_DEP_2) | instskip(SKIP_1) | instid1(VALU_DEP_3)
	v_cndmask_b32_e32 v31, 0, v31, vcc_lo
	v_cmp_ngt_f32_e32 vcc_lo, 0xc2b17218, v41
	v_fma_f32 v75, 0xbfb8aa3b, v34, -v37
	v_rndne_f32_e32 v76, v37
	s_delay_alu instid0(VALU_DEP_4) | instskip(NEXT) | instid1(VALU_DEP_3)
	v_cndmask_b32_e32 v31, 0x7f800000, v31, vcc_lo
	v_fmac_f32_e32 v75, 0xb2a5705f, v34
	s_delay_alu instid0(VALU_DEP_3) | instskip(SKIP_3) | instid1(VALU_DEP_4)
	v_sub_f32_e32 v37, v37, v76
	v_cvt_i32_f32_e32 v76, v76
	v_div_scale_f32 v83, vcc_lo, v28, v33, v28
	v_add_f32_e32 v31, 1.0, v31
	v_add_f32_e32 v37, v37, v75
	v_fma_f32 v75, -v35, v40, 1.0
	s_delay_alu instid0(VALU_DEP_3) | instskip(NEXT) | instid1(VALU_DEP_3)
	v_div_scale_f32 v77, null, v31, v31, v41
	v_exp_f32_e32 v37, v37
	s_delay_alu instid0(VALU_DEP_2) | instskip(NEXT) | instid1(VALU_DEP_2)
	v_fmac_f32_e32 v40, v75, v40
	v_rcp_f32_e32 v79, v77
	s_waitcnt_depctr 0xfff
	v_ldexp_f32 v37, v37, v76
	v_div_scale_f32 v76, s14, v41, v31, v41
	v_fma_f32 v75, -v77, v79, 1.0
	s_delay_alu instid0(VALU_DEP_3) | instskip(SKIP_1) | instid1(VALU_DEP_3)
	v_cndmask_b32_e64 v37, 0, v37, s15
	v_cmp_ngt_f32_e64 s15, 0xc2b17218, v34
	v_fmac_f32_e32 v79, v75, v79
	v_dual_add_f32 v75, v80, v82 :: v_dual_mul_f32 v80, v83, v40
	s_delay_alu instid0(VALU_DEP_3) | instskip(SKIP_1) | instid1(VALU_DEP_4)
	v_cndmask_b32_e64 v37, 0x7f800000, v37, s15
	v_cmp_nlt_f32_e64 s15, 0x42ce8ed0, v78
	v_mul_f32_e32 v82, v76, v79
	s_delay_alu instid0(VALU_DEP_4) | instskip(SKIP_2) | instid1(VALU_DEP_3)
	v_exp_f32_e32 v75, v75
	v_fma_f32 v90, -v35, v80, v83
	v_add_f32_e32 v37, 1.0, v37
	v_fma_f32 v93, -v77, v82, v76
	s_delay_alu instid0(VALU_DEP_3) | instskip(NEXT) | instid1(VALU_DEP_2)
	v_fmac_f32_e32 v80, v90, v40
	v_fmac_f32_e32 v82, v93, v79
	s_waitcnt_depctr 0xfff
	v_ldexp_f32 v75, v75, v81
	v_fma_f32 v35, -v35, v80, v83
	v_div_scale_f32 v81, null, v37, v37, v34
	v_fma_f32 v76, -v77, v82, v76
	s_delay_alu instid0(VALU_DEP_4)
	v_cndmask_b32_e64 v75, 0, v75, s15
	v_cmp_ngt_f32_e64 s15, 0xc2b17218, v78
	v_div_fmas_f32 v35, v35, v40, v80
	s_mov_b32 vcc_lo, s14
	v_cmp_o_f32_e64 s14, v30, v30
	v_rcp_f32_e32 v77, v81
	v_cndmask_b32_e64 v75, 0x7f800000, v75, s15
	v_div_fixup_f32 v28, v35, v33, v28
	s_delay_alu instid0(VALU_DEP_3) | instskip(NEXT) | instid1(VALU_DEP_3)
	v_cndmask_b32_e64 v30, 0x7fc0, v39, s14
	v_add_f32_e32 v40, 1.0, v75
	v_div_fmas_f32 v75, v76, v79, v82
	s_waitcnt_depctr 0xfff
	v_fma_f32 v79, -v81, v77, 1.0
	v_div_scale_f32 v76, null, v40, v40, v78
	v_div_fixup_f32 v31, v75, v31, v41
	s_delay_alu instid0(VALU_DEP_3) | instskip(NEXT) | instid1(VALU_DEP_3)
	v_fmac_f32_e32 v77, v79, v77
	v_rcp_f32_e32 v33, v76
	s_delay_alu instid0(VALU_DEP_2) | instskip(NEXT) | instid1(VALU_DEP_1)
	v_mul_f32_e32 v31, v91, v31
	v_bfe_u32 v75, v31, 16, 1
	s_waitcnt_depctr 0xfff
	v_fma_f32 v41, -v76, v33, 1.0
	s_delay_alu instid0(VALU_DEP_1) | instskip(SKIP_2) | instid1(VALU_DEP_1)
	v_fmac_f32_e32 v33, v41, v33
	v_div_scale_f32 v41, s14, v78, v40, v78
	v_mul_f32_e32 v27, v95, v27
	v_bfe_u32 v38, v27, 16, 1
	v_cmp_o_f32_e32 vcc_lo, v27, v27
	s_delay_alu instid0(VALU_DEP_2) | instskip(NEXT) | instid1(VALU_DEP_1)
	v_add3_u32 v38, v27, v38, 0x7fff
	v_lshrrev_b32_e32 v38, 16, v38
	s_delay_alu instid0(VALU_DEP_1) | instskip(SKIP_2) | instid1(VALU_DEP_3)
	v_cndmask_b32_e32 v27, 0x7fc0, v38, vcc_lo
	v_div_scale_f32 v35, vcc_lo, v34, v37, v34
	v_mul_f32_e32 v38, v92, v28
	v_perm_b32 v28, v27, v30, 0x5040100
	s_delay_alu instid0(VALU_DEP_3) | instskip(SKIP_1) | instid1(VALU_DEP_4)
	v_mul_f32_e32 v39, v35, v77
	v_perm_b32 v27, v32, v29, 0x5040100
	v_bfe_u32 v30, v38, 16, 1
	v_mul_f32_e32 v32, v41, v33
	s_delay_alu instid0(VALU_DEP_4) | instskip(NEXT) | instid1(VALU_DEP_3)
	v_fma_f32 v79, -v81, v39, v35
	v_add3_u32 v29, v38, v30, 0x7fff
	v_add3_u32 v30, v31, v75, 0x7fff
	s_delay_alu instid0(VALU_DEP_4) | instskip(NEXT) | instid1(VALU_DEP_4)
	v_fma_f32 v36, -v76, v32, v41
	v_fmac_f32_e32 v39, v79, v77
	v_and_b32_e32 v75, 0xffff0000, v2
	v_lshrrev_b32_e32 v29, 16, v29
	s_delay_alu instid0(VALU_DEP_4) | instskip(NEXT) | instid1(VALU_DEP_4)
	v_dual_fmac_f32 v32, v36, v33 :: v_dual_and_b32 v79, 0xffff0000, v3
	v_fma_f32 v35, -v81, v39, v35
	s_delay_alu instid0(VALU_DEP_4) | instskip(SKIP_1) | instid1(VALU_DEP_4)
	v_mul_f32_e32 v36, 0xbfb8aa3b, v75
	v_lshrrev_b32_e32 v30, 16, v30
	v_mul_f32_e32 v80, 0xbfb8aa3b, v79
	s_delay_alu instid0(VALU_DEP_4) | instskip(SKIP_2) | instid1(VALU_DEP_3)
	v_div_fmas_f32 v35, v35, v77, v39
	v_lshlrev_b32_e32 v39, 16, v2
	v_cmp_o_f32_e32 vcc_lo, v38, v38
	v_div_fixup_f32 v34, v35, v37, v34
	s_delay_alu instid0(VALU_DEP_3)
	v_mul_f32_e32 v38, 0xbfb8aa3b, v39
	v_fma_f32 v35, -v76, v32, v41
	v_fma_f32 v37, 0xbfb8aa3b, v75, -v36
	v_rndne_f32_e32 v41, v36
	v_cndmask_b32_e32 v29, 0x7fc0, v29, vcc_lo
	v_rndne_f32_e32 v76, v38
	v_fma_f32 v77, 0xbfb8aa3b, v39, -v38
	s_delay_alu instid0(VALU_DEP_4) | instskip(SKIP_1) | instid1(VALU_DEP_2)
	v_dual_fmac_f32 v37, 0xb2a5705f, v75 :: v_dual_sub_f32 v36, v36, v41
	s_mov_b32 vcc_lo, s14
	v_dual_sub_f32 v38, v38, v76 :: v_dual_fmac_f32 v77, 0xb2a5705f, v39
	v_div_fmas_f32 v32, v35, v33, v32
	s_delay_alu instid0(VALU_DEP_3) | instskip(SKIP_1) | instid1(VALU_DEP_4)
	v_dual_add_f32 v33, v36, v37 :: v_dual_lshlrev_b32 v36, 16, v3
	v_fma_f32 v37, 0xbfb8aa3b, v79, -v80
	v_add_f32_e32 v35, v38, v77
	v_rndne_f32_e32 v38, v80
	s_delay_alu instid0(VALU_DEP_4)
	v_exp_f32_e32 v33, v33
	v_cvt_i32_f32_e32 v41, v41
	v_mul_f32_e32 v77, 0xbfb8aa3b, v36
	v_exp_f32_e32 v35, v35
	v_dual_fmac_f32 v37, 0xb2a5705f, v79 :: v_dual_sub_f32 v80, v80, v38
	v_cvt_i32_f32_e32 v76, v76
	v_cmp_nlt_f32_e32 vcc_lo, 0x42ce8ed0, v75
	v_rndne_f32_e32 v81, v77
	v_fma_f32 v82, 0xbfb8aa3b, v36, -v77
	s_delay_alu instid0(TRANS32_DEP_2) | instskip(SKIP_2) | instid1(TRANS32_DEP_1)
	v_ldexp_f32 v33, v33, v41
	v_add_f32_e32 v37, v80, v37
	v_cvt_i32_f32_e32 v38, v38
	v_ldexp_f32 v35, v35, v76
	v_sub_f32_e32 v41, v77, v81
	v_cndmask_b32_e32 v33, 0, v33, vcc_lo
	v_cmp_nlt_f32_e32 vcc_lo, 0x42ce8ed0, v39
	v_fmac_f32_e32 v82, 0xb2a5705f, v36
	v_exp_f32_e32 v37, v37
	v_div_fixup_f32 v32, v32, v40, v78
	v_dual_mul_f32 v34, v89, v34 :: v_dual_cndmask_b32 v35, 0, v35
	v_cmp_ngt_f32_e32 vcc_lo, 0xc2b17218, v75
	s_delay_alu instid0(VALU_DEP_3) | instskip(NEXT) | instid1(VALU_DEP_3)
	v_dual_add_f32 v41, v41, v82 :: v_dual_mul_f32 v32, v88, v32
	v_bfe_u32 v92, v34, 16, 1
	v_cndmask_b32_e32 v33, 0x7f800000, v33, vcc_lo
	v_cmp_ngt_f32_e32 vcc_lo, 0xc2b17218, v39
	s_delay_alu instid0(VALU_DEP_4) | instskip(NEXT) | instid1(TRANS32_DEP_2)
	v_exp_f32_e32 v41, v41
	v_ldexp_f32 v37, v37, v38
	v_cvt_i32_f32_e32 v38, v81
	v_add_f32_e32 v33, 1.0, v33
	v_cndmask_b32_e32 v35, 0x7f800000, v35, vcc_lo
	v_cmp_nlt_f32_e32 vcc_lo, 0x42ce8ed0, v79
	v_bfe_u32 v96, v32, 16, 1
	v_add3_u32 v92, v34, v92, 0x7fff
	s_delay_alu instid0(VALU_DEP_4) | instskip(SKIP_3) | instid1(VALU_DEP_4)
	v_add_f32_e32 v35, 1.0, v35
	v_cndmask_b32_e32 v37, 0, v37, vcc_lo
	v_cmp_ngt_f32_e32 vcc_lo, 0xc2b17218, v79
	v_ldexp_f32 v38, v41, v38
	v_div_scale_f32 v77, null, v35, v35, v39
	s_delay_alu instid0(VALU_DEP_4) | instskip(SKIP_1) | instid1(VALU_DEP_3)
	v_cndmask_b32_e32 v37, 0x7f800000, v37, vcc_lo
	v_cmp_nlt_f32_e32 vcc_lo, 0x42ce8ed0, v36
	v_rcp_f32_e32 v40, v77
	s_delay_alu instid0(VALU_DEP_2) | instskip(SKIP_1) | instid1(VALU_DEP_2)
	v_dual_add_f32 v37, 1.0, v37 :: v_dual_cndmask_b32 v38, 0, v38
	v_cmp_ngt_f32_e32 vcc_lo, 0xc2b17218, v36
	v_cndmask_b32_e32 v38, 0x7f800000, v38, vcc_lo
	s_waitcnt_depctr 0xfff
	v_fma_f32 v83, -v77, v40, 1.0
	v_add_f32_e32 v38, 1.0, v38
	s_delay_alu instid0(VALU_DEP_2) | instskip(SKIP_1) | instid1(VALU_DEP_3)
	v_fmac_f32_e32 v40, v83, v40
	v_div_scale_f32 v83, s14, v39, v35, v39
	v_div_scale_f32 v82, null, v38, v38, v36
	s_delay_alu instid0(VALU_DEP_2) | instskip(SKIP_1) | instid1(VALU_DEP_3)
	v_mul_f32_e32 v94, v83, v40
	v_div_scale_f32 v76, null, v33, v33, v75
	v_rcp_f32_e32 v89, v82
	s_delay_alu instid0(VALU_DEP_1) | instskip(SKIP_3) | instid1(VALU_DEP_2)
	v_rcp_f32_e32 v41, v76
	s_waitcnt_depctr 0xfff
	v_fma_f32 v91, -v82, v89, 1.0
	v_fma_f32 v78, -v76, v41, 1.0
	v_fmac_f32_e32 v89, v91, v89
	v_div_scale_f32 v91, s16, v36, v38, v36
	s_delay_alu instid0(VALU_DEP_3) | instskip(SKIP_1) | instid1(VALU_DEP_3)
	v_fmac_f32_e32 v41, v78, v41
	v_div_scale_f32 v78, vcc_lo, v75, v33, v75
	v_mul_f32_e32 v98, v91, v89
	v_div_scale_f32 v80, null, v37, v37, v79
	s_delay_alu instid0(VALU_DEP_3) | instskip(NEXT) | instid1(VALU_DEP_2)
	v_mul_f32_e32 v90, v78, v41
	v_rcp_f32_e32 v81, v80
	s_delay_alu instid0(VALU_DEP_1) | instskip(NEXT) | instid1(VALU_DEP_1)
	v_fma_f32 v93, -v76, v90, v78
	v_fmac_f32_e32 v90, v93, v41
	v_fma_f32 v93, -v77, v94, v83
	s_waitcnt_depctr 0xfff
	v_fma_f32 v88, -v80, v81, 1.0
	v_fma_f32 v76, -v76, v90, v78
	v_fmac_f32_e32 v94, v93, v40
	v_fma_f32 v78, -v82, v98, v91
	s_delay_alu instid0(VALU_DEP_4) | instskip(SKIP_4) | instid1(VALU_DEP_4)
	v_fmac_f32_e32 v81, v88, v81
	v_div_scale_f32 v88, s15, v79, v37, v79
	v_div_fmas_f32 v41, v76, v41, v90
	v_fma_f32 v76, -v77, v94, v83
	v_fmac_f32_e32 v98, v78, v89
	v_mul_f32_e32 v95, v88, v81
	s_mov_b32 vcc_lo, s14
	v_div_fixup_f32 v33, v41, v33, v75
	v_div_fmas_f32 v40, v76, v40, v94
	s_mov_b32 vcc_lo, s15
	v_fma_f32 v97, -v80, v95, v88
	v_fma_f32 v76, -v82, v98, v91
	v_mul_f32_e32 v33, v86, v33
	v_div_fixup_f32 v35, v40, v35, v39
	v_add3_u32 v78, v32, v96, 0x7fff
	v_fmac_f32_e32 v95, v97, v81
	s_delay_alu instid0(VALU_DEP_4) | instskip(NEXT) | instid1(VALU_DEP_4)
	v_bfe_u32 v40, v33, 16, 1
	v_mul_f32_e32 v35, v85, v35
	s_delay_alu instid0(VALU_DEP_4) | instskip(NEXT) | instid1(VALU_DEP_4)
	v_lshrrev_b32_e32 v39, 16, v78
	v_fma_f32 v77, -v80, v95, v88
	s_delay_alu instid0(VALU_DEP_3) | instskip(NEXT) | instid1(VALU_DEP_2)
	v_bfe_u32 v41, v35, 16, 1
	v_div_fmas_f32 v77, v77, v81, v95
	s_mov_b32 vcc_lo, s16
	v_div_fmas_f32 v76, v76, v89, v98
	v_cmp_o_f32_e32 vcc_lo, v34, v34
	s_delay_alu instid0(VALU_DEP_3) | instskip(NEXT) | instid1(VALU_DEP_3)
	v_div_fixup_f32 v37, v77, v37, v79
	v_div_fixup_f32 v36, v76, v38, v36
	v_lshrrev_b32_e32 v38, 16, v92
	s_delay_alu instid0(VALU_DEP_2) | instskip(NEXT) | instid1(VALU_DEP_2)
	v_dual_mul_f32 v37, v87, v37 :: v_dual_mul_f32 v36, v84, v36
	v_cndmask_b32_e32 v34, 0x7fc0, v38, vcc_lo
	s_delay_alu instid0(VALU_DEP_2)
	v_bfe_u32 v75, v37, 16, 1
	v_add3_u32 v38, v33, v40, 0x7fff
	v_cmp_o_f32_e32 vcc_lo, v32, v32
	v_bfe_u32 v76, v36, 16, 1
	v_add3_u32 v40, v35, v41, 0x7fff
	v_add3_u32 v41, v37, v75, 0x7fff
	v_lshrrev_b32_e32 v32, 16, v38
	v_cndmask_b32_e32 v39, 0x7fc0, v39, vcc_lo
	v_cmp_o_f32_e32 vcc_lo, v33, v33
	v_add3_u32 v75, v36, v76, 0x7fff
	v_lshrrev_b32_e32 v38, 16, v40
	v_lshrrev_b32_e32 v40, 16, v41
	v_cndmask_b32_e32 v33, 0x7fc0, v32, vcc_lo
	v_cmp_o_f32_e32 vcc_lo, v37, v37
	v_lshrrev_b32_e32 v41, 16, v75
	s_delay_alu instid0(VALU_DEP_4) | instskip(SKIP_1) | instid1(VALU_DEP_3)
	v_cndmask_b32_e32 v32, 0x7fc0, v40, vcc_lo
	v_cmp_o_f32_e32 vcc_lo, v36, v36
	v_cndmask_b32_e32 v36, 0x7fc0, v41, vcc_lo
	v_cmp_o_f32_e32 vcc_lo, v35, v35
	s_delay_alu instid0(VALU_DEP_2) | instskip(SKIP_2) | instid1(VALU_DEP_2)
	v_perm_b32 v32, v32, v36, 0x5040100
	v_cndmask_b32_e32 v35, 0x7fc0, v38, vcc_lo
	v_cmp_o_f32_e32 vcc_lo, v31, v31
	v_perm_b32 v31, v33, v35, 0x5040100
	v_cndmask_b32_e32 v37, 0x7fc0, v30, vcc_lo
	v_perm_b32 v30, v34, v39, 0x5040100
	s_delay_alu instid0(VALU_DEP_2)
	v_perm_b32 v29, v29, v37, 0x5040100
	ds_store_b128 v45, v[25:28]
	ds_store_b128 v45, v[29:32] offset:16
	; wave barrier
	ds_load_b128 v[24:27], v43
	ds_load_b128 v[28:31], v44 offset:512
	v_add_co_u32 v32, vcc_lo, v56, s18
	v_add_co_ci_u32_e32 v33, vcc_lo, s19, v57, vcc_lo
	s_waitcnt lgkmcnt(1)
	v_alignbit_b32 v35, v26, v25, 16
	v_alignbit_b32 v34, v25, v24, 16
	;; [unrolled: 1-line block ×3, first 2 shown]
	s_clause 0x3
	global_store_b16 v[32:33], v24, off
	global_store_d16_hi_b16 v[32:33], v27, off offset:14
	global_store_b32 v[32:33], v25, off offset:10
	global_store_b64 v[32:33], v[34:35], off offset:2
	s_waitcnt lgkmcnt(0)
	global_store_b128 v[32:33], v[28:31], off offset:512
	s_cbranch_scc1 .LBB49_88
.LBB49_12:                              ; =>This Loop Header: Depth=1
                                        ;     Child Loop BB49_55 Depth 2
	v_add_co_u32 v24, s14, s51, v73
	s_delay_alu instid0(VALU_DEP_1) | instskip(NEXT) | instid1(VALU_DEP_2)
	v_add_co_ci_u32_e64 v25, null, s55, 0, s14
	v_add_co_u32 v24, vcc_lo, v24, v74
	s_delay_alu instid0(VALU_DEP_2)
	v_add_co_ci_u32_e32 v25, vcc_lo, 0, v25, vcc_lo
	s_waitcnt_vscnt null, 0x0
	s_barrier
	buffer_gl0_inv
	s_and_saveexec_b32 s14, s0
	s_cbranch_execz .LBB49_14
; %bb.13:                               ;   in Loop: Header=BB49_12 Depth=1
	global_load_b128 v[20:23], v[24:25], off
.LBB49_14:                              ;   in Loop: Header=BB49_12 Depth=1
	s_or_b32 exec_lo, exec_lo, s14
	s_and_saveexec_b32 s14, s1
	s_cbranch_execz .LBB49_16
; %bb.15:                               ;   in Loop: Header=BB49_12 Depth=1
	global_load_b128 v[16:19], v[24:25], off offset:512
.LBB49_16:                              ;   in Loop: Header=BB49_12 Depth=1
	s_or_b32 exec_lo, exec_lo, s14
	s_waitcnt vmcnt(0)
	ds_store_b128 v43, v[20:23]
	ds_store_b128 v44, v[16:19] offset:512
	; wave barrier
	ds_load_b128 v[20:23], v45
	ds_load_b128 v[16:19], v45 offset:16
	v_add_co_u32 v24, s14, s58, v73
	s_delay_alu instid0(VALU_DEP_1) | instskip(SKIP_1) | instid1(VALU_DEP_2)
	v_add_co_ci_u32_e64 v25, null, s44, 0, s14
	s_waitcnt lgkmcnt(0)
	v_add_co_u32 v24, vcc_lo, v24, v74
	s_delay_alu instid0(VALU_DEP_2)
	v_add_co_ci_u32_e32 v25, vcc_lo, 0, v25, vcc_lo
	s_barrier
	buffer_gl0_inv
	s_and_saveexec_b32 s14, s0
	s_cbranch_execz .LBB49_18
; %bb.17:                               ;   in Loop: Header=BB49_12 Depth=1
	global_load_b128 v[12:15], v[24:25], off
.LBB49_18:                              ;   in Loop: Header=BB49_12 Depth=1
	s_or_b32 exec_lo, exec_lo, s14
	s_and_saveexec_b32 s14, s1
	s_cbranch_execz .LBB49_20
; %bb.19:                               ;   in Loop: Header=BB49_12 Depth=1
	global_load_b128 v[8:11], v[24:25], off offset:512
.LBB49_20:                              ;   in Loop: Header=BB49_12 Depth=1
	s_or_b32 exec_lo, exec_lo, s14
	s_waitcnt vmcnt(0)
	ds_store_b128 v43, v[12:15]
	ds_store_b128 v44, v[8:11] offset:512
	; wave barrier
	ds_load_b128 v[12:15], v45
	ds_load_b128 v[8:11], v45 offset:16
	s_waitcnt lgkmcnt(1)
	v_lshlrev_b32_e32 v24, 16, v12
	s_delay_alu instid0(VALU_DEP_1) | instskip(NEXT) | instid1(VALU_DEP_1)
	v_add_f32_e32 v75, s56, v24
	v_cmp_ge_f32_e32 vcc_lo, 0x41a00000, v75
	s_and_b32 s14, s66, vcc_lo
	s_delay_alu instid0(SALU_CYCLE_1)
	s_and_saveexec_b32 s15, s14
	s_cbranch_execz .LBB49_22
; %bb.21:                               ;   in Loop: Header=BB49_12 Depth=1
	v_mul_f32_e32 v24, 0x3fb8aa3b, v75
	v_cmp_ngt_f32_e32 vcc_lo, 0xc2ce8ed0, v75
	s_delay_alu instid0(VALU_DEP_2) | instskip(SKIP_1) | instid1(VALU_DEP_2)
	v_rndne_f32_e32 v25, v24
	v_fma_f32 v26, 0x3fb8aa3b, v75, -v24
	v_sub_f32_e32 v24, v24, v25
	s_delay_alu instid0(VALU_DEP_2) | instskip(SKIP_1) | instid1(VALU_DEP_2)
	v_fmac_f32_e32 v26, 0x32a5705f, v75
	v_cvt_i32_f32_e32 v25, v25
	v_add_f32_e32 v24, v24, v26
	s_delay_alu instid0(VALU_DEP_1) | instskip(SKIP_2) | instid1(VALU_DEP_1)
	v_exp_f32_e32 v24, v24
	s_waitcnt_depctr 0xfff
	v_ldexp_f32 v24, v24, v25
	v_cndmask_b32_e32 v24, 0, v24, vcc_lo
	v_cmp_nlt_f32_e32 vcc_lo, 0x42b17218, v75
	s_delay_alu instid0(VALU_DEP_2) | instskip(NEXT) | instid1(VALU_DEP_1)
	v_cndmask_b32_e32 v26, 0x7f800000, v24, vcc_lo
	v_add_f32_e32 v27, 1.0, v26
	s_delay_alu instid0(VALU_DEP_1) | instskip(NEXT) | instid1(VALU_DEP_1)
	v_cvt_f64_f32_e32 v[24:25], v27
	v_frexp_exp_i32_f64_e32 v24, v[24:25]
	v_frexp_mant_f32_e32 v25, v27
	s_delay_alu instid0(VALU_DEP_1) | instskip(SKIP_1) | instid1(VALU_DEP_1)
	v_cmp_gt_f32_e32 vcc_lo, 0x3f2aaaab, v25
	v_add_f32_e32 v25, -1.0, v27
	v_sub_f32_e32 v29, v25, v27
	v_sub_f32_e32 v25, v26, v25
	s_delay_alu instid0(VALU_DEP_2) | instskip(NEXT) | instid1(VALU_DEP_1)
	v_add_f32_e32 v29, 1.0, v29
	v_add_f32_e32 v25, v25, v29
	v_cmp_gt_f32_e64 s14, 0x33800000, v26
	v_subrev_co_ci_u32_e32 v24, vcc_lo, 0, v24, vcc_lo
	v_cmp_eq_f32_e32 vcc_lo, 0x7f800000, v26
	s_delay_alu instid0(VALU_DEP_2) | instskip(SKIP_2) | instid1(VALU_DEP_2)
	v_sub_nc_u32_e32 v28, 0, v24
	v_cvt_f32_i32_e32 v24, v24
	s_or_b32 vcc_lo, s14, vcc_lo
	v_ldexp_f32 v27, v27, v28
	v_ldexp_f32 v25, v25, v28
	s_delay_alu instid0(VALU_DEP_2) | instskip(NEXT) | instid1(VALU_DEP_1)
	v_add_f32_e32 v30, 1.0, v27
	v_dual_add_f32 v28, -1.0, v27 :: v_dual_add_f32 v29, -1.0, v30
	s_delay_alu instid0(VALU_DEP_1) | instskip(NEXT) | instid1(VALU_DEP_2)
	v_add_f32_e32 v31, 1.0, v28
	v_sub_f32_e32 v29, v27, v29
	s_delay_alu instid0(VALU_DEP_2) | instskip(NEXT) | instid1(VALU_DEP_2)
	v_sub_f32_e32 v27, v27, v31
	v_add_f32_e32 v29, v25, v29
	s_delay_alu instid0(VALU_DEP_2) | instskip(NEXT) | instid1(VALU_DEP_1)
	v_add_f32_e32 v25, v25, v27
	v_add_f32_e32 v32, v28, v25
	s_delay_alu instid0(VALU_DEP_1) | instskip(NEXT) | instid1(VALU_DEP_1)
	v_dual_add_f32 v31, v30, v29 :: v_dual_sub_f32 v28, v28, v32
	v_rcp_f32_e32 v27, v31
	v_sub_f32_e32 v30, v30, v31
	s_delay_alu instid0(VALU_DEP_1) | instskip(SKIP_2) | instid1(VALU_DEP_1)
	v_add_f32_e32 v29, v29, v30
	s_waitcnt_depctr 0xfff
	v_mul_f32_e32 v33, v32, v27
	v_mul_f32_e32 v34, v31, v33
	s_delay_alu instid0(VALU_DEP_1) | instskip(NEXT) | instid1(VALU_DEP_1)
	v_fma_f32 v30, v33, v31, -v34
	v_fmac_f32_e32 v30, v33, v29
	s_delay_alu instid0(VALU_DEP_1) | instskip(NEXT) | instid1(VALU_DEP_1)
	v_add_f32_e32 v35, v34, v30
	v_sub_f32_e32 v36, v32, v35
	s_delay_alu instid0(VALU_DEP_1) | instskip(SKIP_1) | instid1(VALU_DEP_2)
	v_sub_f32_e32 v32, v32, v36
	v_dual_add_f32 v25, v25, v28 :: v_dual_sub_f32 v28, v35, v34
	v_sub_f32_e32 v32, v32, v35
	s_delay_alu instid0(VALU_DEP_1) | instskip(NEXT) | instid1(VALU_DEP_1)
	v_dual_sub_f32 v28, v28, v30 :: v_dual_add_f32 v25, v25, v32
	v_add_f32_e32 v25, v28, v25
	s_delay_alu instid0(VALU_DEP_1) | instskip(NEXT) | instid1(VALU_DEP_1)
	v_add_f32_e32 v28, v36, v25
	v_mul_f32_e32 v30, v27, v28
	s_delay_alu instid0(VALU_DEP_1) | instskip(NEXT) | instid1(VALU_DEP_1)
	v_dual_sub_f32 v35, v36, v28 :: v_dual_mul_f32 v32, v31, v30
	v_add_f32_e32 v25, v25, v35
	s_delay_alu instid0(VALU_DEP_2) | instskip(NEXT) | instid1(VALU_DEP_1)
	v_fma_f32 v31, v30, v31, -v32
	v_fmac_f32_e32 v31, v30, v29
	s_delay_alu instid0(VALU_DEP_1) | instskip(NEXT) | instid1(VALU_DEP_1)
	v_add_f32_e32 v29, v32, v31
	v_sub_f32_e32 v34, v28, v29
	s_delay_alu instid0(VALU_DEP_1) | instskip(NEXT) | instid1(VALU_DEP_1)
	v_sub_f32_e32 v28, v28, v34
	v_sub_f32_e32 v28, v28, v29
	s_delay_alu instid0(VALU_DEP_1) | instskip(SKIP_2) | instid1(VALU_DEP_1)
	v_add_f32_e32 v25, v25, v28
	v_add_f32_e32 v28, v33, v30
	v_sub_f32_e32 v32, v29, v32
	v_sub_f32_e32 v29, v32, v31
	s_delay_alu instid0(VALU_DEP_1) | instskip(NEXT) | instid1(VALU_DEP_4)
	v_add_f32_e32 v25, v29, v25
	v_sub_f32_e32 v29, v28, v33
	s_delay_alu instid0(VALU_DEP_2) | instskip(NEXT) | instid1(VALU_DEP_2)
	v_add_f32_e32 v25, v34, v25
	v_sub_f32_e32 v29, v30, v29
	s_delay_alu instid0(VALU_DEP_2) | instskip(NEXT) | instid1(VALU_DEP_1)
	v_mul_f32_e32 v25, v27, v25
	v_add_f32_e32 v25, v29, v25
	s_delay_alu instid0(VALU_DEP_1) | instskip(NEXT) | instid1(VALU_DEP_1)
	v_add_f32_e32 v27, v28, v25
	v_mul_f32_e32 v29, v27, v27
	s_delay_alu instid0(VALU_DEP_1) | instskip(SKIP_1) | instid1(VALU_DEP_2)
	v_fmaak_f32 v30, s54, v29, 0x3ecc95a3
	v_mul_f32_e32 v31, v27, v29
	v_fmaak_f32 v29, v29, v30, 0x3f2aaada
	v_ldexp_f32 v30, v27, 1
	s_delay_alu instid0(VALU_DEP_2) | instskip(SKIP_1) | instid1(VALU_DEP_2)
	v_mul_f32_e32 v29, v31, v29
	v_sub_f32_e32 v27, v27, v28
	v_dual_mul_f32 v31, 0x3f317218, v24 :: v_dual_add_f32 v28, v30, v29
	s_delay_alu instid0(VALU_DEP_2) | instskip(NEXT) | instid1(VALU_DEP_2)
	v_sub_f32_e32 v25, v25, v27
	v_sub_f32_e32 v27, v28, v30
	s_delay_alu instid0(VALU_DEP_3) | instskip(NEXT) | instid1(VALU_DEP_3)
	v_fma_f32 v30, 0x3f317218, v24, -v31
	v_ldexp_f32 v25, v25, 1
	s_delay_alu instid0(VALU_DEP_2) | instskip(NEXT) | instid1(VALU_DEP_1)
	v_dual_sub_f32 v27, v29, v27 :: v_dual_fmac_f32 v30, 0xb102e308, v24
	v_dual_add_f32 v24, v25, v27 :: v_dual_add_f32 v25, v31, v30
	s_delay_alu instid0(VALU_DEP_1) | instskip(NEXT) | instid1(VALU_DEP_1)
	v_add_f32_e32 v27, v28, v24
	v_dual_add_f32 v29, v25, v27 :: v_dual_sub_f32 v28, v27, v28
	s_delay_alu instid0(VALU_DEP_1) | instskip(NEXT) | instid1(VALU_DEP_2)
	v_sub_f32_e32 v32, v29, v25
	v_dual_sub_f32 v31, v25, v31 :: v_dual_sub_f32 v24, v24, v28
	s_delay_alu instid0(VALU_DEP_1) | instskip(SKIP_1) | instid1(VALU_DEP_2)
	v_dual_sub_f32 v33, v29, v32 :: v_dual_sub_f32 v30, v30, v31
	v_sub_f32_e32 v27, v27, v32
	v_dual_sub_f32 v25, v25, v33 :: v_dual_add_f32 v28, v30, v24
	s_delay_alu instid0(VALU_DEP_1) | instskip(NEXT) | instid1(VALU_DEP_2)
	v_add_f32_e32 v25, v27, v25
	v_sub_f32_e32 v27, v28, v30
	s_delay_alu instid0(VALU_DEP_2) | instskip(NEXT) | instid1(VALU_DEP_2)
	v_add_f32_e32 v25, v28, v25
	v_sub_f32_e32 v28, v28, v27
	s_delay_alu instid0(VALU_DEP_2) | instskip(NEXT) | instid1(VALU_DEP_1)
	v_dual_sub_f32 v24, v24, v27 :: v_dual_add_f32 v31, v29, v25
	v_dual_sub_f32 v28, v30, v28 :: v_dual_sub_f32 v27, v31, v29
	s_delay_alu instid0(VALU_DEP_1) | instskip(NEXT) | instid1(VALU_DEP_1)
	v_dual_add_f32 v24, v24, v28 :: v_dual_sub_f32 v25, v25, v27
	v_add_f32_e32 v24, v24, v25
	s_delay_alu instid0(VALU_DEP_1) | instskip(NEXT) | instid1(VALU_DEP_1)
	v_add_f32_e32 v24, v31, v24
	v_cndmask_b32_e32 v75, v24, v26, vcc_lo
.LBB49_22:                              ;   in Loop: Header=BB49_12 Depth=1
	s_or_b32 exec_lo, exec_lo, s15
	v_and_b32_e32 v24, 0xffff0000, v12
	s_delay_alu instid0(VALU_DEP_1) | instskip(NEXT) | instid1(VALU_DEP_1)
	v_add_f32_e32 v76, s56, v24
	v_cmp_ge_f32_e32 vcc_lo, 0x41a00000, v76
	s_and_b32 s14, s66, vcc_lo
	s_delay_alu instid0(SALU_CYCLE_1)
	s_and_saveexec_b32 s15, s14
	s_cbranch_execz .LBB49_24
; %bb.23:                               ;   in Loop: Header=BB49_12 Depth=1
	v_mul_f32_e32 v24, 0x3fb8aa3b, v76
	v_cmp_ngt_f32_e32 vcc_lo, 0xc2ce8ed0, v76
	s_delay_alu instid0(VALU_DEP_2) | instskip(SKIP_1) | instid1(VALU_DEP_2)
	v_rndne_f32_e32 v25, v24
	v_fma_f32 v26, 0x3fb8aa3b, v76, -v24
	v_sub_f32_e32 v24, v24, v25
	s_delay_alu instid0(VALU_DEP_2) | instskip(SKIP_1) | instid1(VALU_DEP_2)
	v_fmac_f32_e32 v26, 0x32a5705f, v76
	v_cvt_i32_f32_e32 v25, v25
	v_add_f32_e32 v24, v24, v26
	s_delay_alu instid0(VALU_DEP_1) | instskip(SKIP_2) | instid1(VALU_DEP_1)
	v_exp_f32_e32 v24, v24
	s_waitcnt_depctr 0xfff
	v_ldexp_f32 v24, v24, v25
	v_cndmask_b32_e32 v24, 0, v24, vcc_lo
	v_cmp_nlt_f32_e32 vcc_lo, 0x42b17218, v76
	s_delay_alu instid0(VALU_DEP_2) | instskip(NEXT) | instid1(VALU_DEP_1)
	v_cndmask_b32_e32 v26, 0x7f800000, v24, vcc_lo
	v_add_f32_e32 v27, 1.0, v26
	s_delay_alu instid0(VALU_DEP_1) | instskip(NEXT) | instid1(VALU_DEP_1)
	v_cvt_f64_f32_e32 v[24:25], v27
	v_frexp_exp_i32_f64_e32 v24, v[24:25]
	v_frexp_mant_f32_e32 v25, v27
	s_delay_alu instid0(VALU_DEP_1) | instskip(SKIP_1) | instid1(VALU_DEP_1)
	v_cmp_gt_f32_e32 vcc_lo, 0x3f2aaaab, v25
	v_add_f32_e32 v25, -1.0, v27
	v_sub_f32_e32 v29, v25, v27
	v_sub_f32_e32 v25, v26, v25
	s_delay_alu instid0(VALU_DEP_2) | instskip(NEXT) | instid1(VALU_DEP_1)
	v_add_f32_e32 v29, 1.0, v29
	v_add_f32_e32 v25, v25, v29
	v_cmp_gt_f32_e64 s14, 0x33800000, v26
	v_subrev_co_ci_u32_e32 v24, vcc_lo, 0, v24, vcc_lo
	v_cmp_eq_f32_e32 vcc_lo, 0x7f800000, v26
	s_delay_alu instid0(VALU_DEP_2) | instskip(SKIP_2) | instid1(VALU_DEP_2)
	v_sub_nc_u32_e32 v28, 0, v24
	v_cvt_f32_i32_e32 v24, v24
	s_or_b32 vcc_lo, s14, vcc_lo
	v_ldexp_f32 v27, v27, v28
	v_ldexp_f32 v25, v25, v28
	s_delay_alu instid0(VALU_DEP_2) | instskip(NEXT) | instid1(VALU_DEP_1)
	v_add_f32_e32 v30, 1.0, v27
	v_dual_add_f32 v28, -1.0, v27 :: v_dual_add_f32 v29, -1.0, v30
	s_delay_alu instid0(VALU_DEP_1) | instskip(NEXT) | instid1(VALU_DEP_2)
	v_add_f32_e32 v31, 1.0, v28
	v_sub_f32_e32 v29, v27, v29
	s_delay_alu instid0(VALU_DEP_2) | instskip(NEXT) | instid1(VALU_DEP_2)
	v_sub_f32_e32 v27, v27, v31
	v_add_f32_e32 v29, v25, v29
	s_delay_alu instid0(VALU_DEP_2) | instskip(NEXT) | instid1(VALU_DEP_1)
	v_add_f32_e32 v25, v25, v27
	v_add_f32_e32 v32, v28, v25
	s_delay_alu instid0(VALU_DEP_1) | instskip(NEXT) | instid1(VALU_DEP_1)
	v_dual_add_f32 v31, v30, v29 :: v_dual_sub_f32 v28, v28, v32
	v_rcp_f32_e32 v27, v31
	v_sub_f32_e32 v30, v30, v31
	s_delay_alu instid0(VALU_DEP_1) | instskip(SKIP_2) | instid1(VALU_DEP_1)
	v_add_f32_e32 v29, v29, v30
	s_waitcnt_depctr 0xfff
	v_mul_f32_e32 v33, v32, v27
	v_mul_f32_e32 v34, v31, v33
	s_delay_alu instid0(VALU_DEP_1) | instskip(NEXT) | instid1(VALU_DEP_1)
	v_fma_f32 v30, v33, v31, -v34
	v_fmac_f32_e32 v30, v33, v29
	s_delay_alu instid0(VALU_DEP_1) | instskip(NEXT) | instid1(VALU_DEP_1)
	v_add_f32_e32 v35, v34, v30
	v_sub_f32_e32 v36, v32, v35
	s_delay_alu instid0(VALU_DEP_1) | instskip(SKIP_1) | instid1(VALU_DEP_2)
	v_sub_f32_e32 v32, v32, v36
	v_dual_add_f32 v25, v25, v28 :: v_dual_sub_f32 v28, v35, v34
	v_sub_f32_e32 v32, v32, v35
	s_delay_alu instid0(VALU_DEP_1) | instskip(NEXT) | instid1(VALU_DEP_1)
	v_dual_sub_f32 v28, v28, v30 :: v_dual_add_f32 v25, v25, v32
	v_add_f32_e32 v25, v28, v25
	s_delay_alu instid0(VALU_DEP_1) | instskip(NEXT) | instid1(VALU_DEP_1)
	v_add_f32_e32 v28, v36, v25
	v_mul_f32_e32 v30, v27, v28
	s_delay_alu instid0(VALU_DEP_1) | instskip(NEXT) | instid1(VALU_DEP_1)
	v_dual_sub_f32 v35, v36, v28 :: v_dual_mul_f32 v32, v31, v30
	v_add_f32_e32 v25, v25, v35
	s_delay_alu instid0(VALU_DEP_2) | instskip(NEXT) | instid1(VALU_DEP_1)
	v_fma_f32 v31, v30, v31, -v32
	v_fmac_f32_e32 v31, v30, v29
	s_delay_alu instid0(VALU_DEP_1) | instskip(NEXT) | instid1(VALU_DEP_1)
	v_add_f32_e32 v29, v32, v31
	v_sub_f32_e32 v34, v28, v29
	s_delay_alu instid0(VALU_DEP_1) | instskip(NEXT) | instid1(VALU_DEP_1)
	v_sub_f32_e32 v28, v28, v34
	v_sub_f32_e32 v28, v28, v29
	s_delay_alu instid0(VALU_DEP_1) | instskip(SKIP_2) | instid1(VALU_DEP_1)
	v_add_f32_e32 v25, v25, v28
	v_add_f32_e32 v28, v33, v30
	v_sub_f32_e32 v32, v29, v32
	v_sub_f32_e32 v29, v32, v31
	s_delay_alu instid0(VALU_DEP_1) | instskip(NEXT) | instid1(VALU_DEP_4)
	v_add_f32_e32 v25, v29, v25
	v_sub_f32_e32 v29, v28, v33
	s_delay_alu instid0(VALU_DEP_2) | instskip(NEXT) | instid1(VALU_DEP_2)
	v_add_f32_e32 v25, v34, v25
	v_sub_f32_e32 v29, v30, v29
	s_delay_alu instid0(VALU_DEP_2) | instskip(NEXT) | instid1(VALU_DEP_1)
	v_mul_f32_e32 v25, v27, v25
	v_add_f32_e32 v25, v29, v25
	s_delay_alu instid0(VALU_DEP_1) | instskip(NEXT) | instid1(VALU_DEP_1)
	v_add_f32_e32 v27, v28, v25
	v_mul_f32_e32 v29, v27, v27
	s_delay_alu instid0(VALU_DEP_1) | instskip(SKIP_1) | instid1(VALU_DEP_2)
	v_fmaak_f32 v30, s54, v29, 0x3ecc95a3
	v_mul_f32_e32 v31, v27, v29
	v_fmaak_f32 v29, v29, v30, 0x3f2aaada
	v_ldexp_f32 v30, v27, 1
	s_delay_alu instid0(VALU_DEP_2) | instskip(SKIP_1) | instid1(VALU_DEP_2)
	v_mul_f32_e32 v29, v31, v29
	v_sub_f32_e32 v27, v27, v28
	v_dual_mul_f32 v31, 0x3f317218, v24 :: v_dual_add_f32 v28, v30, v29
	s_delay_alu instid0(VALU_DEP_2) | instskip(NEXT) | instid1(VALU_DEP_2)
	v_sub_f32_e32 v25, v25, v27
	v_sub_f32_e32 v27, v28, v30
	s_delay_alu instid0(VALU_DEP_3) | instskip(NEXT) | instid1(VALU_DEP_3)
	v_fma_f32 v30, 0x3f317218, v24, -v31
	v_ldexp_f32 v25, v25, 1
	s_delay_alu instid0(VALU_DEP_2) | instskip(NEXT) | instid1(VALU_DEP_1)
	v_dual_sub_f32 v27, v29, v27 :: v_dual_fmac_f32 v30, 0xb102e308, v24
	v_dual_add_f32 v24, v25, v27 :: v_dual_add_f32 v25, v31, v30
	s_delay_alu instid0(VALU_DEP_1) | instskip(NEXT) | instid1(VALU_DEP_1)
	v_add_f32_e32 v27, v28, v24
	v_dual_add_f32 v29, v25, v27 :: v_dual_sub_f32 v28, v27, v28
	s_delay_alu instid0(VALU_DEP_1) | instskip(NEXT) | instid1(VALU_DEP_2)
	v_sub_f32_e32 v32, v29, v25
	v_dual_sub_f32 v31, v25, v31 :: v_dual_sub_f32 v24, v24, v28
	s_delay_alu instid0(VALU_DEP_1) | instskip(SKIP_1) | instid1(VALU_DEP_2)
	v_dual_sub_f32 v33, v29, v32 :: v_dual_sub_f32 v30, v30, v31
	v_sub_f32_e32 v27, v27, v32
	v_dual_sub_f32 v25, v25, v33 :: v_dual_add_f32 v28, v30, v24
	s_delay_alu instid0(VALU_DEP_1) | instskip(NEXT) | instid1(VALU_DEP_2)
	v_add_f32_e32 v25, v27, v25
	v_sub_f32_e32 v27, v28, v30
	s_delay_alu instid0(VALU_DEP_2) | instskip(NEXT) | instid1(VALU_DEP_2)
	v_add_f32_e32 v25, v28, v25
	v_sub_f32_e32 v28, v28, v27
	s_delay_alu instid0(VALU_DEP_2) | instskip(NEXT) | instid1(VALU_DEP_1)
	v_dual_sub_f32 v24, v24, v27 :: v_dual_add_f32 v31, v29, v25
	v_dual_sub_f32 v28, v30, v28 :: v_dual_sub_f32 v27, v31, v29
	s_delay_alu instid0(VALU_DEP_1) | instskip(NEXT) | instid1(VALU_DEP_1)
	v_dual_add_f32 v24, v24, v28 :: v_dual_sub_f32 v25, v25, v27
	v_add_f32_e32 v24, v24, v25
	s_delay_alu instid0(VALU_DEP_1) | instskip(NEXT) | instid1(VALU_DEP_1)
	v_add_f32_e32 v24, v31, v24
	v_cndmask_b32_e32 v76, v24, v26, vcc_lo
.LBB49_24:                              ;   in Loop: Header=BB49_12 Depth=1
	s_or_b32 exec_lo, exec_lo, s15
	v_lshlrev_b32_e32 v24, 16, v13
	s_delay_alu instid0(VALU_DEP_1) | instskip(NEXT) | instid1(VALU_DEP_1)
	v_add_f32_e32 v77, s56, v24
	v_cmp_ge_f32_e32 vcc_lo, 0x41a00000, v77
	s_and_b32 s14, s66, vcc_lo
	s_delay_alu instid0(SALU_CYCLE_1)
	s_and_saveexec_b32 s15, s14
	s_cbranch_execz .LBB49_26
; %bb.25:                               ;   in Loop: Header=BB49_12 Depth=1
	v_mul_f32_e32 v24, 0x3fb8aa3b, v77
	v_cmp_ngt_f32_e32 vcc_lo, 0xc2ce8ed0, v77
	s_delay_alu instid0(VALU_DEP_2) | instskip(SKIP_1) | instid1(VALU_DEP_2)
	v_rndne_f32_e32 v25, v24
	v_fma_f32 v26, 0x3fb8aa3b, v77, -v24
	v_sub_f32_e32 v24, v24, v25
	s_delay_alu instid0(VALU_DEP_2) | instskip(SKIP_1) | instid1(VALU_DEP_2)
	v_fmac_f32_e32 v26, 0x32a5705f, v77
	v_cvt_i32_f32_e32 v25, v25
	v_add_f32_e32 v24, v24, v26
	s_delay_alu instid0(VALU_DEP_1) | instskip(SKIP_2) | instid1(VALU_DEP_1)
	v_exp_f32_e32 v24, v24
	s_waitcnt_depctr 0xfff
	v_ldexp_f32 v24, v24, v25
	v_cndmask_b32_e32 v24, 0, v24, vcc_lo
	v_cmp_nlt_f32_e32 vcc_lo, 0x42b17218, v77
	s_delay_alu instid0(VALU_DEP_2) | instskip(NEXT) | instid1(VALU_DEP_1)
	v_cndmask_b32_e32 v26, 0x7f800000, v24, vcc_lo
	v_add_f32_e32 v27, 1.0, v26
	s_delay_alu instid0(VALU_DEP_1) | instskip(NEXT) | instid1(VALU_DEP_1)
	v_cvt_f64_f32_e32 v[24:25], v27
	v_frexp_exp_i32_f64_e32 v24, v[24:25]
	v_frexp_mant_f32_e32 v25, v27
	s_delay_alu instid0(VALU_DEP_1) | instskip(SKIP_1) | instid1(VALU_DEP_1)
	v_cmp_gt_f32_e32 vcc_lo, 0x3f2aaaab, v25
	v_add_f32_e32 v25, -1.0, v27
	v_sub_f32_e32 v29, v25, v27
	v_sub_f32_e32 v25, v26, v25
	s_delay_alu instid0(VALU_DEP_2) | instskip(NEXT) | instid1(VALU_DEP_1)
	v_add_f32_e32 v29, 1.0, v29
	v_add_f32_e32 v25, v25, v29
	v_cmp_gt_f32_e64 s14, 0x33800000, v26
	v_subrev_co_ci_u32_e32 v24, vcc_lo, 0, v24, vcc_lo
	v_cmp_eq_f32_e32 vcc_lo, 0x7f800000, v26
	s_delay_alu instid0(VALU_DEP_2) | instskip(SKIP_2) | instid1(VALU_DEP_2)
	v_sub_nc_u32_e32 v28, 0, v24
	v_cvt_f32_i32_e32 v24, v24
	s_or_b32 vcc_lo, s14, vcc_lo
	v_ldexp_f32 v27, v27, v28
	v_ldexp_f32 v25, v25, v28
	s_delay_alu instid0(VALU_DEP_2) | instskip(NEXT) | instid1(VALU_DEP_1)
	v_add_f32_e32 v30, 1.0, v27
	v_dual_add_f32 v28, -1.0, v27 :: v_dual_add_f32 v29, -1.0, v30
	s_delay_alu instid0(VALU_DEP_1) | instskip(NEXT) | instid1(VALU_DEP_2)
	v_add_f32_e32 v31, 1.0, v28
	v_sub_f32_e32 v29, v27, v29
	s_delay_alu instid0(VALU_DEP_2) | instskip(NEXT) | instid1(VALU_DEP_2)
	v_sub_f32_e32 v27, v27, v31
	v_add_f32_e32 v29, v25, v29
	s_delay_alu instid0(VALU_DEP_2) | instskip(NEXT) | instid1(VALU_DEP_1)
	v_add_f32_e32 v25, v25, v27
	v_add_f32_e32 v32, v28, v25
	s_delay_alu instid0(VALU_DEP_1) | instskip(NEXT) | instid1(VALU_DEP_1)
	v_dual_add_f32 v31, v30, v29 :: v_dual_sub_f32 v28, v28, v32
	v_rcp_f32_e32 v27, v31
	v_sub_f32_e32 v30, v30, v31
	s_delay_alu instid0(VALU_DEP_1) | instskip(SKIP_2) | instid1(VALU_DEP_1)
	v_add_f32_e32 v29, v29, v30
	s_waitcnt_depctr 0xfff
	v_mul_f32_e32 v33, v32, v27
	v_mul_f32_e32 v34, v31, v33
	s_delay_alu instid0(VALU_DEP_1) | instskip(NEXT) | instid1(VALU_DEP_1)
	v_fma_f32 v30, v33, v31, -v34
	v_fmac_f32_e32 v30, v33, v29
	s_delay_alu instid0(VALU_DEP_1) | instskip(NEXT) | instid1(VALU_DEP_1)
	v_add_f32_e32 v35, v34, v30
	v_sub_f32_e32 v36, v32, v35
	s_delay_alu instid0(VALU_DEP_1) | instskip(SKIP_1) | instid1(VALU_DEP_2)
	v_sub_f32_e32 v32, v32, v36
	v_dual_add_f32 v25, v25, v28 :: v_dual_sub_f32 v28, v35, v34
	v_sub_f32_e32 v32, v32, v35
	s_delay_alu instid0(VALU_DEP_1) | instskip(NEXT) | instid1(VALU_DEP_1)
	v_dual_sub_f32 v28, v28, v30 :: v_dual_add_f32 v25, v25, v32
	v_add_f32_e32 v25, v28, v25
	s_delay_alu instid0(VALU_DEP_1) | instskip(NEXT) | instid1(VALU_DEP_1)
	v_add_f32_e32 v28, v36, v25
	v_mul_f32_e32 v30, v27, v28
	s_delay_alu instid0(VALU_DEP_1) | instskip(NEXT) | instid1(VALU_DEP_1)
	v_dual_sub_f32 v35, v36, v28 :: v_dual_mul_f32 v32, v31, v30
	v_add_f32_e32 v25, v25, v35
	s_delay_alu instid0(VALU_DEP_2) | instskip(NEXT) | instid1(VALU_DEP_1)
	v_fma_f32 v31, v30, v31, -v32
	v_fmac_f32_e32 v31, v30, v29
	s_delay_alu instid0(VALU_DEP_1) | instskip(NEXT) | instid1(VALU_DEP_1)
	v_add_f32_e32 v29, v32, v31
	v_sub_f32_e32 v34, v28, v29
	s_delay_alu instid0(VALU_DEP_1) | instskip(NEXT) | instid1(VALU_DEP_1)
	v_sub_f32_e32 v28, v28, v34
	v_sub_f32_e32 v28, v28, v29
	s_delay_alu instid0(VALU_DEP_1) | instskip(SKIP_2) | instid1(VALU_DEP_1)
	v_add_f32_e32 v25, v25, v28
	v_add_f32_e32 v28, v33, v30
	v_sub_f32_e32 v32, v29, v32
	v_sub_f32_e32 v29, v32, v31
	s_delay_alu instid0(VALU_DEP_1) | instskip(NEXT) | instid1(VALU_DEP_4)
	v_add_f32_e32 v25, v29, v25
	v_sub_f32_e32 v29, v28, v33
	s_delay_alu instid0(VALU_DEP_2) | instskip(NEXT) | instid1(VALU_DEP_2)
	v_add_f32_e32 v25, v34, v25
	v_sub_f32_e32 v29, v30, v29
	s_delay_alu instid0(VALU_DEP_2) | instskip(NEXT) | instid1(VALU_DEP_1)
	v_mul_f32_e32 v25, v27, v25
	v_add_f32_e32 v25, v29, v25
	s_delay_alu instid0(VALU_DEP_1) | instskip(NEXT) | instid1(VALU_DEP_1)
	v_add_f32_e32 v27, v28, v25
	v_mul_f32_e32 v29, v27, v27
	s_delay_alu instid0(VALU_DEP_1) | instskip(SKIP_1) | instid1(VALU_DEP_2)
	v_fmaak_f32 v30, s54, v29, 0x3ecc95a3
	v_mul_f32_e32 v31, v27, v29
	v_fmaak_f32 v29, v29, v30, 0x3f2aaada
	v_ldexp_f32 v30, v27, 1
	s_delay_alu instid0(VALU_DEP_2) | instskip(SKIP_1) | instid1(VALU_DEP_2)
	v_mul_f32_e32 v29, v31, v29
	v_sub_f32_e32 v27, v27, v28
	v_dual_mul_f32 v31, 0x3f317218, v24 :: v_dual_add_f32 v28, v30, v29
	s_delay_alu instid0(VALU_DEP_2) | instskip(NEXT) | instid1(VALU_DEP_2)
	v_sub_f32_e32 v25, v25, v27
	v_sub_f32_e32 v27, v28, v30
	s_delay_alu instid0(VALU_DEP_3) | instskip(NEXT) | instid1(VALU_DEP_3)
	v_fma_f32 v30, 0x3f317218, v24, -v31
	v_ldexp_f32 v25, v25, 1
	s_delay_alu instid0(VALU_DEP_2) | instskip(NEXT) | instid1(VALU_DEP_1)
	v_dual_sub_f32 v27, v29, v27 :: v_dual_fmac_f32 v30, 0xb102e308, v24
	v_dual_add_f32 v24, v25, v27 :: v_dual_add_f32 v25, v31, v30
	s_delay_alu instid0(VALU_DEP_1) | instskip(NEXT) | instid1(VALU_DEP_1)
	v_add_f32_e32 v27, v28, v24
	v_dual_add_f32 v29, v25, v27 :: v_dual_sub_f32 v28, v27, v28
	s_delay_alu instid0(VALU_DEP_1) | instskip(NEXT) | instid1(VALU_DEP_2)
	v_sub_f32_e32 v32, v29, v25
	v_dual_sub_f32 v31, v25, v31 :: v_dual_sub_f32 v24, v24, v28
	s_delay_alu instid0(VALU_DEP_1) | instskip(SKIP_1) | instid1(VALU_DEP_2)
	v_dual_sub_f32 v33, v29, v32 :: v_dual_sub_f32 v30, v30, v31
	v_sub_f32_e32 v27, v27, v32
	v_dual_sub_f32 v25, v25, v33 :: v_dual_add_f32 v28, v30, v24
	s_delay_alu instid0(VALU_DEP_1) | instskip(NEXT) | instid1(VALU_DEP_2)
	v_add_f32_e32 v25, v27, v25
	v_sub_f32_e32 v27, v28, v30
	s_delay_alu instid0(VALU_DEP_2) | instskip(NEXT) | instid1(VALU_DEP_2)
	v_add_f32_e32 v25, v28, v25
	v_sub_f32_e32 v28, v28, v27
	s_delay_alu instid0(VALU_DEP_2) | instskip(NEXT) | instid1(VALU_DEP_1)
	v_dual_sub_f32 v24, v24, v27 :: v_dual_add_f32 v31, v29, v25
	v_dual_sub_f32 v28, v30, v28 :: v_dual_sub_f32 v27, v31, v29
	s_delay_alu instid0(VALU_DEP_1) | instskip(NEXT) | instid1(VALU_DEP_1)
	v_dual_add_f32 v24, v24, v28 :: v_dual_sub_f32 v25, v25, v27
	v_add_f32_e32 v24, v24, v25
	s_delay_alu instid0(VALU_DEP_1) | instskip(NEXT) | instid1(VALU_DEP_1)
	v_add_f32_e32 v24, v31, v24
	v_cndmask_b32_e32 v77, v24, v26, vcc_lo
.LBB49_26:                              ;   in Loop: Header=BB49_12 Depth=1
	s_or_b32 exec_lo, exec_lo, s15
	v_and_b32_e32 v24, 0xffff0000, v13
	s_delay_alu instid0(VALU_DEP_1) | instskip(NEXT) | instid1(VALU_DEP_1)
	v_add_f32_e32 v78, s56, v24
	v_cmp_ge_f32_e32 vcc_lo, 0x41a00000, v78
	s_and_b32 s14, s66, vcc_lo
	s_delay_alu instid0(SALU_CYCLE_1)
	s_and_saveexec_b32 s15, s14
	s_cbranch_execz .LBB49_28
; %bb.27:                               ;   in Loop: Header=BB49_12 Depth=1
	v_mul_f32_e32 v24, 0x3fb8aa3b, v78
	v_cmp_ngt_f32_e32 vcc_lo, 0xc2ce8ed0, v78
	s_delay_alu instid0(VALU_DEP_2) | instskip(SKIP_1) | instid1(VALU_DEP_2)
	v_rndne_f32_e32 v25, v24
	v_fma_f32 v26, 0x3fb8aa3b, v78, -v24
	v_sub_f32_e32 v24, v24, v25
	s_delay_alu instid0(VALU_DEP_2) | instskip(SKIP_1) | instid1(VALU_DEP_2)
	v_fmac_f32_e32 v26, 0x32a5705f, v78
	v_cvt_i32_f32_e32 v25, v25
	v_add_f32_e32 v24, v24, v26
	s_delay_alu instid0(VALU_DEP_1) | instskip(SKIP_2) | instid1(VALU_DEP_1)
	v_exp_f32_e32 v24, v24
	s_waitcnt_depctr 0xfff
	v_ldexp_f32 v24, v24, v25
	v_cndmask_b32_e32 v24, 0, v24, vcc_lo
	v_cmp_nlt_f32_e32 vcc_lo, 0x42b17218, v78
	s_delay_alu instid0(VALU_DEP_2) | instskip(NEXT) | instid1(VALU_DEP_1)
	v_cndmask_b32_e32 v26, 0x7f800000, v24, vcc_lo
	v_add_f32_e32 v27, 1.0, v26
	s_delay_alu instid0(VALU_DEP_1) | instskip(NEXT) | instid1(VALU_DEP_1)
	v_cvt_f64_f32_e32 v[24:25], v27
	v_frexp_exp_i32_f64_e32 v24, v[24:25]
	v_frexp_mant_f32_e32 v25, v27
	s_delay_alu instid0(VALU_DEP_1) | instskip(SKIP_1) | instid1(VALU_DEP_1)
	v_cmp_gt_f32_e32 vcc_lo, 0x3f2aaaab, v25
	v_add_f32_e32 v25, -1.0, v27
	v_sub_f32_e32 v29, v25, v27
	v_sub_f32_e32 v25, v26, v25
	s_delay_alu instid0(VALU_DEP_2) | instskip(NEXT) | instid1(VALU_DEP_1)
	v_add_f32_e32 v29, 1.0, v29
	v_add_f32_e32 v25, v25, v29
	v_cmp_gt_f32_e64 s14, 0x33800000, v26
	v_subrev_co_ci_u32_e32 v24, vcc_lo, 0, v24, vcc_lo
	v_cmp_eq_f32_e32 vcc_lo, 0x7f800000, v26
	s_delay_alu instid0(VALU_DEP_2) | instskip(SKIP_2) | instid1(VALU_DEP_2)
	v_sub_nc_u32_e32 v28, 0, v24
	v_cvt_f32_i32_e32 v24, v24
	s_or_b32 vcc_lo, s14, vcc_lo
	v_ldexp_f32 v27, v27, v28
	v_ldexp_f32 v25, v25, v28
	s_delay_alu instid0(VALU_DEP_2) | instskip(NEXT) | instid1(VALU_DEP_1)
	v_add_f32_e32 v30, 1.0, v27
	v_dual_add_f32 v28, -1.0, v27 :: v_dual_add_f32 v29, -1.0, v30
	s_delay_alu instid0(VALU_DEP_1) | instskip(NEXT) | instid1(VALU_DEP_2)
	v_add_f32_e32 v31, 1.0, v28
	v_sub_f32_e32 v29, v27, v29
	s_delay_alu instid0(VALU_DEP_2) | instskip(NEXT) | instid1(VALU_DEP_2)
	v_sub_f32_e32 v27, v27, v31
	v_add_f32_e32 v29, v25, v29
	s_delay_alu instid0(VALU_DEP_2) | instskip(NEXT) | instid1(VALU_DEP_1)
	v_add_f32_e32 v25, v25, v27
	v_add_f32_e32 v32, v28, v25
	s_delay_alu instid0(VALU_DEP_1) | instskip(NEXT) | instid1(VALU_DEP_1)
	v_dual_add_f32 v31, v30, v29 :: v_dual_sub_f32 v28, v28, v32
	v_rcp_f32_e32 v27, v31
	v_sub_f32_e32 v30, v30, v31
	s_delay_alu instid0(VALU_DEP_1) | instskip(SKIP_2) | instid1(VALU_DEP_1)
	v_add_f32_e32 v29, v29, v30
	s_waitcnt_depctr 0xfff
	v_mul_f32_e32 v33, v32, v27
	v_mul_f32_e32 v34, v31, v33
	s_delay_alu instid0(VALU_DEP_1) | instskip(NEXT) | instid1(VALU_DEP_1)
	v_fma_f32 v30, v33, v31, -v34
	v_fmac_f32_e32 v30, v33, v29
	s_delay_alu instid0(VALU_DEP_1) | instskip(NEXT) | instid1(VALU_DEP_1)
	v_add_f32_e32 v35, v34, v30
	v_sub_f32_e32 v36, v32, v35
	s_delay_alu instid0(VALU_DEP_1) | instskip(SKIP_1) | instid1(VALU_DEP_2)
	v_sub_f32_e32 v32, v32, v36
	v_dual_add_f32 v25, v25, v28 :: v_dual_sub_f32 v28, v35, v34
	v_sub_f32_e32 v32, v32, v35
	s_delay_alu instid0(VALU_DEP_1) | instskip(NEXT) | instid1(VALU_DEP_1)
	v_dual_sub_f32 v28, v28, v30 :: v_dual_add_f32 v25, v25, v32
	v_add_f32_e32 v25, v28, v25
	s_delay_alu instid0(VALU_DEP_1) | instskip(NEXT) | instid1(VALU_DEP_1)
	v_add_f32_e32 v28, v36, v25
	v_mul_f32_e32 v30, v27, v28
	s_delay_alu instid0(VALU_DEP_1) | instskip(NEXT) | instid1(VALU_DEP_1)
	v_dual_sub_f32 v35, v36, v28 :: v_dual_mul_f32 v32, v31, v30
	v_add_f32_e32 v25, v25, v35
	s_delay_alu instid0(VALU_DEP_2) | instskip(NEXT) | instid1(VALU_DEP_1)
	v_fma_f32 v31, v30, v31, -v32
	v_fmac_f32_e32 v31, v30, v29
	s_delay_alu instid0(VALU_DEP_1) | instskip(NEXT) | instid1(VALU_DEP_1)
	v_add_f32_e32 v29, v32, v31
	v_sub_f32_e32 v34, v28, v29
	s_delay_alu instid0(VALU_DEP_1) | instskip(NEXT) | instid1(VALU_DEP_1)
	v_sub_f32_e32 v28, v28, v34
	v_sub_f32_e32 v28, v28, v29
	s_delay_alu instid0(VALU_DEP_1) | instskip(SKIP_2) | instid1(VALU_DEP_1)
	v_add_f32_e32 v25, v25, v28
	v_add_f32_e32 v28, v33, v30
	v_sub_f32_e32 v32, v29, v32
	v_sub_f32_e32 v29, v32, v31
	s_delay_alu instid0(VALU_DEP_1) | instskip(NEXT) | instid1(VALU_DEP_4)
	v_add_f32_e32 v25, v29, v25
	v_sub_f32_e32 v29, v28, v33
	s_delay_alu instid0(VALU_DEP_2) | instskip(NEXT) | instid1(VALU_DEP_2)
	v_add_f32_e32 v25, v34, v25
	v_sub_f32_e32 v29, v30, v29
	s_delay_alu instid0(VALU_DEP_2) | instskip(NEXT) | instid1(VALU_DEP_1)
	v_mul_f32_e32 v25, v27, v25
	v_add_f32_e32 v25, v29, v25
	s_delay_alu instid0(VALU_DEP_1) | instskip(NEXT) | instid1(VALU_DEP_1)
	v_add_f32_e32 v27, v28, v25
	v_mul_f32_e32 v29, v27, v27
	s_delay_alu instid0(VALU_DEP_1) | instskip(SKIP_1) | instid1(VALU_DEP_2)
	v_fmaak_f32 v30, s54, v29, 0x3ecc95a3
	v_mul_f32_e32 v31, v27, v29
	v_fmaak_f32 v29, v29, v30, 0x3f2aaada
	v_ldexp_f32 v30, v27, 1
	s_delay_alu instid0(VALU_DEP_2) | instskip(SKIP_1) | instid1(VALU_DEP_2)
	v_mul_f32_e32 v29, v31, v29
	v_sub_f32_e32 v27, v27, v28
	v_dual_mul_f32 v31, 0x3f317218, v24 :: v_dual_add_f32 v28, v30, v29
	s_delay_alu instid0(VALU_DEP_2) | instskip(NEXT) | instid1(VALU_DEP_2)
	v_sub_f32_e32 v25, v25, v27
	v_sub_f32_e32 v27, v28, v30
	s_delay_alu instid0(VALU_DEP_3) | instskip(NEXT) | instid1(VALU_DEP_3)
	v_fma_f32 v30, 0x3f317218, v24, -v31
	v_ldexp_f32 v25, v25, 1
	s_delay_alu instid0(VALU_DEP_2) | instskip(NEXT) | instid1(VALU_DEP_1)
	v_dual_sub_f32 v27, v29, v27 :: v_dual_fmac_f32 v30, 0xb102e308, v24
	v_dual_add_f32 v24, v25, v27 :: v_dual_add_f32 v25, v31, v30
	s_delay_alu instid0(VALU_DEP_1) | instskip(NEXT) | instid1(VALU_DEP_1)
	v_add_f32_e32 v27, v28, v24
	v_dual_add_f32 v29, v25, v27 :: v_dual_sub_f32 v28, v27, v28
	s_delay_alu instid0(VALU_DEP_1) | instskip(NEXT) | instid1(VALU_DEP_2)
	v_sub_f32_e32 v32, v29, v25
	v_dual_sub_f32 v31, v25, v31 :: v_dual_sub_f32 v24, v24, v28
	s_delay_alu instid0(VALU_DEP_1) | instskip(SKIP_1) | instid1(VALU_DEP_2)
	v_dual_sub_f32 v33, v29, v32 :: v_dual_sub_f32 v30, v30, v31
	v_sub_f32_e32 v27, v27, v32
	v_dual_sub_f32 v25, v25, v33 :: v_dual_add_f32 v28, v30, v24
	s_delay_alu instid0(VALU_DEP_1) | instskip(NEXT) | instid1(VALU_DEP_2)
	v_add_f32_e32 v25, v27, v25
	v_sub_f32_e32 v27, v28, v30
	s_delay_alu instid0(VALU_DEP_2) | instskip(NEXT) | instid1(VALU_DEP_2)
	v_add_f32_e32 v25, v28, v25
	v_sub_f32_e32 v28, v28, v27
	s_delay_alu instid0(VALU_DEP_2) | instskip(NEXT) | instid1(VALU_DEP_1)
	v_dual_sub_f32 v24, v24, v27 :: v_dual_add_f32 v31, v29, v25
	v_dual_sub_f32 v28, v30, v28 :: v_dual_sub_f32 v27, v31, v29
	s_delay_alu instid0(VALU_DEP_1) | instskip(NEXT) | instid1(VALU_DEP_1)
	v_dual_add_f32 v24, v24, v28 :: v_dual_sub_f32 v25, v25, v27
	v_add_f32_e32 v24, v24, v25
	s_delay_alu instid0(VALU_DEP_1) | instskip(NEXT) | instid1(VALU_DEP_1)
	v_add_f32_e32 v24, v31, v24
	v_cndmask_b32_e32 v78, v24, v26, vcc_lo
.LBB49_28:                              ;   in Loop: Header=BB49_12 Depth=1
	s_or_b32 exec_lo, exec_lo, s15
	v_lshlrev_b32_e32 v24, 16, v14
	s_delay_alu instid0(VALU_DEP_1) | instskip(NEXT) | instid1(VALU_DEP_1)
	v_add_f32_e32 v79, s56, v24
	v_cmp_ge_f32_e32 vcc_lo, 0x41a00000, v79
	s_and_b32 s14, s66, vcc_lo
	s_delay_alu instid0(SALU_CYCLE_1)
	s_and_saveexec_b32 s15, s14
	s_cbranch_execz .LBB49_30
; %bb.29:                               ;   in Loop: Header=BB49_12 Depth=1
	v_mul_f32_e32 v24, 0x3fb8aa3b, v79
	v_cmp_ngt_f32_e32 vcc_lo, 0xc2ce8ed0, v79
	s_delay_alu instid0(VALU_DEP_2) | instskip(SKIP_1) | instid1(VALU_DEP_2)
	v_rndne_f32_e32 v25, v24
	v_fma_f32 v26, 0x3fb8aa3b, v79, -v24
	v_sub_f32_e32 v24, v24, v25
	s_delay_alu instid0(VALU_DEP_2) | instskip(SKIP_1) | instid1(VALU_DEP_2)
	v_fmac_f32_e32 v26, 0x32a5705f, v79
	v_cvt_i32_f32_e32 v25, v25
	v_add_f32_e32 v24, v24, v26
	s_delay_alu instid0(VALU_DEP_1) | instskip(SKIP_2) | instid1(VALU_DEP_1)
	v_exp_f32_e32 v24, v24
	s_waitcnt_depctr 0xfff
	v_ldexp_f32 v24, v24, v25
	v_cndmask_b32_e32 v24, 0, v24, vcc_lo
	v_cmp_nlt_f32_e32 vcc_lo, 0x42b17218, v79
	s_delay_alu instid0(VALU_DEP_2) | instskip(NEXT) | instid1(VALU_DEP_1)
	v_cndmask_b32_e32 v26, 0x7f800000, v24, vcc_lo
	v_add_f32_e32 v27, 1.0, v26
	s_delay_alu instid0(VALU_DEP_1) | instskip(NEXT) | instid1(VALU_DEP_1)
	v_cvt_f64_f32_e32 v[24:25], v27
	v_frexp_exp_i32_f64_e32 v24, v[24:25]
	v_frexp_mant_f32_e32 v25, v27
	s_delay_alu instid0(VALU_DEP_1) | instskip(SKIP_1) | instid1(VALU_DEP_1)
	v_cmp_gt_f32_e32 vcc_lo, 0x3f2aaaab, v25
	v_add_f32_e32 v25, -1.0, v27
	v_sub_f32_e32 v29, v25, v27
	v_sub_f32_e32 v25, v26, v25
	s_delay_alu instid0(VALU_DEP_2) | instskip(NEXT) | instid1(VALU_DEP_1)
	v_add_f32_e32 v29, 1.0, v29
	v_add_f32_e32 v25, v25, v29
	v_cmp_gt_f32_e64 s14, 0x33800000, v26
	v_subrev_co_ci_u32_e32 v24, vcc_lo, 0, v24, vcc_lo
	v_cmp_eq_f32_e32 vcc_lo, 0x7f800000, v26
	s_delay_alu instid0(VALU_DEP_2) | instskip(SKIP_2) | instid1(VALU_DEP_2)
	v_sub_nc_u32_e32 v28, 0, v24
	v_cvt_f32_i32_e32 v24, v24
	s_or_b32 vcc_lo, s14, vcc_lo
	v_ldexp_f32 v27, v27, v28
	v_ldexp_f32 v25, v25, v28
	s_delay_alu instid0(VALU_DEP_2) | instskip(NEXT) | instid1(VALU_DEP_1)
	v_add_f32_e32 v30, 1.0, v27
	v_dual_add_f32 v28, -1.0, v27 :: v_dual_add_f32 v29, -1.0, v30
	s_delay_alu instid0(VALU_DEP_1) | instskip(NEXT) | instid1(VALU_DEP_2)
	v_add_f32_e32 v31, 1.0, v28
	v_sub_f32_e32 v29, v27, v29
	s_delay_alu instid0(VALU_DEP_2) | instskip(NEXT) | instid1(VALU_DEP_2)
	v_sub_f32_e32 v27, v27, v31
	v_add_f32_e32 v29, v25, v29
	s_delay_alu instid0(VALU_DEP_2) | instskip(NEXT) | instid1(VALU_DEP_1)
	v_add_f32_e32 v25, v25, v27
	v_add_f32_e32 v32, v28, v25
	s_delay_alu instid0(VALU_DEP_1) | instskip(NEXT) | instid1(VALU_DEP_1)
	v_dual_add_f32 v31, v30, v29 :: v_dual_sub_f32 v28, v28, v32
	v_rcp_f32_e32 v27, v31
	v_sub_f32_e32 v30, v30, v31
	s_delay_alu instid0(VALU_DEP_1) | instskip(SKIP_2) | instid1(VALU_DEP_1)
	v_add_f32_e32 v29, v29, v30
	s_waitcnt_depctr 0xfff
	v_mul_f32_e32 v33, v32, v27
	v_mul_f32_e32 v34, v31, v33
	s_delay_alu instid0(VALU_DEP_1) | instskip(NEXT) | instid1(VALU_DEP_1)
	v_fma_f32 v30, v33, v31, -v34
	v_fmac_f32_e32 v30, v33, v29
	s_delay_alu instid0(VALU_DEP_1) | instskip(NEXT) | instid1(VALU_DEP_1)
	v_add_f32_e32 v35, v34, v30
	v_sub_f32_e32 v36, v32, v35
	s_delay_alu instid0(VALU_DEP_1) | instskip(SKIP_1) | instid1(VALU_DEP_2)
	v_sub_f32_e32 v32, v32, v36
	v_dual_add_f32 v25, v25, v28 :: v_dual_sub_f32 v28, v35, v34
	v_sub_f32_e32 v32, v32, v35
	s_delay_alu instid0(VALU_DEP_1) | instskip(NEXT) | instid1(VALU_DEP_1)
	v_dual_sub_f32 v28, v28, v30 :: v_dual_add_f32 v25, v25, v32
	v_add_f32_e32 v25, v28, v25
	s_delay_alu instid0(VALU_DEP_1) | instskip(NEXT) | instid1(VALU_DEP_1)
	v_add_f32_e32 v28, v36, v25
	v_mul_f32_e32 v30, v27, v28
	s_delay_alu instid0(VALU_DEP_1) | instskip(NEXT) | instid1(VALU_DEP_1)
	v_dual_sub_f32 v35, v36, v28 :: v_dual_mul_f32 v32, v31, v30
	v_add_f32_e32 v25, v25, v35
	s_delay_alu instid0(VALU_DEP_2) | instskip(NEXT) | instid1(VALU_DEP_1)
	v_fma_f32 v31, v30, v31, -v32
	v_fmac_f32_e32 v31, v30, v29
	s_delay_alu instid0(VALU_DEP_1) | instskip(NEXT) | instid1(VALU_DEP_1)
	v_add_f32_e32 v29, v32, v31
	v_sub_f32_e32 v34, v28, v29
	s_delay_alu instid0(VALU_DEP_1) | instskip(NEXT) | instid1(VALU_DEP_1)
	v_sub_f32_e32 v28, v28, v34
	v_sub_f32_e32 v28, v28, v29
	s_delay_alu instid0(VALU_DEP_1) | instskip(SKIP_2) | instid1(VALU_DEP_1)
	v_add_f32_e32 v25, v25, v28
	v_add_f32_e32 v28, v33, v30
	v_sub_f32_e32 v32, v29, v32
	v_sub_f32_e32 v29, v32, v31
	s_delay_alu instid0(VALU_DEP_1) | instskip(NEXT) | instid1(VALU_DEP_4)
	v_add_f32_e32 v25, v29, v25
	v_sub_f32_e32 v29, v28, v33
	s_delay_alu instid0(VALU_DEP_2) | instskip(NEXT) | instid1(VALU_DEP_2)
	v_add_f32_e32 v25, v34, v25
	v_sub_f32_e32 v29, v30, v29
	s_delay_alu instid0(VALU_DEP_2) | instskip(NEXT) | instid1(VALU_DEP_1)
	v_mul_f32_e32 v25, v27, v25
	v_add_f32_e32 v25, v29, v25
	s_delay_alu instid0(VALU_DEP_1) | instskip(NEXT) | instid1(VALU_DEP_1)
	v_add_f32_e32 v27, v28, v25
	v_mul_f32_e32 v29, v27, v27
	s_delay_alu instid0(VALU_DEP_1) | instskip(SKIP_1) | instid1(VALU_DEP_2)
	v_fmaak_f32 v30, s54, v29, 0x3ecc95a3
	v_mul_f32_e32 v31, v27, v29
	v_fmaak_f32 v29, v29, v30, 0x3f2aaada
	v_ldexp_f32 v30, v27, 1
	s_delay_alu instid0(VALU_DEP_2) | instskip(SKIP_1) | instid1(VALU_DEP_2)
	v_mul_f32_e32 v29, v31, v29
	v_sub_f32_e32 v27, v27, v28
	v_dual_mul_f32 v31, 0x3f317218, v24 :: v_dual_add_f32 v28, v30, v29
	s_delay_alu instid0(VALU_DEP_2) | instskip(NEXT) | instid1(VALU_DEP_2)
	v_sub_f32_e32 v25, v25, v27
	v_sub_f32_e32 v27, v28, v30
	s_delay_alu instid0(VALU_DEP_3) | instskip(NEXT) | instid1(VALU_DEP_3)
	v_fma_f32 v30, 0x3f317218, v24, -v31
	v_ldexp_f32 v25, v25, 1
	s_delay_alu instid0(VALU_DEP_2) | instskip(NEXT) | instid1(VALU_DEP_1)
	v_dual_sub_f32 v27, v29, v27 :: v_dual_fmac_f32 v30, 0xb102e308, v24
	v_dual_add_f32 v24, v25, v27 :: v_dual_add_f32 v25, v31, v30
	s_delay_alu instid0(VALU_DEP_1) | instskip(NEXT) | instid1(VALU_DEP_1)
	v_add_f32_e32 v27, v28, v24
	v_dual_add_f32 v29, v25, v27 :: v_dual_sub_f32 v28, v27, v28
	s_delay_alu instid0(VALU_DEP_1) | instskip(NEXT) | instid1(VALU_DEP_2)
	v_sub_f32_e32 v32, v29, v25
	v_dual_sub_f32 v31, v25, v31 :: v_dual_sub_f32 v24, v24, v28
	s_delay_alu instid0(VALU_DEP_1) | instskip(SKIP_1) | instid1(VALU_DEP_2)
	v_dual_sub_f32 v33, v29, v32 :: v_dual_sub_f32 v30, v30, v31
	v_sub_f32_e32 v27, v27, v32
	v_dual_sub_f32 v25, v25, v33 :: v_dual_add_f32 v28, v30, v24
	s_delay_alu instid0(VALU_DEP_1) | instskip(NEXT) | instid1(VALU_DEP_2)
	v_add_f32_e32 v25, v27, v25
	v_sub_f32_e32 v27, v28, v30
	s_delay_alu instid0(VALU_DEP_2) | instskip(NEXT) | instid1(VALU_DEP_2)
	v_add_f32_e32 v25, v28, v25
	v_sub_f32_e32 v28, v28, v27
	s_delay_alu instid0(VALU_DEP_2) | instskip(NEXT) | instid1(VALU_DEP_1)
	v_dual_sub_f32 v24, v24, v27 :: v_dual_add_f32 v31, v29, v25
	v_dual_sub_f32 v28, v30, v28 :: v_dual_sub_f32 v27, v31, v29
	s_delay_alu instid0(VALU_DEP_1) | instskip(NEXT) | instid1(VALU_DEP_1)
	v_dual_add_f32 v24, v24, v28 :: v_dual_sub_f32 v25, v25, v27
	v_add_f32_e32 v24, v24, v25
	s_delay_alu instid0(VALU_DEP_1) | instskip(NEXT) | instid1(VALU_DEP_1)
	v_add_f32_e32 v24, v31, v24
	v_cndmask_b32_e32 v79, v24, v26, vcc_lo
.LBB49_30:                              ;   in Loop: Header=BB49_12 Depth=1
	s_or_b32 exec_lo, exec_lo, s15
	v_and_b32_e32 v24, 0xffff0000, v14
	s_delay_alu instid0(VALU_DEP_1) | instskip(NEXT) | instid1(VALU_DEP_1)
	v_add_f32_e32 v80, s56, v24
	v_cmp_ge_f32_e32 vcc_lo, 0x41a00000, v80
	s_and_b32 s14, s66, vcc_lo
	s_delay_alu instid0(SALU_CYCLE_1)
	s_and_saveexec_b32 s15, s14
	s_cbranch_execz .LBB49_32
; %bb.31:                               ;   in Loop: Header=BB49_12 Depth=1
	v_mul_f32_e32 v24, 0x3fb8aa3b, v80
	v_cmp_ngt_f32_e32 vcc_lo, 0xc2ce8ed0, v80
	s_delay_alu instid0(VALU_DEP_2) | instskip(SKIP_1) | instid1(VALU_DEP_2)
	v_rndne_f32_e32 v25, v24
	v_fma_f32 v26, 0x3fb8aa3b, v80, -v24
	v_sub_f32_e32 v24, v24, v25
	s_delay_alu instid0(VALU_DEP_2) | instskip(SKIP_1) | instid1(VALU_DEP_2)
	v_fmac_f32_e32 v26, 0x32a5705f, v80
	v_cvt_i32_f32_e32 v25, v25
	v_add_f32_e32 v24, v24, v26
	s_delay_alu instid0(VALU_DEP_1) | instskip(SKIP_2) | instid1(VALU_DEP_1)
	v_exp_f32_e32 v24, v24
	s_waitcnt_depctr 0xfff
	v_ldexp_f32 v24, v24, v25
	v_cndmask_b32_e32 v24, 0, v24, vcc_lo
	v_cmp_nlt_f32_e32 vcc_lo, 0x42b17218, v80
	s_delay_alu instid0(VALU_DEP_2) | instskip(NEXT) | instid1(VALU_DEP_1)
	v_cndmask_b32_e32 v26, 0x7f800000, v24, vcc_lo
	v_add_f32_e32 v27, 1.0, v26
	s_delay_alu instid0(VALU_DEP_1) | instskip(NEXT) | instid1(VALU_DEP_1)
	v_cvt_f64_f32_e32 v[24:25], v27
	v_frexp_exp_i32_f64_e32 v24, v[24:25]
	v_frexp_mant_f32_e32 v25, v27
	s_delay_alu instid0(VALU_DEP_1) | instskip(SKIP_1) | instid1(VALU_DEP_1)
	v_cmp_gt_f32_e32 vcc_lo, 0x3f2aaaab, v25
	v_add_f32_e32 v25, -1.0, v27
	v_sub_f32_e32 v29, v25, v27
	v_sub_f32_e32 v25, v26, v25
	s_delay_alu instid0(VALU_DEP_2) | instskip(NEXT) | instid1(VALU_DEP_1)
	v_add_f32_e32 v29, 1.0, v29
	v_add_f32_e32 v25, v25, v29
	v_cmp_gt_f32_e64 s14, 0x33800000, v26
	v_subrev_co_ci_u32_e32 v24, vcc_lo, 0, v24, vcc_lo
	v_cmp_eq_f32_e32 vcc_lo, 0x7f800000, v26
	s_delay_alu instid0(VALU_DEP_2) | instskip(SKIP_2) | instid1(VALU_DEP_2)
	v_sub_nc_u32_e32 v28, 0, v24
	v_cvt_f32_i32_e32 v24, v24
	s_or_b32 vcc_lo, s14, vcc_lo
	v_ldexp_f32 v27, v27, v28
	v_ldexp_f32 v25, v25, v28
	s_delay_alu instid0(VALU_DEP_2) | instskip(NEXT) | instid1(VALU_DEP_1)
	v_add_f32_e32 v30, 1.0, v27
	v_dual_add_f32 v28, -1.0, v27 :: v_dual_add_f32 v29, -1.0, v30
	s_delay_alu instid0(VALU_DEP_1) | instskip(NEXT) | instid1(VALU_DEP_2)
	v_add_f32_e32 v31, 1.0, v28
	v_sub_f32_e32 v29, v27, v29
	s_delay_alu instid0(VALU_DEP_2) | instskip(NEXT) | instid1(VALU_DEP_2)
	v_sub_f32_e32 v27, v27, v31
	v_add_f32_e32 v29, v25, v29
	s_delay_alu instid0(VALU_DEP_2) | instskip(NEXT) | instid1(VALU_DEP_1)
	v_add_f32_e32 v25, v25, v27
	v_add_f32_e32 v32, v28, v25
	s_delay_alu instid0(VALU_DEP_1) | instskip(NEXT) | instid1(VALU_DEP_1)
	v_dual_add_f32 v31, v30, v29 :: v_dual_sub_f32 v28, v28, v32
	v_rcp_f32_e32 v27, v31
	v_sub_f32_e32 v30, v30, v31
	s_delay_alu instid0(VALU_DEP_1) | instskip(SKIP_2) | instid1(VALU_DEP_1)
	v_add_f32_e32 v29, v29, v30
	s_waitcnt_depctr 0xfff
	v_mul_f32_e32 v33, v32, v27
	v_mul_f32_e32 v34, v31, v33
	s_delay_alu instid0(VALU_DEP_1) | instskip(NEXT) | instid1(VALU_DEP_1)
	v_fma_f32 v30, v33, v31, -v34
	v_fmac_f32_e32 v30, v33, v29
	s_delay_alu instid0(VALU_DEP_1) | instskip(NEXT) | instid1(VALU_DEP_1)
	v_add_f32_e32 v35, v34, v30
	v_sub_f32_e32 v36, v32, v35
	s_delay_alu instid0(VALU_DEP_1) | instskip(SKIP_1) | instid1(VALU_DEP_2)
	v_sub_f32_e32 v32, v32, v36
	v_dual_add_f32 v25, v25, v28 :: v_dual_sub_f32 v28, v35, v34
	v_sub_f32_e32 v32, v32, v35
	s_delay_alu instid0(VALU_DEP_1) | instskip(NEXT) | instid1(VALU_DEP_1)
	v_dual_sub_f32 v28, v28, v30 :: v_dual_add_f32 v25, v25, v32
	v_add_f32_e32 v25, v28, v25
	s_delay_alu instid0(VALU_DEP_1) | instskip(NEXT) | instid1(VALU_DEP_1)
	v_add_f32_e32 v28, v36, v25
	v_mul_f32_e32 v30, v27, v28
	s_delay_alu instid0(VALU_DEP_1) | instskip(NEXT) | instid1(VALU_DEP_1)
	v_dual_sub_f32 v35, v36, v28 :: v_dual_mul_f32 v32, v31, v30
	v_add_f32_e32 v25, v25, v35
	s_delay_alu instid0(VALU_DEP_2) | instskip(NEXT) | instid1(VALU_DEP_1)
	v_fma_f32 v31, v30, v31, -v32
	v_fmac_f32_e32 v31, v30, v29
	s_delay_alu instid0(VALU_DEP_1) | instskip(NEXT) | instid1(VALU_DEP_1)
	v_add_f32_e32 v29, v32, v31
	v_sub_f32_e32 v34, v28, v29
	s_delay_alu instid0(VALU_DEP_1) | instskip(NEXT) | instid1(VALU_DEP_1)
	v_sub_f32_e32 v28, v28, v34
	v_sub_f32_e32 v28, v28, v29
	s_delay_alu instid0(VALU_DEP_1) | instskip(SKIP_2) | instid1(VALU_DEP_1)
	v_add_f32_e32 v25, v25, v28
	v_add_f32_e32 v28, v33, v30
	v_sub_f32_e32 v32, v29, v32
	v_sub_f32_e32 v29, v32, v31
	s_delay_alu instid0(VALU_DEP_1) | instskip(NEXT) | instid1(VALU_DEP_4)
	v_add_f32_e32 v25, v29, v25
	v_sub_f32_e32 v29, v28, v33
	s_delay_alu instid0(VALU_DEP_2) | instskip(NEXT) | instid1(VALU_DEP_2)
	v_add_f32_e32 v25, v34, v25
	v_sub_f32_e32 v29, v30, v29
	s_delay_alu instid0(VALU_DEP_2) | instskip(NEXT) | instid1(VALU_DEP_1)
	v_mul_f32_e32 v25, v27, v25
	v_add_f32_e32 v25, v29, v25
	s_delay_alu instid0(VALU_DEP_1) | instskip(NEXT) | instid1(VALU_DEP_1)
	v_add_f32_e32 v27, v28, v25
	v_mul_f32_e32 v29, v27, v27
	s_delay_alu instid0(VALU_DEP_1) | instskip(SKIP_1) | instid1(VALU_DEP_2)
	v_fmaak_f32 v30, s54, v29, 0x3ecc95a3
	v_mul_f32_e32 v31, v27, v29
	v_fmaak_f32 v29, v29, v30, 0x3f2aaada
	v_ldexp_f32 v30, v27, 1
	s_delay_alu instid0(VALU_DEP_2) | instskip(SKIP_1) | instid1(VALU_DEP_2)
	v_mul_f32_e32 v29, v31, v29
	v_sub_f32_e32 v27, v27, v28
	v_dual_mul_f32 v31, 0x3f317218, v24 :: v_dual_add_f32 v28, v30, v29
	s_delay_alu instid0(VALU_DEP_2) | instskip(NEXT) | instid1(VALU_DEP_2)
	v_sub_f32_e32 v25, v25, v27
	v_sub_f32_e32 v27, v28, v30
	s_delay_alu instid0(VALU_DEP_3) | instskip(NEXT) | instid1(VALU_DEP_3)
	v_fma_f32 v30, 0x3f317218, v24, -v31
	v_ldexp_f32 v25, v25, 1
	s_delay_alu instid0(VALU_DEP_2) | instskip(NEXT) | instid1(VALU_DEP_1)
	v_dual_sub_f32 v27, v29, v27 :: v_dual_fmac_f32 v30, 0xb102e308, v24
	v_dual_add_f32 v24, v25, v27 :: v_dual_add_f32 v25, v31, v30
	s_delay_alu instid0(VALU_DEP_1) | instskip(NEXT) | instid1(VALU_DEP_1)
	v_add_f32_e32 v27, v28, v24
	v_dual_add_f32 v29, v25, v27 :: v_dual_sub_f32 v28, v27, v28
	s_delay_alu instid0(VALU_DEP_1) | instskip(NEXT) | instid1(VALU_DEP_2)
	v_sub_f32_e32 v32, v29, v25
	v_dual_sub_f32 v31, v25, v31 :: v_dual_sub_f32 v24, v24, v28
	s_delay_alu instid0(VALU_DEP_1) | instskip(SKIP_1) | instid1(VALU_DEP_2)
	v_dual_sub_f32 v33, v29, v32 :: v_dual_sub_f32 v30, v30, v31
	v_sub_f32_e32 v27, v27, v32
	v_dual_sub_f32 v25, v25, v33 :: v_dual_add_f32 v28, v30, v24
	s_delay_alu instid0(VALU_DEP_1) | instskip(NEXT) | instid1(VALU_DEP_2)
	v_add_f32_e32 v25, v27, v25
	v_sub_f32_e32 v27, v28, v30
	s_delay_alu instid0(VALU_DEP_2) | instskip(NEXT) | instid1(VALU_DEP_2)
	v_add_f32_e32 v25, v28, v25
	v_sub_f32_e32 v28, v28, v27
	s_delay_alu instid0(VALU_DEP_2) | instskip(NEXT) | instid1(VALU_DEP_1)
	v_dual_sub_f32 v24, v24, v27 :: v_dual_add_f32 v31, v29, v25
	v_dual_sub_f32 v28, v30, v28 :: v_dual_sub_f32 v27, v31, v29
	s_delay_alu instid0(VALU_DEP_1) | instskip(NEXT) | instid1(VALU_DEP_1)
	v_dual_add_f32 v24, v24, v28 :: v_dual_sub_f32 v25, v25, v27
	v_add_f32_e32 v24, v24, v25
	s_delay_alu instid0(VALU_DEP_1) | instskip(NEXT) | instid1(VALU_DEP_1)
	v_add_f32_e32 v24, v31, v24
	v_cndmask_b32_e32 v80, v24, v26, vcc_lo
.LBB49_32:                              ;   in Loop: Header=BB49_12 Depth=1
	s_or_b32 exec_lo, exec_lo, s15
	v_lshlrev_b32_e32 v24, 16, v15
	s_delay_alu instid0(VALU_DEP_1) | instskip(NEXT) | instid1(VALU_DEP_1)
	v_add_f32_e32 v81, s56, v24
	v_cmp_ge_f32_e32 vcc_lo, 0x41a00000, v81
	s_and_b32 s14, s66, vcc_lo
	s_delay_alu instid0(SALU_CYCLE_1)
	s_and_saveexec_b32 s15, s14
	s_cbranch_execz .LBB49_34
; %bb.33:                               ;   in Loop: Header=BB49_12 Depth=1
	v_mul_f32_e32 v24, 0x3fb8aa3b, v81
	v_cmp_ngt_f32_e32 vcc_lo, 0xc2ce8ed0, v81
	s_delay_alu instid0(VALU_DEP_2) | instskip(SKIP_1) | instid1(VALU_DEP_2)
	v_rndne_f32_e32 v25, v24
	v_fma_f32 v26, 0x3fb8aa3b, v81, -v24
	v_sub_f32_e32 v24, v24, v25
	s_delay_alu instid0(VALU_DEP_2) | instskip(SKIP_1) | instid1(VALU_DEP_2)
	v_fmac_f32_e32 v26, 0x32a5705f, v81
	v_cvt_i32_f32_e32 v25, v25
	v_add_f32_e32 v24, v24, v26
	s_delay_alu instid0(VALU_DEP_1) | instskip(SKIP_2) | instid1(VALU_DEP_1)
	v_exp_f32_e32 v24, v24
	s_waitcnt_depctr 0xfff
	v_ldexp_f32 v24, v24, v25
	v_cndmask_b32_e32 v24, 0, v24, vcc_lo
	v_cmp_nlt_f32_e32 vcc_lo, 0x42b17218, v81
	s_delay_alu instid0(VALU_DEP_2) | instskip(NEXT) | instid1(VALU_DEP_1)
	v_cndmask_b32_e32 v26, 0x7f800000, v24, vcc_lo
	v_add_f32_e32 v27, 1.0, v26
	s_delay_alu instid0(VALU_DEP_1) | instskip(NEXT) | instid1(VALU_DEP_1)
	v_cvt_f64_f32_e32 v[24:25], v27
	v_frexp_exp_i32_f64_e32 v24, v[24:25]
	v_frexp_mant_f32_e32 v25, v27
	s_delay_alu instid0(VALU_DEP_1) | instskip(SKIP_1) | instid1(VALU_DEP_1)
	v_cmp_gt_f32_e32 vcc_lo, 0x3f2aaaab, v25
	v_add_f32_e32 v25, -1.0, v27
	v_sub_f32_e32 v29, v25, v27
	v_sub_f32_e32 v25, v26, v25
	s_delay_alu instid0(VALU_DEP_2) | instskip(NEXT) | instid1(VALU_DEP_1)
	v_add_f32_e32 v29, 1.0, v29
	v_add_f32_e32 v25, v25, v29
	v_cmp_gt_f32_e64 s14, 0x33800000, v26
	v_subrev_co_ci_u32_e32 v24, vcc_lo, 0, v24, vcc_lo
	v_cmp_eq_f32_e32 vcc_lo, 0x7f800000, v26
	s_delay_alu instid0(VALU_DEP_2) | instskip(SKIP_2) | instid1(VALU_DEP_2)
	v_sub_nc_u32_e32 v28, 0, v24
	v_cvt_f32_i32_e32 v24, v24
	s_or_b32 vcc_lo, s14, vcc_lo
	v_ldexp_f32 v27, v27, v28
	v_ldexp_f32 v25, v25, v28
	s_delay_alu instid0(VALU_DEP_2) | instskip(NEXT) | instid1(VALU_DEP_1)
	v_add_f32_e32 v30, 1.0, v27
	v_dual_add_f32 v28, -1.0, v27 :: v_dual_add_f32 v29, -1.0, v30
	s_delay_alu instid0(VALU_DEP_1) | instskip(NEXT) | instid1(VALU_DEP_2)
	v_add_f32_e32 v31, 1.0, v28
	v_sub_f32_e32 v29, v27, v29
	s_delay_alu instid0(VALU_DEP_2) | instskip(NEXT) | instid1(VALU_DEP_2)
	v_sub_f32_e32 v27, v27, v31
	v_add_f32_e32 v29, v25, v29
	s_delay_alu instid0(VALU_DEP_2) | instskip(NEXT) | instid1(VALU_DEP_1)
	v_add_f32_e32 v25, v25, v27
	v_add_f32_e32 v32, v28, v25
	s_delay_alu instid0(VALU_DEP_1) | instskip(NEXT) | instid1(VALU_DEP_1)
	v_dual_add_f32 v31, v30, v29 :: v_dual_sub_f32 v28, v28, v32
	v_rcp_f32_e32 v27, v31
	v_sub_f32_e32 v30, v30, v31
	s_delay_alu instid0(VALU_DEP_1) | instskip(SKIP_2) | instid1(VALU_DEP_1)
	v_add_f32_e32 v29, v29, v30
	s_waitcnt_depctr 0xfff
	v_mul_f32_e32 v33, v32, v27
	v_mul_f32_e32 v34, v31, v33
	s_delay_alu instid0(VALU_DEP_1) | instskip(NEXT) | instid1(VALU_DEP_1)
	v_fma_f32 v30, v33, v31, -v34
	v_fmac_f32_e32 v30, v33, v29
	s_delay_alu instid0(VALU_DEP_1) | instskip(NEXT) | instid1(VALU_DEP_1)
	v_add_f32_e32 v35, v34, v30
	v_sub_f32_e32 v36, v32, v35
	s_delay_alu instid0(VALU_DEP_1) | instskip(SKIP_1) | instid1(VALU_DEP_2)
	v_sub_f32_e32 v32, v32, v36
	v_dual_add_f32 v25, v25, v28 :: v_dual_sub_f32 v28, v35, v34
	v_sub_f32_e32 v32, v32, v35
	s_delay_alu instid0(VALU_DEP_1) | instskip(NEXT) | instid1(VALU_DEP_1)
	v_dual_sub_f32 v28, v28, v30 :: v_dual_add_f32 v25, v25, v32
	v_add_f32_e32 v25, v28, v25
	s_delay_alu instid0(VALU_DEP_1) | instskip(NEXT) | instid1(VALU_DEP_1)
	v_add_f32_e32 v28, v36, v25
	v_mul_f32_e32 v30, v27, v28
	s_delay_alu instid0(VALU_DEP_1) | instskip(NEXT) | instid1(VALU_DEP_1)
	v_dual_sub_f32 v35, v36, v28 :: v_dual_mul_f32 v32, v31, v30
	v_add_f32_e32 v25, v25, v35
	s_delay_alu instid0(VALU_DEP_2) | instskip(NEXT) | instid1(VALU_DEP_1)
	v_fma_f32 v31, v30, v31, -v32
	v_fmac_f32_e32 v31, v30, v29
	s_delay_alu instid0(VALU_DEP_1) | instskip(NEXT) | instid1(VALU_DEP_1)
	v_add_f32_e32 v29, v32, v31
	v_sub_f32_e32 v34, v28, v29
	s_delay_alu instid0(VALU_DEP_1) | instskip(NEXT) | instid1(VALU_DEP_1)
	v_sub_f32_e32 v28, v28, v34
	v_sub_f32_e32 v28, v28, v29
	s_delay_alu instid0(VALU_DEP_1) | instskip(SKIP_2) | instid1(VALU_DEP_1)
	v_add_f32_e32 v25, v25, v28
	v_add_f32_e32 v28, v33, v30
	v_sub_f32_e32 v32, v29, v32
	v_sub_f32_e32 v29, v32, v31
	s_delay_alu instid0(VALU_DEP_1) | instskip(NEXT) | instid1(VALU_DEP_4)
	v_add_f32_e32 v25, v29, v25
	v_sub_f32_e32 v29, v28, v33
	s_delay_alu instid0(VALU_DEP_2) | instskip(NEXT) | instid1(VALU_DEP_2)
	v_add_f32_e32 v25, v34, v25
	v_sub_f32_e32 v29, v30, v29
	s_delay_alu instid0(VALU_DEP_2) | instskip(NEXT) | instid1(VALU_DEP_1)
	v_mul_f32_e32 v25, v27, v25
	v_add_f32_e32 v25, v29, v25
	s_delay_alu instid0(VALU_DEP_1) | instskip(NEXT) | instid1(VALU_DEP_1)
	v_add_f32_e32 v27, v28, v25
	v_mul_f32_e32 v29, v27, v27
	s_delay_alu instid0(VALU_DEP_1) | instskip(SKIP_1) | instid1(VALU_DEP_2)
	v_fmaak_f32 v30, s54, v29, 0x3ecc95a3
	v_mul_f32_e32 v31, v27, v29
	v_fmaak_f32 v29, v29, v30, 0x3f2aaada
	v_ldexp_f32 v30, v27, 1
	s_delay_alu instid0(VALU_DEP_2) | instskip(SKIP_1) | instid1(VALU_DEP_2)
	v_mul_f32_e32 v29, v31, v29
	v_sub_f32_e32 v27, v27, v28
	v_dual_mul_f32 v31, 0x3f317218, v24 :: v_dual_add_f32 v28, v30, v29
	s_delay_alu instid0(VALU_DEP_2) | instskip(NEXT) | instid1(VALU_DEP_2)
	v_sub_f32_e32 v25, v25, v27
	v_sub_f32_e32 v27, v28, v30
	s_delay_alu instid0(VALU_DEP_3) | instskip(NEXT) | instid1(VALU_DEP_3)
	v_fma_f32 v30, 0x3f317218, v24, -v31
	v_ldexp_f32 v25, v25, 1
	s_delay_alu instid0(VALU_DEP_2) | instskip(NEXT) | instid1(VALU_DEP_1)
	v_dual_sub_f32 v27, v29, v27 :: v_dual_fmac_f32 v30, 0xb102e308, v24
	v_dual_add_f32 v24, v25, v27 :: v_dual_add_f32 v25, v31, v30
	s_delay_alu instid0(VALU_DEP_1) | instskip(NEXT) | instid1(VALU_DEP_1)
	v_add_f32_e32 v27, v28, v24
	v_dual_add_f32 v29, v25, v27 :: v_dual_sub_f32 v28, v27, v28
	s_delay_alu instid0(VALU_DEP_1) | instskip(NEXT) | instid1(VALU_DEP_2)
	v_sub_f32_e32 v32, v29, v25
	v_dual_sub_f32 v31, v25, v31 :: v_dual_sub_f32 v24, v24, v28
	s_delay_alu instid0(VALU_DEP_1) | instskip(SKIP_1) | instid1(VALU_DEP_2)
	v_dual_sub_f32 v33, v29, v32 :: v_dual_sub_f32 v30, v30, v31
	v_sub_f32_e32 v27, v27, v32
	v_dual_sub_f32 v25, v25, v33 :: v_dual_add_f32 v28, v30, v24
	s_delay_alu instid0(VALU_DEP_1) | instskip(NEXT) | instid1(VALU_DEP_2)
	v_add_f32_e32 v25, v27, v25
	v_sub_f32_e32 v27, v28, v30
	s_delay_alu instid0(VALU_DEP_2) | instskip(NEXT) | instid1(VALU_DEP_2)
	v_add_f32_e32 v25, v28, v25
	v_sub_f32_e32 v28, v28, v27
	s_delay_alu instid0(VALU_DEP_2) | instskip(NEXT) | instid1(VALU_DEP_1)
	v_dual_sub_f32 v24, v24, v27 :: v_dual_add_f32 v31, v29, v25
	v_dual_sub_f32 v28, v30, v28 :: v_dual_sub_f32 v27, v31, v29
	s_delay_alu instid0(VALU_DEP_1) | instskip(NEXT) | instid1(VALU_DEP_1)
	v_dual_add_f32 v24, v24, v28 :: v_dual_sub_f32 v25, v25, v27
	v_add_f32_e32 v24, v24, v25
	s_delay_alu instid0(VALU_DEP_1) | instskip(NEXT) | instid1(VALU_DEP_1)
	v_add_f32_e32 v24, v31, v24
	v_cndmask_b32_e32 v81, v24, v26, vcc_lo
.LBB49_34:                              ;   in Loop: Header=BB49_12 Depth=1
	s_or_b32 exec_lo, exec_lo, s15
	v_and_b32_e32 v24, 0xffff0000, v15
	s_delay_alu instid0(VALU_DEP_1) | instskip(NEXT) | instid1(VALU_DEP_1)
	v_add_f32_e32 v82, s56, v24
	v_cmp_ge_f32_e32 vcc_lo, 0x41a00000, v82
	s_and_b32 s14, s66, vcc_lo
	s_delay_alu instid0(SALU_CYCLE_1)
	s_and_saveexec_b32 s15, s14
	s_cbranch_execz .LBB49_36
; %bb.35:                               ;   in Loop: Header=BB49_12 Depth=1
	v_mul_f32_e32 v24, 0x3fb8aa3b, v82
	v_cmp_ngt_f32_e32 vcc_lo, 0xc2ce8ed0, v82
	s_delay_alu instid0(VALU_DEP_2) | instskip(SKIP_1) | instid1(VALU_DEP_2)
	v_rndne_f32_e32 v25, v24
	v_fma_f32 v26, 0x3fb8aa3b, v82, -v24
	v_sub_f32_e32 v24, v24, v25
	s_delay_alu instid0(VALU_DEP_2) | instskip(SKIP_1) | instid1(VALU_DEP_2)
	v_fmac_f32_e32 v26, 0x32a5705f, v82
	v_cvt_i32_f32_e32 v25, v25
	v_add_f32_e32 v24, v24, v26
	s_delay_alu instid0(VALU_DEP_1) | instskip(SKIP_2) | instid1(VALU_DEP_1)
	v_exp_f32_e32 v24, v24
	s_waitcnt_depctr 0xfff
	v_ldexp_f32 v24, v24, v25
	v_cndmask_b32_e32 v24, 0, v24, vcc_lo
	v_cmp_nlt_f32_e32 vcc_lo, 0x42b17218, v82
	s_delay_alu instid0(VALU_DEP_2) | instskip(NEXT) | instid1(VALU_DEP_1)
	v_cndmask_b32_e32 v26, 0x7f800000, v24, vcc_lo
	v_add_f32_e32 v27, 1.0, v26
	s_delay_alu instid0(VALU_DEP_1) | instskip(NEXT) | instid1(VALU_DEP_1)
	v_cvt_f64_f32_e32 v[24:25], v27
	v_frexp_exp_i32_f64_e32 v24, v[24:25]
	v_frexp_mant_f32_e32 v25, v27
	s_delay_alu instid0(VALU_DEP_1) | instskip(SKIP_1) | instid1(VALU_DEP_1)
	v_cmp_gt_f32_e32 vcc_lo, 0x3f2aaaab, v25
	v_add_f32_e32 v25, -1.0, v27
	v_sub_f32_e32 v29, v25, v27
	v_sub_f32_e32 v25, v26, v25
	s_delay_alu instid0(VALU_DEP_2) | instskip(NEXT) | instid1(VALU_DEP_1)
	v_add_f32_e32 v29, 1.0, v29
	v_add_f32_e32 v25, v25, v29
	v_cmp_gt_f32_e64 s14, 0x33800000, v26
	v_subrev_co_ci_u32_e32 v24, vcc_lo, 0, v24, vcc_lo
	v_cmp_eq_f32_e32 vcc_lo, 0x7f800000, v26
	s_delay_alu instid0(VALU_DEP_2) | instskip(SKIP_2) | instid1(VALU_DEP_2)
	v_sub_nc_u32_e32 v28, 0, v24
	v_cvt_f32_i32_e32 v24, v24
	s_or_b32 vcc_lo, s14, vcc_lo
	v_ldexp_f32 v27, v27, v28
	v_ldexp_f32 v25, v25, v28
	s_delay_alu instid0(VALU_DEP_2) | instskip(NEXT) | instid1(VALU_DEP_1)
	v_add_f32_e32 v30, 1.0, v27
	v_dual_add_f32 v28, -1.0, v27 :: v_dual_add_f32 v29, -1.0, v30
	s_delay_alu instid0(VALU_DEP_1) | instskip(NEXT) | instid1(VALU_DEP_2)
	v_add_f32_e32 v31, 1.0, v28
	v_sub_f32_e32 v29, v27, v29
	s_delay_alu instid0(VALU_DEP_2) | instskip(NEXT) | instid1(VALU_DEP_2)
	v_sub_f32_e32 v27, v27, v31
	v_add_f32_e32 v29, v25, v29
	s_delay_alu instid0(VALU_DEP_2) | instskip(NEXT) | instid1(VALU_DEP_1)
	v_add_f32_e32 v25, v25, v27
	v_add_f32_e32 v32, v28, v25
	s_delay_alu instid0(VALU_DEP_1) | instskip(NEXT) | instid1(VALU_DEP_1)
	v_dual_add_f32 v31, v30, v29 :: v_dual_sub_f32 v28, v28, v32
	v_rcp_f32_e32 v27, v31
	v_sub_f32_e32 v30, v30, v31
	s_delay_alu instid0(VALU_DEP_1) | instskip(SKIP_2) | instid1(VALU_DEP_1)
	v_add_f32_e32 v29, v29, v30
	s_waitcnt_depctr 0xfff
	v_mul_f32_e32 v33, v32, v27
	v_mul_f32_e32 v34, v31, v33
	s_delay_alu instid0(VALU_DEP_1) | instskip(NEXT) | instid1(VALU_DEP_1)
	v_fma_f32 v30, v33, v31, -v34
	v_fmac_f32_e32 v30, v33, v29
	s_delay_alu instid0(VALU_DEP_1) | instskip(NEXT) | instid1(VALU_DEP_1)
	v_add_f32_e32 v35, v34, v30
	v_sub_f32_e32 v36, v32, v35
	s_delay_alu instid0(VALU_DEP_1) | instskip(SKIP_1) | instid1(VALU_DEP_2)
	v_sub_f32_e32 v32, v32, v36
	v_dual_add_f32 v25, v25, v28 :: v_dual_sub_f32 v28, v35, v34
	v_sub_f32_e32 v32, v32, v35
	s_delay_alu instid0(VALU_DEP_1) | instskip(NEXT) | instid1(VALU_DEP_1)
	v_dual_sub_f32 v28, v28, v30 :: v_dual_add_f32 v25, v25, v32
	v_add_f32_e32 v25, v28, v25
	s_delay_alu instid0(VALU_DEP_1) | instskip(NEXT) | instid1(VALU_DEP_1)
	v_add_f32_e32 v28, v36, v25
	v_mul_f32_e32 v30, v27, v28
	s_delay_alu instid0(VALU_DEP_1) | instskip(NEXT) | instid1(VALU_DEP_1)
	v_dual_sub_f32 v35, v36, v28 :: v_dual_mul_f32 v32, v31, v30
	v_add_f32_e32 v25, v25, v35
	s_delay_alu instid0(VALU_DEP_2) | instskip(NEXT) | instid1(VALU_DEP_1)
	v_fma_f32 v31, v30, v31, -v32
	v_fmac_f32_e32 v31, v30, v29
	s_delay_alu instid0(VALU_DEP_1) | instskip(NEXT) | instid1(VALU_DEP_1)
	v_add_f32_e32 v29, v32, v31
	v_sub_f32_e32 v34, v28, v29
	s_delay_alu instid0(VALU_DEP_1) | instskip(NEXT) | instid1(VALU_DEP_1)
	v_sub_f32_e32 v28, v28, v34
	v_sub_f32_e32 v28, v28, v29
	s_delay_alu instid0(VALU_DEP_1) | instskip(SKIP_2) | instid1(VALU_DEP_1)
	v_add_f32_e32 v25, v25, v28
	v_add_f32_e32 v28, v33, v30
	v_sub_f32_e32 v32, v29, v32
	v_sub_f32_e32 v29, v32, v31
	s_delay_alu instid0(VALU_DEP_1) | instskip(NEXT) | instid1(VALU_DEP_4)
	v_add_f32_e32 v25, v29, v25
	v_sub_f32_e32 v29, v28, v33
	s_delay_alu instid0(VALU_DEP_2) | instskip(NEXT) | instid1(VALU_DEP_2)
	v_add_f32_e32 v25, v34, v25
	v_sub_f32_e32 v29, v30, v29
	s_delay_alu instid0(VALU_DEP_2) | instskip(NEXT) | instid1(VALU_DEP_1)
	v_mul_f32_e32 v25, v27, v25
	v_add_f32_e32 v25, v29, v25
	s_delay_alu instid0(VALU_DEP_1) | instskip(NEXT) | instid1(VALU_DEP_1)
	v_add_f32_e32 v27, v28, v25
	v_mul_f32_e32 v29, v27, v27
	s_delay_alu instid0(VALU_DEP_1) | instskip(SKIP_1) | instid1(VALU_DEP_2)
	v_fmaak_f32 v30, s54, v29, 0x3ecc95a3
	v_mul_f32_e32 v31, v27, v29
	v_fmaak_f32 v29, v29, v30, 0x3f2aaada
	v_ldexp_f32 v30, v27, 1
	s_delay_alu instid0(VALU_DEP_2) | instskip(SKIP_1) | instid1(VALU_DEP_2)
	v_mul_f32_e32 v29, v31, v29
	v_sub_f32_e32 v27, v27, v28
	v_dual_mul_f32 v31, 0x3f317218, v24 :: v_dual_add_f32 v28, v30, v29
	s_delay_alu instid0(VALU_DEP_2) | instskip(NEXT) | instid1(VALU_DEP_2)
	v_sub_f32_e32 v25, v25, v27
	v_sub_f32_e32 v27, v28, v30
	s_delay_alu instid0(VALU_DEP_3) | instskip(NEXT) | instid1(VALU_DEP_3)
	v_fma_f32 v30, 0x3f317218, v24, -v31
	v_ldexp_f32 v25, v25, 1
	s_delay_alu instid0(VALU_DEP_2) | instskip(NEXT) | instid1(VALU_DEP_1)
	v_dual_sub_f32 v27, v29, v27 :: v_dual_fmac_f32 v30, 0xb102e308, v24
	v_dual_add_f32 v24, v25, v27 :: v_dual_add_f32 v25, v31, v30
	s_delay_alu instid0(VALU_DEP_1) | instskip(NEXT) | instid1(VALU_DEP_1)
	v_add_f32_e32 v27, v28, v24
	v_dual_add_f32 v29, v25, v27 :: v_dual_sub_f32 v28, v27, v28
	s_delay_alu instid0(VALU_DEP_1) | instskip(NEXT) | instid1(VALU_DEP_2)
	v_sub_f32_e32 v32, v29, v25
	v_dual_sub_f32 v31, v25, v31 :: v_dual_sub_f32 v24, v24, v28
	s_delay_alu instid0(VALU_DEP_1) | instskip(SKIP_1) | instid1(VALU_DEP_2)
	v_dual_sub_f32 v33, v29, v32 :: v_dual_sub_f32 v30, v30, v31
	v_sub_f32_e32 v27, v27, v32
	v_dual_sub_f32 v25, v25, v33 :: v_dual_add_f32 v28, v30, v24
	s_delay_alu instid0(VALU_DEP_1) | instskip(NEXT) | instid1(VALU_DEP_2)
	v_add_f32_e32 v25, v27, v25
	v_sub_f32_e32 v27, v28, v30
	s_delay_alu instid0(VALU_DEP_2) | instskip(NEXT) | instid1(VALU_DEP_2)
	v_add_f32_e32 v25, v28, v25
	v_sub_f32_e32 v28, v28, v27
	s_delay_alu instid0(VALU_DEP_2) | instskip(NEXT) | instid1(VALU_DEP_1)
	v_dual_sub_f32 v24, v24, v27 :: v_dual_add_f32 v31, v29, v25
	v_dual_sub_f32 v28, v30, v28 :: v_dual_sub_f32 v27, v31, v29
	s_delay_alu instid0(VALU_DEP_1) | instskip(NEXT) | instid1(VALU_DEP_1)
	v_dual_add_f32 v24, v24, v28 :: v_dual_sub_f32 v25, v25, v27
	v_add_f32_e32 v24, v24, v25
	s_delay_alu instid0(VALU_DEP_1) | instskip(NEXT) | instid1(VALU_DEP_1)
	v_add_f32_e32 v24, v31, v24
	v_cndmask_b32_e32 v82, v24, v26, vcc_lo
.LBB49_36:                              ;   in Loop: Header=BB49_12 Depth=1
	s_or_b32 exec_lo, exec_lo, s15
	s_waitcnt lgkmcnt(0)
	v_lshlrev_b32_e32 v24, 16, v8
	s_delay_alu instid0(VALU_DEP_1) | instskip(NEXT) | instid1(VALU_DEP_1)
	v_add_f32_e32 v83, s56, v24
	v_cmp_ge_f32_e32 vcc_lo, 0x41a00000, v83
	s_and_b32 s14, s66, vcc_lo
	s_delay_alu instid0(SALU_CYCLE_1)
	s_and_saveexec_b32 s15, s14
	s_cbranch_execz .LBB49_38
; %bb.37:                               ;   in Loop: Header=BB49_12 Depth=1
	v_mul_f32_e32 v24, 0x3fb8aa3b, v83
	v_cmp_ngt_f32_e32 vcc_lo, 0xc2ce8ed0, v83
	s_delay_alu instid0(VALU_DEP_2) | instskip(SKIP_1) | instid1(VALU_DEP_2)
	v_rndne_f32_e32 v25, v24
	v_fma_f32 v26, 0x3fb8aa3b, v83, -v24
	v_sub_f32_e32 v24, v24, v25
	s_delay_alu instid0(VALU_DEP_2) | instskip(SKIP_1) | instid1(VALU_DEP_2)
	v_fmac_f32_e32 v26, 0x32a5705f, v83
	v_cvt_i32_f32_e32 v25, v25
	v_add_f32_e32 v24, v24, v26
	s_delay_alu instid0(VALU_DEP_1) | instskip(SKIP_2) | instid1(VALU_DEP_1)
	v_exp_f32_e32 v24, v24
	s_waitcnt_depctr 0xfff
	v_ldexp_f32 v24, v24, v25
	v_cndmask_b32_e32 v24, 0, v24, vcc_lo
	v_cmp_nlt_f32_e32 vcc_lo, 0x42b17218, v83
	s_delay_alu instid0(VALU_DEP_2) | instskip(NEXT) | instid1(VALU_DEP_1)
	v_cndmask_b32_e32 v26, 0x7f800000, v24, vcc_lo
	v_add_f32_e32 v27, 1.0, v26
	s_delay_alu instid0(VALU_DEP_1) | instskip(NEXT) | instid1(VALU_DEP_1)
	v_cvt_f64_f32_e32 v[24:25], v27
	v_frexp_exp_i32_f64_e32 v24, v[24:25]
	v_frexp_mant_f32_e32 v25, v27
	s_delay_alu instid0(VALU_DEP_1) | instskip(SKIP_1) | instid1(VALU_DEP_1)
	v_cmp_gt_f32_e32 vcc_lo, 0x3f2aaaab, v25
	v_add_f32_e32 v25, -1.0, v27
	v_sub_f32_e32 v29, v25, v27
	v_sub_f32_e32 v25, v26, v25
	s_delay_alu instid0(VALU_DEP_2) | instskip(NEXT) | instid1(VALU_DEP_1)
	v_add_f32_e32 v29, 1.0, v29
	v_add_f32_e32 v25, v25, v29
	v_cmp_gt_f32_e64 s14, 0x33800000, v26
	v_subrev_co_ci_u32_e32 v24, vcc_lo, 0, v24, vcc_lo
	v_cmp_eq_f32_e32 vcc_lo, 0x7f800000, v26
	s_delay_alu instid0(VALU_DEP_2) | instskip(SKIP_2) | instid1(VALU_DEP_2)
	v_sub_nc_u32_e32 v28, 0, v24
	v_cvt_f32_i32_e32 v24, v24
	s_or_b32 vcc_lo, s14, vcc_lo
	v_ldexp_f32 v27, v27, v28
	v_ldexp_f32 v25, v25, v28
	s_delay_alu instid0(VALU_DEP_2) | instskip(NEXT) | instid1(VALU_DEP_1)
	v_add_f32_e32 v30, 1.0, v27
	v_dual_add_f32 v28, -1.0, v27 :: v_dual_add_f32 v29, -1.0, v30
	s_delay_alu instid0(VALU_DEP_1) | instskip(NEXT) | instid1(VALU_DEP_2)
	v_add_f32_e32 v31, 1.0, v28
	v_sub_f32_e32 v29, v27, v29
	s_delay_alu instid0(VALU_DEP_2) | instskip(NEXT) | instid1(VALU_DEP_2)
	v_sub_f32_e32 v27, v27, v31
	v_add_f32_e32 v29, v25, v29
	s_delay_alu instid0(VALU_DEP_2) | instskip(NEXT) | instid1(VALU_DEP_1)
	v_add_f32_e32 v25, v25, v27
	v_add_f32_e32 v32, v28, v25
	s_delay_alu instid0(VALU_DEP_1) | instskip(NEXT) | instid1(VALU_DEP_1)
	v_dual_add_f32 v31, v30, v29 :: v_dual_sub_f32 v28, v28, v32
	v_rcp_f32_e32 v27, v31
	v_sub_f32_e32 v30, v30, v31
	s_delay_alu instid0(VALU_DEP_1) | instskip(SKIP_2) | instid1(VALU_DEP_1)
	v_add_f32_e32 v29, v29, v30
	s_waitcnt_depctr 0xfff
	v_mul_f32_e32 v33, v32, v27
	v_mul_f32_e32 v34, v31, v33
	s_delay_alu instid0(VALU_DEP_1) | instskip(NEXT) | instid1(VALU_DEP_1)
	v_fma_f32 v30, v33, v31, -v34
	v_fmac_f32_e32 v30, v33, v29
	s_delay_alu instid0(VALU_DEP_1) | instskip(NEXT) | instid1(VALU_DEP_1)
	v_add_f32_e32 v35, v34, v30
	v_sub_f32_e32 v36, v32, v35
	s_delay_alu instid0(VALU_DEP_1) | instskip(SKIP_1) | instid1(VALU_DEP_2)
	v_sub_f32_e32 v32, v32, v36
	v_dual_add_f32 v25, v25, v28 :: v_dual_sub_f32 v28, v35, v34
	v_sub_f32_e32 v32, v32, v35
	s_delay_alu instid0(VALU_DEP_1) | instskip(NEXT) | instid1(VALU_DEP_1)
	v_dual_sub_f32 v28, v28, v30 :: v_dual_add_f32 v25, v25, v32
	v_add_f32_e32 v25, v28, v25
	s_delay_alu instid0(VALU_DEP_1) | instskip(NEXT) | instid1(VALU_DEP_1)
	v_add_f32_e32 v28, v36, v25
	v_mul_f32_e32 v30, v27, v28
	s_delay_alu instid0(VALU_DEP_1) | instskip(NEXT) | instid1(VALU_DEP_1)
	v_dual_sub_f32 v35, v36, v28 :: v_dual_mul_f32 v32, v31, v30
	v_add_f32_e32 v25, v25, v35
	s_delay_alu instid0(VALU_DEP_2) | instskip(NEXT) | instid1(VALU_DEP_1)
	v_fma_f32 v31, v30, v31, -v32
	v_fmac_f32_e32 v31, v30, v29
	s_delay_alu instid0(VALU_DEP_1) | instskip(NEXT) | instid1(VALU_DEP_1)
	v_add_f32_e32 v29, v32, v31
	v_sub_f32_e32 v34, v28, v29
	s_delay_alu instid0(VALU_DEP_1) | instskip(NEXT) | instid1(VALU_DEP_1)
	v_sub_f32_e32 v28, v28, v34
	v_sub_f32_e32 v28, v28, v29
	s_delay_alu instid0(VALU_DEP_1) | instskip(SKIP_2) | instid1(VALU_DEP_1)
	v_add_f32_e32 v25, v25, v28
	v_add_f32_e32 v28, v33, v30
	v_sub_f32_e32 v32, v29, v32
	v_sub_f32_e32 v29, v32, v31
	s_delay_alu instid0(VALU_DEP_1) | instskip(NEXT) | instid1(VALU_DEP_4)
	v_add_f32_e32 v25, v29, v25
	v_sub_f32_e32 v29, v28, v33
	s_delay_alu instid0(VALU_DEP_2) | instskip(NEXT) | instid1(VALU_DEP_2)
	v_add_f32_e32 v25, v34, v25
	v_sub_f32_e32 v29, v30, v29
	s_delay_alu instid0(VALU_DEP_2) | instskip(NEXT) | instid1(VALU_DEP_1)
	v_mul_f32_e32 v25, v27, v25
	v_add_f32_e32 v25, v29, v25
	s_delay_alu instid0(VALU_DEP_1) | instskip(NEXT) | instid1(VALU_DEP_1)
	v_add_f32_e32 v27, v28, v25
	v_mul_f32_e32 v29, v27, v27
	s_delay_alu instid0(VALU_DEP_1) | instskip(SKIP_1) | instid1(VALU_DEP_2)
	v_fmaak_f32 v30, s54, v29, 0x3ecc95a3
	v_mul_f32_e32 v31, v27, v29
	v_fmaak_f32 v29, v29, v30, 0x3f2aaada
	v_ldexp_f32 v30, v27, 1
	s_delay_alu instid0(VALU_DEP_2) | instskip(SKIP_1) | instid1(VALU_DEP_2)
	v_mul_f32_e32 v29, v31, v29
	v_sub_f32_e32 v27, v27, v28
	v_dual_mul_f32 v31, 0x3f317218, v24 :: v_dual_add_f32 v28, v30, v29
	s_delay_alu instid0(VALU_DEP_2) | instskip(NEXT) | instid1(VALU_DEP_2)
	v_sub_f32_e32 v25, v25, v27
	v_sub_f32_e32 v27, v28, v30
	s_delay_alu instid0(VALU_DEP_3) | instskip(NEXT) | instid1(VALU_DEP_3)
	v_fma_f32 v30, 0x3f317218, v24, -v31
	v_ldexp_f32 v25, v25, 1
	s_delay_alu instid0(VALU_DEP_2) | instskip(NEXT) | instid1(VALU_DEP_1)
	v_dual_sub_f32 v27, v29, v27 :: v_dual_fmac_f32 v30, 0xb102e308, v24
	v_dual_add_f32 v24, v25, v27 :: v_dual_add_f32 v25, v31, v30
	s_delay_alu instid0(VALU_DEP_1) | instskip(NEXT) | instid1(VALU_DEP_1)
	v_add_f32_e32 v27, v28, v24
	v_dual_add_f32 v29, v25, v27 :: v_dual_sub_f32 v28, v27, v28
	s_delay_alu instid0(VALU_DEP_1) | instskip(NEXT) | instid1(VALU_DEP_2)
	v_sub_f32_e32 v32, v29, v25
	v_dual_sub_f32 v31, v25, v31 :: v_dual_sub_f32 v24, v24, v28
	s_delay_alu instid0(VALU_DEP_1) | instskip(SKIP_1) | instid1(VALU_DEP_2)
	v_dual_sub_f32 v33, v29, v32 :: v_dual_sub_f32 v30, v30, v31
	v_sub_f32_e32 v27, v27, v32
	v_dual_sub_f32 v25, v25, v33 :: v_dual_add_f32 v28, v30, v24
	s_delay_alu instid0(VALU_DEP_1) | instskip(NEXT) | instid1(VALU_DEP_2)
	v_add_f32_e32 v25, v27, v25
	v_sub_f32_e32 v27, v28, v30
	s_delay_alu instid0(VALU_DEP_2) | instskip(NEXT) | instid1(VALU_DEP_2)
	v_add_f32_e32 v25, v28, v25
	v_sub_f32_e32 v28, v28, v27
	s_delay_alu instid0(VALU_DEP_2) | instskip(NEXT) | instid1(VALU_DEP_1)
	v_dual_sub_f32 v24, v24, v27 :: v_dual_add_f32 v31, v29, v25
	v_dual_sub_f32 v28, v30, v28 :: v_dual_sub_f32 v27, v31, v29
	s_delay_alu instid0(VALU_DEP_1) | instskip(NEXT) | instid1(VALU_DEP_1)
	v_dual_add_f32 v24, v24, v28 :: v_dual_sub_f32 v25, v25, v27
	v_add_f32_e32 v24, v24, v25
	s_delay_alu instid0(VALU_DEP_1) | instskip(NEXT) | instid1(VALU_DEP_1)
	v_add_f32_e32 v24, v31, v24
	v_cndmask_b32_e32 v83, v24, v26, vcc_lo
.LBB49_38:                              ;   in Loop: Header=BB49_12 Depth=1
	s_or_b32 exec_lo, exec_lo, s15
	v_and_b32_e32 v24, 0xffff0000, v8
	s_delay_alu instid0(VALU_DEP_1) | instskip(NEXT) | instid1(VALU_DEP_1)
	v_add_f32_e32 v90, s56, v24
	v_cmp_ge_f32_e32 vcc_lo, 0x41a00000, v90
	s_and_b32 s14, s66, vcc_lo
	s_delay_alu instid0(SALU_CYCLE_1)
	s_and_saveexec_b32 s15, s14
	s_cbranch_execz .LBB49_40
; %bb.39:                               ;   in Loop: Header=BB49_12 Depth=1
	v_mul_f32_e32 v24, 0x3fb8aa3b, v90
	v_cmp_ngt_f32_e32 vcc_lo, 0xc2ce8ed0, v90
	s_delay_alu instid0(VALU_DEP_2) | instskip(SKIP_1) | instid1(VALU_DEP_2)
	v_rndne_f32_e32 v25, v24
	v_fma_f32 v26, 0x3fb8aa3b, v90, -v24
	v_sub_f32_e32 v24, v24, v25
	s_delay_alu instid0(VALU_DEP_2) | instskip(SKIP_1) | instid1(VALU_DEP_2)
	v_fmac_f32_e32 v26, 0x32a5705f, v90
	v_cvt_i32_f32_e32 v25, v25
	v_add_f32_e32 v24, v24, v26
	s_delay_alu instid0(VALU_DEP_1) | instskip(SKIP_2) | instid1(VALU_DEP_1)
	v_exp_f32_e32 v24, v24
	s_waitcnt_depctr 0xfff
	v_ldexp_f32 v24, v24, v25
	v_cndmask_b32_e32 v24, 0, v24, vcc_lo
	v_cmp_nlt_f32_e32 vcc_lo, 0x42b17218, v90
	s_delay_alu instid0(VALU_DEP_2) | instskip(NEXT) | instid1(VALU_DEP_1)
	v_cndmask_b32_e32 v26, 0x7f800000, v24, vcc_lo
	v_add_f32_e32 v27, 1.0, v26
	s_delay_alu instid0(VALU_DEP_1) | instskip(NEXT) | instid1(VALU_DEP_1)
	v_cvt_f64_f32_e32 v[24:25], v27
	v_frexp_exp_i32_f64_e32 v24, v[24:25]
	v_frexp_mant_f32_e32 v25, v27
	s_delay_alu instid0(VALU_DEP_1) | instskip(SKIP_1) | instid1(VALU_DEP_1)
	v_cmp_gt_f32_e32 vcc_lo, 0x3f2aaaab, v25
	v_add_f32_e32 v25, -1.0, v27
	v_sub_f32_e32 v29, v25, v27
	v_sub_f32_e32 v25, v26, v25
	s_delay_alu instid0(VALU_DEP_2) | instskip(NEXT) | instid1(VALU_DEP_1)
	v_add_f32_e32 v29, 1.0, v29
	v_add_f32_e32 v25, v25, v29
	v_cmp_gt_f32_e64 s14, 0x33800000, v26
	v_subrev_co_ci_u32_e32 v24, vcc_lo, 0, v24, vcc_lo
	v_cmp_eq_f32_e32 vcc_lo, 0x7f800000, v26
	s_delay_alu instid0(VALU_DEP_2) | instskip(SKIP_2) | instid1(VALU_DEP_2)
	v_sub_nc_u32_e32 v28, 0, v24
	v_cvt_f32_i32_e32 v24, v24
	s_or_b32 vcc_lo, s14, vcc_lo
	v_ldexp_f32 v27, v27, v28
	v_ldexp_f32 v25, v25, v28
	s_delay_alu instid0(VALU_DEP_2) | instskip(NEXT) | instid1(VALU_DEP_1)
	v_add_f32_e32 v30, 1.0, v27
	v_dual_add_f32 v28, -1.0, v27 :: v_dual_add_f32 v29, -1.0, v30
	s_delay_alu instid0(VALU_DEP_1) | instskip(NEXT) | instid1(VALU_DEP_2)
	v_add_f32_e32 v31, 1.0, v28
	v_sub_f32_e32 v29, v27, v29
	s_delay_alu instid0(VALU_DEP_2) | instskip(NEXT) | instid1(VALU_DEP_2)
	v_sub_f32_e32 v27, v27, v31
	v_add_f32_e32 v29, v25, v29
	s_delay_alu instid0(VALU_DEP_2) | instskip(NEXT) | instid1(VALU_DEP_1)
	v_add_f32_e32 v25, v25, v27
	v_add_f32_e32 v32, v28, v25
	s_delay_alu instid0(VALU_DEP_1) | instskip(NEXT) | instid1(VALU_DEP_1)
	v_dual_add_f32 v31, v30, v29 :: v_dual_sub_f32 v28, v28, v32
	v_rcp_f32_e32 v27, v31
	v_sub_f32_e32 v30, v30, v31
	s_delay_alu instid0(VALU_DEP_1) | instskip(SKIP_2) | instid1(VALU_DEP_1)
	v_add_f32_e32 v29, v29, v30
	s_waitcnt_depctr 0xfff
	v_mul_f32_e32 v33, v32, v27
	v_mul_f32_e32 v34, v31, v33
	s_delay_alu instid0(VALU_DEP_1) | instskip(NEXT) | instid1(VALU_DEP_1)
	v_fma_f32 v30, v33, v31, -v34
	v_fmac_f32_e32 v30, v33, v29
	s_delay_alu instid0(VALU_DEP_1) | instskip(NEXT) | instid1(VALU_DEP_1)
	v_add_f32_e32 v35, v34, v30
	v_sub_f32_e32 v36, v32, v35
	s_delay_alu instid0(VALU_DEP_1) | instskip(SKIP_1) | instid1(VALU_DEP_2)
	v_sub_f32_e32 v32, v32, v36
	v_dual_add_f32 v25, v25, v28 :: v_dual_sub_f32 v28, v35, v34
	v_sub_f32_e32 v32, v32, v35
	s_delay_alu instid0(VALU_DEP_1) | instskip(NEXT) | instid1(VALU_DEP_1)
	v_dual_sub_f32 v28, v28, v30 :: v_dual_add_f32 v25, v25, v32
	v_add_f32_e32 v25, v28, v25
	s_delay_alu instid0(VALU_DEP_1) | instskip(NEXT) | instid1(VALU_DEP_1)
	v_add_f32_e32 v28, v36, v25
	v_mul_f32_e32 v30, v27, v28
	s_delay_alu instid0(VALU_DEP_1) | instskip(NEXT) | instid1(VALU_DEP_1)
	v_dual_sub_f32 v35, v36, v28 :: v_dual_mul_f32 v32, v31, v30
	v_add_f32_e32 v25, v25, v35
	s_delay_alu instid0(VALU_DEP_2) | instskip(NEXT) | instid1(VALU_DEP_1)
	v_fma_f32 v31, v30, v31, -v32
	v_fmac_f32_e32 v31, v30, v29
	s_delay_alu instid0(VALU_DEP_1) | instskip(NEXT) | instid1(VALU_DEP_1)
	v_add_f32_e32 v29, v32, v31
	v_sub_f32_e32 v34, v28, v29
	s_delay_alu instid0(VALU_DEP_1) | instskip(NEXT) | instid1(VALU_DEP_1)
	v_sub_f32_e32 v28, v28, v34
	v_sub_f32_e32 v28, v28, v29
	s_delay_alu instid0(VALU_DEP_1) | instskip(SKIP_2) | instid1(VALU_DEP_1)
	v_add_f32_e32 v25, v25, v28
	v_add_f32_e32 v28, v33, v30
	v_sub_f32_e32 v32, v29, v32
	v_sub_f32_e32 v29, v32, v31
	s_delay_alu instid0(VALU_DEP_1) | instskip(NEXT) | instid1(VALU_DEP_4)
	v_add_f32_e32 v25, v29, v25
	v_sub_f32_e32 v29, v28, v33
	s_delay_alu instid0(VALU_DEP_2) | instskip(NEXT) | instid1(VALU_DEP_2)
	v_add_f32_e32 v25, v34, v25
	v_sub_f32_e32 v29, v30, v29
	s_delay_alu instid0(VALU_DEP_2) | instskip(NEXT) | instid1(VALU_DEP_1)
	v_mul_f32_e32 v25, v27, v25
	v_add_f32_e32 v25, v29, v25
	s_delay_alu instid0(VALU_DEP_1) | instskip(NEXT) | instid1(VALU_DEP_1)
	v_add_f32_e32 v27, v28, v25
	v_mul_f32_e32 v29, v27, v27
	s_delay_alu instid0(VALU_DEP_1) | instskip(SKIP_1) | instid1(VALU_DEP_2)
	v_fmaak_f32 v30, s54, v29, 0x3ecc95a3
	v_mul_f32_e32 v31, v27, v29
	v_fmaak_f32 v29, v29, v30, 0x3f2aaada
	v_ldexp_f32 v30, v27, 1
	s_delay_alu instid0(VALU_DEP_2) | instskip(SKIP_1) | instid1(VALU_DEP_2)
	v_mul_f32_e32 v29, v31, v29
	v_sub_f32_e32 v27, v27, v28
	v_dual_mul_f32 v31, 0x3f317218, v24 :: v_dual_add_f32 v28, v30, v29
	s_delay_alu instid0(VALU_DEP_2) | instskip(NEXT) | instid1(VALU_DEP_2)
	v_sub_f32_e32 v25, v25, v27
	v_sub_f32_e32 v27, v28, v30
	s_delay_alu instid0(VALU_DEP_3) | instskip(NEXT) | instid1(VALU_DEP_3)
	v_fma_f32 v30, 0x3f317218, v24, -v31
	v_ldexp_f32 v25, v25, 1
	s_delay_alu instid0(VALU_DEP_2) | instskip(NEXT) | instid1(VALU_DEP_1)
	v_dual_sub_f32 v27, v29, v27 :: v_dual_fmac_f32 v30, 0xb102e308, v24
	v_dual_add_f32 v24, v25, v27 :: v_dual_add_f32 v25, v31, v30
	s_delay_alu instid0(VALU_DEP_1) | instskip(NEXT) | instid1(VALU_DEP_1)
	v_add_f32_e32 v27, v28, v24
	v_dual_add_f32 v29, v25, v27 :: v_dual_sub_f32 v28, v27, v28
	s_delay_alu instid0(VALU_DEP_1) | instskip(NEXT) | instid1(VALU_DEP_2)
	v_sub_f32_e32 v32, v29, v25
	v_dual_sub_f32 v31, v25, v31 :: v_dual_sub_f32 v24, v24, v28
	s_delay_alu instid0(VALU_DEP_1) | instskip(SKIP_1) | instid1(VALU_DEP_2)
	v_dual_sub_f32 v33, v29, v32 :: v_dual_sub_f32 v30, v30, v31
	v_sub_f32_e32 v27, v27, v32
	v_dual_sub_f32 v25, v25, v33 :: v_dual_add_f32 v28, v30, v24
	s_delay_alu instid0(VALU_DEP_1) | instskip(NEXT) | instid1(VALU_DEP_2)
	v_add_f32_e32 v25, v27, v25
	v_sub_f32_e32 v27, v28, v30
	s_delay_alu instid0(VALU_DEP_2) | instskip(NEXT) | instid1(VALU_DEP_2)
	v_add_f32_e32 v25, v28, v25
	v_sub_f32_e32 v28, v28, v27
	s_delay_alu instid0(VALU_DEP_2) | instskip(NEXT) | instid1(VALU_DEP_1)
	v_dual_sub_f32 v24, v24, v27 :: v_dual_add_f32 v31, v29, v25
	v_dual_sub_f32 v28, v30, v28 :: v_dual_sub_f32 v27, v31, v29
	s_delay_alu instid0(VALU_DEP_1) | instskip(NEXT) | instid1(VALU_DEP_1)
	v_dual_add_f32 v24, v24, v28 :: v_dual_sub_f32 v25, v25, v27
	v_add_f32_e32 v24, v24, v25
	s_delay_alu instid0(VALU_DEP_1) | instskip(NEXT) | instid1(VALU_DEP_1)
	v_add_f32_e32 v24, v31, v24
	v_cndmask_b32_e32 v90, v24, v26, vcc_lo
.LBB49_40:                              ;   in Loop: Header=BB49_12 Depth=1
	s_or_b32 exec_lo, exec_lo, s15
	v_lshlrev_b32_e32 v24, 16, v9
	s_delay_alu instid0(VALU_DEP_1) | instskip(NEXT) | instid1(VALU_DEP_1)
	v_add_f32_e32 v93, s56, v24
	v_cmp_ge_f32_e32 vcc_lo, 0x41a00000, v93
	s_and_b32 s14, s66, vcc_lo
	s_delay_alu instid0(SALU_CYCLE_1)
	s_and_saveexec_b32 s15, s14
	s_cbranch_execz .LBB49_42
; %bb.41:                               ;   in Loop: Header=BB49_12 Depth=1
	v_mul_f32_e32 v24, 0x3fb8aa3b, v93
	v_cmp_ngt_f32_e32 vcc_lo, 0xc2ce8ed0, v93
	s_delay_alu instid0(VALU_DEP_2) | instskip(SKIP_1) | instid1(VALU_DEP_2)
	v_rndne_f32_e32 v25, v24
	v_fma_f32 v26, 0x3fb8aa3b, v93, -v24
	v_sub_f32_e32 v24, v24, v25
	s_delay_alu instid0(VALU_DEP_2) | instskip(SKIP_1) | instid1(VALU_DEP_2)
	v_fmac_f32_e32 v26, 0x32a5705f, v93
	v_cvt_i32_f32_e32 v25, v25
	v_add_f32_e32 v24, v24, v26
	s_delay_alu instid0(VALU_DEP_1) | instskip(SKIP_2) | instid1(VALU_DEP_1)
	v_exp_f32_e32 v24, v24
	s_waitcnt_depctr 0xfff
	v_ldexp_f32 v24, v24, v25
	v_cndmask_b32_e32 v24, 0, v24, vcc_lo
	v_cmp_nlt_f32_e32 vcc_lo, 0x42b17218, v93
	s_delay_alu instid0(VALU_DEP_2) | instskip(NEXT) | instid1(VALU_DEP_1)
	v_cndmask_b32_e32 v26, 0x7f800000, v24, vcc_lo
	v_add_f32_e32 v27, 1.0, v26
	s_delay_alu instid0(VALU_DEP_1) | instskip(NEXT) | instid1(VALU_DEP_1)
	v_cvt_f64_f32_e32 v[24:25], v27
	v_frexp_exp_i32_f64_e32 v24, v[24:25]
	v_frexp_mant_f32_e32 v25, v27
	s_delay_alu instid0(VALU_DEP_1) | instskip(SKIP_1) | instid1(VALU_DEP_1)
	v_cmp_gt_f32_e32 vcc_lo, 0x3f2aaaab, v25
	v_add_f32_e32 v25, -1.0, v27
	v_sub_f32_e32 v29, v25, v27
	v_sub_f32_e32 v25, v26, v25
	s_delay_alu instid0(VALU_DEP_2) | instskip(NEXT) | instid1(VALU_DEP_1)
	v_add_f32_e32 v29, 1.0, v29
	v_add_f32_e32 v25, v25, v29
	v_cmp_gt_f32_e64 s14, 0x33800000, v26
	v_subrev_co_ci_u32_e32 v24, vcc_lo, 0, v24, vcc_lo
	v_cmp_eq_f32_e32 vcc_lo, 0x7f800000, v26
	s_delay_alu instid0(VALU_DEP_2) | instskip(SKIP_2) | instid1(VALU_DEP_2)
	v_sub_nc_u32_e32 v28, 0, v24
	v_cvt_f32_i32_e32 v24, v24
	s_or_b32 vcc_lo, s14, vcc_lo
	v_ldexp_f32 v27, v27, v28
	v_ldexp_f32 v25, v25, v28
	s_delay_alu instid0(VALU_DEP_2) | instskip(NEXT) | instid1(VALU_DEP_1)
	v_add_f32_e32 v30, 1.0, v27
	v_dual_add_f32 v28, -1.0, v27 :: v_dual_add_f32 v29, -1.0, v30
	s_delay_alu instid0(VALU_DEP_1) | instskip(NEXT) | instid1(VALU_DEP_2)
	v_add_f32_e32 v31, 1.0, v28
	v_sub_f32_e32 v29, v27, v29
	s_delay_alu instid0(VALU_DEP_2) | instskip(NEXT) | instid1(VALU_DEP_2)
	v_sub_f32_e32 v27, v27, v31
	v_add_f32_e32 v29, v25, v29
	s_delay_alu instid0(VALU_DEP_2) | instskip(NEXT) | instid1(VALU_DEP_1)
	v_add_f32_e32 v25, v25, v27
	v_add_f32_e32 v32, v28, v25
	s_delay_alu instid0(VALU_DEP_1) | instskip(NEXT) | instid1(VALU_DEP_1)
	v_dual_add_f32 v31, v30, v29 :: v_dual_sub_f32 v28, v28, v32
	v_rcp_f32_e32 v27, v31
	v_sub_f32_e32 v30, v30, v31
	s_delay_alu instid0(VALU_DEP_1) | instskip(SKIP_2) | instid1(VALU_DEP_1)
	v_add_f32_e32 v29, v29, v30
	s_waitcnt_depctr 0xfff
	v_mul_f32_e32 v33, v32, v27
	v_mul_f32_e32 v34, v31, v33
	s_delay_alu instid0(VALU_DEP_1) | instskip(NEXT) | instid1(VALU_DEP_1)
	v_fma_f32 v30, v33, v31, -v34
	v_fmac_f32_e32 v30, v33, v29
	s_delay_alu instid0(VALU_DEP_1) | instskip(NEXT) | instid1(VALU_DEP_1)
	v_add_f32_e32 v35, v34, v30
	v_sub_f32_e32 v36, v32, v35
	s_delay_alu instid0(VALU_DEP_1) | instskip(SKIP_1) | instid1(VALU_DEP_2)
	v_sub_f32_e32 v32, v32, v36
	v_dual_add_f32 v25, v25, v28 :: v_dual_sub_f32 v28, v35, v34
	v_sub_f32_e32 v32, v32, v35
	s_delay_alu instid0(VALU_DEP_1) | instskip(NEXT) | instid1(VALU_DEP_1)
	v_dual_sub_f32 v28, v28, v30 :: v_dual_add_f32 v25, v25, v32
	v_add_f32_e32 v25, v28, v25
	s_delay_alu instid0(VALU_DEP_1) | instskip(NEXT) | instid1(VALU_DEP_1)
	v_add_f32_e32 v28, v36, v25
	v_mul_f32_e32 v30, v27, v28
	s_delay_alu instid0(VALU_DEP_1) | instskip(NEXT) | instid1(VALU_DEP_1)
	v_dual_sub_f32 v35, v36, v28 :: v_dual_mul_f32 v32, v31, v30
	v_add_f32_e32 v25, v25, v35
	s_delay_alu instid0(VALU_DEP_2) | instskip(NEXT) | instid1(VALU_DEP_1)
	v_fma_f32 v31, v30, v31, -v32
	v_fmac_f32_e32 v31, v30, v29
	s_delay_alu instid0(VALU_DEP_1) | instskip(NEXT) | instid1(VALU_DEP_1)
	v_add_f32_e32 v29, v32, v31
	v_sub_f32_e32 v34, v28, v29
	s_delay_alu instid0(VALU_DEP_1) | instskip(NEXT) | instid1(VALU_DEP_1)
	v_sub_f32_e32 v28, v28, v34
	v_sub_f32_e32 v28, v28, v29
	s_delay_alu instid0(VALU_DEP_1) | instskip(SKIP_2) | instid1(VALU_DEP_1)
	v_add_f32_e32 v25, v25, v28
	v_add_f32_e32 v28, v33, v30
	v_sub_f32_e32 v32, v29, v32
	v_sub_f32_e32 v29, v32, v31
	s_delay_alu instid0(VALU_DEP_1) | instskip(NEXT) | instid1(VALU_DEP_4)
	v_add_f32_e32 v25, v29, v25
	v_sub_f32_e32 v29, v28, v33
	s_delay_alu instid0(VALU_DEP_2) | instskip(NEXT) | instid1(VALU_DEP_2)
	v_add_f32_e32 v25, v34, v25
	v_sub_f32_e32 v29, v30, v29
	s_delay_alu instid0(VALU_DEP_2) | instskip(NEXT) | instid1(VALU_DEP_1)
	v_mul_f32_e32 v25, v27, v25
	v_add_f32_e32 v25, v29, v25
	s_delay_alu instid0(VALU_DEP_1) | instskip(NEXT) | instid1(VALU_DEP_1)
	v_add_f32_e32 v27, v28, v25
	v_mul_f32_e32 v29, v27, v27
	s_delay_alu instid0(VALU_DEP_1) | instskip(SKIP_1) | instid1(VALU_DEP_2)
	v_fmaak_f32 v30, s54, v29, 0x3ecc95a3
	v_mul_f32_e32 v31, v27, v29
	v_fmaak_f32 v29, v29, v30, 0x3f2aaada
	v_ldexp_f32 v30, v27, 1
	s_delay_alu instid0(VALU_DEP_2) | instskip(SKIP_1) | instid1(VALU_DEP_2)
	v_mul_f32_e32 v29, v31, v29
	v_sub_f32_e32 v27, v27, v28
	v_dual_mul_f32 v31, 0x3f317218, v24 :: v_dual_add_f32 v28, v30, v29
	s_delay_alu instid0(VALU_DEP_2) | instskip(NEXT) | instid1(VALU_DEP_2)
	v_sub_f32_e32 v25, v25, v27
	v_sub_f32_e32 v27, v28, v30
	s_delay_alu instid0(VALU_DEP_3) | instskip(NEXT) | instid1(VALU_DEP_3)
	v_fma_f32 v30, 0x3f317218, v24, -v31
	v_ldexp_f32 v25, v25, 1
	s_delay_alu instid0(VALU_DEP_2) | instskip(NEXT) | instid1(VALU_DEP_1)
	v_dual_sub_f32 v27, v29, v27 :: v_dual_fmac_f32 v30, 0xb102e308, v24
	v_dual_add_f32 v24, v25, v27 :: v_dual_add_f32 v25, v31, v30
	s_delay_alu instid0(VALU_DEP_1) | instskip(NEXT) | instid1(VALU_DEP_1)
	v_add_f32_e32 v27, v28, v24
	v_dual_add_f32 v29, v25, v27 :: v_dual_sub_f32 v28, v27, v28
	s_delay_alu instid0(VALU_DEP_1) | instskip(NEXT) | instid1(VALU_DEP_2)
	v_sub_f32_e32 v32, v29, v25
	v_dual_sub_f32 v31, v25, v31 :: v_dual_sub_f32 v24, v24, v28
	s_delay_alu instid0(VALU_DEP_1) | instskip(SKIP_1) | instid1(VALU_DEP_2)
	v_dual_sub_f32 v33, v29, v32 :: v_dual_sub_f32 v30, v30, v31
	v_sub_f32_e32 v27, v27, v32
	v_dual_sub_f32 v25, v25, v33 :: v_dual_add_f32 v28, v30, v24
	s_delay_alu instid0(VALU_DEP_1) | instskip(NEXT) | instid1(VALU_DEP_2)
	v_add_f32_e32 v25, v27, v25
	v_sub_f32_e32 v27, v28, v30
	s_delay_alu instid0(VALU_DEP_2) | instskip(NEXT) | instid1(VALU_DEP_2)
	v_add_f32_e32 v25, v28, v25
	v_sub_f32_e32 v28, v28, v27
	s_delay_alu instid0(VALU_DEP_2) | instskip(NEXT) | instid1(VALU_DEP_1)
	v_dual_sub_f32 v24, v24, v27 :: v_dual_add_f32 v31, v29, v25
	v_dual_sub_f32 v28, v30, v28 :: v_dual_sub_f32 v27, v31, v29
	s_delay_alu instid0(VALU_DEP_1) | instskip(NEXT) | instid1(VALU_DEP_1)
	v_dual_add_f32 v24, v24, v28 :: v_dual_sub_f32 v25, v25, v27
	v_add_f32_e32 v24, v24, v25
	s_delay_alu instid0(VALU_DEP_1) | instskip(NEXT) | instid1(VALU_DEP_1)
	v_add_f32_e32 v24, v31, v24
	v_cndmask_b32_e32 v93, v24, v26, vcc_lo
.LBB49_42:                              ;   in Loop: Header=BB49_12 Depth=1
	s_or_b32 exec_lo, exec_lo, s15
	v_and_b32_e32 v24, 0xffff0000, v9
	s_delay_alu instid0(VALU_DEP_1) | instskip(NEXT) | instid1(VALU_DEP_1)
	v_add_f32_e32 v96, s56, v24
	v_cmp_ge_f32_e32 vcc_lo, 0x41a00000, v96
	s_and_b32 s14, s66, vcc_lo
	s_delay_alu instid0(SALU_CYCLE_1)
	s_and_saveexec_b32 s15, s14
	s_cbranch_execz .LBB49_44
; %bb.43:                               ;   in Loop: Header=BB49_12 Depth=1
	v_mul_f32_e32 v24, 0x3fb8aa3b, v96
	v_cmp_ngt_f32_e32 vcc_lo, 0xc2ce8ed0, v96
	s_delay_alu instid0(VALU_DEP_2) | instskip(SKIP_1) | instid1(VALU_DEP_2)
	v_rndne_f32_e32 v25, v24
	v_fma_f32 v26, 0x3fb8aa3b, v96, -v24
	v_sub_f32_e32 v24, v24, v25
	s_delay_alu instid0(VALU_DEP_2) | instskip(SKIP_1) | instid1(VALU_DEP_2)
	v_fmac_f32_e32 v26, 0x32a5705f, v96
	v_cvt_i32_f32_e32 v25, v25
	v_add_f32_e32 v24, v24, v26
	s_delay_alu instid0(VALU_DEP_1) | instskip(SKIP_2) | instid1(VALU_DEP_1)
	v_exp_f32_e32 v24, v24
	s_waitcnt_depctr 0xfff
	v_ldexp_f32 v24, v24, v25
	v_cndmask_b32_e32 v24, 0, v24, vcc_lo
	v_cmp_nlt_f32_e32 vcc_lo, 0x42b17218, v96
	s_delay_alu instid0(VALU_DEP_2) | instskip(NEXT) | instid1(VALU_DEP_1)
	v_cndmask_b32_e32 v26, 0x7f800000, v24, vcc_lo
	v_add_f32_e32 v27, 1.0, v26
	s_delay_alu instid0(VALU_DEP_1) | instskip(NEXT) | instid1(VALU_DEP_1)
	v_cvt_f64_f32_e32 v[24:25], v27
	v_frexp_exp_i32_f64_e32 v24, v[24:25]
	v_frexp_mant_f32_e32 v25, v27
	s_delay_alu instid0(VALU_DEP_1) | instskip(SKIP_1) | instid1(VALU_DEP_1)
	v_cmp_gt_f32_e32 vcc_lo, 0x3f2aaaab, v25
	v_add_f32_e32 v25, -1.0, v27
	v_sub_f32_e32 v29, v25, v27
	v_sub_f32_e32 v25, v26, v25
	s_delay_alu instid0(VALU_DEP_2) | instskip(NEXT) | instid1(VALU_DEP_1)
	v_add_f32_e32 v29, 1.0, v29
	v_add_f32_e32 v25, v25, v29
	v_cmp_gt_f32_e64 s14, 0x33800000, v26
	v_subrev_co_ci_u32_e32 v24, vcc_lo, 0, v24, vcc_lo
	v_cmp_eq_f32_e32 vcc_lo, 0x7f800000, v26
	s_delay_alu instid0(VALU_DEP_2) | instskip(SKIP_2) | instid1(VALU_DEP_2)
	v_sub_nc_u32_e32 v28, 0, v24
	v_cvt_f32_i32_e32 v24, v24
	s_or_b32 vcc_lo, s14, vcc_lo
	v_ldexp_f32 v27, v27, v28
	v_ldexp_f32 v25, v25, v28
	s_delay_alu instid0(VALU_DEP_2) | instskip(NEXT) | instid1(VALU_DEP_1)
	v_add_f32_e32 v30, 1.0, v27
	v_dual_add_f32 v28, -1.0, v27 :: v_dual_add_f32 v29, -1.0, v30
	s_delay_alu instid0(VALU_DEP_1) | instskip(NEXT) | instid1(VALU_DEP_2)
	v_add_f32_e32 v31, 1.0, v28
	v_sub_f32_e32 v29, v27, v29
	s_delay_alu instid0(VALU_DEP_2) | instskip(NEXT) | instid1(VALU_DEP_2)
	v_sub_f32_e32 v27, v27, v31
	v_add_f32_e32 v29, v25, v29
	s_delay_alu instid0(VALU_DEP_2) | instskip(NEXT) | instid1(VALU_DEP_1)
	v_add_f32_e32 v25, v25, v27
	v_add_f32_e32 v32, v28, v25
	s_delay_alu instid0(VALU_DEP_1) | instskip(NEXT) | instid1(VALU_DEP_1)
	v_dual_add_f32 v31, v30, v29 :: v_dual_sub_f32 v28, v28, v32
	v_rcp_f32_e32 v27, v31
	v_sub_f32_e32 v30, v30, v31
	s_delay_alu instid0(VALU_DEP_1) | instskip(SKIP_2) | instid1(VALU_DEP_1)
	v_add_f32_e32 v29, v29, v30
	s_waitcnt_depctr 0xfff
	v_mul_f32_e32 v33, v32, v27
	v_mul_f32_e32 v34, v31, v33
	s_delay_alu instid0(VALU_DEP_1) | instskip(NEXT) | instid1(VALU_DEP_1)
	v_fma_f32 v30, v33, v31, -v34
	v_fmac_f32_e32 v30, v33, v29
	s_delay_alu instid0(VALU_DEP_1) | instskip(NEXT) | instid1(VALU_DEP_1)
	v_add_f32_e32 v35, v34, v30
	v_sub_f32_e32 v36, v32, v35
	s_delay_alu instid0(VALU_DEP_1) | instskip(SKIP_1) | instid1(VALU_DEP_2)
	v_sub_f32_e32 v32, v32, v36
	v_dual_add_f32 v25, v25, v28 :: v_dual_sub_f32 v28, v35, v34
	v_sub_f32_e32 v32, v32, v35
	s_delay_alu instid0(VALU_DEP_1) | instskip(NEXT) | instid1(VALU_DEP_1)
	v_dual_sub_f32 v28, v28, v30 :: v_dual_add_f32 v25, v25, v32
	v_add_f32_e32 v25, v28, v25
	s_delay_alu instid0(VALU_DEP_1) | instskip(NEXT) | instid1(VALU_DEP_1)
	v_add_f32_e32 v28, v36, v25
	v_mul_f32_e32 v30, v27, v28
	s_delay_alu instid0(VALU_DEP_1) | instskip(NEXT) | instid1(VALU_DEP_1)
	v_dual_sub_f32 v35, v36, v28 :: v_dual_mul_f32 v32, v31, v30
	v_add_f32_e32 v25, v25, v35
	s_delay_alu instid0(VALU_DEP_2) | instskip(NEXT) | instid1(VALU_DEP_1)
	v_fma_f32 v31, v30, v31, -v32
	v_fmac_f32_e32 v31, v30, v29
	s_delay_alu instid0(VALU_DEP_1) | instskip(NEXT) | instid1(VALU_DEP_1)
	v_add_f32_e32 v29, v32, v31
	v_sub_f32_e32 v34, v28, v29
	s_delay_alu instid0(VALU_DEP_1) | instskip(NEXT) | instid1(VALU_DEP_1)
	v_sub_f32_e32 v28, v28, v34
	v_sub_f32_e32 v28, v28, v29
	s_delay_alu instid0(VALU_DEP_1) | instskip(SKIP_2) | instid1(VALU_DEP_1)
	v_add_f32_e32 v25, v25, v28
	v_add_f32_e32 v28, v33, v30
	v_sub_f32_e32 v32, v29, v32
	v_sub_f32_e32 v29, v32, v31
	s_delay_alu instid0(VALU_DEP_1) | instskip(NEXT) | instid1(VALU_DEP_4)
	v_add_f32_e32 v25, v29, v25
	v_sub_f32_e32 v29, v28, v33
	s_delay_alu instid0(VALU_DEP_2) | instskip(NEXT) | instid1(VALU_DEP_2)
	v_add_f32_e32 v25, v34, v25
	v_sub_f32_e32 v29, v30, v29
	s_delay_alu instid0(VALU_DEP_2) | instskip(NEXT) | instid1(VALU_DEP_1)
	v_mul_f32_e32 v25, v27, v25
	v_add_f32_e32 v25, v29, v25
	s_delay_alu instid0(VALU_DEP_1) | instskip(NEXT) | instid1(VALU_DEP_1)
	v_add_f32_e32 v27, v28, v25
	v_mul_f32_e32 v29, v27, v27
	s_delay_alu instid0(VALU_DEP_1) | instskip(SKIP_1) | instid1(VALU_DEP_2)
	v_fmaak_f32 v30, s54, v29, 0x3ecc95a3
	v_mul_f32_e32 v31, v27, v29
	v_fmaak_f32 v29, v29, v30, 0x3f2aaada
	v_ldexp_f32 v30, v27, 1
	s_delay_alu instid0(VALU_DEP_2) | instskip(SKIP_1) | instid1(VALU_DEP_2)
	v_mul_f32_e32 v29, v31, v29
	v_sub_f32_e32 v27, v27, v28
	v_dual_mul_f32 v31, 0x3f317218, v24 :: v_dual_add_f32 v28, v30, v29
	s_delay_alu instid0(VALU_DEP_2) | instskip(NEXT) | instid1(VALU_DEP_2)
	v_sub_f32_e32 v25, v25, v27
	v_sub_f32_e32 v27, v28, v30
	s_delay_alu instid0(VALU_DEP_3) | instskip(NEXT) | instid1(VALU_DEP_3)
	v_fma_f32 v30, 0x3f317218, v24, -v31
	v_ldexp_f32 v25, v25, 1
	s_delay_alu instid0(VALU_DEP_2) | instskip(NEXT) | instid1(VALU_DEP_1)
	v_dual_sub_f32 v27, v29, v27 :: v_dual_fmac_f32 v30, 0xb102e308, v24
	v_dual_add_f32 v24, v25, v27 :: v_dual_add_f32 v25, v31, v30
	s_delay_alu instid0(VALU_DEP_1) | instskip(NEXT) | instid1(VALU_DEP_1)
	v_add_f32_e32 v27, v28, v24
	v_dual_add_f32 v29, v25, v27 :: v_dual_sub_f32 v28, v27, v28
	s_delay_alu instid0(VALU_DEP_1) | instskip(NEXT) | instid1(VALU_DEP_2)
	v_sub_f32_e32 v32, v29, v25
	v_dual_sub_f32 v31, v25, v31 :: v_dual_sub_f32 v24, v24, v28
	s_delay_alu instid0(VALU_DEP_1) | instskip(SKIP_1) | instid1(VALU_DEP_2)
	v_dual_sub_f32 v33, v29, v32 :: v_dual_sub_f32 v30, v30, v31
	v_sub_f32_e32 v27, v27, v32
	v_dual_sub_f32 v25, v25, v33 :: v_dual_add_f32 v28, v30, v24
	s_delay_alu instid0(VALU_DEP_1) | instskip(NEXT) | instid1(VALU_DEP_2)
	v_add_f32_e32 v25, v27, v25
	v_sub_f32_e32 v27, v28, v30
	s_delay_alu instid0(VALU_DEP_2) | instskip(NEXT) | instid1(VALU_DEP_2)
	v_add_f32_e32 v25, v28, v25
	v_sub_f32_e32 v28, v28, v27
	s_delay_alu instid0(VALU_DEP_2) | instskip(NEXT) | instid1(VALU_DEP_1)
	v_dual_sub_f32 v24, v24, v27 :: v_dual_add_f32 v31, v29, v25
	v_dual_sub_f32 v28, v30, v28 :: v_dual_sub_f32 v27, v31, v29
	s_delay_alu instid0(VALU_DEP_1) | instskip(NEXT) | instid1(VALU_DEP_1)
	v_dual_add_f32 v24, v24, v28 :: v_dual_sub_f32 v25, v25, v27
	v_add_f32_e32 v24, v24, v25
	s_delay_alu instid0(VALU_DEP_1) | instskip(NEXT) | instid1(VALU_DEP_1)
	v_add_f32_e32 v24, v31, v24
	v_cndmask_b32_e32 v96, v24, v26, vcc_lo
.LBB49_44:                              ;   in Loop: Header=BB49_12 Depth=1
	s_or_b32 exec_lo, exec_lo, s15
	v_lshlrev_b32_e32 v24, 16, v10
	s_delay_alu instid0(VALU_DEP_1) | instskip(NEXT) | instid1(VALU_DEP_1)
	v_add_f32_e32 v101, s56, v24
	v_cmp_ge_f32_e32 vcc_lo, 0x41a00000, v101
	s_and_b32 s14, s66, vcc_lo
	s_delay_alu instid0(SALU_CYCLE_1)
	s_and_saveexec_b32 s15, s14
	s_cbranch_execz .LBB49_46
; %bb.45:                               ;   in Loop: Header=BB49_12 Depth=1
	v_mul_f32_e32 v24, 0x3fb8aa3b, v101
	v_cmp_ngt_f32_e32 vcc_lo, 0xc2ce8ed0, v101
	s_delay_alu instid0(VALU_DEP_2) | instskip(SKIP_1) | instid1(VALU_DEP_2)
	v_rndne_f32_e32 v25, v24
	v_fma_f32 v26, 0x3fb8aa3b, v101, -v24
	v_sub_f32_e32 v24, v24, v25
	s_delay_alu instid0(VALU_DEP_2) | instskip(SKIP_1) | instid1(VALU_DEP_2)
	v_fmac_f32_e32 v26, 0x32a5705f, v101
	v_cvt_i32_f32_e32 v25, v25
	v_add_f32_e32 v24, v24, v26
	s_delay_alu instid0(VALU_DEP_1) | instskip(SKIP_2) | instid1(VALU_DEP_1)
	v_exp_f32_e32 v24, v24
	s_waitcnt_depctr 0xfff
	v_ldexp_f32 v24, v24, v25
	v_cndmask_b32_e32 v24, 0, v24, vcc_lo
	v_cmp_nlt_f32_e32 vcc_lo, 0x42b17218, v101
	s_delay_alu instid0(VALU_DEP_2) | instskip(NEXT) | instid1(VALU_DEP_1)
	v_cndmask_b32_e32 v26, 0x7f800000, v24, vcc_lo
	v_add_f32_e32 v27, 1.0, v26
	s_delay_alu instid0(VALU_DEP_1) | instskip(NEXT) | instid1(VALU_DEP_1)
	v_cvt_f64_f32_e32 v[24:25], v27
	v_frexp_exp_i32_f64_e32 v24, v[24:25]
	v_frexp_mant_f32_e32 v25, v27
	s_delay_alu instid0(VALU_DEP_1) | instskip(SKIP_1) | instid1(VALU_DEP_1)
	v_cmp_gt_f32_e32 vcc_lo, 0x3f2aaaab, v25
	v_add_f32_e32 v25, -1.0, v27
	v_sub_f32_e32 v29, v25, v27
	v_sub_f32_e32 v25, v26, v25
	s_delay_alu instid0(VALU_DEP_2) | instskip(NEXT) | instid1(VALU_DEP_1)
	v_add_f32_e32 v29, 1.0, v29
	v_add_f32_e32 v25, v25, v29
	v_cmp_gt_f32_e64 s14, 0x33800000, v26
	v_subrev_co_ci_u32_e32 v24, vcc_lo, 0, v24, vcc_lo
	v_cmp_eq_f32_e32 vcc_lo, 0x7f800000, v26
	s_delay_alu instid0(VALU_DEP_2) | instskip(SKIP_2) | instid1(VALU_DEP_2)
	v_sub_nc_u32_e32 v28, 0, v24
	v_cvt_f32_i32_e32 v24, v24
	s_or_b32 vcc_lo, s14, vcc_lo
	v_ldexp_f32 v27, v27, v28
	v_ldexp_f32 v25, v25, v28
	s_delay_alu instid0(VALU_DEP_2) | instskip(NEXT) | instid1(VALU_DEP_1)
	v_add_f32_e32 v30, 1.0, v27
	v_dual_add_f32 v28, -1.0, v27 :: v_dual_add_f32 v29, -1.0, v30
	s_delay_alu instid0(VALU_DEP_1) | instskip(NEXT) | instid1(VALU_DEP_2)
	v_add_f32_e32 v31, 1.0, v28
	v_sub_f32_e32 v29, v27, v29
	s_delay_alu instid0(VALU_DEP_2) | instskip(NEXT) | instid1(VALU_DEP_2)
	v_sub_f32_e32 v27, v27, v31
	v_add_f32_e32 v29, v25, v29
	s_delay_alu instid0(VALU_DEP_2) | instskip(NEXT) | instid1(VALU_DEP_1)
	v_add_f32_e32 v25, v25, v27
	v_add_f32_e32 v32, v28, v25
	s_delay_alu instid0(VALU_DEP_1) | instskip(NEXT) | instid1(VALU_DEP_1)
	v_dual_add_f32 v31, v30, v29 :: v_dual_sub_f32 v28, v28, v32
	v_rcp_f32_e32 v27, v31
	v_sub_f32_e32 v30, v30, v31
	s_delay_alu instid0(VALU_DEP_1) | instskip(SKIP_2) | instid1(VALU_DEP_1)
	v_add_f32_e32 v29, v29, v30
	s_waitcnt_depctr 0xfff
	v_mul_f32_e32 v33, v32, v27
	v_mul_f32_e32 v34, v31, v33
	s_delay_alu instid0(VALU_DEP_1) | instskip(NEXT) | instid1(VALU_DEP_1)
	v_fma_f32 v30, v33, v31, -v34
	v_fmac_f32_e32 v30, v33, v29
	s_delay_alu instid0(VALU_DEP_1) | instskip(NEXT) | instid1(VALU_DEP_1)
	v_add_f32_e32 v35, v34, v30
	v_sub_f32_e32 v36, v32, v35
	s_delay_alu instid0(VALU_DEP_1) | instskip(SKIP_1) | instid1(VALU_DEP_2)
	v_sub_f32_e32 v32, v32, v36
	v_dual_add_f32 v25, v25, v28 :: v_dual_sub_f32 v28, v35, v34
	v_sub_f32_e32 v32, v32, v35
	s_delay_alu instid0(VALU_DEP_1) | instskip(NEXT) | instid1(VALU_DEP_1)
	v_dual_sub_f32 v28, v28, v30 :: v_dual_add_f32 v25, v25, v32
	v_add_f32_e32 v25, v28, v25
	s_delay_alu instid0(VALU_DEP_1) | instskip(NEXT) | instid1(VALU_DEP_1)
	v_add_f32_e32 v28, v36, v25
	v_mul_f32_e32 v30, v27, v28
	s_delay_alu instid0(VALU_DEP_1) | instskip(NEXT) | instid1(VALU_DEP_1)
	v_dual_sub_f32 v35, v36, v28 :: v_dual_mul_f32 v32, v31, v30
	v_add_f32_e32 v25, v25, v35
	s_delay_alu instid0(VALU_DEP_2) | instskip(NEXT) | instid1(VALU_DEP_1)
	v_fma_f32 v31, v30, v31, -v32
	v_fmac_f32_e32 v31, v30, v29
	s_delay_alu instid0(VALU_DEP_1) | instskip(NEXT) | instid1(VALU_DEP_1)
	v_add_f32_e32 v29, v32, v31
	v_sub_f32_e32 v34, v28, v29
	s_delay_alu instid0(VALU_DEP_1) | instskip(NEXT) | instid1(VALU_DEP_1)
	v_sub_f32_e32 v28, v28, v34
	v_sub_f32_e32 v28, v28, v29
	s_delay_alu instid0(VALU_DEP_1) | instskip(SKIP_2) | instid1(VALU_DEP_1)
	v_add_f32_e32 v25, v25, v28
	v_add_f32_e32 v28, v33, v30
	v_sub_f32_e32 v32, v29, v32
	v_sub_f32_e32 v29, v32, v31
	s_delay_alu instid0(VALU_DEP_1) | instskip(NEXT) | instid1(VALU_DEP_4)
	v_add_f32_e32 v25, v29, v25
	v_sub_f32_e32 v29, v28, v33
	s_delay_alu instid0(VALU_DEP_2) | instskip(NEXT) | instid1(VALU_DEP_2)
	v_add_f32_e32 v25, v34, v25
	v_sub_f32_e32 v29, v30, v29
	s_delay_alu instid0(VALU_DEP_2) | instskip(NEXT) | instid1(VALU_DEP_1)
	v_mul_f32_e32 v25, v27, v25
	v_add_f32_e32 v25, v29, v25
	s_delay_alu instid0(VALU_DEP_1) | instskip(NEXT) | instid1(VALU_DEP_1)
	v_add_f32_e32 v27, v28, v25
	v_mul_f32_e32 v29, v27, v27
	s_delay_alu instid0(VALU_DEP_1) | instskip(SKIP_1) | instid1(VALU_DEP_2)
	v_fmaak_f32 v30, s54, v29, 0x3ecc95a3
	v_mul_f32_e32 v31, v27, v29
	v_fmaak_f32 v29, v29, v30, 0x3f2aaada
	v_ldexp_f32 v30, v27, 1
	s_delay_alu instid0(VALU_DEP_2) | instskip(SKIP_1) | instid1(VALU_DEP_2)
	v_mul_f32_e32 v29, v31, v29
	v_sub_f32_e32 v27, v27, v28
	v_dual_mul_f32 v31, 0x3f317218, v24 :: v_dual_add_f32 v28, v30, v29
	s_delay_alu instid0(VALU_DEP_2) | instskip(NEXT) | instid1(VALU_DEP_2)
	v_sub_f32_e32 v25, v25, v27
	v_sub_f32_e32 v27, v28, v30
	s_delay_alu instid0(VALU_DEP_3) | instskip(NEXT) | instid1(VALU_DEP_3)
	v_fma_f32 v30, 0x3f317218, v24, -v31
	v_ldexp_f32 v25, v25, 1
	s_delay_alu instid0(VALU_DEP_2) | instskip(NEXT) | instid1(VALU_DEP_1)
	v_dual_sub_f32 v27, v29, v27 :: v_dual_fmac_f32 v30, 0xb102e308, v24
	v_dual_add_f32 v24, v25, v27 :: v_dual_add_f32 v25, v31, v30
	s_delay_alu instid0(VALU_DEP_1) | instskip(NEXT) | instid1(VALU_DEP_1)
	v_add_f32_e32 v27, v28, v24
	v_dual_add_f32 v29, v25, v27 :: v_dual_sub_f32 v28, v27, v28
	s_delay_alu instid0(VALU_DEP_1) | instskip(NEXT) | instid1(VALU_DEP_2)
	v_sub_f32_e32 v32, v29, v25
	v_dual_sub_f32 v31, v25, v31 :: v_dual_sub_f32 v24, v24, v28
	s_delay_alu instid0(VALU_DEP_1) | instskip(SKIP_1) | instid1(VALU_DEP_2)
	v_dual_sub_f32 v33, v29, v32 :: v_dual_sub_f32 v30, v30, v31
	v_sub_f32_e32 v27, v27, v32
	v_dual_sub_f32 v25, v25, v33 :: v_dual_add_f32 v28, v30, v24
	s_delay_alu instid0(VALU_DEP_1) | instskip(NEXT) | instid1(VALU_DEP_2)
	v_add_f32_e32 v25, v27, v25
	v_sub_f32_e32 v27, v28, v30
	s_delay_alu instid0(VALU_DEP_2) | instskip(NEXT) | instid1(VALU_DEP_2)
	v_add_f32_e32 v25, v28, v25
	v_sub_f32_e32 v28, v28, v27
	s_delay_alu instid0(VALU_DEP_2) | instskip(NEXT) | instid1(VALU_DEP_1)
	v_dual_sub_f32 v24, v24, v27 :: v_dual_add_f32 v31, v29, v25
	v_dual_sub_f32 v28, v30, v28 :: v_dual_sub_f32 v27, v31, v29
	s_delay_alu instid0(VALU_DEP_1) | instskip(NEXT) | instid1(VALU_DEP_1)
	v_dual_add_f32 v24, v24, v28 :: v_dual_sub_f32 v25, v25, v27
	v_add_f32_e32 v24, v24, v25
	s_delay_alu instid0(VALU_DEP_1) | instskip(NEXT) | instid1(VALU_DEP_1)
	v_add_f32_e32 v24, v31, v24
	v_cndmask_b32_e32 v101, v24, v26, vcc_lo
.LBB49_46:                              ;   in Loop: Header=BB49_12 Depth=1
	s_or_b32 exec_lo, exec_lo, s15
	v_and_b32_e32 v24, 0xffff0000, v10
	s_delay_alu instid0(VALU_DEP_1) | instskip(NEXT) | instid1(VALU_DEP_1)
	v_add_f32_e32 v104, s56, v24
	v_cmp_ge_f32_e32 vcc_lo, 0x41a00000, v104
	s_and_b32 s14, s66, vcc_lo
	s_delay_alu instid0(SALU_CYCLE_1)
	s_and_saveexec_b32 s15, s14
	s_cbranch_execz .LBB49_48
; %bb.47:                               ;   in Loop: Header=BB49_12 Depth=1
	v_mul_f32_e32 v24, 0x3fb8aa3b, v104
	v_cmp_ngt_f32_e32 vcc_lo, 0xc2ce8ed0, v104
	s_delay_alu instid0(VALU_DEP_2) | instskip(SKIP_1) | instid1(VALU_DEP_2)
	v_rndne_f32_e32 v25, v24
	v_fma_f32 v26, 0x3fb8aa3b, v104, -v24
	v_sub_f32_e32 v24, v24, v25
	s_delay_alu instid0(VALU_DEP_2) | instskip(SKIP_1) | instid1(VALU_DEP_2)
	v_fmac_f32_e32 v26, 0x32a5705f, v104
	v_cvt_i32_f32_e32 v25, v25
	v_add_f32_e32 v24, v24, v26
	s_delay_alu instid0(VALU_DEP_1) | instskip(SKIP_2) | instid1(VALU_DEP_1)
	v_exp_f32_e32 v24, v24
	s_waitcnt_depctr 0xfff
	v_ldexp_f32 v24, v24, v25
	v_cndmask_b32_e32 v24, 0, v24, vcc_lo
	v_cmp_nlt_f32_e32 vcc_lo, 0x42b17218, v104
	s_delay_alu instid0(VALU_DEP_2) | instskip(NEXT) | instid1(VALU_DEP_1)
	v_cndmask_b32_e32 v26, 0x7f800000, v24, vcc_lo
	v_add_f32_e32 v27, 1.0, v26
	s_delay_alu instid0(VALU_DEP_1) | instskip(NEXT) | instid1(VALU_DEP_1)
	v_cvt_f64_f32_e32 v[24:25], v27
	v_frexp_exp_i32_f64_e32 v24, v[24:25]
	v_frexp_mant_f32_e32 v25, v27
	s_delay_alu instid0(VALU_DEP_1) | instskip(SKIP_1) | instid1(VALU_DEP_1)
	v_cmp_gt_f32_e32 vcc_lo, 0x3f2aaaab, v25
	v_add_f32_e32 v25, -1.0, v27
	v_sub_f32_e32 v29, v25, v27
	v_sub_f32_e32 v25, v26, v25
	s_delay_alu instid0(VALU_DEP_2) | instskip(NEXT) | instid1(VALU_DEP_1)
	v_add_f32_e32 v29, 1.0, v29
	v_add_f32_e32 v25, v25, v29
	v_cmp_gt_f32_e64 s14, 0x33800000, v26
	v_subrev_co_ci_u32_e32 v24, vcc_lo, 0, v24, vcc_lo
	v_cmp_eq_f32_e32 vcc_lo, 0x7f800000, v26
	s_delay_alu instid0(VALU_DEP_2) | instskip(SKIP_2) | instid1(VALU_DEP_2)
	v_sub_nc_u32_e32 v28, 0, v24
	v_cvt_f32_i32_e32 v24, v24
	s_or_b32 vcc_lo, s14, vcc_lo
	v_ldexp_f32 v27, v27, v28
	v_ldexp_f32 v25, v25, v28
	s_delay_alu instid0(VALU_DEP_2) | instskip(NEXT) | instid1(VALU_DEP_1)
	v_add_f32_e32 v30, 1.0, v27
	v_dual_add_f32 v28, -1.0, v27 :: v_dual_add_f32 v29, -1.0, v30
	s_delay_alu instid0(VALU_DEP_1) | instskip(NEXT) | instid1(VALU_DEP_2)
	v_add_f32_e32 v31, 1.0, v28
	v_sub_f32_e32 v29, v27, v29
	s_delay_alu instid0(VALU_DEP_2) | instskip(NEXT) | instid1(VALU_DEP_2)
	v_sub_f32_e32 v27, v27, v31
	v_add_f32_e32 v29, v25, v29
	s_delay_alu instid0(VALU_DEP_2) | instskip(NEXT) | instid1(VALU_DEP_1)
	v_add_f32_e32 v25, v25, v27
	v_add_f32_e32 v32, v28, v25
	s_delay_alu instid0(VALU_DEP_1) | instskip(NEXT) | instid1(VALU_DEP_1)
	v_dual_add_f32 v31, v30, v29 :: v_dual_sub_f32 v28, v28, v32
	v_rcp_f32_e32 v27, v31
	v_sub_f32_e32 v30, v30, v31
	s_delay_alu instid0(VALU_DEP_1) | instskip(SKIP_2) | instid1(VALU_DEP_1)
	v_add_f32_e32 v29, v29, v30
	s_waitcnt_depctr 0xfff
	v_mul_f32_e32 v33, v32, v27
	v_mul_f32_e32 v34, v31, v33
	s_delay_alu instid0(VALU_DEP_1) | instskip(NEXT) | instid1(VALU_DEP_1)
	v_fma_f32 v30, v33, v31, -v34
	v_fmac_f32_e32 v30, v33, v29
	s_delay_alu instid0(VALU_DEP_1) | instskip(NEXT) | instid1(VALU_DEP_1)
	v_add_f32_e32 v35, v34, v30
	v_sub_f32_e32 v36, v32, v35
	s_delay_alu instid0(VALU_DEP_1) | instskip(SKIP_1) | instid1(VALU_DEP_2)
	v_sub_f32_e32 v32, v32, v36
	v_dual_add_f32 v25, v25, v28 :: v_dual_sub_f32 v28, v35, v34
	v_sub_f32_e32 v32, v32, v35
	s_delay_alu instid0(VALU_DEP_1) | instskip(NEXT) | instid1(VALU_DEP_1)
	v_dual_sub_f32 v28, v28, v30 :: v_dual_add_f32 v25, v25, v32
	v_add_f32_e32 v25, v28, v25
	s_delay_alu instid0(VALU_DEP_1) | instskip(NEXT) | instid1(VALU_DEP_1)
	v_add_f32_e32 v28, v36, v25
	v_mul_f32_e32 v30, v27, v28
	s_delay_alu instid0(VALU_DEP_1) | instskip(NEXT) | instid1(VALU_DEP_1)
	v_dual_sub_f32 v35, v36, v28 :: v_dual_mul_f32 v32, v31, v30
	v_add_f32_e32 v25, v25, v35
	s_delay_alu instid0(VALU_DEP_2) | instskip(NEXT) | instid1(VALU_DEP_1)
	v_fma_f32 v31, v30, v31, -v32
	v_fmac_f32_e32 v31, v30, v29
	s_delay_alu instid0(VALU_DEP_1) | instskip(NEXT) | instid1(VALU_DEP_1)
	v_add_f32_e32 v29, v32, v31
	v_sub_f32_e32 v34, v28, v29
	s_delay_alu instid0(VALU_DEP_1) | instskip(NEXT) | instid1(VALU_DEP_1)
	v_sub_f32_e32 v28, v28, v34
	v_sub_f32_e32 v28, v28, v29
	s_delay_alu instid0(VALU_DEP_1) | instskip(SKIP_2) | instid1(VALU_DEP_1)
	v_add_f32_e32 v25, v25, v28
	v_add_f32_e32 v28, v33, v30
	v_sub_f32_e32 v32, v29, v32
	v_sub_f32_e32 v29, v32, v31
	s_delay_alu instid0(VALU_DEP_1) | instskip(NEXT) | instid1(VALU_DEP_4)
	v_add_f32_e32 v25, v29, v25
	v_sub_f32_e32 v29, v28, v33
	s_delay_alu instid0(VALU_DEP_2) | instskip(NEXT) | instid1(VALU_DEP_2)
	v_add_f32_e32 v25, v34, v25
	v_sub_f32_e32 v29, v30, v29
	s_delay_alu instid0(VALU_DEP_2) | instskip(NEXT) | instid1(VALU_DEP_1)
	v_mul_f32_e32 v25, v27, v25
	v_add_f32_e32 v25, v29, v25
	s_delay_alu instid0(VALU_DEP_1) | instskip(NEXT) | instid1(VALU_DEP_1)
	v_add_f32_e32 v27, v28, v25
	v_mul_f32_e32 v29, v27, v27
	s_delay_alu instid0(VALU_DEP_1) | instskip(SKIP_1) | instid1(VALU_DEP_2)
	v_fmaak_f32 v30, s54, v29, 0x3ecc95a3
	v_mul_f32_e32 v31, v27, v29
	v_fmaak_f32 v29, v29, v30, 0x3f2aaada
	v_ldexp_f32 v30, v27, 1
	s_delay_alu instid0(VALU_DEP_2) | instskip(SKIP_1) | instid1(VALU_DEP_2)
	v_mul_f32_e32 v29, v31, v29
	v_sub_f32_e32 v27, v27, v28
	v_dual_mul_f32 v31, 0x3f317218, v24 :: v_dual_add_f32 v28, v30, v29
	s_delay_alu instid0(VALU_DEP_2) | instskip(NEXT) | instid1(VALU_DEP_2)
	v_sub_f32_e32 v25, v25, v27
	v_sub_f32_e32 v27, v28, v30
	s_delay_alu instid0(VALU_DEP_3) | instskip(NEXT) | instid1(VALU_DEP_3)
	v_fma_f32 v30, 0x3f317218, v24, -v31
	v_ldexp_f32 v25, v25, 1
	s_delay_alu instid0(VALU_DEP_2) | instskip(NEXT) | instid1(VALU_DEP_1)
	v_dual_sub_f32 v27, v29, v27 :: v_dual_fmac_f32 v30, 0xb102e308, v24
	v_dual_add_f32 v24, v25, v27 :: v_dual_add_f32 v25, v31, v30
	s_delay_alu instid0(VALU_DEP_1) | instskip(NEXT) | instid1(VALU_DEP_1)
	v_add_f32_e32 v27, v28, v24
	v_dual_add_f32 v29, v25, v27 :: v_dual_sub_f32 v28, v27, v28
	s_delay_alu instid0(VALU_DEP_1) | instskip(NEXT) | instid1(VALU_DEP_2)
	v_sub_f32_e32 v32, v29, v25
	v_dual_sub_f32 v31, v25, v31 :: v_dual_sub_f32 v24, v24, v28
	s_delay_alu instid0(VALU_DEP_1) | instskip(SKIP_1) | instid1(VALU_DEP_2)
	v_dual_sub_f32 v33, v29, v32 :: v_dual_sub_f32 v30, v30, v31
	v_sub_f32_e32 v27, v27, v32
	v_dual_sub_f32 v25, v25, v33 :: v_dual_add_f32 v28, v30, v24
	s_delay_alu instid0(VALU_DEP_1) | instskip(NEXT) | instid1(VALU_DEP_2)
	v_add_f32_e32 v25, v27, v25
	v_sub_f32_e32 v27, v28, v30
	s_delay_alu instid0(VALU_DEP_2) | instskip(NEXT) | instid1(VALU_DEP_2)
	v_add_f32_e32 v25, v28, v25
	v_sub_f32_e32 v28, v28, v27
	s_delay_alu instid0(VALU_DEP_2) | instskip(NEXT) | instid1(VALU_DEP_1)
	v_dual_sub_f32 v24, v24, v27 :: v_dual_add_f32 v31, v29, v25
	v_dual_sub_f32 v28, v30, v28 :: v_dual_sub_f32 v27, v31, v29
	s_delay_alu instid0(VALU_DEP_1) | instskip(NEXT) | instid1(VALU_DEP_1)
	v_dual_add_f32 v24, v24, v28 :: v_dual_sub_f32 v25, v25, v27
	v_add_f32_e32 v24, v24, v25
	s_delay_alu instid0(VALU_DEP_1) | instskip(NEXT) | instid1(VALU_DEP_1)
	v_add_f32_e32 v24, v31, v24
	v_cndmask_b32_e32 v104, v24, v26, vcc_lo
.LBB49_48:                              ;   in Loop: Header=BB49_12 Depth=1
	s_or_b32 exec_lo, exec_lo, s15
	v_lshlrev_b32_e32 v24, 16, v11
	s_delay_alu instid0(VALU_DEP_1) | instskip(NEXT) | instid1(VALU_DEP_1)
	v_add_f32_e32 v105, s56, v24
	v_cmp_ge_f32_e32 vcc_lo, 0x41a00000, v105
	s_and_b32 s14, s66, vcc_lo
	s_delay_alu instid0(SALU_CYCLE_1)
	s_and_saveexec_b32 s15, s14
	s_cbranch_execz .LBB49_50
; %bb.49:                               ;   in Loop: Header=BB49_12 Depth=1
	v_mul_f32_e32 v24, 0x3fb8aa3b, v105
	v_cmp_ngt_f32_e32 vcc_lo, 0xc2ce8ed0, v105
	s_delay_alu instid0(VALU_DEP_2) | instskip(SKIP_1) | instid1(VALU_DEP_2)
	v_rndne_f32_e32 v25, v24
	v_fma_f32 v26, 0x3fb8aa3b, v105, -v24
	v_sub_f32_e32 v24, v24, v25
	s_delay_alu instid0(VALU_DEP_2) | instskip(SKIP_1) | instid1(VALU_DEP_2)
	v_fmac_f32_e32 v26, 0x32a5705f, v105
	v_cvt_i32_f32_e32 v25, v25
	v_add_f32_e32 v24, v24, v26
	s_delay_alu instid0(VALU_DEP_1) | instskip(SKIP_2) | instid1(VALU_DEP_1)
	v_exp_f32_e32 v24, v24
	s_waitcnt_depctr 0xfff
	v_ldexp_f32 v24, v24, v25
	v_cndmask_b32_e32 v24, 0, v24, vcc_lo
	v_cmp_nlt_f32_e32 vcc_lo, 0x42b17218, v105
	s_delay_alu instid0(VALU_DEP_2) | instskip(NEXT) | instid1(VALU_DEP_1)
	v_cndmask_b32_e32 v26, 0x7f800000, v24, vcc_lo
	v_add_f32_e32 v27, 1.0, v26
	s_delay_alu instid0(VALU_DEP_1) | instskip(NEXT) | instid1(VALU_DEP_1)
	v_cvt_f64_f32_e32 v[24:25], v27
	v_frexp_exp_i32_f64_e32 v24, v[24:25]
	v_frexp_mant_f32_e32 v25, v27
	s_delay_alu instid0(VALU_DEP_1) | instskip(SKIP_1) | instid1(VALU_DEP_1)
	v_cmp_gt_f32_e32 vcc_lo, 0x3f2aaaab, v25
	v_add_f32_e32 v25, -1.0, v27
	v_sub_f32_e32 v29, v25, v27
	v_sub_f32_e32 v25, v26, v25
	s_delay_alu instid0(VALU_DEP_2) | instskip(NEXT) | instid1(VALU_DEP_1)
	v_add_f32_e32 v29, 1.0, v29
	v_add_f32_e32 v25, v25, v29
	v_cmp_gt_f32_e64 s14, 0x33800000, v26
	v_subrev_co_ci_u32_e32 v24, vcc_lo, 0, v24, vcc_lo
	v_cmp_eq_f32_e32 vcc_lo, 0x7f800000, v26
	s_delay_alu instid0(VALU_DEP_2) | instskip(SKIP_2) | instid1(VALU_DEP_2)
	v_sub_nc_u32_e32 v28, 0, v24
	v_cvt_f32_i32_e32 v24, v24
	s_or_b32 vcc_lo, s14, vcc_lo
	v_ldexp_f32 v27, v27, v28
	v_ldexp_f32 v25, v25, v28
	s_delay_alu instid0(VALU_DEP_2) | instskip(NEXT) | instid1(VALU_DEP_1)
	v_add_f32_e32 v30, 1.0, v27
	v_dual_add_f32 v28, -1.0, v27 :: v_dual_add_f32 v29, -1.0, v30
	s_delay_alu instid0(VALU_DEP_1) | instskip(NEXT) | instid1(VALU_DEP_2)
	v_add_f32_e32 v31, 1.0, v28
	v_sub_f32_e32 v29, v27, v29
	s_delay_alu instid0(VALU_DEP_2) | instskip(NEXT) | instid1(VALU_DEP_2)
	v_sub_f32_e32 v27, v27, v31
	v_add_f32_e32 v29, v25, v29
	s_delay_alu instid0(VALU_DEP_2) | instskip(NEXT) | instid1(VALU_DEP_1)
	v_add_f32_e32 v25, v25, v27
	v_add_f32_e32 v32, v28, v25
	s_delay_alu instid0(VALU_DEP_1) | instskip(NEXT) | instid1(VALU_DEP_1)
	v_dual_add_f32 v31, v30, v29 :: v_dual_sub_f32 v28, v28, v32
	v_rcp_f32_e32 v27, v31
	v_sub_f32_e32 v30, v30, v31
	s_delay_alu instid0(VALU_DEP_1) | instskip(SKIP_2) | instid1(VALU_DEP_1)
	v_add_f32_e32 v29, v29, v30
	s_waitcnt_depctr 0xfff
	v_mul_f32_e32 v33, v32, v27
	v_mul_f32_e32 v34, v31, v33
	s_delay_alu instid0(VALU_DEP_1) | instskip(NEXT) | instid1(VALU_DEP_1)
	v_fma_f32 v30, v33, v31, -v34
	v_fmac_f32_e32 v30, v33, v29
	s_delay_alu instid0(VALU_DEP_1) | instskip(NEXT) | instid1(VALU_DEP_1)
	v_add_f32_e32 v35, v34, v30
	v_sub_f32_e32 v36, v32, v35
	s_delay_alu instid0(VALU_DEP_1) | instskip(SKIP_1) | instid1(VALU_DEP_2)
	v_sub_f32_e32 v32, v32, v36
	v_dual_add_f32 v25, v25, v28 :: v_dual_sub_f32 v28, v35, v34
	v_sub_f32_e32 v32, v32, v35
	s_delay_alu instid0(VALU_DEP_1) | instskip(NEXT) | instid1(VALU_DEP_1)
	v_dual_sub_f32 v28, v28, v30 :: v_dual_add_f32 v25, v25, v32
	v_add_f32_e32 v25, v28, v25
	s_delay_alu instid0(VALU_DEP_1) | instskip(NEXT) | instid1(VALU_DEP_1)
	v_add_f32_e32 v28, v36, v25
	v_mul_f32_e32 v30, v27, v28
	s_delay_alu instid0(VALU_DEP_1) | instskip(NEXT) | instid1(VALU_DEP_1)
	v_dual_sub_f32 v35, v36, v28 :: v_dual_mul_f32 v32, v31, v30
	v_add_f32_e32 v25, v25, v35
	s_delay_alu instid0(VALU_DEP_2) | instskip(NEXT) | instid1(VALU_DEP_1)
	v_fma_f32 v31, v30, v31, -v32
	v_fmac_f32_e32 v31, v30, v29
	s_delay_alu instid0(VALU_DEP_1) | instskip(NEXT) | instid1(VALU_DEP_1)
	v_add_f32_e32 v29, v32, v31
	v_sub_f32_e32 v34, v28, v29
	s_delay_alu instid0(VALU_DEP_1) | instskip(NEXT) | instid1(VALU_DEP_1)
	v_sub_f32_e32 v28, v28, v34
	v_sub_f32_e32 v28, v28, v29
	s_delay_alu instid0(VALU_DEP_1) | instskip(SKIP_2) | instid1(VALU_DEP_1)
	v_add_f32_e32 v25, v25, v28
	v_add_f32_e32 v28, v33, v30
	v_sub_f32_e32 v32, v29, v32
	v_sub_f32_e32 v29, v32, v31
	s_delay_alu instid0(VALU_DEP_1) | instskip(NEXT) | instid1(VALU_DEP_4)
	v_add_f32_e32 v25, v29, v25
	v_sub_f32_e32 v29, v28, v33
	s_delay_alu instid0(VALU_DEP_2) | instskip(NEXT) | instid1(VALU_DEP_2)
	v_add_f32_e32 v25, v34, v25
	v_sub_f32_e32 v29, v30, v29
	s_delay_alu instid0(VALU_DEP_2) | instskip(NEXT) | instid1(VALU_DEP_1)
	v_mul_f32_e32 v25, v27, v25
	v_add_f32_e32 v25, v29, v25
	s_delay_alu instid0(VALU_DEP_1) | instskip(NEXT) | instid1(VALU_DEP_1)
	v_add_f32_e32 v27, v28, v25
	v_mul_f32_e32 v29, v27, v27
	s_delay_alu instid0(VALU_DEP_1) | instskip(SKIP_1) | instid1(VALU_DEP_2)
	v_fmaak_f32 v30, s54, v29, 0x3ecc95a3
	v_mul_f32_e32 v31, v27, v29
	v_fmaak_f32 v29, v29, v30, 0x3f2aaada
	v_ldexp_f32 v30, v27, 1
	s_delay_alu instid0(VALU_DEP_2) | instskip(SKIP_1) | instid1(VALU_DEP_2)
	v_mul_f32_e32 v29, v31, v29
	v_sub_f32_e32 v27, v27, v28
	v_dual_mul_f32 v31, 0x3f317218, v24 :: v_dual_add_f32 v28, v30, v29
	s_delay_alu instid0(VALU_DEP_2) | instskip(NEXT) | instid1(VALU_DEP_2)
	v_sub_f32_e32 v25, v25, v27
	v_sub_f32_e32 v27, v28, v30
	s_delay_alu instid0(VALU_DEP_3) | instskip(NEXT) | instid1(VALU_DEP_3)
	v_fma_f32 v30, 0x3f317218, v24, -v31
	v_ldexp_f32 v25, v25, 1
	s_delay_alu instid0(VALU_DEP_2) | instskip(NEXT) | instid1(VALU_DEP_1)
	v_dual_sub_f32 v27, v29, v27 :: v_dual_fmac_f32 v30, 0xb102e308, v24
	v_dual_add_f32 v24, v25, v27 :: v_dual_add_f32 v25, v31, v30
	s_delay_alu instid0(VALU_DEP_1) | instskip(NEXT) | instid1(VALU_DEP_1)
	v_add_f32_e32 v27, v28, v24
	v_dual_add_f32 v29, v25, v27 :: v_dual_sub_f32 v28, v27, v28
	s_delay_alu instid0(VALU_DEP_1) | instskip(NEXT) | instid1(VALU_DEP_2)
	v_sub_f32_e32 v32, v29, v25
	v_dual_sub_f32 v31, v25, v31 :: v_dual_sub_f32 v24, v24, v28
	s_delay_alu instid0(VALU_DEP_1) | instskip(SKIP_1) | instid1(VALU_DEP_2)
	v_dual_sub_f32 v33, v29, v32 :: v_dual_sub_f32 v30, v30, v31
	v_sub_f32_e32 v27, v27, v32
	v_dual_sub_f32 v25, v25, v33 :: v_dual_add_f32 v28, v30, v24
	s_delay_alu instid0(VALU_DEP_1) | instskip(NEXT) | instid1(VALU_DEP_2)
	v_add_f32_e32 v25, v27, v25
	v_sub_f32_e32 v27, v28, v30
	s_delay_alu instid0(VALU_DEP_2) | instskip(NEXT) | instid1(VALU_DEP_2)
	v_add_f32_e32 v25, v28, v25
	v_sub_f32_e32 v28, v28, v27
	s_delay_alu instid0(VALU_DEP_2) | instskip(NEXT) | instid1(VALU_DEP_1)
	v_dual_sub_f32 v24, v24, v27 :: v_dual_add_f32 v31, v29, v25
	v_dual_sub_f32 v28, v30, v28 :: v_dual_sub_f32 v27, v31, v29
	s_delay_alu instid0(VALU_DEP_1) | instskip(NEXT) | instid1(VALU_DEP_1)
	v_dual_add_f32 v24, v24, v28 :: v_dual_sub_f32 v25, v25, v27
	v_add_f32_e32 v24, v24, v25
	s_delay_alu instid0(VALU_DEP_1) | instskip(NEXT) | instid1(VALU_DEP_1)
	v_add_f32_e32 v24, v31, v24
	v_cndmask_b32_e32 v105, v24, v26, vcc_lo
.LBB49_50:                              ;   in Loop: Header=BB49_12 Depth=1
	s_or_b32 exec_lo, exec_lo, s15
	v_and_b32_e32 v24, 0xffff0000, v11
	s_delay_alu instid0(VALU_DEP_1) | instskip(NEXT) | instid1(VALU_DEP_1)
	v_add_f32_e32 v106, s56, v24
	v_cmp_ge_f32_e32 vcc_lo, 0x41a00000, v106
	s_and_b32 s14, s66, vcc_lo
	s_delay_alu instid0(SALU_CYCLE_1)
	s_and_saveexec_b32 s15, s14
	s_cbranch_execz .LBB49_52
; %bb.51:                               ;   in Loop: Header=BB49_12 Depth=1
	v_mul_f32_e32 v24, 0x3fb8aa3b, v106
	v_cmp_ngt_f32_e32 vcc_lo, 0xc2ce8ed0, v106
	s_delay_alu instid0(VALU_DEP_2) | instskip(SKIP_1) | instid1(VALU_DEP_2)
	v_rndne_f32_e32 v25, v24
	v_fma_f32 v26, 0x3fb8aa3b, v106, -v24
	v_sub_f32_e32 v24, v24, v25
	s_delay_alu instid0(VALU_DEP_2) | instskip(SKIP_1) | instid1(VALU_DEP_2)
	v_fmac_f32_e32 v26, 0x32a5705f, v106
	v_cvt_i32_f32_e32 v25, v25
	v_add_f32_e32 v24, v24, v26
	s_delay_alu instid0(VALU_DEP_1) | instskip(SKIP_2) | instid1(VALU_DEP_1)
	v_exp_f32_e32 v24, v24
	s_waitcnt_depctr 0xfff
	v_ldexp_f32 v24, v24, v25
	v_cndmask_b32_e32 v24, 0, v24, vcc_lo
	v_cmp_nlt_f32_e32 vcc_lo, 0x42b17218, v106
	s_delay_alu instid0(VALU_DEP_2) | instskip(NEXT) | instid1(VALU_DEP_1)
	v_cndmask_b32_e32 v26, 0x7f800000, v24, vcc_lo
	v_add_f32_e32 v27, 1.0, v26
	s_delay_alu instid0(VALU_DEP_1) | instskip(NEXT) | instid1(VALU_DEP_1)
	v_cvt_f64_f32_e32 v[24:25], v27
	v_frexp_exp_i32_f64_e32 v24, v[24:25]
	v_frexp_mant_f32_e32 v25, v27
	s_delay_alu instid0(VALU_DEP_1) | instskip(SKIP_1) | instid1(VALU_DEP_1)
	v_cmp_gt_f32_e32 vcc_lo, 0x3f2aaaab, v25
	v_add_f32_e32 v25, -1.0, v27
	v_sub_f32_e32 v29, v25, v27
	v_sub_f32_e32 v25, v26, v25
	s_delay_alu instid0(VALU_DEP_2) | instskip(NEXT) | instid1(VALU_DEP_1)
	v_add_f32_e32 v29, 1.0, v29
	v_add_f32_e32 v25, v25, v29
	v_cmp_gt_f32_e64 s14, 0x33800000, v26
	v_subrev_co_ci_u32_e32 v24, vcc_lo, 0, v24, vcc_lo
	v_cmp_eq_f32_e32 vcc_lo, 0x7f800000, v26
	s_delay_alu instid0(VALU_DEP_2) | instskip(SKIP_2) | instid1(VALU_DEP_2)
	v_sub_nc_u32_e32 v28, 0, v24
	v_cvt_f32_i32_e32 v24, v24
	s_or_b32 vcc_lo, s14, vcc_lo
	v_ldexp_f32 v27, v27, v28
	v_ldexp_f32 v25, v25, v28
	s_delay_alu instid0(VALU_DEP_2) | instskip(NEXT) | instid1(VALU_DEP_1)
	v_add_f32_e32 v30, 1.0, v27
	v_dual_add_f32 v28, -1.0, v27 :: v_dual_add_f32 v29, -1.0, v30
	s_delay_alu instid0(VALU_DEP_1) | instskip(NEXT) | instid1(VALU_DEP_2)
	v_add_f32_e32 v31, 1.0, v28
	v_sub_f32_e32 v29, v27, v29
	s_delay_alu instid0(VALU_DEP_2) | instskip(NEXT) | instid1(VALU_DEP_2)
	v_sub_f32_e32 v27, v27, v31
	v_add_f32_e32 v29, v25, v29
	s_delay_alu instid0(VALU_DEP_2) | instskip(NEXT) | instid1(VALU_DEP_1)
	v_add_f32_e32 v25, v25, v27
	v_add_f32_e32 v32, v28, v25
	s_delay_alu instid0(VALU_DEP_1) | instskip(NEXT) | instid1(VALU_DEP_1)
	v_dual_add_f32 v31, v30, v29 :: v_dual_sub_f32 v28, v28, v32
	v_rcp_f32_e32 v27, v31
	v_sub_f32_e32 v30, v30, v31
	s_delay_alu instid0(VALU_DEP_1) | instskip(SKIP_2) | instid1(VALU_DEP_1)
	v_add_f32_e32 v29, v29, v30
	s_waitcnt_depctr 0xfff
	v_mul_f32_e32 v33, v32, v27
	v_mul_f32_e32 v34, v31, v33
	s_delay_alu instid0(VALU_DEP_1) | instskip(NEXT) | instid1(VALU_DEP_1)
	v_fma_f32 v30, v33, v31, -v34
	v_fmac_f32_e32 v30, v33, v29
	s_delay_alu instid0(VALU_DEP_1) | instskip(NEXT) | instid1(VALU_DEP_1)
	v_add_f32_e32 v35, v34, v30
	v_sub_f32_e32 v36, v32, v35
	s_delay_alu instid0(VALU_DEP_1) | instskip(SKIP_1) | instid1(VALU_DEP_2)
	v_sub_f32_e32 v32, v32, v36
	v_dual_add_f32 v25, v25, v28 :: v_dual_sub_f32 v28, v35, v34
	v_sub_f32_e32 v32, v32, v35
	s_delay_alu instid0(VALU_DEP_1) | instskip(NEXT) | instid1(VALU_DEP_1)
	v_dual_sub_f32 v28, v28, v30 :: v_dual_add_f32 v25, v25, v32
	v_add_f32_e32 v25, v28, v25
	s_delay_alu instid0(VALU_DEP_1) | instskip(NEXT) | instid1(VALU_DEP_1)
	v_add_f32_e32 v28, v36, v25
	v_mul_f32_e32 v30, v27, v28
	s_delay_alu instid0(VALU_DEP_1) | instskip(NEXT) | instid1(VALU_DEP_1)
	v_dual_sub_f32 v35, v36, v28 :: v_dual_mul_f32 v32, v31, v30
	v_add_f32_e32 v25, v25, v35
	s_delay_alu instid0(VALU_DEP_2) | instskip(NEXT) | instid1(VALU_DEP_1)
	v_fma_f32 v31, v30, v31, -v32
	v_fmac_f32_e32 v31, v30, v29
	s_delay_alu instid0(VALU_DEP_1) | instskip(NEXT) | instid1(VALU_DEP_1)
	v_add_f32_e32 v29, v32, v31
	v_sub_f32_e32 v34, v28, v29
	s_delay_alu instid0(VALU_DEP_1) | instskip(NEXT) | instid1(VALU_DEP_1)
	v_sub_f32_e32 v28, v28, v34
	v_sub_f32_e32 v28, v28, v29
	s_delay_alu instid0(VALU_DEP_1) | instskip(SKIP_2) | instid1(VALU_DEP_1)
	v_add_f32_e32 v25, v25, v28
	v_add_f32_e32 v28, v33, v30
	v_sub_f32_e32 v32, v29, v32
	v_sub_f32_e32 v29, v32, v31
	s_delay_alu instid0(VALU_DEP_1) | instskip(NEXT) | instid1(VALU_DEP_4)
	v_add_f32_e32 v25, v29, v25
	v_sub_f32_e32 v29, v28, v33
	s_delay_alu instid0(VALU_DEP_2) | instskip(NEXT) | instid1(VALU_DEP_2)
	v_add_f32_e32 v25, v34, v25
	v_sub_f32_e32 v29, v30, v29
	s_delay_alu instid0(VALU_DEP_2) | instskip(NEXT) | instid1(VALU_DEP_1)
	v_mul_f32_e32 v25, v27, v25
	v_add_f32_e32 v25, v29, v25
	s_delay_alu instid0(VALU_DEP_1) | instskip(NEXT) | instid1(VALU_DEP_1)
	v_add_f32_e32 v27, v28, v25
	v_mul_f32_e32 v29, v27, v27
	s_delay_alu instid0(VALU_DEP_1) | instskip(SKIP_1) | instid1(VALU_DEP_2)
	v_fmaak_f32 v30, s54, v29, 0x3ecc95a3
	v_mul_f32_e32 v31, v27, v29
	v_fmaak_f32 v29, v29, v30, 0x3f2aaada
	v_ldexp_f32 v30, v27, 1
	s_delay_alu instid0(VALU_DEP_2) | instskip(SKIP_1) | instid1(VALU_DEP_2)
	v_mul_f32_e32 v29, v31, v29
	v_sub_f32_e32 v27, v27, v28
	v_dual_mul_f32 v31, 0x3f317218, v24 :: v_dual_add_f32 v28, v30, v29
	s_delay_alu instid0(VALU_DEP_2) | instskip(NEXT) | instid1(VALU_DEP_2)
	v_sub_f32_e32 v25, v25, v27
	v_sub_f32_e32 v27, v28, v30
	s_delay_alu instid0(VALU_DEP_3) | instskip(NEXT) | instid1(VALU_DEP_3)
	v_fma_f32 v30, 0x3f317218, v24, -v31
	v_ldexp_f32 v25, v25, 1
	s_delay_alu instid0(VALU_DEP_2) | instskip(NEXT) | instid1(VALU_DEP_1)
	v_dual_sub_f32 v27, v29, v27 :: v_dual_fmac_f32 v30, 0xb102e308, v24
	v_dual_add_f32 v24, v25, v27 :: v_dual_add_f32 v25, v31, v30
	s_delay_alu instid0(VALU_DEP_1) | instskip(NEXT) | instid1(VALU_DEP_1)
	v_add_f32_e32 v27, v28, v24
	v_dual_add_f32 v29, v25, v27 :: v_dual_sub_f32 v28, v27, v28
	s_delay_alu instid0(VALU_DEP_1) | instskip(NEXT) | instid1(VALU_DEP_2)
	v_sub_f32_e32 v32, v29, v25
	v_dual_sub_f32 v31, v25, v31 :: v_dual_sub_f32 v24, v24, v28
	s_delay_alu instid0(VALU_DEP_1) | instskip(SKIP_1) | instid1(VALU_DEP_2)
	v_dual_sub_f32 v33, v29, v32 :: v_dual_sub_f32 v30, v30, v31
	v_sub_f32_e32 v27, v27, v32
	v_dual_sub_f32 v25, v25, v33 :: v_dual_add_f32 v28, v30, v24
	s_delay_alu instid0(VALU_DEP_1) | instskip(NEXT) | instid1(VALU_DEP_2)
	v_add_f32_e32 v25, v27, v25
	v_sub_f32_e32 v27, v28, v30
	s_delay_alu instid0(VALU_DEP_2) | instskip(NEXT) | instid1(VALU_DEP_2)
	v_add_f32_e32 v25, v28, v25
	v_sub_f32_e32 v28, v28, v27
	s_delay_alu instid0(VALU_DEP_2) | instskip(NEXT) | instid1(VALU_DEP_1)
	v_dual_sub_f32 v24, v24, v27 :: v_dual_add_f32 v31, v29, v25
	v_dual_sub_f32 v28, v30, v28 :: v_dual_sub_f32 v27, v31, v29
	s_delay_alu instid0(VALU_DEP_1) | instskip(NEXT) | instid1(VALU_DEP_1)
	v_dual_add_f32 v24, v24, v28 :: v_dual_sub_f32 v25, v25, v27
	v_add_f32_e32 v24, v24, v25
	s_delay_alu instid0(VALU_DEP_1) | instskip(NEXT) | instid1(VALU_DEP_1)
	v_add_f32_e32 v24, v31, v24
	v_cndmask_b32_e32 v106, v24, v26, vcc_lo
.LBB49_52:                              ;   in Loop: Header=BB49_12 Depth=1
	s_or_b32 exec_lo, exec_lo, s15
	v_and_b32_e32 v31, 0xffff0000, v23
	v_lshlrev_b32_e32 v30, 16, v16
	v_and_b32_e32 v38, 0xffff0000, v20
	v_and_b32_e32 v36, 0xffff0000, v21
	v_lshlrev_b32_e32 v39, 16, v20
	v_dual_mul_f32 v95, s57, v31 :: v_dual_lshlrev_b32 v28, 16, v17
	v_mul_f32_e32 v91, s57, v30
	v_and_b32_e32 v27, 0xffff0000, v17
	v_mul_f32_e32 v103, s57, v38
	v_dual_mul_f32 v100, s57, v36 :: v_dual_lshlrev_b32 v35, 16, v22
	v_mul_f32_e32 v88, s57, v28
	s_delay_alu instid0(VALU_DEP_4) | instskip(SKIP_1) | instid1(VALU_DEP_4)
	v_dual_mul_f32 v89, s57, v27 :: v_dual_lshlrev_b32 v26, 16, v18
	v_lshlrev_b32_e32 v24, 16, v19
	v_dual_mul_f32 v98, s57, v35 :: v_dual_lshlrev_b32 v37, 16, v21
	s_delay_alu instid0(VALU_DEP_3) | instskip(NEXT) | instid1(VALU_DEP_3)
	v_mul_f32_e32 v85, s57, v26
	v_dual_mul_f32 v84, s57, v24 :: v_dual_and_b32 v25, 0xffff0000, v18
	s_delay_alu instid0(VALU_DEP_3) | instskip(NEXT) | instid1(VALU_DEP_2)
	v_dual_mul_f32 v99, s57, v37 :: v_dual_lshlrev_b32 v32, 16, v23
	v_dual_mul_f32 v86, s57, v25 :: v_dual_and_b32 v29, 0xffff0000, v16
	s_delay_alu instid0(VALU_DEP_2) | instskip(SKIP_1) | instid1(VALU_DEP_3)
	v_dual_mul_f32 v94, s57, v32 :: v_dual_and_b32 v33, 0xffff0000, v22
	v_and_b32_e32 v34, 0xffff0000, v19
	v_mul_f32_e32 v92, s57, v29
	s_delay_alu instid0(VALU_DEP_3) | instskip(SKIP_1) | instid1(VALU_DEP_3)
	v_dual_mul_f32 v102, s57, v39 :: v_dual_mul_f32 v97, s57, v33
	s_lshl_b32 s38, s71, 10
	v_mul_f32_e32 v87, s57, v34
	s_and_b32 vcc_lo, exec_lo, s67
	s_barrier
	buffer_gl0_inv
	s_cbranch_vccz .LBB49_84
; %bb.53:                               ;   in Loop: Header=BB49_12 Depth=1
	v_dual_mul_f32 v107, v106, v34 :: v_dual_mul_f32 v112, v105, v24
	v_add_co_u32 v34, s14, s49, v73
	s_delay_alu instid0(VALU_DEP_1) | instskip(SKIP_1) | instid1(VALU_DEP_1)
	v_add_co_ci_u32_e64 v40, null, s50, 0, s14
	v_add_co_u32 v41, s14, s37, v73
	v_add_co_ci_u32_e64 v111, null, s61, 0, s14
	s_delay_alu instid0(VALU_DEP_4) | instskip(NEXT) | instid1(VALU_DEP_4)
	v_add_co_u32 v108, vcc_lo, v34, v74
	v_add_co_ci_u32_e32 v109, vcc_lo, 0, v40, vcc_lo
	s_delay_alu instid0(VALU_DEP_4)
	v_add_co_u32 v110, vcc_lo, v41, v74
	s_sub_i32 s25, s34, s38
	v_add_co_ci_u32_e32 v111, vcc_lo, 0, v111, vcc_lo
	v_cmp_gt_u32_e32 vcc_lo, s25, v48
	s_cmp_lg_u32 s71, 0
	v_cmp_gt_u32_e64 s16, s25, v59
	s_cselect_b32 s39, -1, 0
	s_cmp_eq_u32 s71, s69
	v_cmp_gt_u32_e64 s17, s25, v60
	s_cselect_b32 s72, -1, 0
	s_or_b32 s14, s68, vcc_lo
	v_cmp_gt_u32_e32 vcc_lo, s25, v58
	v_cmp_gt_u32_e64 s18, s25, v61
	v_cmp_gt_u32_e64 s19, s25, v62
	;; [unrolled: 1-line block ×4, first 2 shown]
	s_or_b32 s15, s68, vcc_lo
	v_cmp_gt_u32_e32 vcc_lo, s25, v63
	v_cmp_gt_u32_e64 s23, s25, v66
	v_cmp_gt_u32_e64 s24, s25, v67
	;; [unrolled: 1-line block ×4, first 2 shown]
	s_or_b32 s20, s68, vcc_lo
	v_cmp_gt_u32_e32 vcc_lo, s25, v68
	v_cmp_gt_u32_e64 s28, s25, v71
	v_cmp_gt_u32_e64 s29, s25, v72
	v_dual_mul_f32 v113, v104, v25 :: v_dual_mul_f32 v114, v101, v26
	v_dual_mul_f32 v115, v96, v27 :: v_dual_mul_f32 v116, v93, v28
	;; [unrolled: 1-line block ×7, first 2 shown]
	s_mov_b32 s52, 0
	s_or_b32 s16, s68, s16
	s_or_b32 s17, s68, s17
	;; [unrolled: 1-line block ×8, first 2 shown]
	s_or_b32 s25, s68, vcc_lo
	s_or_b32 s26, s68, s26
	s_or_b32 s27, s68, s27
	;; [unrolled: 1-line block ×4, first 2 shown]
	s_mov_b32 s40, s52
	s_mov_b32 s42, s52
	s_mov_b32 s46, s52
	s_mov_b32 s73, s35
	s_mov_b32 s74, s70
	s_branch .LBB49_55
.LBB49_54:                              ;   in Loop: Header=BB49_55 Depth=2
	s_or_b32 exec_lo, exec_lo, s30
	v_cndmask_b32_e64 v33, v156, v35, s13
	v_cndmask_b32_e64 v34, v155, v34, s13
	s_add_i32 s73, s73, -1
	s_add_i32 s74, s74, 8
	s_add_i32 s46, s46, s62
	v_fma_f32 v33, v33, v130, v129
	v_mul_f32_e32 v34, v34, v130
	s_add_i32 s42, s42, s36
	s_add_i32 s40, s40, s48
	;; [unrolled: 1-line block ×3, first 2 shown]
	v_cndmask_b32_e64 v33, v33, v129, s12
	v_cndmask_b32_e64 v34, v34, v130, s12
	s_cmp_eq_u32 s73, 0
	v_and_b32_e32 v35, 0xffff0000, v30
	s_waitcnt lgkmcnt(0)
	s_delay_alu instid0(VALU_DEP_2) | instskip(SKIP_1) | instid1(VALU_DEP_2)
	v_dual_fmac_f32 v33, v32, v34 :: v_dual_and_b32 v32, 0xffff0000, v28
	v_lshlrev_b32_e32 v28, 16, v28
	v_fmac_f32_e32 v36, v33, v132
	s_delay_alu instid0(VALU_DEP_1) | instskip(NEXT) | instid1(VALU_DEP_1)
	v_fmac_f32_e32 v37, v36, v133
	v_fmac_f32_e32 v38, v37, v135
	s_delay_alu instid0(VALU_DEP_1) | instskip(SKIP_3) | instid1(VALU_DEP_4)
	v_dual_fmac_f32 v102, v33, v28 :: v_dual_fmac_f32 v39, v38, v138
	v_dual_fmac_f32 v103, v36, v32 :: v_dual_and_b32 v34, 0xffff0000, v29
	v_lshlrev_b32_e32 v29, 16, v29
	v_and_b32_e32 v40, 0xffff0000, v31
	v_fmac_f32_e32 v127, v39, v139
	v_lshlrev_b32_e32 v31, 16, v31
	s_delay_alu instid0(VALU_DEP_4) | instskip(NEXT) | instid1(VALU_DEP_3)
	v_dual_fmac_f32 v99, v37, v29 :: v_dual_and_b32 v130, 0xffff0000, v26
	v_dual_fmac_f32 v100, v38, v34 :: v_dual_fmac_f32 v97, v127, v35
	v_fmac_f32_e32 v128, v127, v140
	s_delay_alu instid0(VALU_DEP_1) | instskip(SKIP_1) | instid1(VALU_DEP_2)
	v_dual_fmac_f32 v131, v128, v141 :: v_dual_and_b32 v132, 0xffff0000, v27
	v_lshlrev_b32_e32 v27, 16, v27
	v_fmac_f32_e32 v134, v131, v143
	v_fmac_f32_e32 v95, v131, v40
	s_delay_alu instid0(VALU_DEP_2) | instskip(NEXT) | instid1(VALU_DEP_1)
	v_fmac_f32_e32 v136, v134, v144
	v_dual_fmac_f32 v137, v136, v145 :: v_dual_lshlrev_b32 v30, 16, v30
	s_delay_alu instid0(VALU_DEP_1) | instskip(SKIP_1) | instid1(VALU_DEP_2)
	v_dual_fmac_f32 v142, v137, v153 :: v_dual_and_b32 v41, 0xffff0000, v24
	v_and_b32_e32 v129, 0xffff0000, v25
	v_dual_fmac_f32 v146, v142, v148 :: v_dual_lshlrev_b32 v25, 16, v25
	s_delay_alu instid0(VALU_DEP_1) | instskip(SKIP_1) | instid1(VALU_DEP_2)
	v_dual_fmac_f32 v147, v146, v150 :: v_dual_lshlrev_b32 v24, 16, v24
	v_lshlrev_b32_e32 v26, 16, v26
	v_dual_fmac_f32 v98, v39, v30 :: v_dual_fmac_f32 v91, v134, v24
	s_delay_alu instid0(VALU_DEP_3) | instskip(SKIP_1) | instid1(VALU_DEP_4)
	v_dual_fmac_f32 v89, v142, v129 :: v_dual_fmac_f32 v86, v147, v130
	v_dual_fmac_f32 v149, v147, v152 :: v_dual_fmac_f32 v94, v128, v31
	v_dual_fmac_f32 v92, v136, v41 :: v_dual_fmac_f32 v85, v146, v26
	s_delay_alu instid0(VALU_DEP_2) | instskip(SKIP_1) | instid1(VALU_DEP_2)
	v_fmac_f32_e32 v151, v149, v154
	v_fmac_f32_e32 v88, v137, v25
	v_dual_fmac_f32 v84, v149, v27 :: v_dual_fmac_f32 v87, v151, v132
	s_cbranch_scc1 .LBB49_84
.LBB49_55:                              ;   Parent Loop BB49_12 Depth=1
                                        ; =>  This Inner Loop Header: Depth=2
	s_lshl_b64 s[30:31], s[52:53], 2
	s_mov_b32 s41, s53
	s_add_u32 s30, s59, s30
	s_addc_u32 s31, s60, s31
	s_lshl_b64 s[76:77], s[40:41], 1
	s_mov_b32 s43, s53
	v_add_co_u32 v28, vcc_lo, v108, s76
	v_add_co_ci_u32_e32 v29, vcc_lo, s77, v109, vcc_lo
	s_lshl_b64 s[76:77], s[42:43], 1
	s_clause 0x1
	global_load_b128 v[24:27], v[28:29], off
	global_load_b128 v[28:31], v[28:29], off offset:512
	v_add_co_u32 v32, vcc_lo, v110, s76
	v_add_co_ci_u32_e32 v33, vcc_lo, s77, v111, vcc_lo
	global_load_b32 v127, v42, s[30:31]
	s_and_not1_b32 vcc_lo, exec_lo, s39
	s_waitcnt vmcnt(2)
	ds_store_b128 v43, v[24:27]
	s_waitcnt vmcnt(1)
	ds_store_b128 v44, v[28:31] offset:512
	; wave barrier
	s_clause 0x1
	global_load_b128 v[24:27], v[32:33], off
	global_load_b128 v[28:31], v[32:33], off offset:512
	ds_load_b128 v[36:39], v45
	ds_load_b128 v[32:35], v45 offset:16
	s_waitcnt vmcnt(1)
	ds_store_b128 v43, v[24:27] offset:2112
	s_waitcnt vmcnt(0)
	ds_store_b128 v46, v[28:31] offset:512
	; wave barrier
	ds_load_b128 v[28:31], v45 offset:2112
	ds_load_b128 v[24:27], v47 offset:16
	s_cbranch_vccnz .LBB49_57
; %bb.56:                               ;   in Loop: Header=BB49_55 Depth=2
	v_mov_b32_e32 v40, s74
	ds_load_b64 v[40:41], v40
	s_cbranch_execz .LBB49_58
	s_branch .LBB49_61
.LBB49_57:                              ;   in Loop: Header=BB49_55 Depth=2
                                        ; implicit-def: $vgpr40
.LBB49_58:                              ;   in Loop: Header=BB49_55 Depth=2
	s_waitcnt lgkmcnt(0)
	v_mov_b32_e32 v41, 0
	s_and_not1_b32 vcc_lo, exec_lo, s33
	s_cbranch_vccnz .LBB49_60
; %bb.59:                               ;   in Loop: Header=BB49_55 Depth=2
	s_mov_b32 s47, s53
	s_delay_alu instid0(SALU_CYCLE_1) | instskip(NEXT) | instid1(SALU_CYCLE_1)
	s_lshl_b64 s[30:31], s[46:47], 2
	s_add_u32 s30, s63, s30
	s_addc_u32 s31, s64, s31
	global_load_b32 v41, v42, s[30:31]
.LBB49_60:                              ;   in Loop: Header=BB49_55 Depth=2
	v_mov_b32_e32 v40, 1.0
.LBB49_61:                              ;   in Loop: Header=BB49_55 Depth=2
	s_waitcnt lgkmcnt(5)
	v_dual_mul_f32 v149, 0x3fb8aa3b, v127 :: v_dual_lshlrev_b32 v128, 16, v37
	v_lshlrev_b32_e32 v127, 16, v36
	v_and_b32_e32 v36, 0xffff0000, v36
	v_and_b32_e32 v131, 0xffff0000, v37
	s_delay_alu instid0(VALU_DEP_4) | instskip(SKIP_3) | instid1(VALU_DEP_3)
	v_dual_mul_f32 v37, v149, v75 :: v_dual_and_b32 v136, 0xffff0000, v38
	v_mul_f32_e32 v130, v149, v78
	s_waitcnt lgkmcnt(4)
	v_dual_mul_f32 v127, v126, v127 :: v_dual_lshlrev_b32 v142, 16, v32
	v_cmp_gt_f32_e32 vcc_lo, 0xc2fc0000, v37
	v_dual_mul_f32 v143, v149, v93 :: v_dual_lshlrev_b32 v146, 16, v34
	s_delay_alu instid0(VALU_DEP_3)
	v_mul_f32_e32 v142, v118, v142
	v_mul_f32_e32 v152, v149, v104
	v_cndmask_b32_e64 v37, 0, 0x42800000, vcc_lo
	v_lshlrev_b32_e32 v134, 16, v38
	v_mul_f32_e32 v38, v149, v76
	v_cndmask_b32_e64 v129, 1.0, 0x1f800000, vcc_lo
	v_mul_f32_e32 v154, v149, v106
	v_fmac_f32_e32 v37, v149, v75
	v_mul_f32_e32 v36, v125, v36
	v_cmp_gt_f32_e64 s30, 0xc2fc0000, v38
	v_mul_f32_e32 v128, v124, v128
	s_delay_alu instid0(VALU_DEP_4) | instskip(SKIP_1) | instid1(VALU_DEP_3)
	v_exp_f32_e32 v37, v37
	v_and_b32_e32 v140, 0xffff0000, v39
	v_cndmask_b32_e64 v38, 0, 0x42800000, s30
	v_lshlrev_b32_e32 v137, 16, v39
	v_mul_f32_e32 v39, v149, v77
	v_mul_f32_e32 v136, v121, v136
	v_cndmask_b32_e64 v36, 0, v36, s15
	v_fmac_f32_e32 v38, v149, v76
	v_mul_f32_e32 v141, v149, v83
	v_cmp_gt_f32_e32 vcc_lo, 0xc2fc0000, v39
	v_mul_f32_e32 v37, v37, v129
	v_cndmask_b32_e64 v129, 0, v127, s14
	v_exp_f32_e32 v38, v38
	v_cndmask_b32_e64 v127, 1.0, 0x1f800000, s30
	v_cndmask_b32_e64 v39, 0, 0x42800000, vcc_lo
	v_cmp_gt_f32_e64 s30, 0xc2fc0000, v130
	v_and_b32_e32 v32, 0xffff0000, v32
	v_lshlrev_b32_e32 v144, 16, v33
	v_cndmask_b32_e64 v130, 1.0, v37, s14
	v_fmac_f32_e32 v39, v149, v77
	v_cndmask_b32_e64 v132, 0, 0x42800000, s30
	v_lshlrev_b32_e32 v151, 16, v35
	v_mul_f32_e32 v37, v38, v127
	v_and_b32_e32 v35, 0xffff0000, v35
	v_exp_f32_e32 v38, v39
	v_fmac_f32_e32 v132, v149, v78
	v_mul_f32_e32 v39, v149, v79
	v_cndmask_b32_e64 v127, 1.0, 0x1f800000, vcc_lo
	v_dual_mul_f32 v32, v117, v32 :: v_dual_and_b32 v33, 0xffff0000, v33
	v_mul_f32_e32 v151, v112, v151
	v_exp_f32_e32 v135, v132
	v_cmp_gt_f32_e32 vcc_lo, 0xc2fc0000, v39
	v_cndmask_b32_e64 v132, 1.0, v37, s15
	s_delay_alu instid0(TRANS32_DEP_2)
	v_mul_f32_e32 v38, v38, v127
	v_cndmask_b32_e64 v127, 1.0, 0x1f800000, s30
	v_cndmask_b32_e64 v37, 0, v128, s16
	v_cndmask_b32_e64 v39, 0, 0x42800000, vcc_lo
	v_mul_f32_e32 v128, v149, v80
	v_and_b32_e32 v34, 0xffff0000, v34
	v_cndmask_b32_e64 v133, 1.0, v38, s16
	v_mul_f32_e32 v127, v135, v127
	v_fmac_f32_e32 v39, v149, v79
	v_cmp_gt_f32_e64 s30, 0xc2fc0000, v128
	v_dual_mul_f32 v38, v123, v131 :: v_dual_mul_f32 v131, v149, v81
	s_delay_alu instid0(VALU_DEP_4) | instskip(NEXT) | instid1(VALU_DEP_4)
	v_cndmask_b32_e64 v135, 1.0, v127, s17
	v_exp_f32_e32 v39, v39
	s_delay_alu instid0(VALU_DEP_3)
	v_cndmask_b32_e64 v128, 0, 0x42800000, s30
	v_cndmask_b32_e64 v127, 1.0, 0x1f800000, vcc_lo
	v_cmp_gt_f32_e32 vcc_lo, 0xc2fc0000, v131
	v_cndmask_b32_e64 v139, 1.0, 0x1f800000, s30
	v_fma_f32 v150, v132, v129, v36
	v_fmac_f32_e32 v128, v149, v80
	v_mul_f32_e32 v34, v113, v34
	v_cndmask_b32_e64 v131, 0, 0x42800000, vcc_lo
	v_mul_f32_e32 v33, v115, v33
	v_mul_f32_e32 v127, v39, v127
	v_exp_f32_e32 v128, v128
	v_mul_f32_e32 v39, v122, v134
	v_fmac_f32_e32 v131, v149, v81
	v_cndmask_b32_e64 v38, 0, v38, s17
	v_dual_mul_f32 v35, v107, v35 :: v_dual_mul_f32 v146, v114, v146
	s_delay_alu instid0(VALU_DEP_4)
	v_cndmask_b32_e64 v39, 0, v39, s18
	s_waitcnt_depctr 0xfff
	v_mul_f32_e32 v128, v128, v139
	v_exp_f32_e32 v131, v131
	v_mul_f32_e32 v138, v149, v82
	v_cndmask_b32_e64 v146, 0, v146, s26
	s_delay_alu instid0(VALU_DEP_3) | instskip(SKIP_1) | instid1(VALU_DEP_4)
	v_cndmask_b32_e64 v139, 1.0, v128, s19
	v_mul_f32_e32 v128, v120, v137
	v_cmp_gt_f32_e64 s31, 0xc2fc0000, v138
	v_cndmask_b32_e64 v138, 1.0, v127, s18
	v_cndmask_b32_e64 v127, 0, v136, s19
	v_cndmask_b32_e64 v136, 1.0, 0x1f800000, vcc_lo
	v_cmp_gt_f32_e32 vcc_lo, 0xc2fc0000, v141
	v_cndmask_b32_e64 v134, 0, 0x42800000, s31
	v_mul_f32_e32 v141, v119, v140
	v_cndmask_b32_e64 v128, 0, v128, s20
	v_mul_f32_e32 v131, v131, v136
	v_cndmask_b32_e64 v136, 1.0, 0x1f800000, s31
	v_fmac_f32_e32 v134, v149, v82
	v_cndmask_b32_e64 v137, 0, 0x42800000, vcc_lo
	v_cmp_gt_f32_e64 s31, 0xc2fc0000, v143
	v_cndmask_b32_e64 v140, 1.0, v131, s20
	v_cndmask_b32_e64 v131, 0, v141, s21
	v_exp_f32_e32 v134, v134
	v_fmac_f32_e32 v137, v149, v83
	v_cndmask_b32_e64 v145, 1.0, 0x1f800000, vcc_lo
	s_waitcnt_depctr 0xfff
	v_mul_f32_e32 v134, v134, v136
	v_mul_f32_e32 v136, v149, v90
	s_delay_alu instid0(VALU_DEP_2) | instskip(NEXT) | instid1(VALU_DEP_2)
	v_cndmask_b32_e64 v141, 1.0, v134, s21
	v_cmp_gt_f32_e64 s30, 0xc2fc0000, v136
	v_exp_f32_e32 v134, v137
	v_cndmask_b32_e64 v137, 0, 0x42800000, s31
	s_delay_alu instid0(VALU_DEP_2) | instskip(NEXT) | instid1(VALU_DEP_2)
	v_cndmask_b32_e64 v136, 0, 0x42800000, s30
	v_fmac_f32_e32 v137, v149, v93
	s_delay_alu instid0(VALU_DEP_2) | instskip(NEXT) | instid1(VALU_DEP_1)
	v_fmac_f32_e32 v136, v149, v90
	v_exp_f32_e32 v136, v136
	v_mul_f32_e32 v143, v149, v96
	s_delay_alu instid0(VALU_DEP_1) | instskip(NEXT) | instid1(TRANS32_DEP_2)
	v_cmp_gt_f32_e32 vcc_lo, 0xc2fc0000, v143
	v_mul_f32_e32 v143, v134, v145
	v_cndmask_b32_e64 v134, 0, v142, s22
	v_cndmask_b32_e64 v142, 1.0, 0x1f800000, s30
	v_cndmask_b32_e64 v145, 1.0, 0x1f800000, s31
	v_cndmask_b32_e64 v147, 0, 0x42800000, vcc_lo
	v_cndmask_b32_e64 v148, 1.0, 0x1f800000, vcc_lo
	v_cmp_gt_f32_e64 s30, 0xc2fc0000, v152
	v_mul_f32_e32 v142, v136, v142
	v_cndmask_b32_e64 v136, 0, v32, s23
	v_fmac_f32_e32 v147, v149, v96
	v_mul_f32_e32 v32, v116, v144
	v_exp_f32_e32 v137, v137
	v_cndmask_b32_e64 v144, 1.0, v142, s23
	v_mul_f32_e32 v142, v149, v101
	v_exp_f32_e32 v147, v147
	v_cndmask_b32_e64 v152, 1.0, 0x1f800000, s30
	v_cndmask_b32_e64 v143, 1.0, v143, s22
	s_delay_alu instid0(VALU_DEP_3) | instskip(SKIP_1) | instid1(TRANS32_DEP_2)
	v_cmp_gt_f32_e32 vcc_lo, 0xc2fc0000, v142
	v_cndmask_b32_e64 v142, 0, v33, s25
	v_mul_f32_e32 v145, v137, v145
	v_cndmask_b32_e64 v137, 0, v32, s24
	s_delay_alu instid0(TRANS32_DEP_1) | instskip(SKIP_3) | instid1(VALU_DEP_4)
	v_mul_f32_e32 v32, v147, v148
	v_cndmask_b32_e64 v147, 0, 0x42800000, vcc_lo
	v_mul_f32_e32 v148, v132, v130
	v_cndmask_b32_e64 v145, 1.0, v145, s24
	v_cndmask_b32_e64 v153, 1.0, v32, s25
	s_delay_alu instid0(VALU_DEP_4) | instskip(NEXT) | instid1(VALU_DEP_4)
	v_fmac_f32_e32 v147, v149, v101
	v_mul_f32_e32 v33, v148, v133
	v_fma_f32 v148, v150, v133, v37
	v_cndmask_b32_e64 v150, 0, 0x42800000, s30
	v_cndmask_b32_e64 v32, 1.0, 0x1f800000, vcc_lo
	v_exp_f32_e32 v147, v147
	v_mul_f32_e32 v33, v33, v135
	v_fma_f32 v148, v148, v135, v38
	v_fmac_f32_e32 v150, v149, v104
	v_cmp_gt_f32_e64 s30, 0xc2fc0000, v154
	s_delay_alu instid0(VALU_DEP_3) | instskip(NEXT) | instid1(VALU_DEP_3)
	v_fma_f32 v148, v148, v138, v39
	v_exp_f32_e32 v150, v150
	s_delay_alu instid0(TRANS32_DEP_2) | instskip(NEXT) | instid1(VALU_DEP_2)
	v_dual_mul_f32 v32, v147, v32 :: v_dual_mul_f32 v33, v33, v138
	v_fma_f32 v147, v148, v139, v127
	s_delay_alu instid0(VALU_DEP_2) | instskip(SKIP_2) | instid1(VALU_DEP_1)
	v_cndmask_b32_e64 v148, 1.0, v32, s26
	s_waitcnt_depctr 0xfff
	v_dual_mul_f32 v150, v150, v152 :: v_dual_mul_f32 v33, v33, v139
	v_cndmask_b32_e64 v150, 1.0, v150, s27
	s_delay_alu instid0(VALU_DEP_2) | instskip(SKIP_1) | instid1(VALU_DEP_2)
	v_mul_f32_e32 v32, v33, v140
	v_fma_f32 v33, v147, v140, v128
	v_mul_f32_e32 v32, v32, v141
	v_mul_f32_e32 v147, v149, v105
	s_delay_alu instid0(VALU_DEP_3) | instskip(NEXT) | instid1(VALU_DEP_3)
	v_fma_f32 v33, v33, v141, v131
	v_mul_f32_e32 v32, v32, v143
	s_delay_alu instid0(VALU_DEP_3) | instskip(NEXT) | instid1(VALU_DEP_3)
	v_cmp_gt_f32_e32 vcc_lo, 0xc2fc0000, v147
	v_fma_f32 v33, v33, v143, v134
	v_cndmask_b32_e64 v147, 0, v34, s27
	v_cndmask_b32_e64 v34, 0, 0x42800000, s30
	v_mul_f32_e32 v32, v32, v144
	v_cndmask_b32_e64 v152, 0, 0x42800000, vcc_lo
	v_fma_f32 v33, v33, v144, v136
	s_delay_alu instid0(VALU_DEP_4) | instskip(NEXT) | instid1(VALU_DEP_4)
	v_fmac_f32_e32 v34, v149, v106
	v_mul_f32_e32 v32, v32, v145
	s_delay_alu instid0(VALU_DEP_4) | instskip(NEXT) | instid1(VALU_DEP_4)
	v_fmac_f32_e32 v152, v149, v105
	v_fma_f32 v33, v33, v145, v137
	v_cndmask_b32_e64 v149, 1.0, 0x1f800000, vcc_lo
	v_exp_f32_e32 v34, v34
	v_mul_f32_e32 v32, v32, v153
	v_exp_f32_e32 v152, v152
	v_fma_f32 v33, v33, v153, v142
	s_delay_alu instid0(VALU_DEP_2) | instskip(NEXT) | instid1(VALU_DEP_2)
	v_mul_f32_e32 v32, v32, v148
	v_fma_f32 v33, v33, v148, v146
	s_delay_alu instid0(VALU_DEP_2)
	v_mul_f32_e32 v32, v32, v150
	s_waitcnt_depctr 0xfff
	v_mul_f32_e32 v152, v152, v149
	v_cndmask_b32_e64 v149, 0, v151, s28
	v_cndmask_b32_e64 v151, 1.0, 0x1f800000, s30
	v_fma_f32 v33, v33, v150, v147
	s_delay_alu instid0(VALU_DEP_4) | instskip(NEXT) | instid1(VALU_DEP_3)
	v_cndmask_b32_e64 v152, 1.0, v152, s28
	v_mul_f32_e32 v34, v34, v151
	v_cndmask_b32_e64 v151, 0, v35, s29
	s_delay_alu instid0(VALU_DEP_3) | instskip(SKIP_1) | instid1(VALU_DEP_4)
	v_mul_f32_e32 v32, v32, v152
	v_fma_f32 v33, v33, v152, v149
	v_cndmask_b32_e64 v154, 1.0, v34, s29
	s_delay_alu instid0(VALU_DEP_1) | instskip(NEXT) | instid1(VALU_DEP_3)
	v_mul_f32_e32 v32, v32, v154
	v_fma_f32 v33, v33, v154, v151
	s_delay_alu instid0(VALU_DEP_2) | instskip(NEXT) | instid1(VALU_DEP_2)
	v_mov_b32_dpp v35, v32 row_shr:1 row_mask:0xf bank_mask:0xf
	v_mov_b32_dpp v34, v33 row_shr:1 row_mask:0xf bank_mask:0xf
	s_and_saveexec_b32 s30, s2
; %bb.62:                               ;   in Loop: Header=BB49_55 Depth=2
	s_delay_alu instid0(VALU_DEP_2) | instskip(NEXT) | instid1(VALU_DEP_1)
	v_mul_f32_e32 v35, v32, v35
	v_dual_fmac_f32 v33, v32, v34 :: v_dual_mov_b32 v32, v35
; %bb.63:                               ;   in Loop: Header=BB49_55 Depth=2
	s_or_b32 exec_lo, exec_lo, s30
	s_delay_alu instid0(VALU_DEP_1) | instskip(NEXT) | instid1(VALU_DEP_2)
	v_mov_b32_dpp v34, v32 row_shr:2 row_mask:0xf bank_mask:0xf
	v_mov_b32_dpp v35, v33 row_shr:2 row_mask:0xf bank_mask:0xf
	s_and_saveexec_b32 s30, s3
; %bb.64:                               ;   in Loop: Header=BB49_55 Depth=2
	s_delay_alu instid0(VALU_DEP_1) | instskip(NEXT) | instid1(VALU_DEP_3)
	v_fmac_f32_e32 v33, v32, v35
	v_mul_f32_e32 v32, v32, v34
; %bb.65:                               ;   in Loop: Header=BB49_55 Depth=2
	s_or_b32 exec_lo, exec_lo, s30
	s_delay_alu instid0(VALU_DEP_1) | instskip(NEXT) | instid1(VALU_DEP_3)
	v_mov_b32_dpp v34, v32 row_shr:4 row_mask:0xf bank_mask:0xf
	v_mov_b32_dpp v35, v33 row_shr:4 row_mask:0xf bank_mask:0xf
	s_and_saveexec_b32 s30, s4
; %bb.66:                               ;   in Loop: Header=BB49_55 Depth=2
	s_delay_alu instid0(VALU_DEP_1) | instskip(NEXT) | instid1(VALU_DEP_3)
	v_fmac_f32_e32 v33, v32, v35
	v_mul_f32_e32 v32, v32, v34
; %bb.67:                               ;   in Loop: Header=BB49_55 Depth=2
	s_or_b32 exec_lo, exec_lo, s30
	s_delay_alu instid0(VALU_DEP_1) | instskip(NEXT) | instid1(VALU_DEP_3)
	v_mov_b32_dpp v34, v32 row_shr:8 row_mask:0xf bank_mask:0xf
	v_mov_b32_dpp v35, v33 row_shr:8 row_mask:0xf bank_mask:0xf
	s_and_saveexec_b32 s30, s5
; %bb.68:                               ;   in Loop: Header=BB49_55 Depth=2
	s_delay_alu instid0(VALU_DEP_1) | instskip(NEXT) | instid1(VALU_DEP_3)
	v_fmac_f32_e32 v33, v32, v35
	v_mul_f32_e32 v32, v32, v34
; %bb.69:                               ;   in Loop: Header=BB49_55 Depth=2
	s_or_b32 exec_lo, exec_lo, s30
	ds_swizzle_b32 v35, v32 offset:swizzle(BROADCAST,32,15)
	ds_swizzle_b32 v34, v33 offset:swizzle(BROADCAST,32,15)
	s_and_saveexec_b32 s30, s6
	s_cbranch_execz .LBB49_71
; %bb.70:                               ;   in Loop: Header=BB49_55 Depth=2
	s_waitcnt lgkmcnt(1)
	v_mul_f32_e32 v35, v32, v35
	s_waitcnt lgkmcnt(0)
	s_delay_alu instid0(VALU_DEP_1)
	v_dual_fmac_f32 v33, v32, v34 :: v_dual_mov_b32 v32, v35
.LBB49_71:                              ;   in Loop: Header=BB49_55 Depth=2
	s_or_b32 exec_lo, exec_lo, s30
	s_and_saveexec_b32 s30, s7
	s_cbranch_execz .LBB49_73
; %bb.72:                               ;   in Loop: Header=BB49_55 Depth=2
	ds_store_b64 v49, v[32:33] offset:4224
.LBB49_73:                              ;   in Loop: Header=BB49_55 Depth=2
	s_or_b32 exec_lo, exec_lo, s30
	s_waitcnt vmcnt(0) lgkmcnt(0)
	s_waitcnt_vscnt null, 0x0
	s_barrier
	buffer_gl0_inv
	s_and_saveexec_b32 s30, s8
	s_cbranch_execz .LBB49_75
; %bb.74:                               ;   in Loop: Header=BB49_55 Depth=2
	ds_load_b64 v[34:35], v50 offset:4224
	s_waitcnt lgkmcnt(0)
	v_mov_b32_dpp v155, v34 row_shr:1 row_mask:0xf bank_mask:0xf
	v_mov_b32_dpp v156, v35 row_shr:1 row_mask:0xf bank_mask:0xf
	s_delay_alu instid0(VALU_DEP_2) | instskip(NEXT) | instid1(VALU_DEP_2)
	v_mul_f32_e32 v155, v34, v155
	v_fma_f32 v156, v34, v156, v35
	s_delay_alu instid0(VALU_DEP_2) | instskip(NEXT) | instid1(VALU_DEP_2)
	v_cndmask_b32_e64 v34, v155, v34, s9
	v_cndmask_b32_e64 v35, v156, v35, s9
	ds_store_b64 v50, v[34:35] offset:4224
.LBB49_75:                              ;   in Loop: Header=BB49_55 Depth=2
	s_or_b32 exec_lo, exec_lo, s30
	s_waitcnt lgkmcnt(0)
	s_barrier
	buffer_gl0_inv
                                        ; implicit-def: $vgpr35
	s_and_saveexec_b32 s30, s11
	s_cbranch_execz .LBB49_77
; %bb.76:                               ;   in Loop: Header=BB49_55 Depth=2
	ds_load_b64 v[34:35], v49 offset:4216
	s_waitcnt lgkmcnt(0)
	v_mul_f32_e32 v155, v32, v34
	s_delay_alu instid0(VALU_DEP_1)
	v_dual_fmac_f32 v33, v32, v35 :: v_dual_mov_b32 v32, v155
.LBB49_77:                              ;   in Loop: Header=BB49_55 Depth=2
	s_or_b32 exec_lo, exec_lo, s30
	ds_bpermute_b32 v155, v51, v32
	ds_bpermute_b32 v156, v51, v33
	s_and_saveexec_b32 s30, s10
	s_cbranch_execz .LBB49_81
; %bb.78:                               ;   in Loop: Header=BB49_55 Depth=2
	ds_load_b64 v[32:33], v42 offset:4232
	s_and_saveexec_b32 s31, s12
	s_cbranch_execz .LBB49_80
; %bb.79:                               ;   in Loop: Header=BB49_55 Depth=2
	ds_store_b64 v42, v[40:41] offset:4232
.LBB49_80:                              ;   in Loop: Header=BB49_55 Depth=2
	s_or_b32 exec_lo, exec_lo, s31
	s_waitcnt lgkmcnt(0)
	v_fmac_f32_e32 v33, v41, v32
	s_delay_alu instid0(VALU_DEP_1)
	v_dual_mul_f32 v40, v40, v32 :: v_dual_mov_b32 v41, v33
.LBB49_81:                              ;   in Loop: Header=BB49_55 Depth=2
	s_or_b32 exec_lo, exec_lo, s30
	s_waitcnt lgkmcnt(0)
	s_barrier
	buffer_gl0_inv
	ds_load_b32 v32, v42 offset:4236
	s_and_saveexec_b32 s30, s12
	s_cbranch_execz .LBB49_54
; %bb.82:                               ;   in Loop: Header=BB49_55 Depth=2
	v_mov_b32_e32 v33, s74
	s_and_not1_b32 vcc_lo, exec_lo, s72
	ds_store_b64 v33, v[40:41]
	s_cbranch_vccnz .LBB49_54
; %bb.83:                               ;   in Loop: Header=BB49_55 Depth=2
	s_mov_b32 s47, s53
	s_delay_alu instid0(SALU_CYCLE_1) | instskip(NEXT) | instid1(SALU_CYCLE_1)
	s_lshl_b64 s[76:77], s[46:47], 2
	s_add_u32 s76, s63, s76
	s_addc_u32 s77, s64, s77
	global_store_b32 v42, v41, s[76:77]
	s_branch .LBB49_54
.LBB49_84:                              ;   in Loop: Header=BB49_12 Depth=1
	v_bfe_u32 v24, v102, 16, 1
	v_bfe_u32 v25, v103, 16, 1
	v_cmp_o_f32_e32 vcc_lo, v102, v102
	v_bfe_u32 v26, v99, 16, 1
	v_bfe_u32 v28, v97, 16, 1
	v_add3_u32 v24, v102, v24, 0x7fff
	v_add3_u32 v25, v103, v25, 0x7fff
	v_bfe_u32 v31, v94, 16, 1
	v_add3_u32 v26, v99, v26, 0x7fff
	v_bfe_u32 v30, v95, 16, 1
	v_lshrrev_b32_e32 v24, 16, v24
	v_lshrrev_b32_e32 v25, 16, v25
	v_add3_u32 v28, v97, v28, 0x7fff
	v_lshrrev_b32_e32 v26, 16, v26
	v_add3_u32 v31, v94, v31, 0x7fff
	v_cndmask_b32_e32 v24, 0x7fc0, v24, vcc_lo
	v_cmp_o_f32_e32 vcc_lo, v103, v103
	v_add3_u32 v30, v95, v30, 0x7fff
	v_bfe_u32 v27, v100, 16, 1
	v_bfe_u32 v34, v89, 16, 1
	;; [unrolled: 1-line block ×3, first 2 shown]
	v_cndmask_b32_e32 v29, 0x7fc0, v25, vcc_lo
	v_bfe_u32 v25, v98, 16, 1
	v_cmp_o_f32_e32 vcc_lo, v99, v99
	v_lshrrev_b32_e32 v30, 16, v30
	v_add3_u32 v27, v100, v27, 0x7fff
	v_bfe_u32 v36, v87, 16, 1
	v_add3_u32 v25, v98, v25, 0x7fff
	v_cndmask_b32_e32 v32, 0x7fc0, v26, vcc_lo
	v_cmp_o_f32_e32 vcc_lo, v98, v98
	v_lshrrev_b32_e32 v26, 16, v28
	v_lshrrev_b32_e32 v28, 16, v31
	;; [unrolled: 1-line block ×4, first 2 shown]
	v_bfe_u32 v31, v91, 16, 1
	v_add3_u32 v35, v84, v35, 0x7fff
	v_perm_b32 v24, v29, v24, 0x5040100
	v_cndmask_b32_e32 v25, 0x7fc0, v25, vcc_lo
	v_cmp_o_f32_e32 vcc_lo, v94, v94
	s_waitcnt_vscnt null, 0x0
	s_barrier
	buffer_gl0_inv
	s_mov_b32 s39, s53
	v_cndmask_b32_e32 v28, 0x7fc0, v28, vcc_lo
	v_cmp_o_f32_e32 vcc_lo, v95, v95
	s_lshl_b64 s[18:19], s[38:39], 1
	v_cndmask_b32_e32 v30, 0x7fc0, v30, vcc_lo
	v_cmp_o_f32_e32 vcc_lo, v97, v97
	v_cndmask_b32_e32 v26, 0x7fc0, v26, vcc_lo
	v_cmp_o_f32_e32 vcc_lo, v100, v100
	s_delay_alu instid0(VALU_DEP_2)
	v_perm_b32 v26, v26, v25, 0x5040100
	v_cndmask_b32_e32 v33, 0x7fc0, v27, vcc_lo
	v_perm_b32 v27, v30, v28, 0x5040100
	v_add3_u32 v30, v91, v31, 0x7fff
	v_bfe_u32 v31, v88, 16, 1
	v_cmp_o_f32_e32 vcc_lo, v91, v91
	v_perm_b32 v25, v33, v32, 0x5040100
	v_add3_u32 v32, v89, v34, 0x7fff
	v_lshrrev_b32_e32 v30, 16, v30
	v_add3_u32 v31, v88, v31, 0x7fff
	v_bfe_u32 v34, v86, 16, 1
	v_bfe_u32 v28, v92, 16, 1
	s_delay_alu instid0(VALU_DEP_4) | instskip(NEXT) | instid1(VALU_DEP_4)
	v_cndmask_b32_e32 v33, 0x7fc0, v30, vcc_lo
	v_lshrrev_b32_e32 v30, 16, v31
	v_lshrrev_b32_e32 v31, 16, v32
	v_bfe_u32 v32, v85, 16, 1
	v_cmp_o_f32_e32 vcc_lo, v88, v88
	v_add3_u32 v28, v92, v28, 0x7fff
	s_delay_alu instid0(VALU_DEP_3)
	v_add3_u32 v32, v85, v32, 0x7fff
	v_cndmask_b32_e32 v37, 0x7fc0, v30, vcc_lo
	v_cmp_o_f32_e32 vcc_lo, v89, v89
	v_add3_u32 v30, v86, v34, 0x7fff
	v_add3_u32 v34, v87, v36, 0x7fff
	v_lshrrev_b32_e32 v28, 16, v28
	v_cndmask_b32_e32 v36, 0x7fc0, v31, vcc_lo
	v_lshrrev_b32_e32 v31, 16, v32
	v_cmp_o_f32_e32 vcc_lo, v85, v85
	v_lshrrev_b32_e32 v32, 16, v35
	v_lshrrev_b32_e32 v34, 16, v34
	v_lshrrev_b32_e32 v30, 16, v30
	v_perm_b32 v29, v36, v37, 0x5040100
	v_cndmask_b32_e32 v35, 0x7fc0, v31, vcc_lo
	v_cmp_o_f32_e32 vcc_lo, v84, v84
	v_cndmask_b32_e32 v31, 0x7fc0, v32, vcc_lo
	v_cmp_o_f32_e32 vcc_lo, v87, v87
	;; [unrolled: 2-line block ×3, first 2 shown]
	s_delay_alu instid0(VALU_DEP_2) | instskip(SKIP_2) | instid1(VALU_DEP_2)
	v_perm_b32 v31, v32, v31, 0x5040100
	v_cndmask_b32_e32 v30, 0x7fc0, v30, vcc_lo
	v_cmp_o_f32_e32 vcc_lo, v92, v92
	v_perm_b32 v30, v30, v35, 0x5040100
	v_cndmask_b32_e32 v28, 0x7fc0, v28, vcc_lo
	v_add_co_u32 v32, vcc_lo, v52, s18
	s_delay_alu instid0(VALU_DEP_2)
	v_perm_b32 v28, v28, v33, 0x5040100
	ds_store_b128 v45, v[24:27]
	ds_store_b128 v45, v[28:31] offset:16
	; wave barrier
	ds_load_b128 v[24:27], v43
	ds_load_b128 v[28:31], v44 offset:512
	v_add_co_ci_u32_e32 v33, vcc_lo, s19, v53, vcc_lo
	s_waitcnt lgkmcnt(1)
	v_alignbit_b32 v35, v26, v25, 16
	v_alignbit_b32 v26, v27, v26, 16
	;; [unrolled: 1-line block ×3, first 2 shown]
	s_clause 0x3
	global_store_b16 v[32:33], v24, off
	global_store_d16_hi_b16 v[32:33], v27, off offset:14
	global_store_b32 v[32:33], v26, off offset:10
	global_store_b64 v[32:33], v[34:35], off offset:2
	v_add_co_u32 v24, vcc_lo, v54, s18
	v_add_co_ci_u32_e32 v25, vcc_lo, s19, v55, vcc_lo
	s_waitcnt lgkmcnt(0)
	global_store_b128 v[32:33], v[28:31], off offset:512
	s_waitcnt_vscnt null, 0x0
	s_barrier
	buffer_gl0_inv
	s_and_saveexec_b32 s14, s0
	s_cbranch_execz .LBB49_86
; %bb.85:                               ;   in Loop: Header=BB49_12 Depth=1
	global_load_b128 v[4:7], v[24:25], off
.LBB49_86:                              ;   in Loop: Header=BB49_12 Depth=1
	s_or_b32 exec_lo, exec_lo, s14
	s_and_saveexec_b32 s14, s1
	s_cbranch_execz .LBB49_11
; %bb.87:                               ;   in Loop: Header=BB49_12 Depth=1
	global_load_b128 v[0:3], v[24:25], off offset:512
	s_branch .LBB49_11
.LBB49_88:
	s_nop 0
	s_sendmsg sendmsg(MSG_DEALLOC_VGPRS)
	s_endpgm
	.section	.rodata,"a",@progbits
	.p2align	6, 0x0
	.amdhsa_kernel _Z25selective_scan_fwd_kernelI32Selective_Scan_fwd_kernel_traitsILi64ELi16ELi1ELb1ELb1ELb1ELb1ELb0EN3c108BFloat16EffEEv13SSMParamsBase
		.amdhsa_group_segment_fixed_size 0
		.amdhsa_private_segment_fixed_size 0
		.amdhsa_kernarg_size 248
		.amdhsa_user_sgpr_count 14
		.amdhsa_user_sgpr_dispatch_ptr 0
		.amdhsa_user_sgpr_queue_ptr 0
		.amdhsa_user_sgpr_kernarg_segment_ptr 1
		.amdhsa_user_sgpr_dispatch_id 0
		.amdhsa_user_sgpr_private_segment_size 0
		.amdhsa_wavefront_size32 1
		.amdhsa_uses_dynamic_stack 0
		.amdhsa_enable_private_segment 0
		.amdhsa_system_sgpr_workgroup_id_x 1
		.amdhsa_system_sgpr_workgroup_id_y 1
		.amdhsa_system_sgpr_workgroup_id_z 0
		.amdhsa_system_sgpr_workgroup_info 0
		.amdhsa_system_vgpr_workitem_id 0
		.amdhsa_next_free_vgpr 157
		.amdhsa_next_free_sgpr 78
		.amdhsa_reserve_vcc 1
		.amdhsa_float_round_mode_32 0
		.amdhsa_float_round_mode_16_64 0
		.amdhsa_float_denorm_mode_32 3
		.amdhsa_float_denorm_mode_16_64 3
		.amdhsa_dx10_clamp 1
		.amdhsa_ieee_mode 1
		.amdhsa_fp16_overflow 0
		.amdhsa_workgroup_processor_mode 1
		.amdhsa_memory_ordered 1
		.amdhsa_forward_progress 0
		.amdhsa_shared_vgpr_count 0
		.amdhsa_exception_fp_ieee_invalid_op 0
		.amdhsa_exception_fp_denorm_src 0
		.amdhsa_exception_fp_ieee_div_zero 0
		.amdhsa_exception_fp_ieee_overflow 0
		.amdhsa_exception_fp_ieee_underflow 0
		.amdhsa_exception_fp_ieee_inexact 0
		.amdhsa_exception_int_div_zero 0
	.end_amdhsa_kernel
	.section	.text._Z25selective_scan_fwd_kernelI32Selective_Scan_fwd_kernel_traitsILi64ELi16ELi1ELb1ELb1ELb1ELb1ELb0EN3c108BFloat16EffEEv13SSMParamsBase,"axG",@progbits,_Z25selective_scan_fwd_kernelI32Selective_Scan_fwd_kernel_traitsILi64ELi16ELi1ELb1ELb1ELb1ELb1ELb0EN3c108BFloat16EffEEv13SSMParamsBase,comdat
.Lfunc_end49:
	.size	_Z25selective_scan_fwd_kernelI32Selective_Scan_fwd_kernel_traitsILi64ELi16ELi1ELb1ELb1ELb1ELb1ELb0EN3c108BFloat16EffEEv13SSMParamsBase, .Lfunc_end49-_Z25selective_scan_fwd_kernelI32Selective_Scan_fwd_kernel_traitsILi64ELi16ELi1ELb1ELb1ELb1ELb1ELb0EN3c108BFloat16EffEEv13SSMParamsBase
                                        ; -- End function
	.section	.AMDGPU.csdata,"",@progbits
; Kernel info:
; codeLenInByte = 22636
; NumSgprs: 80
; NumVgprs: 157
; ScratchSize: 0
; MemoryBound: 1
; FloatMode: 240
; IeeeMode: 1
; LDSByteSize: 0 bytes/workgroup (compile time only)
; SGPRBlocks: 9
; VGPRBlocks: 19
; NumSGPRsForWavesPerEU: 80
; NumVGPRsForWavesPerEU: 157
; Occupancy: 9
; WaveLimiterHint : 1
; COMPUTE_PGM_RSRC2:SCRATCH_EN: 0
; COMPUTE_PGM_RSRC2:USER_SGPR: 14
; COMPUTE_PGM_RSRC2:TRAP_HANDLER: 0
; COMPUTE_PGM_RSRC2:TGID_X_EN: 1
; COMPUTE_PGM_RSRC2:TGID_Y_EN: 1
; COMPUTE_PGM_RSRC2:TGID_Z_EN: 0
; COMPUTE_PGM_RSRC2:TIDIG_COMP_CNT: 0
	.section	.text._Z25selective_scan_fwd_kernelI32Selective_Scan_fwd_kernel_traitsILi64ELi16ELi1ELb1ELb1ELb1ELb0ELb1EN3c108BFloat16EffEEv13SSMParamsBase,"axG",@progbits,_Z25selective_scan_fwd_kernelI32Selective_Scan_fwd_kernel_traitsILi64ELi16ELi1ELb1ELb1ELb1ELb0ELb1EN3c108BFloat16EffEEv13SSMParamsBase,comdat
	.protected	_Z25selective_scan_fwd_kernelI32Selective_Scan_fwd_kernel_traitsILi64ELi16ELi1ELb1ELb1ELb1ELb0ELb1EN3c108BFloat16EffEEv13SSMParamsBase ; -- Begin function _Z25selective_scan_fwd_kernelI32Selective_Scan_fwd_kernel_traitsILi64ELi16ELi1ELb1ELb1ELb1ELb0ELb1EN3c108BFloat16EffEEv13SSMParamsBase
	.globl	_Z25selective_scan_fwd_kernelI32Selective_Scan_fwd_kernel_traitsILi64ELi16ELi1ELb1ELb1ELb1ELb0ELb1EN3c108BFloat16EffEEv13SSMParamsBase
	.p2align	8
	.type	_Z25selective_scan_fwd_kernelI32Selective_Scan_fwd_kernel_traitsILi64ELi16ELi1ELb1ELb1ELb1ELb0ELb1EN3c108BFloat16EffEEv13SSMParamsBase,@function
_Z25selective_scan_fwd_kernelI32Selective_Scan_fwd_kernel_traitsILi64ELi16ELi1ELb1ELb1ELb1ELb0ELb1EN3c108BFloat16EffEEv13SSMParamsBase: ; @_Z25selective_scan_fwd_kernelI32Selective_Scan_fwd_kernel_traitsILi64ELi16ELi1ELb1ELb1ELb1ELb0ELb1EN3c108BFloat16EffEEv13SSMParamsBase
; %bb.0:
	s_clause 0x2
	s_load_b32 s34, s[0:1], 0x18
	s_load_b128 s[4:7], s[0:1], 0xe0
	s_load_b64 s[10:11], s[0:1], 0xf0
	s_mov_b32 s12, s15
	s_ashr_i32 s15, s14, 31
	s_mov_b32 s47, 0
	s_lshl_b64 s[8:9], s[14:15], 2
	s_waitcnt lgkmcnt(0)
	s_abs_i32 s33, s34
	s_add_u32 s2, s4, s8
	v_cvt_f32_u32_e32 v1, s33
	s_addc_u32 s3, s5, s9
	s_cmp_eq_u64 s[10:11], 0
	s_delay_alu instid0(VALU_DEP_1) | instskip(SKIP_2) | instid1(VALU_DEP_1)
	v_rcp_iflag_f32_e32 v1, v1
	s_waitcnt_depctr 0xfff
	v_mul_f32_e32 v1, 0x4f7ffffe, v1
	v_cvt_u32_f32_e32 v1, v1
	s_delay_alu instid0(VALU_DEP_1)
	v_readfirstlane_b32 s35, v1
	s_cbranch_scc1 .LBB50_2
; %bb.1:
	v_mov_b32_e32 v1, 0
	s_add_u32 s4, s10, s14
	s_addc_u32 s5, s11, s15
	global_load_u8 v1, v1, s[4:5]
	s_waitcnt vmcnt(0)
	v_and_b32_e32 v1, 1, v1
	s_delay_alu instid0(VALU_DEP_1)
	v_cmp_eq_u32_e64 s47, 1, v1
.LBB50_2:
	s_load_b64 s[4:5], s[0:1], 0x20
	s_cmp_eq_u64 s[6:7], 0
	s_cbranch_scc1 .LBB50_4
; %bb.3:
	s_add_u32 s6, s6, s8
	s_addc_u32 s7, s7, s9
	s_load_b32 s14, s[6:7], 0x0
	s_waitcnt lgkmcnt(0)
	s_ashr_i32 s15, s14, 31
.LBB50_4:
	s_waitcnt lgkmcnt(0)
	s_cmp_eq_u64 s[4:5], s[14:15]
	s_cbranch_scc1 .LBB50_236
; %bb.5:
	s_load_b512 s[16:31], s[0:1], 0x88
	s_load_b64 s[10:11], s[2:3], 0x0
	s_mov_b32 s66, 0
	s_mov_b32 s67, 0
	s_waitcnt lgkmcnt(0)
	s_cmp_eq_u64 s[22:23], 0
	s_cbranch_scc1 .LBB50_7
; %bb.6:
	s_ashr_i32 s13, s12, 31
	s_delay_alu instid0(SALU_CYCLE_1) | instskip(NEXT) | instid1(SALU_CYCLE_1)
	s_lshl_b64 s[2:3], s[12:13], 2
	s_add_u32 s2, s22, s2
	s_addc_u32 s3, s23, s3
	s_load_b32 s67, s[2:3], 0x0
.LBB50_7:
	s_cmp_eq_u64 s[28:29], 0
	s_cbranch_scc1 .LBB50_9
; %bb.8:
	s_ashr_i32 s13, s12, 31
	s_delay_alu instid0(SALU_CYCLE_1) | instskip(NEXT) | instid1(SALU_CYCLE_1)
	s_lshl_b64 s[2:3], s[12:13], 2
	s_add_u32 s2, s28, s2
	s_addc_u32 s3, s29, s3
	s_load_b32 s66, s[2:3], 0x0
.LBB50_9:
	s_sub_i32 s68, s11, s10
	s_delay_alu instid0(SALU_CYCLE_1)
	s_cmp_lt_i32 s68, 1
	s_cbranch_scc1 .LBB50_236
; %bb.10:
	s_sub_i32 s2, 0, s33
	s_abs_i32 s5, s12
	s_mul_i32 s4, s2, s35
	s_clause 0x1
	s_load_b64 s[2:3], s[0:1], 0x5c
	s_load_b128 s[56:59], s[0:1], 0x4c
	s_mul_hi_u32 s4, s35, s4
	s_ashr_i32 s7, s34, 31
	s_add_i32 s35, s35, s4
	s_ashr_i32 s4, s12, 31
	s_mul_hi_u32 s6, s5, s35
	s_xor_b32 s7, s4, s7
	s_mul_i32 s8, s6, s33
	s_load_b256 s[48:55], s[0:1], 0x2c
	s_sub_i32 s4, s5, s8
	s_add_i32 s5, s6, 1
	s_sub_i32 s8, s4, s33
	s_cmp_ge_u32 s4, s33
	s_mov_b32 s65, 0
	s_cselect_b32 s5, s5, s6
	s_cselect_b32 s4, s8, s4
	s_add_i32 s6, s5, 1
	s_cmp_ge_u32 s4, s33
	s_load_b128 s[60:63], s[0:1], 0x7c
	s_cselect_b32 s4, s6, s5
	s_waitcnt lgkmcnt(0)
	s_mul_i32 s64, s10, s58
	s_xor_b32 s6, s4, s7
	s_lshl_b64 s[4:5], s[64:65], 1
	s_sub_i32 s6, s6, s7
	s_mul_i32 s64, s59, s12
	s_add_u32 s7, s24, s4
	s_addc_u32 s8, s25, s5
	s_lshl_b64 s[4:5], s[64:65], 1
	s_mul_i32 s64, s10, s2
	s_add_u32 s69, s7, s4
	s_addc_u32 s70, s8, s5
	s_lshl_b64 s[4:5], s[64:65], 1
	;; [unrolled: 4-line block ×3, first 2 shown]
	v_dual_mov_b32 v21, 0 :: v_dual_lshlrev_b32 v18, 4, v0
	s_add_u32 s71, s4, s2
	s_mul_i32 s64, s48, s12
	s_addc_u32 s48, s5, s3
	s_load_b64 s[4:5], s[0:1], 0xc8
	s_lshl_b64 s[2:3], s[64:65], 2
	v_mbcnt_lo_u32_b32 v19, -1, 0
	v_and_b32_e32 v1, 0x200, v18
	s_mul_i32 s64, s10, s50
	s_add_u32 s72, s16, s2
	s_addc_u32 s63, s17, s3
	s_lshl_b64 s[2:3], s[64:65], 1
	s_mul_i32 s64, s6, s53
	s_clause 0x2
	s_load_b64 s[16:17], s[0:1], 0x6c
	s_load_b32 s77, s[0:1], 0xc
	s_load_b32 s0, s[0:1], 0x28
	s_add_u32 s7, s18, s2
	v_or_b32_e32 v20, v19, v1
	s_addc_u32 s8, s19, s3
	s_lshl_b64 s[2:3], s[64:65], 1
	s_mul_i32 s64, s10, s54
	s_add_u32 s53, s7, s2
	s_addc_u32 s73, s8, s3
	s_lshl_b64 s[2:3], s[64:65], 1
	s_mul_i32 s64, s6, s57
	v_or_b32_e32 v24, 0x60, v20
	v_and_b32_e32 v14, 32, v0
	s_add_u32 s7, s20, s2
	s_addc_u32 s6, s21, s3
	s_lshl_b64 s[2:3], s[64:65], 1
	s_mul_i32 s64, s14, s60
	s_add_u32 s57, s7, s2
	s_addc_u32 s74, s6, s3
	s_lshl_b64 s[2:3], s[64:65], 2
	v_or_b32_e32 v26, 0xa0, v20
	v_or_b32_e32 v28, 0xe0, v20
	;; [unrolled: 1-line block ×5, first 2 shown]
	v_lshrrev_b32_e32 v2, 5, v24
	v_or_b32_e32 v36, 0x1e0, v20
	v_or_b32_e32 v16, v19, v14
	s_mul_i32 s64, s61, s12
	s_waitcnt lgkmcnt(0)
	s_add_u32 s4, s4, s2
	s_addc_u32 s5, s5, s3
	s_lshl_b64 s[2:3], s[64:65], 2
	v_or_b32_e32 v23, 64, v20
	s_add_u32 s75, s4, s2
	v_or_b32_e32 v25, 0x80, v20
	v_or_b32_e32 v27, 0xc0, v20
	;; [unrolled: 1-line block ×6, first 2 shown]
	v_and_b32_e32 v2, 18, v2
	v_lshrrev_b32_e32 v5, 5, v26
	v_lshrrev_b32_e32 v8, 5, v28
	;; [unrolled: 1-line block ×6, first 2 shown]
	v_lshrrev_b16 v50, 1, v16
	s_addc_u32 s76, s5, s3
	s_add_i32 s2, s68, 0x7ff
	v_lshrrev_b32_e32 v3, 5, v1
	s_lshr_b32 s78, s2, 11
	s_bitcmp1_b32 s0, 0
	v_lshrrev_b32_e32 v4, 5, v23
	v_lshrrev_b32_e32 v6, 5, v25
	v_add_lshl_u32 v2, v2, v20, 1
	v_and_b32_e32 v5, 20, v5
	v_lshrrev_b32_e32 v7, 5, v27
	v_and_b32_e32 v8, 22, v8
	v_lshrrev_b32_e32 v10, 5, v29
	;; [unrolled: 2-line block ×5, first 2 shown]
	v_and_b32_e32 v51, 30, v49
	v_lshlrev_b32_e32 v16, 4, v16
	v_and_b32_e32 v52, 30, v50
	s_cselect_b32 s79, -1, 0
	s_cmp_gt_i32 s77, 0
	v_add_lshl_u32 v3, v3, v20, 1
	s_cselect_b32 s80, -1, 0
	s_add_i32 s0, 0, 0x840
	v_add_lshl_u32 v4, v4, v20, 1
	v_add_lshl_u32 v6, v6, v20, 1
	v_add_nc_u32_e32 v39, 0, v2
	v_add_lshl_u32 v5, v5, v20, 1
	v_add_lshl_u32 v7, v7, v20, 1
	;; [unrolled: 1-line block ×12, first 2 shown]
	v_add_nc_u32_e32 v55, s0, v2
	v_and_b32_e32 v2, 15, v19
	s_and_b32 s1, s68, 0x3ff
	v_add_nc_u32_e32 v51, 0, v67
	v_add_nc_u32_e32 v53, s0, v3
	;; [unrolled: 1-line block ×15, first 2 shown]
	s_cmp_eq_u32 s1, 0
	v_add_nc_u32_e32 v68, s0, v16
	v_cmp_ne_u32_e64 s0, 0, v2
	v_cmp_lt_u32_e64 s1, 1, v2
	v_cmp_lt_u32_e64 s2, 3, v2
	;; [unrolled: 1-line block ×3, first 2 shown]
	v_add_nc_u32_e32 v2, -1, v19
	v_add_nc_u32_e32 v37, 0, v3
	v_lshrrev_b32_e32 v3, 2, v0
	v_add_nc_u32_e32 v41, 0, v5
	v_or_b32_e32 v5, 31, v14
	v_cmp_gt_i32_e32 vcc_lo, 0, v2
	s_mul_i32 s64, s10, s16
	v_and_b32_e32 v3, 8, v3
	s_cselect_b32 s81, -1, 0
	s_lshl_b64 s[14:15], s[64:65], 1
	v_cndmask_b32_e32 v2, v2, v19, vcc_lo
	s_add_i32 s82, s78, -1
	s_mul_i32 s64, s17, s12
	v_cmp_eq_u32_e64 s5, v5, v0
	v_cmp_gt_u32_e64 s6, 2, v0
	v_lshl_add_u32 v70, v0, 3, 0
	v_cmp_gt_u32_e64 s8, 32, v0
	v_cmp_lt_u32_e64 s9, 31, v0
	v_cmp_eq_u32_e64 s10, 0, v0
	s_add_u32 s11, s30, s14
	v_lshlrev_b32_e32 v0, 1, v19
	s_addc_u32 s14, s31, s15
	s_lshl_b64 s[12:13], s[64:65], 1
	v_add_nc_u32_e32 v69, 0, v3
	v_and_b32_e32 v3, 1, v19
	s_add_u32 s11, s11, s12
	v_lshlrev_b32_e32 v71, 2, v2
	s_addc_u32 s12, s14, s13
	v_lshlrev_b32_e32 v2, 1, v1
	v_add_co_u32 v0, s11, s11, v0
	v_add_nc_u32_e32 v38, 0, v4
	v_and_b32_e32 v4, 16, v19
	v_cmp_eq_u32_e64 s7, 0, v3
	v_add_co_ci_u32_e64 v3, null, s12, 0, s11
	v_add_co_u32 v72, vcc_lo, v0, v2
	v_or_b32_e32 v22, 32, v20
	v_add_nc_u32_e32 v40, 0, v6
	v_add_nc_u32_e32 v42, 0, v7
	;; [unrolled: 1-line block ×11, first 2 shown]
	v_cmp_ne_u32_e64 s4, 0, v4
	v_cmp_eq_u32_e64 s11, 0, v19
	v_add_co_ci_u32_e32 v73, vcc_lo, 0, v3, vcc_lo
	v_or_b32_e32 v74, 1, v18
	v_or_b32_e32 v75, 2, v18
	v_or_b32_e32 v76, 3, v18
	v_or_b32_e32 v77, 4, v18
	v_or_b32_e32 v78, 5, v18
	v_or_b32_e32 v79, 6, v18
	v_or_b32_e32 v80, 7, v18
	v_or_b32_e32 v81, 8, v18
	v_or_b32_e32 v82, 9, v18
	v_or_b32_e32 v83, 10, v18
	v_or_b32_e32 v84, 11, v18
	v_or_b32_e32 v85, 12, v18
	v_or_b32_e32 v86, 13, v18
	v_or_b32_e32 v87, 14, v18
	v_or_b32_e32 v88, 15, v18
	v_lshlrev_b32_e32 v89, 1, v1
	s_mov_b32 s83, 0x3e9b6dac
	s_add_i32 s84, 0, 0x1090
	s_mov_b32 s85, 0
	s_branch .LBB50_12
.LBB50_11:                              ;   in Loop: Header=BB50_12 Depth=1
	s_or_b32 exec_lo, exec_lo, s12
	s_add_u32 s71, s71, 0x800
	s_addc_u32 s48, s48, 0
	s_add_u32 s69, s69, 0x800
	s_addc_u32 s70, s70, 0
	;; [unrolled: 2-line block ×4, first 2 shown]
	s_add_i32 s85, s85, 1
	s_delay_alu instid0(SALU_CYCLE_1)
	s_cmp_eq_u32 s85, s78
	s_cbranch_scc1 .LBB50_236
.LBB50_12:                              ; =>This Loop Header: Depth=1
                                        ;     Child Loop BB50_109 Depth 2
	s_waitcnt lgkmcnt(14)
	v_lshlrev_b32_e32 v16, 1, v19
	s_lshl_b32 s50, s85, 10
	s_waitcnt lgkmcnt(0)
	v_mov_b32_e32 v2, 0
	s_sub_i32 s40, s68, s50
	v_add_co_u32 v0, s12, s69, v16
	s_delay_alu instid0(VALU_DEP_1) | instskip(SKIP_1) | instid1(VALU_DEP_3)
	v_add_co_ci_u32_e64 v1, null, s70, 0, s12
	v_cmp_gt_u32_e64 s12, s40, v20
	v_add_co_u32 v0, vcc_lo, v0, v89
	s_delay_alu instid0(VALU_DEP_3)
	v_add_co_ci_u32_e32 v1, vcc_lo, 0, v1, vcc_lo
	s_waitcnt_vscnt null, 0x0
	s_barrier
	buffer_gl0_inv
	s_and_saveexec_b32 s13, s12
	s_cbranch_execz .LBB50_14
; %bb.13:                               ;   in Loop: Header=BB50_12 Depth=1
	global_load_u16 v2, v[0:1], off
.LBB50_14:                              ;   in Loop: Header=BB50_12 Depth=1
	s_or_b32 exec_lo, exec_lo, s13
	v_cmp_gt_u32_e64 s13, s40, v22
	v_dual_mov_b32 v3, 0 :: v_dual_mov_b32 v4, 0
	s_delay_alu instid0(VALU_DEP_2)
	s_and_saveexec_b32 s14, s13
	s_cbranch_execz .LBB50_16
; %bb.15:                               ;   in Loop: Header=BB50_12 Depth=1
	global_load_u16 v4, v[0:1], off offset:64
.LBB50_16:                              ;   in Loop: Header=BB50_12 Depth=1
	s_or_b32 exec_lo, exec_lo, s14
	v_cmp_gt_u32_e64 s14, s40, v23
	s_delay_alu instid0(VALU_DEP_1)
	s_and_saveexec_b32 s15, s14
	s_cbranch_execz .LBB50_18
; %bb.17:                               ;   in Loop: Header=BB50_12 Depth=1
	global_load_u16 v3, v[0:1], off offset:128
.LBB50_18:                              ;   in Loop: Header=BB50_12 Depth=1
	s_or_b32 exec_lo, exec_lo, s15
	v_cmp_gt_u32_e64 s15, s40, v24
	v_dual_mov_b32 v5, 0 :: v_dual_mov_b32 v6, 0
	s_delay_alu instid0(VALU_DEP_2)
	s_and_saveexec_b32 s16, s15
	s_cbranch_execz .LBB50_20
; %bb.19:                               ;   in Loop: Header=BB50_12 Depth=1
	global_load_u16 v6, v[0:1], off offset:192
.LBB50_20:                              ;   in Loop: Header=BB50_12 Depth=1
	s_or_b32 exec_lo, exec_lo, s16
	v_cmp_gt_u32_e64 s16, s40, v25
	s_delay_alu instid0(VALU_DEP_1)
	s_and_saveexec_b32 s17, s16
	s_cbranch_execz .LBB50_22
; %bb.21:                               ;   in Loop: Header=BB50_12 Depth=1
	global_load_u16 v5, v[0:1], off offset:256
.LBB50_22:                              ;   in Loop: Header=BB50_12 Depth=1
	;; [unrolled: 17-line block ×3, first 2 shown]
	s_or_b32 exec_lo, exec_lo, s19
	v_cmp_gt_u32_e64 s19, s40, v28
	v_mov_b32_e32 v9, 0
	v_mov_b32_e32 v11, 0
	s_delay_alu instid0(VALU_DEP_3)
	s_and_saveexec_b32 s20, s19
	s_cbranch_execz .LBB50_28
; %bb.27:                               ;   in Loop: Header=BB50_12 Depth=1
	global_load_u16 v11, v[0:1], off offset:448
.LBB50_28:                              ;   in Loop: Header=BB50_12 Depth=1
	s_or_b32 exec_lo, exec_lo, s20
	v_cmp_gt_u32_e64 s20, s40, v29
	s_delay_alu instid0(VALU_DEP_1)
	s_and_saveexec_b32 s21, s20
	s_cbranch_execz .LBB50_30
; %bb.29:                               ;   in Loop: Header=BB50_12 Depth=1
	global_load_u16 v9, v[0:1], off offset:512
.LBB50_30:                              ;   in Loop: Header=BB50_12 Depth=1
	s_or_b32 exec_lo, exec_lo, s21
	v_cmp_gt_u32_e64 s21, s40, v30
	v_dual_mov_b32 v12, 0 :: v_dual_mov_b32 v13, 0
	s_delay_alu instid0(VALU_DEP_2)
	s_and_saveexec_b32 s22, s21
	s_cbranch_execz .LBB50_32
; %bb.31:                               ;   in Loop: Header=BB50_12 Depth=1
	global_load_u16 v13, v[0:1], off offset:576
.LBB50_32:                              ;   in Loop: Header=BB50_12 Depth=1
	s_or_b32 exec_lo, exec_lo, s22
	v_cmp_gt_u32_e64 s22, s40, v31
	s_delay_alu instid0(VALU_DEP_1)
	s_and_saveexec_b32 s23, s22
	s_cbranch_execz .LBB50_34
; %bb.33:                               ;   in Loop: Header=BB50_12 Depth=1
	global_load_u16 v12, v[0:1], off offset:640
.LBB50_34:                              ;   in Loop: Header=BB50_12 Depth=1
	s_or_b32 exec_lo, exec_lo, s23
	v_cmp_gt_u32_e64 s23, s40, v32
	v_dual_mov_b32 v14, 0 :: v_dual_mov_b32 v15, 0
	s_delay_alu instid0(VALU_DEP_2)
	;; [unrolled: 17-line block ×4, first 2 shown]
	s_and_saveexec_b32 s28, s27
	s_cbranch_execz .LBB50_44
; %bb.43:                               ;   in Loop: Header=BB50_12 Depth=1
	global_load_u16 v91, v[0:1], off offset:960
.LBB50_44:                              ;   in Loop: Header=BB50_12 Depth=1
	s_or_b32 exec_lo, exec_lo, s28
	s_waitcnt vmcnt(0)
	ds_store_b16 v37, v2
	ds_store_b16 v37, v4 offset:64
	ds_store_b16 v38, v3 offset:128
	;; [unrolled: 1-line block ×15, first 2 shown]
	; wave barrier
	ds_load_b128 v[0:3], v52
	ds_load_b128 v[4:7], v52 offset:16
	v_add_co_u32 v8, s28, s71, v16
	s_delay_alu instid0(VALU_DEP_1) | instskip(SKIP_1) | instid1(VALU_DEP_2)
	v_add_co_ci_u32_e64 v9, null, s48, 0, s28
	s_waitcnt lgkmcnt(0)
	v_add_co_u32 v8, vcc_lo, v8, v89
	s_delay_alu instid0(VALU_DEP_2)
	v_add_co_ci_u32_e32 v9, vcc_lo, 0, v9, vcc_lo
	s_barrier
	buffer_gl0_inv
	s_and_saveexec_b32 s28, s12
	s_cbranch_execz .LBB50_46
; %bb.45:                               ;   in Loop: Header=BB50_12 Depth=1
	global_load_u16 v10, v[8:9], off
.LBB50_46:                              ;   in Loop: Header=BB50_12 Depth=1
	s_or_b32 exec_lo, exec_lo, s28
	v_dual_mov_b32 v11, 0 :: v_dual_mov_b32 v12, 0
	s_and_saveexec_b32 s28, s13
	s_cbranch_execz .LBB50_48
; %bb.47:                               ;   in Loop: Header=BB50_12 Depth=1
	global_load_u16 v12, v[8:9], off offset:64
.LBB50_48:                              ;   in Loop: Header=BB50_12 Depth=1
	s_or_b32 exec_lo, exec_lo, s28
	s_and_saveexec_b32 s28, s14
	s_cbranch_execz .LBB50_50
; %bb.49:                               ;   in Loop: Header=BB50_12 Depth=1
	global_load_u16 v11, v[8:9], off offset:128
.LBB50_50:                              ;   in Loop: Header=BB50_12 Depth=1
	s_or_b32 exec_lo, exec_lo, s28
	v_dual_mov_b32 v13, 0 :: v_dual_mov_b32 v14, 0
	s_and_saveexec_b32 s28, s15
	s_cbranch_execz .LBB50_52
; %bb.51:                               ;   in Loop: Header=BB50_12 Depth=1
	global_load_u16 v14, v[8:9], off offset:192
.LBB50_52:                              ;   in Loop: Header=BB50_12 Depth=1
	s_or_b32 exec_lo, exec_lo, s28
	s_and_saveexec_b32 s28, s16
	s_cbranch_execz .LBB50_54
; %bb.53:                               ;   in Loop: Header=BB50_12 Depth=1
	global_load_u16 v13, v[8:9], off offset:256
.LBB50_54:                              ;   in Loop: Header=BB50_12 Depth=1
	s_or_b32 exec_lo, exec_lo, s28
	v_mov_b32_e32 v15, 0
	v_mov_b32_e32 v17, 0
	s_and_saveexec_b32 s28, s17
	s_cbranch_execz .LBB50_56
; %bb.55:                               ;   in Loop: Header=BB50_12 Depth=1
	global_load_u16 v17, v[8:9], off offset:320
.LBB50_56:                              ;   in Loop: Header=BB50_12 Depth=1
	s_or_b32 exec_lo, exec_lo, s28
	s_and_saveexec_b32 s28, s18
	s_cbranch_execz .LBB50_58
; %bb.57:                               ;   in Loop: Header=BB50_12 Depth=1
	global_load_u16 v15, v[8:9], off offset:384
.LBB50_58:                              ;   in Loop: Header=BB50_12 Depth=1
	s_or_b32 exec_lo, exec_lo, s28
	v_dual_mov_b32 v90, 0 :: v_dual_mov_b32 v91, 0
	s_and_saveexec_b32 s28, s19
	s_cbranch_execz .LBB50_60
; %bb.59:                               ;   in Loop: Header=BB50_12 Depth=1
	global_load_u16 v91, v[8:9], off offset:448
.LBB50_60:                              ;   in Loop: Header=BB50_12 Depth=1
	s_or_b32 exec_lo, exec_lo, s28
	s_and_saveexec_b32 s28, s20
	s_cbranch_execz .LBB50_62
; %bb.61:                               ;   in Loop: Header=BB50_12 Depth=1
	global_load_u16 v90, v[8:9], off offset:512
.LBB50_62:                              ;   in Loop: Header=BB50_12 Depth=1
	s_or_b32 exec_lo, exec_lo, s28
	v_dual_mov_b32 v92, 0 :: v_dual_mov_b32 v93, 0
	;; [unrolled: 13-line block ×4, first 2 shown]
	s_and_saveexec_b32 s28, s25
	s_cbranch_execnz .LBB50_218
; %bb.71:                               ;   in Loop: Header=BB50_12 Depth=1
	s_or_b32 exec_lo, exec_lo, s28
	s_and_saveexec_b32 s28, s26
	s_cbranch_execnz .LBB50_219
.LBB50_72:                              ;   in Loop: Header=BB50_12 Depth=1
	s_or_b32 exec_lo, exec_lo, s28
	v_mov_b32_e32 v98, 0
	s_and_saveexec_b32 s28, s27
	s_cbranch_execz .LBB50_74
.LBB50_73:                              ;   in Loop: Header=BB50_12 Depth=1
	global_load_u16 v98, v[8:9], off offset:960
.LBB50_74:                              ;   in Loop: Header=BB50_12 Depth=1
	s_or_b32 exec_lo, exec_lo, s28
	s_waitcnt vmcnt(0)
	ds_store_b16 v37, v10
	ds_store_b16 v37, v12 offset:64
	ds_store_b16 v38, v11 offset:128
	;; [unrolled: 1-line block ×15, first 2 shown]
	; wave barrier
	ds_load_b128 v[12:15], v52
	ds_load_b128 v[8:11], v52 offset:16
	s_waitcnt lgkmcnt(1)
	v_lshlrev_b32_e32 v17, 16, v12
	s_delay_alu instid0(VALU_DEP_1) | instskip(NEXT) | instid1(VALU_DEP_1)
	v_add_f32_e32 v90, s66, v17
	v_cmp_ge_f32_e32 vcc_lo, 0x41a00000, v90
	s_and_b32 s28, s79, vcc_lo
	s_delay_alu instid0(SALU_CYCLE_1)
	s_and_saveexec_b32 s29, s28
	s_cbranch_execz .LBB50_76
; %bb.75:                               ;   in Loop: Header=BB50_12 Depth=1
	v_mul_f32_e32 v17, 0x3fb8aa3b, v90
	v_cmp_ngt_f32_e32 vcc_lo, 0xc2ce8ed0, v90
	s_delay_alu instid0(VALU_DEP_2) | instskip(SKIP_1) | instid1(VALU_DEP_1)
	v_rndne_f32_e32 v91, v17
	v_fma_f32 v92, 0x3fb8aa3b, v90, -v17
	v_dual_sub_f32 v17, v17, v91 :: v_dual_fmac_f32 v92, 0x32a5705f, v90
	v_cvt_i32_f32_e32 v91, v91
	s_delay_alu instid0(VALU_DEP_2) | instskip(NEXT) | instid1(VALU_DEP_1)
	v_add_f32_e32 v17, v17, v92
	v_exp_f32_e32 v17, v17
	s_waitcnt_depctr 0xfff
	v_ldexp_f32 v17, v17, v91
	s_delay_alu instid0(VALU_DEP_1) | instskip(SKIP_1) | instid1(VALU_DEP_2)
	v_cndmask_b32_e32 v17, 0, v17, vcc_lo
	v_cmp_nlt_f32_e32 vcc_lo, 0x42b17218, v90
	v_cndmask_b32_e32 v17, 0x7f800000, v17, vcc_lo
	s_delay_alu instid0(VALU_DEP_1) | instskip(NEXT) | instid1(VALU_DEP_1)
	v_add_f32_e32 v92, 1.0, v17
	v_cvt_f64_f32_e32 v[90:91], v92
	s_delay_alu instid0(VALU_DEP_1) | instskip(SKIP_1) | instid1(VALU_DEP_1)
	v_frexp_exp_i32_f64_e32 v90, v[90:91]
	v_frexp_mant_f32_e32 v91, v92
	v_cmp_gt_f32_e32 vcc_lo, 0x3f2aaaab, v91
	v_add_f32_e32 v91, -1.0, v92
	s_delay_alu instid0(VALU_DEP_1) | instskip(NEXT) | instid1(VALU_DEP_1)
	v_dual_sub_f32 v94, v91, v92 :: v_dual_sub_f32 v91, v17, v91
	v_add_f32_e32 v94, 1.0, v94
	v_subrev_co_ci_u32_e32 v90, vcc_lo, 0, v90, vcc_lo
	s_delay_alu instid0(VALU_DEP_1) | instskip(SKIP_1) | instid1(VALU_DEP_2)
	v_sub_nc_u32_e32 v93, 0, v90
	v_cvt_f32_i32_e32 v90, v90
	v_ldexp_f32 v92, v92, v93
	v_add_f32_e32 v91, v91, v94
	s_delay_alu instid0(VALU_DEP_1) | instskip(NEXT) | instid1(VALU_DEP_3)
	v_ldexp_f32 v91, v91, v93
	v_add_f32_e32 v95, 1.0, v92
	s_delay_alu instid0(VALU_DEP_1) | instskip(NEXT) | instid1(VALU_DEP_1)
	v_add_f32_e32 v94, -1.0, v95
	v_sub_f32_e32 v94, v92, v94
	v_cmp_eq_f32_e32 vcc_lo, 0x7f800000, v17
	v_cmp_gt_f32_e64 s28, 0x33800000, v17
	s_delay_alu instid0(VALU_DEP_3) | instskip(NEXT) | instid1(VALU_DEP_2)
	v_dual_add_f32 v94, v91, v94 :: v_dual_add_f32 v93, -1.0, v92
	s_or_b32 vcc_lo, s28, vcc_lo
	s_delay_alu instid0(VALU_DEP_1) | instskip(NEXT) | instid1(VALU_DEP_1)
	v_add_f32_e32 v96, 1.0, v93
	v_sub_f32_e32 v92, v92, v96
	s_delay_alu instid0(VALU_DEP_3) | instskip(NEXT) | instid1(VALU_DEP_1)
	v_add_f32_e32 v96, v95, v94
	v_sub_f32_e32 v95, v95, v96
	s_delay_alu instid0(VALU_DEP_3) | instskip(SKIP_1) | instid1(VALU_DEP_2)
	v_add_f32_e32 v91, v91, v92
	v_rcp_f32_e32 v92, v96
	v_add_f32_e32 v94, v94, v95
	s_delay_alu instid0(VALU_DEP_2) | instskip(NEXT) | instid1(VALU_DEP_1)
	v_add_f32_e32 v97, v93, v91
	v_sub_f32_e32 v93, v93, v97
	s_waitcnt_depctr 0xfff
	v_dual_mul_f32 v98, v97, v92 :: v_dual_add_f32 v91, v91, v93
	s_delay_alu instid0(VALU_DEP_1) | instskip(NEXT) | instid1(VALU_DEP_1)
	v_mul_f32_e32 v99, v96, v98
	v_fma_f32 v95, v98, v96, -v99
	s_delay_alu instid0(VALU_DEP_1) | instskip(NEXT) | instid1(VALU_DEP_1)
	v_fmac_f32_e32 v95, v98, v94
	v_add_f32_e32 v100, v99, v95
	s_delay_alu instid0(VALU_DEP_1) | instskip(NEXT) | instid1(VALU_DEP_1)
	v_sub_f32_e32 v101, v97, v100
	v_sub_f32_e32 v97, v97, v101
	v_sub_f32_e32 v93, v100, v99
	s_delay_alu instid0(VALU_DEP_2) | instskip(NEXT) | instid1(VALU_DEP_2)
	v_sub_f32_e32 v97, v97, v100
	v_sub_f32_e32 v93, v93, v95
	s_delay_alu instid0(VALU_DEP_2) | instskip(NEXT) | instid1(VALU_DEP_1)
	v_add_f32_e32 v91, v91, v97
	v_add_f32_e32 v91, v93, v91
	s_delay_alu instid0(VALU_DEP_1) | instskip(NEXT) | instid1(VALU_DEP_1)
	v_add_f32_e32 v93, v101, v91
	v_mul_f32_e32 v95, v92, v93
	s_delay_alu instid0(VALU_DEP_1) | instskip(NEXT) | instid1(VALU_DEP_1)
	v_dual_sub_f32 v100, v101, v93 :: v_dual_mul_f32 v97, v96, v95
	v_add_f32_e32 v91, v91, v100
	s_delay_alu instid0(VALU_DEP_2) | instskip(NEXT) | instid1(VALU_DEP_1)
	v_fma_f32 v96, v95, v96, -v97
	v_fmac_f32_e32 v96, v95, v94
	s_delay_alu instid0(VALU_DEP_1) | instskip(NEXT) | instid1(VALU_DEP_1)
	v_add_f32_e32 v94, v97, v96
	v_sub_f32_e32 v99, v93, v94
	v_sub_f32_e32 v97, v94, v97
	s_delay_alu instid0(VALU_DEP_2) | instskip(NEXT) | instid1(VALU_DEP_1)
	v_sub_f32_e32 v93, v93, v99
	v_sub_f32_e32 v93, v93, v94
	s_delay_alu instid0(VALU_DEP_1) | instskip(SKIP_1) | instid1(VALU_DEP_1)
	v_dual_sub_f32 v94, v97, v96 :: v_dual_add_f32 v91, v91, v93
	v_add_f32_e32 v93, v98, v95
	v_dual_add_f32 v91, v94, v91 :: v_dual_sub_f32 v94, v93, v98
	s_delay_alu instid0(VALU_DEP_1) | instskip(NEXT) | instid1(VALU_DEP_1)
	v_add_f32_e32 v91, v99, v91
	v_dual_sub_f32 v94, v95, v94 :: v_dual_mul_f32 v91, v92, v91
	s_delay_alu instid0(VALU_DEP_1) | instskip(NEXT) | instid1(VALU_DEP_1)
	v_add_f32_e32 v91, v94, v91
	v_add_f32_e32 v92, v93, v91
	s_delay_alu instid0(VALU_DEP_1) | instskip(NEXT) | instid1(VALU_DEP_1)
	v_mul_f32_e32 v94, v92, v92
	v_fmaak_f32 v95, s83, v94, 0x3ecc95a3
	v_mul_f32_e32 v96, v92, v94
	s_delay_alu instid0(VALU_DEP_2) | instskip(SKIP_2) | instid1(VALU_DEP_3)
	v_fmaak_f32 v94, v94, v95, 0x3f2aaada
	v_ldexp_f32 v95, v92, 1
	v_sub_f32_e32 v92, v92, v93
	v_mul_f32_e32 v94, v96, v94
	s_delay_alu instid0(VALU_DEP_2) | instskip(NEXT) | instid1(VALU_DEP_2)
	v_dual_mul_f32 v96, 0x3f317218, v90 :: v_dual_sub_f32 v91, v91, v92
	v_add_f32_e32 v93, v95, v94
	s_delay_alu instid0(VALU_DEP_2) | instskip(NEXT) | instid1(VALU_DEP_2)
	v_ldexp_f32 v91, v91, 1
	v_sub_f32_e32 v92, v93, v95
	s_delay_alu instid0(VALU_DEP_4) | instskip(NEXT) | instid1(VALU_DEP_1)
	v_fma_f32 v95, 0x3f317218, v90, -v96
	v_dual_sub_f32 v92, v94, v92 :: v_dual_fmac_f32 v95, 0xb102e308, v90
	s_delay_alu instid0(VALU_DEP_1) | instskip(NEXT) | instid1(VALU_DEP_1)
	v_dual_add_f32 v90, v91, v92 :: v_dual_add_f32 v91, v96, v95
	v_add_f32_e32 v92, v93, v90
	s_delay_alu instid0(VALU_DEP_2) | instskip(NEXT) | instid1(VALU_DEP_2)
	v_sub_f32_e32 v96, v91, v96
	v_dual_add_f32 v94, v91, v92 :: v_dual_sub_f32 v93, v92, v93
	s_delay_alu instid0(VALU_DEP_2) | instskip(NEXT) | instid1(VALU_DEP_2)
	v_sub_f32_e32 v95, v95, v96
	v_sub_f32_e32 v97, v94, v91
	s_delay_alu instid0(VALU_DEP_3) | instskip(NEXT) | instid1(VALU_DEP_2)
	v_sub_f32_e32 v90, v90, v93
	v_sub_f32_e32 v98, v94, v97
	s_delay_alu instid0(VALU_DEP_2) | instskip(NEXT) | instid1(VALU_DEP_2)
	v_dual_sub_f32 v92, v92, v97 :: v_dual_add_f32 v93, v95, v90
	v_sub_f32_e32 v91, v91, v98
	s_delay_alu instid0(VALU_DEP_1) | instskip(NEXT) | instid1(VALU_DEP_3)
	v_add_f32_e32 v91, v92, v91
	v_sub_f32_e32 v92, v93, v95
	s_delay_alu instid0(VALU_DEP_2) | instskip(NEXT) | instid1(VALU_DEP_2)
	v_add_f32_e32 v91, v93, v91
	v_sub_f32_e32 v93, v93, v92
	v_sub_f32_e32 v90, v90, v92
	s_delay_alu instid0(VALU_DEP_2) | instskip(NEXT) | instid1(VALU_DEP_1)
	v_dual_add_f32 v96, v94, v91 :: v_dual_sub_f32 v93, v95, v93
	v_sub_f32_e32 v92, v96, v94
	s_delay_alu instid0(VALU_DEP_1) | instskip(NEXT) | instid1(VALU_DEP_1)
	v_dual_add_f32 v90, v90, v93 :: v_dual_sub_f32 v91, v91, v92
	v_add_f32_e32 v90, v90, v91
	s_delay_alu instid0(VALU_DEP_1) | instskip(NEXT) | instid1(VALU_DEP_1)
	v_add_f32_e32 v90, v96, v90
	v_cndmask_b32_e32 v90, v90, v17, vcc_lo
.LBB50_76:                              ;   in Loop: Header=BB50_12 Depth=1
	s_or_b32 exec_lo, exec_lo, s29
	v_and_b32_e32 v12, 0xffff0000, v12
	s_delay_alu instid0(VALU_DEP_1) | instskip(NEXT) | instid1(VALU_DEP_1)
	v_add_f32_e32 v91, s66, v12
	v_cmp_ge_f32_e32 vcc_lo, 0x41a00000, v91
	s_and_b32 s28, s79, vcc_lo
	s_delay_alu instid0(SALU_CYCLE_1)
	s_and_saveexec_b32 s29, s28
	s_cbranch_execz .LBB50_78
; %bb.77:                               ;   in Loop: Header=BB50_12 Depth=1
	v_mul_f32_e32 v12, 0x3fb8aa3b, v91
	v_cmp_ngt_f32_e32 vcc_lo, 0xc2ce8ed0, v91
	s_delay_alu instid0(VALU_DEP_2) | instskip(SKIP_1) | instid1(VALU_DEP_2)
	v_rndne_f32_e32 v17, v12
	v_fma_f32 v92, 0x3fb8aa3b, v91, -v12
	v_sub_f32_e32 v12, v12, v17
	s_delay_alu instid0(VALU_DEP_2) | instskip(SKIP_1) | instid1(VALU_DEP_2)
	v_fmac_f32_e32 v92, 0x32a5705f, v91
	v_cvt_i32_f32_e32 v17, v17
	v_add_f32_e32 v12, v12, v92
	s_delay_alu instid0(VALU_DEP_1) | instskip(SKIP_2) | instid1(VALU_DEP_1)
	v_exp_f32_e32 v12, v12
	s_waitcnt_depctr 0xfff
	v_ldexp_f32 v12, v12, v17
	v_cndmask_b32_e32 v12, 0, v12, vcc_lo
	v_cmp_nlt_f32_e32 vcc_lo, 0x42b17218, v91
	s_delay_alu instid0(VALU_DEP_2) | instskip(NEXT) | instid1(VALU_DEP_1)
	v_cndmask_b32_e32 v12, 0x7f800000, v12, vcc_lo
	v_add_f32_e32 v17, 1.0, v12
	s_delay_alu instid0(VALU_DEP_1) | instskip(NEXT) | instid1(VALU_DEP_1)
	v_cvt_f64_f32_e32 v[91:92], v17
	v_frexp_exp_i32_f64_e32 v91, v[91:92]
	v_frexp_mant_f32_e32 v92, v17
	s_delay_alu instid0(VALU_DEP_1) | instskip(SKIP_1) | instid1(VALU_DEP_1)
	v_cmp_gt_f32_e32 vcc_lo, 0x3f2aaaab, v92
	v_add_f32_e32 v92, -1.0, v17
	v_sub_f32_e32 v94, v92, v17
	v_sub_f32_e32 v92, v12, v92
	s_delay_alu instid0(VALU_DEP_2) | instskip(NEXT) | instid1(VALU_DEP_1)
	v_add_f32_e32 v94, 1.0, v94
	v_add_f32_e32 v92, v92, v94
	v_subrev_co_ci_u32_e32 v91, vcc_lo, 0, v91, vcc_lo
	s_delay_alu instid0(VALU_DEP_1) | instskip(SKIP_1) | instid1(VALU_DEP_2)
	v_sub_nc_u32_e32 v93, 0, v91
	v_cvt_f32_i32_e32 v91, v91
	v_ldexp_f32 v17, v17, v93
	v_ldexp_f32 v92, v92, v93
	s_delay_alu instid0(VALU_DEP_2) | instskip(NEXT) | instid1(VALU_DEP_1)
	v_add_f32_e32 v95, 1.0, v17
	v_dual_add_f32 v93, -1.0, v17 :: v_dual_add_f32 v94, -1.0, v95
	s_delay_alu instid0(VALU_DEP_1) | instskip(NEXT) | instid1(VALU_DEP_2)
	v_add_f32_e32 v96, 1.0, v93
	v_sub_f32_e32 v94, v17, v94
	s_delay_alu instid0(VALU_DEP_2) | instskip(NEXT) | instid1(VALU_DEP_1)
	v_sub_f32_e32 v17, v17, v96
	v_add_f32_e32 v17, v92, v17
	s_delay_alu instid0(VALU_DEP_1) | instskip(SKIP_2) | instid1(VALU_DEP_3)
	v_add_f32_e32 v97, v93, v17
	v_cmp_eq_f32_e32 vcc_lo, 0x7f800000, v12
	v_cmp_gt_f32_e64 s28, 0x33800000, v12
	v_dual_sub_f32 v93, v93, v97 :: v_dual_add_f32 v94, v92, v94
	s_delay_alu instid0(VALU_DEP_2) | instskip(NEXT) | instid1(VALU_DEP_1)
	s_or_b32 vcc_lo, s28, vcc_lo
	v_dual_add_f32 v17, v17, v93 :: v_dual_add_f32 v96, v95, v94
	s_delay_alu instid0(VALU_DEP_1) | instskip(SKIP_1) | instid1(VALU_DEP_1)
	v_rcp_f32_e32 v92, v96
	v_sub_f32_e32 v95, v95, v96
	v_add_f32_e32 v94, v94, v95
	s_waitcnt_depctr 0xfff
	v_mul_f32_e32 v98, v97, v92
	s_delay_alu instid0(VALU_DEP_1) | instskip(NEXT) | instid1(VALU_DEP_1)
	v_mul_f32_e32 v99, v96, v98
	v_fma_f32 v95, v98, v96, -v99
	s_delay_alu instid0(VALU_DEP_1) | instskip(NEXT) | instid1(VALU_DEP_1)
	v_fmac_f32_e32 v95, v98, v94
	v_add_f32_e32 v100, v99, v95
	s_delay_alu instid0(VALU_DEP_1) | instskip(SKIP_1) | instid1(VALU_DEP_2)
	v_sub_f32_e32 v101, v97, v100
	v_sub_f32_e32 v93, v100, v99
	;; [unrolled: 1-line block ×3, first 2 shown]
	s_delay_alu instid0(VALU_DEP_2) | instskip(NEXT) | instid1(VALU_DEP_2)
	v_sub_f32_e32 v93, v93, v95
	v_sub_f32_e32 v97, v97, v100
	s_delay_alu instid0(VALU_DEP_1) | instskip(NEXT) | instid1(VALU_DEP_1)
	v_add_f32_e32 v17, v17, v97
	v_add_f32_e32 v17, v93, v17
	s_delay_alu instid0(VALU_DEP_1) | instskip(NEXT) | instid1(VALU_DEP_1)
	v_add_f32_e32 v93, v101, v17
	v_mul_f32_e32 v95, v92, v93
	s_delay_alu instid0(VALU_DEP_1) | instskip(NEXT) | instid1(VALU_DEP_1)
	v_mul_f32_e32 v97, v96, v95
	v_fma_f32 v96, v95, v96, -v97
	s_delay_alu instid0(VALU_DEP_1) | instskip(SKIP_1) | instid1(VALU_DEP_2)
	v_fmac_f32_e32 v96, v95, v94
	v_sub_f32_e32 v100, v101, v93
	v_add_f32_e32 v94, v97, v96
	s_delay_alu instid0(VALU_DEP_2) | instskip(NEXT) | instid1(VALU_DEP_2)
	v_add_f32_e32 v17, v17, v100
	v_sub_f32_e32 v99, v93, v94
	s_delay_alu instid0(VALU_DEP_1) | instskip(NEXT) | instid1(VALU_DEP_1)
	v_sub_f32_e32 v93, v93, v99
	v_sub_f32_e32 v93, v93, v94
	s_delay_alu instid0(VALU_DEP_1) | instskip(SKIP_2) | instid1(VALU_DEP_1)
	v_add_f32_e32 v17, v17, v93
	v_add_f32_e32 v93, v98, v95
	v_sub_f32_e32 v97, v94, v97
	v_sub_f32_e32 v94, v97, v96
	s_delay_alu instid0(VALU_DEP_1) | instskip(NEXT) | instid1(VALU_DEP_1)
	v_dual_add_f32 v17, v94, v17 :: v_dual_sub_f32 v94, v93, v98
	v_add_f32_e32 v17, v99, v17
	s_delay_alu instid0(VALU_DEP_1) | instskip(NEXT) | instid1(VALU_DEP_1)
	v_dual_sub_f32 v94, v95, v94 :: v_dual_mul_f32 v17, v92, v17
	v_add_f32_e32 v17, v94, v17
	s_delay_alu instid0(VALU_DEP_1) | instskip(NEXT) | instid1(VALU_DEP_1)
	v_add_f32_e32 v92, v93, v17
	v_mul_f32_e32 v94, v92, v92
	s_delay_alu instid0(VALU_DEP_1) | instskip(SKIP_1) | instid1(VALU_DEP_2)
	v_fmaak_f32 v95, s83, v94, 0x3ecc95a3
	v_mul_f32_e32 v96, v92, v94
	v_fmaak_f32 v94, v94, v95, 0x3f2aaada
	v_ldexp_f32 v95, v92, 1
	s_delay_alu instid0(VALU_DEP_2) | instskip(SKIP_1) | instid1(VALU_DEP_2)
	v_mul_f32_e32 v94, v96, v94
	v_sub_f32_e32 v92, v92, v93
	v_dual_mul_f32 v96, 0x3f317218, v91 :: v_dual_add_f32 v93, v95, v94
	s_delay_alu instid0(VALU_DEP_2) | instskip(NEXT) | instid1(VALU_DEP_2)
	v_sub_f32_e32 v17, v17, v92
	v_sub_f32_e32 v92, v93, v95
	s_delay_alu instid0(VALU_DEP_3) | instskip(NEXT) | instid1(VALU_DEP_3)
	v_fma_f32 v95, 0x3f317218, v91, -v96
	v_ldexp_f32 v17, v17, 1
	s_delay_alu instid0(VALU_DEP_2) | instskip(NEXT) | instid1(VALU_DEP_1)
	v_dual_sub_f32 v92, v94, v92 :: v_dual_fmac_f32 v95, 0xb102e308, v91
	v_add_f32_e32 v17, v17, v92
	s_delay_alu instid0(VALU_DEP_1) | instskip(NEXT) | instid1(VALU_DEP_1)
	v_dual_add_f32 v91, v96, v95 :: v_dual_add_f32 v92, v93, v17
	v_sub_f32_e32 v96, v91, v96
	s_delay_alu instid0(VALU_DEP_2) | instskip(NEXT) | instid1(VALU_DEP_2)
	v_dual_add_f32 v94, v91, v92 :: v_dual_sub_f32 v93, v92, v93
	v_sub_f32_e32 v95, v95, v96
	s_delay_alu instid0(VALU_DEP_2) | instskip(NEXT) | instid1(VALU_DEP_1)
	v_sub_f32_e32 v97, v94, v91
	v_sub_f32_e32 v98, v94, v97
	;; [unrolled: 1-line block ×4, first 2 shown]
	s_delay_alu instid0(VALU_DEP_1) | instskip(NEXT) | instid1(VALU_DEP_4)
	v_add_f32_e32 v93, v95, v17
	v_sub_f32_e32 v91, v91, v98
	s_delay_alu instid0(VALU_DEP_1) | instskip(NEXT) | instid1(VALU_DEP_3)
	v_add_f32_e32 v91, v92, v91
	v_sub_f32_e32 v92, v93, v95
	s_delay_alu instid0(VALU_DEP_2) | instskip(NEXT) | instid1(VALU_DEP_2)
	v_add_f32_e32 v91, v93, v91
	v_sub_f32_e32 v93, v93, v92
	s_delay_alu instid0(VALU_DEP_2) | instskip(NEXT) | instid1(VALU_DEP_1)
	v_dual_sub_f32 v17, v17, v92 :: v_dual_add_f32 v96, v94, v91
	v_dual_sub_f32 v92, v96, v94 :: v_dual_sub_f32 v93, v95, v93
	s_delay_alu instid0(VALU_DEP_1) | instskip(NEXT) | instid1(VALU_DEP_2)
	v_sub_f32_e32 v91, v91, v92
	v_add_f32_e32 v17, v17, v93
	s_delay_alu instid0(VALU_DEP_1) | instskip(NEXT) | instid1(VALU_DEP_1)
	v_add_f32_e32 v17, v17, v91
	v_add_f32_e32 v17, v96, v17
	s_delay_alu instid0(VALU_DEP_1)
	v_cndmask_b32_e32 v91, v17, v12, vcc_lo
.LBB50_78:                              ;   in Loop: Header=BB50_12 Depth=1
	s_or_b32 exec_lo, exec_lo, s29
	v_lshlrev_b32_e32 v12, 16, v13
	s_delay_alu instid0(VALU_DEP_1) | instskip(NEXT) | instid1(VALU_DEP_1)
	v_add_f32_e32 v92, s66, v12
	v_cmp_ge_f32_e32 vcc_lo, 0x41a00000, v92
	s_and_b32 s28, s79, vcc_lo
	s_delay_alu instid0(SALU_CYCLE_1)
	s_and_saveexec_b32 s29, s28
	s_cbranch_execz .LBB50_80
; %bb.79:                               ;   in Loop: Header=BB50_12 Depth=1
	v_mul_f32_e32 v12, 0x3fb8aa3b, v92
	v_cmp_ngt_f32_e32 vcc_lo, 0xc2ce8ed0, v92
	s_delay_alu instid0(VALU_DEP_2) | instskip(SKIP_1) | instid1(VALU_DEP_1)
	v_rndne_f32_e32 v17, v12
	v_fma_f32 v93, 0x3fb8aa3b, v92, -v12
	v_dual_sub_f32 v12, v12, v17 :: v_dual_fmac_f32 v93, 0x32a5705f, v92
	v_cvt_i32_f32_e32 v17, v17
	s_delay_alu instid0(VALU_DEP_2) | instskip(NEXT) | instid1(VALU_DEP_1)
	v_add_f32_e32 v12, v12, v93
	v_exp_f32_e32 v12, v12
	s_waitcnt_depctr 0xfff
	v_ldexp_f32 v12, v12, v17
	s_delay_alu instid0(VALU_DEP_1) | instskip(SKIP_1) | instid1(VALU_DEP_2)
	v_cndmask_b32_e32 v12, 0, v12, vcc_lo
	v_cmp_nlt_f32_e32 vcc_lo, 0x42b17218, v92
	v_cndmask_b32_e32 v12, 0x7f800000, v12, vcc_lo
	s_delay_alu instid0(VALU_DEP_1) | instskip(NEXT) | instid1(VALU_DEP_1)
	v_add_f32_e32 v17, 1.0, v12
	v_cvt_f64_f32_e32 v[92:93], v17
	s_delay_alu instid0(VALU_DEP_1) | instskip(SKIP_1) | instid1(VALU_DEP_1)
	v_frexp_exp_i32_f64_e32 v92, v[92:93]
	v_frexp_mant_f32_e32 v93, v17
	v_cmp_gt_f32_e32 vcc_lo, 0x3f2aaaab, v93
	v_add_f32_e32 v93, -1.0, v17
	s_delay_alu instid0(VALU_DEP_1) | instskip(SKIP_1) | instid1(VALU_DEP_2)
	v_sub_f32_e32 v95, v93, v17
	v_sub_f32_e32 v93, v12, v93
	v_add_f32_e32 v95, 1.0, v95
	s_delay_alu instid0(VALU_DEP_1) | instskip(SKIP_3) | instid1(VALU_DEP_2)
	v_add_f32_e32 v93, v93, v95
	v_cmp_gt_f32_e64 s28, 0x33800000, v12
	v_subrev_co_ci_u32_e32 v92, vcc_lo, 0, v92, vcc_lo
	v_cmp_eq_f32_e32 vcc_lo, 0x7f800000, v12
	v_sub_nc_u32_e32 v94, 0, v92
	v_cvt_f32_i32_e32 v92, v92
	s_or_b32 vcc_lo, s28, vcc_lo
	s_delay_alu instid0(VALU_DEP_2) | instskip(SKIP_1) | instid1(VALU_DEP_2)
	v_ldexp_f32 v17, v17, v94
	v_ldexp_f32 v93, v93, v94
	v_add_f32_e32 v96, 1.0, v17
	s_delay_alu instid0(VALU_DEP_1) | instskip(NEXT) | instid1(VALU_DEP_1)
	v_dual_add_f32 v94, -1.0, v17 :: v_dual_add_f32 v95, -1.0, v96
	v_add_f32_e32 v97, 1.0, v94
	s_delay_alu instid0(VALU_DEP_2) | instskip(NEXT) | instid1(VALU_DEP_2)
	v_sub_f32_e32 v95, v17, v95
	v_sub_f32_e32 v17, v17, v97
	s_delay_alu instid0(VALU_DEP_1) | instskip(NEXT) | instid1(VALU_DEP_1)
	v_add_f32_e32 v17, v93, v17
	v_dual_add_f32 v98, v94, v17 :: v_dual_add_f32 v95, v93, v95
	s_delay_alu instid0(VALU_DEP_1) | instskip(NEXT) | instid1(VALU_DEP_1)
	v_dual_sub_f32 v94, v94, v98 :: v_dual_add_f32 v97, v96, v95
	v_rcp_f32_e32 v93, v97
	v_sub_f32_e32 v96, v96, v97
	s_delay_alu instid0(VALU_DEP_1) | instskip(SKIP_2) | instid1(VALU_DEP_1)
	v_add_f32_e32 v95, v95, v96
	s_waitcnt_depctr 0xfff
	v_mul_f32_e32 v99, v98, v93
	v_mul_f32_e32 v100, v97, v99
	s_delay_alu instid0(VALU_DEP_1) | instskip(NEXT) | instid1(VALU_DEP_1)
	v_fma_f32 v96, v99, v97, -v100
	v_fmac_f32_e32 v96, v99, v95
	s_delay_alu instid0(VALU_DEP_1) | instskip(NEXT) | instid1(VALU_DEP_1)
	v_add_f32_e32 v101, v100, v96
	v_sub_f32_e32 v102, v98, v101
	s_delay_alu instid0(VALU_DEP_1) | instskip(SKIP_2) | instid1(VALU_DEP_3)
	v_sub_f32_e32 v98, v98, v102
	v_add_f32_e32 v17, v17, v94
	v_sub_f32_e32 v94, v101, v100
	v_sub_f32_e32 v98, v98, v101
	s_delay_alu instid0(VALU_DEP_1) | instskip(NEXT) | instid1(VALU_DEP_1)
	v_dual_sub_f32 v94, v94, v96 :: v_dual_add_f32 v17, v17, v98
	v_add_f32_e32 v17, v94, v17
	s_delay_alu instid0(VALU_DEP_1) | instskip(NEXT) | instid1(VALU_DEP_1)
	v_add_f32_e32 v94, v102, v17
	v_mul_f32_e32 v96, v93, v94
	s_delay_alu instid0(VALU_DEP_1) | instskip(NEXT) | instid1(VALU_DEP_1)
	v_dual_sub_f32 v101, v102, v94 :: v_dual_mul_f32 v98, v97, v96
	v_add_f32_e32 v17, v17, v101
	s_delay_alu instid0(VALU_DEP_2) | instskip(NEXT) | instid1(VALU_DEP_1)
	v_fma_f32 v97, v96, v97, -v98
	v_fmac_f32_e32 v97, v96, v95
	s_delay_alu instid0(VALU_DEP_1) | instskip(NEXT) | instid1(VALU_DEP_1)
	v_add_f32_e32 v95, v98, v97
	v_sub_f32_e32 v100, v94, v95
	s_delay_alu instid0(VALU_DEP_1) | instskip(NEXT) | instid1(VALU_DEP_1)
	v_sub_f32_e32 v94, v94, v100
	v_sub_f32_e32 v94, v94, v95
	s_delay_alu instid0(VALU_DEP_1) | instskip(SKIP_1) | instid1(VALU_DEP_1)
	v_dual_add_f32 v17, v17, v94 :: v_dual_add_f32 v94, v99, v96
	v_sub_f32_e32 v98, v95, v98
	v_sub_f32_e32 v95, v98, v97
	s_delay_alu instid0(VALU_DEP_1) | instskip(NEXT) | instid1(VALU_DEP_4)
	v_add_f32_e32 v17, v95, v17
	v_sub_f32_e32 v95, v94, v99
	s_delay_alu instid0(VALU_DEP_2) | instskip(NEXT) | instid1(VALU_DEP_2)
	v_add_f32_e32 v17, v100, v17
	v_sub_f32_e32 v95, v96, v95
	s_delay_alu instid0(VALU_DEP_2) | instskip(NEXT) | instid1(VALU_DEP_1)
	v_mul_f32_e32 v17, v93, v17
	v_add_f32_e32 v17, v95, v17
	s_delay_alu instid0(VALU_DEP_1) | instskip(NEXT) | instid1(VALU_DEP_1)
	v_add_f32_e32 v93, v94, v17
	v_mul_f32_e32 v95, v93, v93
	s_delay_alu instid0(VALU_DEP_1) | instskip(SKIP_1) | instid1(VALU_DEP_2)
	v_fmaak_f32 v96, s83, v95, 0x3ecc95a3
	v_mul_f32_e32 v97, v93, v95
	v_fmaak_f32 v95, v95, v96, 0x3f2aaada
	v_ldexp_f32 v96, v93, 1
	v_sub_f32_e32 v93, v93, v94
	s_delay_alu instid0(VALU_DEP_3) | instskip(SKIP_1) | instid1(VALU_DEP_2)
	v_mul_f32_e32 v95, v97, v95
	v_mul_f32_e32 v97, 0x3f317218, v92
	v_dual_sub_f32 v17, v17, v93 :: v_dual_add_f32 v94, v96, v95
	s_delay_alu instid0(VALU_DEP_1) | instskip(NEXT) | instid1(VALU_DEP_2)
	v_ldexp_f32 v17, v17, 1
	v_sub_f32_e32 v93, v94, v96
	s_delay_alu instid0(VALU_DEP_4) | instskip(NEXT) | instid1(VALU_DEP_1)
	v_fma_f32 v96, 0x3f317218, v92, -v97
	v_dual_sub_f32 v93, v95, v93 :: v_dual_fmac_f32 v96, 0xb102e308, v92
	s_delay_alu instid0(VALU_DEP_1) | instskip(NEXT) | instid1(VALU_DEP_1)
	v_add_f32_e32 v17, v17, v93
	v_dual_add_f32 v92, v97, v96 :: v_dual_add_f32 v93, v94, v17
	s_delay_alu instid0(VALU_DEP_1) | instskip(NEXT) | instid1(VALU_DEP_2)
	v_sub_f32_e32 v97, v92, v97
	v_dual_add_f32 v95, v92, v93 :: v_dual_sub_f32 v94, v93, v94
	s_delay_alu instid0(VALU_DEP_2) | instskip(NEXT) | instid1(VALU_DEP_2)
	v_sub_f32_e32 v96, v96, v97
	v_dual_sub_f32 v98, v95, v92 :: v_dual_sub_f32 v17, v17, v94
	s_delay_alu instid0(VALU_DEP_1) | instskip(NEXT) | instid1(VALU_DEP_2)
	v_sub_f32_e32 v99, v95, v98
	v_dual_sub_f32 v93, v93, v98 :: v_dual_add_f32 v94, v96, v17
	s_delay_alu instid0(VALU_DEP_2) | instskip(NEXT) | instid1(VALU_DEP_1)
	v_sub_f32_e32 v92, v92, v99
	v_add_f32_e32 v92, v93, v92
	s_delay_alu instid0(VALU_DEP_3) | instskip(NEXT) | instid1(VALU_DEP_2)
	v_sub_f32_e32 v93, v94, v96
	v_add_f32_e32 v92, v94, v92
	s_delay_alu instid0(VALU_DEP_2) | instskip(SKIP_1) | instid1(VALU_DEP_2)
	v_sub_f32_e32 v94, v94, v93
	v_sub_f32_e32 v17, v17, v93
	v_dual_add_f32 v97, v95, v92 :: v_dual_sub_f32 v94, v96, v94
	s_delay_alu instid0(VALU_DEP_1) | instskip(NEXT) | instid1(VALU_DEP_1)
	v_sub_f32_e32 v93, v97, v95
	v_dual_add_f32 v17, v17, v94 :: v_dual_sub_f32 v92, v92, v93
	s_delay_alu instid0(VALU_DEP_1) | instskip(NEXT) | instid1(VALU_DEP_1)
	v_add_f32_e32 v17, v17, v92
	v_add_f32_e32 v17, v97, v17
	s_delay_alu instid0(VALU_DEP_1)
	v_cndmask_b32_e32 v92, v17, v12, vcc_lo
.LBB50_80:                              ;   in Loop: Header=BB50_12 Depth=1
	s_or_b32 exec_lo, exec_lo, s29
	v_and_b32_e32 v12, 0xffff0000, v13
	s_delay_alu instid0(VALU_DEP_1) | instskip(NEXT) | instid1(VALU_DEP_1)
	v_add_f32_e32 v93, s66, v12
	v_cmp_ge_f32_e32 vcc_lo, 0x41a00000, v93
	s_and_b32 s28, s79, vcc_lo
	s_delay_alu instid0(SALU_CYCLE_1)
	s_and_saveexec_b32 s29, s28
	s_cbranch_execz .LBB50_82
; %bb.81:                               ;   in Loop: Header=BB50_12 Depth=1
	v_mul_f32_e32 v12, 0x3fb8aa3b, v93
	v_cmp_ngt_f32_e32 vcc_lo, 0xc2ce8ed0, v93
	s_delay_alu instid0(VALU_DEP_2) | instskip(SKIP_1) | instid1(VALU_DEP_2)
	v_rndne_f32_e32 v13, v12
	v_fma_f32 v17, 0x3fb8aa3b, v93, -v12
	v_sub_f32_e32 v12, v12, v13
	s_delay_alu instid0(VALU_DEP_2) | instskip(SKIP_1) | instid1(VALU_DEP_2)
	v_fmac_f32_e32 v17, 0x32a5705f, v93
	v_cvt_i32_f32_e32 v13, v13
	v_add_f32_e32 v12, v12, v17
	s_delay_alu instid0(VALU_DEP_1) | instskip(SKIP_2) | instid1(VALU_DEP_1)
	v_exp_f32_e32 v12, v12
	s_waitcnt_depctr 0xfff
	v_ldexp_f32 v12, v12, v13
	v_cndmask_b32_e32 v12, 0, v12, vcc_lo
	v_cmp_nlt_f32_e32 vcc_lo, 0x42b17218, v93
	s_delay_alu instid0(VALU_DEP_2) | instskip(NEXT) | instid1(VALU_DEP_1)
	v_cndmask_b32_e32 v17, 0x7f800000, v12, vcc_lo
	v_add_f32_e32 v93, 1.0, v17
	s_delay_alu instid0(VALU_DEP_1) | instskip(NEXT) | instid1(VALU_DEP_1)
	v_cvt_f64_f32_e32 v[12:13], v93
	v_frexp_exp_i32_f64_e32 v12, v[12:13]
	v_frexp_mant_f32_e32 v13, v93
	s_delay_alu instid0(VALU_DEP_1) | instskip(SKIP_1) | instid1(VALU_DEP_1)
	v_cmp_gt_f32_e32 vcc_lo, 0x3f2aaaab, v13
	v_add_f32_e32 v13, -1.0, v93
	v_sub_f32_e32 v95, v13, v93
	s_delay_alu instid0(VALU_DEP_1) | instskip(SKIP_1) | instid1(VALU_DEP_1)
	v_add_f32_e32 v95, 1.0, v95
	v_subrev_co_ci_u32_e32 v12, vcc_lo, 0, v12, vcc_lo
	v_sub_nc_u32_e32 v94, 0, v12
	v_cvt_f32_i32_e32 v12, v12
	s_delay_alu instid0(VALU_DEP_2) | instskip(NEXT) | instid1(VALU_DEP_1)
	v_ldexp_f32 v93, v93, v94
	v_add_f32_e32 v96, 1.0, v93
	v_sub_f32_e32 v13, v17, v13
	v_cmp_eq_f32_e32 vcc_lo, 0x7f800000, v17
	v_cmp_gt_f32_e64 s28, 0x33800000, v17
	s_delay_alu instid0(VALU_DEP_3) | instskip(SKIP_1) | instid1(VALU_DEP_3)
	v_add_f32_e32 v13, v13, v95
	v_add_f32_e32 v95, -1.0, v96
	s_or_b32 vcc_lo, s28, vcc_lo
	s_delay_alu instid0(VALU_DEP_2) | instskip(NEXT) | instid1(VALU_DEP_2)
	v_ldexp_f32 v13, v13, v94
	v_dual_add_f32 v94, -1.0, v93 :: v_dual_sub_f32 v95, v93, v95
	s_delay_alu instid0(VALU_DEP_1) | instskip(NEXT) | instid1(VALU_DEP_2)
	v_add_f32_e32 v97, 1.0, v94
	v_add_f32_e32 v95, v13, v95
	s_delay_alu instid0(VALU_DEP_2) | instskip(NEXT) | instid1(VALU_DEP_1)
	v_sub_f32_e32 v93, v93, v97
	v_add_f32_e32 v13, v13, v93
	s_delay_alu instid0(VALU_DEP_1) | instskip(NEXT) | instid1(VALU_DEP_1)
	v_dual_add_f32 v98, v94, v13 :: v_dual_add_f32 v97, v96, v95
	v_sub_f32_e32 v94, v94, v98
	s_delay_alu instid0(VALU_DEP_2) | instskip(NEXT) | instid1(VALU_DEP_1)
	v_rcp_f32_e32 v93, v97
	v_dual_sub_f32 v96, v96, v97 :: v_dual_add_f32 v13, v13, v94
	s_delay_alu instid0(VALU_DEP_1) | instskip(SKIP_2) | instid1(VALU_DEP_1)
	v_add_f32_e32 v95, v95, v96
	s_waitcnt_depctr 0xfff
	v_mul_f32_e32 v99, v98, v93
	v_mul_f32_e32 v100, v97, v99
	s_delay_alu instid0(VALU_DEP_1) | instskip(NEXT) | instid1(VALU_DEP_1)
	v_fma_f32 v96, v99, v97, -v100
	v_fmac_f32_e32 v96, v99, v95
	s_delay_alu instid0(VALU_DEP_1) | instskip(NEXT) | instid1(VALU_DEP_1)
	v_add_f32_e32 v101, v100, v96
	v_sub_f32_e32 v102, v98, v101
	v_sub_f32_e32 v94, v101, v100
	s_delay_alu instid0(VALU_DEP_2) | instskip(NEXT) | instid1(VALU_DEP_2)
	v_sub_f32_e32 v98, v98, v102
	v_sub_f32_e32 v94, v94, v96
	s_delay_alu instid0(VALU_DEP_2) | instskip(NEXT) | instid1(VALU_DEP_1)
	v_sub_f32_e32 v98, v98, v101
	v_add_f32_e32 v13, v13, v98
	s_delay_alu instid0(VALU_DEP_1) | instskip(NEXT) | instid1(VALU_DEP_1)
	v_add_f32_e32 v13, v94, v13
	v_add_f32_e32 v94, v102, v13
	s_delay_alu instid0(VALU_DEP_1) | instskip(NEXT) | instid1(VALU_DEP_1)
	v_mul_f32_e32 v96, v93, v94
	v_dual_sub_f32 v101, v102, v94 :: v_dual_mul_f32 v98, v97, v96
	s_delay_alu instid0(VALU_DEP_1) | instskip(NEXT) | instid1(VALU_DEP_1)
	v_fma_f32 v97, v96, v97, -v98
	v_fmac_f32_e32 v97, v96, v95
	s_delay_alu instid0(VALU_DEP_1) | instskip(NEXT) | instid1(VALU_DEP_1)
	v_add_f32_e32 v95, v98, v97
	v_dual_add_f32 v13, v13, v101 :: v_dual_sub_f32 v100, v94, v95
	s_delay_alu instid0(VALU_DEP_1) | instskip(NEXT) | instid1(VALU_DEP_1)
	v_sub_f32_e32 v94, v94, v100
	v_sub_f32_e32 v94, v94, v95
	s_delay_alu instid0(VALU_DEP_1) | instskip(SKIP_1) | instid1(VALU_DEP_1)
	v_dual_add_f32 v13, v13, v94 :: v_dual_add_f32 v94, v99, v96
	v_sub_f32_e32 v98, v95, v98
	v_sub_f32_e32 v95, v98, v97
	s_delay_alu instid0(VALU_DEP_1) | instskip(NEXT) | instid1(VALU_DEP_4)
	v_add_f32_e32 v13, v95, v13
	v_sub_f32_e32 v95, v94, v99
	s_delay_alu instid0(VALU_DEP_2) | instskip(NEXT) | instid1(VALU_DEP_2)
	v_add_f32_e32 v13, v100, v13
	v_sub_f32_e32 v95, v96, v95
	s_delay_alu instid0(VALU_DEP_2) | instskip(NEXT) | instid1(VALU_DEP_1)
	v_mul_f32_e32 v13, v93, v13
	v_add_f32_e32 v13, v95, v13
	s_delay_alu instid0(VALU_DEP_1) | instskip(NEXT) | instid1(VALU_DEP_1)
	v_add_f32_e32 v93, v94, v13
	v_mul_f32_e32 v95, v93, v93
	s_delay_alu instid0(VALU_DEP_1) | instskip(SKIP_1) | instid1(VALU_DEP_2)
	v_fmaak_f32 v96, s83, v95, 0x3ecc95a3
	v_mul_f32_e32 v97, v93, v95
	v_fmaak_f32 v95, v95, v96, 0x3f2aaada
	v_ldexp_f32 v96, v93, 1
	v_sub_f32_e32 v93, v93, v94
	s_delay_alu instid0(VALU_DEP_3) | instskip(SKIP_1) | instid1(VALU_DEP_2)
	v_mul_f32_e32 v95, v97, v95
	v_mul_f32_e32 v97, 0x3f317218, v12
	v_dual_sub_f32 v13, v13, v93 :: v_dual_add_f32 v94, v96, v95
	s_delay_alu instid0(VALU_DEP_1) | instskip(NEXT) | instid1(VALU_DEP_2)
	v_ldexp_f32 v13, v13, 1
	v_sub_f32_e32 v93, v94, v96
	s_delay_alu instid0(VALU_DEP_4) | instskip(NEXT) | instid1(VALU_DEP_1)
	v_fma_f32 v96, 0x3f317218, v12, -v97
	v_dual_sub_f32 v93, v95, v93 :: v_dual_fmac_f32 v96, 0xb102e308, v12
	s_delay_alu instid0(VALU_DEP_1) | instskip(NEXT) | instid1(VALU_DEP_2)
	v_add_f32_e32 v12, v13, v93
	v_add_f32_e32 v13, v97, v96
	s_delay_alu instid0(VALU_DEP_2) | instskip(NEXT) | instid1(VALU_DEP_2)
	v_add_f32_e32 v93, v94, v12
	v_sub_f32_e32 v97, v13, v97
	s_delay_alu instid0(VALU_DEP_2) | instskip(SKIP_1) | instid1(VALU_DEP_3)
	v_add_f32_e32 v95, v13, v93
	v_sub_f32_e32 v94, v93, v94
	v_sub_f32_e32 v96, v96, v97
	s_delay_alu instid0(VALU_DEP_3) | instskip(NEXT) | instid1(VALU_DEP_3)
	v_sub_f32_e32 v98, v95, v13
	v_sub_f32_e32 v12, v12, v94
	s_delay_alu instid0(VALU_DEP_2) | instskip(NEXT) | instid1(VALU_DEP_2)
	v_sub_f32_e32 v99, v95, v98
	v_dual_sub_f32 v93, v93, v98 :: v_dual_add_f32 v94, v96, v12
	s_delay_alu instid0(VALU_DEP_2) | instskip(NEXT) | instid1(VALU_DEP_1)
	v_sub_f32_e32 v13, v13, v99
	v_add_f32_e32 v13, v93, v13
	s_delay_alu instid0(VALU_DEP_3) | instskip(NEXT) | instid1(VALU_DEP_2)
	v_sub_f32_e32 v93, v94, v96
	v_add_f32_e32 v13, v94, v13
	s_delay_alu instid0(VALU_DEP_2) | instskip(SKIP_1) | instid1(VALU_DEP_1)
	v_sub_f32_e32 v12, v12, v93
	v_sub_f32_e32 v94, v94, v93
	v_dual_add_f32 v97, v95, v13 :: v_dual_sub_f32 v94, v96, v94
	s_delay_alu instid0(VALU_DEP_1) | instskip(NEXT) | instid1(VALU_DEP_1)
	v_dual_sub_f32 v93, v97, v95 :: v_dual_add_f32 v12, v12, v94
	v_sub_f32_e32 v13, v13, v93
	s_delay_alu instid0(VALU_DEP_1) | instskip(NEXT) | instid1(VALU_DEP_1)
	v_add_f32_e32 v12, v12, v13
	v_add_f32_e32 v12, v97, v12
	s_delay_alu instid0(VALU_DEP_1)
	v_cndmask_b32_e32 v93, v12, v17, vcc_lo
.LBB50_82:                              ;   in Loop: Header=BB50_12 Depth=1
	s_or_b32 exec_lo, exec_lo, s29
	v_lshlrev_b32_e32 v12, 16, v14
	s_delay_alu instid0(VALU_DEP_1) | instskip(NEXT) | instid1(VALU_DEP_1)
	v_add_f32_e32 v94, s66, v12
	v_cmp_ge_f32_e32 vcc_lo, 0x41a00000, v94
	s_and_b32 s28, s79, vcc_lo
	s_delay_alu instid0(SALU_CYCLE_1)
	s_and_saveexec_b32 s29, s28
	s_cbranch_execz .LBB50_84
; %bb.83:                               ;   in Loop: Header=BB50_12 Depth=1
	v_mul_f32_e32 v12, 0x3fb8aa3b, v94
	v_cmp_ngt_f32_e32 vcc_lo, 0xc2ce8ed0, v94
	s_delay_alu instid0(VALU_DEP_2) | instskip(SKIP_1) | instid1(VALU_DEP_1)
	v_rndne_f32_e32 v13, v12
	v_fma_f32 v17, 0x3fb8aa3b, v94, -v12
	v_dual_sub_f32 v12, v12, v13 :: v_dual_fmac_f32 v17, 0x32a5705f, v94
	v_cvt_i32_f32_e32 v13, v13
	s_delay_alu instid0(VALU_DEP_2) | instskip(NEXT) | instid1(VALU_DEP_1)
	v_add_f32_e32 v12, v12, v17
	v_exp_f32_e32 v12, v12
	s_waitcnt_depctr 0xfff
	v_ldexp_f32 v12, v12, v13
	s_delay_alu instid0(VALU_DEP_1) | instskip(SKIP_1) | instid1(VALU_DEP_2)
	v_cndmask_b32_e32 v12, 0, v12, vcc_lo
	v_cmp_nlt_f32_e32 vcc_lo, 0x42b17218, v94
	v_cndmask_b32_e32 v17, 0x7f800000, v12, vcc_lo
	s_delay_alu instid0(VALU_DEP_1) | instskip(NEXT) | instid1(VALU_DEP_1)
	v_add_f32_e32 v94, 1.0, v17
	v_cvt_f64_f32_e32 v[12:13], v94
	s_delay_alu instid0(VALU_DEP_1) | instskip(SKIP_1) | instid1(VALU_DEP_1)
	v_frexp_exp_i32_f64_e32 v12, v[12:13]
	v_frexp_mant_f32_e32 v13, v94
	v_cmp_gt_f32_e32 vcc_lo, 0x3f2aaaab, v13
	v_add_f32_e32 v13, -1.0, v94
	s_delay_alu instid0(VALU_DEP_1) | instskip(SKIP_2) | instid1(VALU_DEP_3)
	v_sub_f32_e32 v96, v13, v94
	v_sub_f32_e32 v13, v17, v13
	v_cmp_gt_f32_e64 s28, 0x33800000, v17
	v_add_f32_e32 v96, 1.0, v96
	s_delay_alu instid0(VALU_DEP_1) | instskip(SKIP_2) | instid1(VALU_DEP_2)
	v_add_f32_e32 v13, v13, v96
	v_subrev_co_ci_u32_e32 v12, vcc_lo, 0, v12, vcc_lo
	v_cmp_eq_f32_e32 vcc_lo, 0x7f800000, v17
	v_sub_nc_u32_e32 v95, 0, v12
	v_cvt_f32_i32_e32 v12, v12
	s_or_b32 vcc_lo, s28, vcc_lo
	s_delay_alu instid0(VALU_DEP_2) | instskip(SKIP_1) | instid1(VALU_DEP_2)
	v_ldexp_f32 v94, v94, v95
	v_ldexp_f32 v13, v13, v95
	v_add_f32_e32 v95, -1.0, v94
	s_delay_alu instid0(VALU_DEP_1) | instskip(NEXT) | instid1(VALU_DEP_1)
	v_dual_add_f32 v97, 1.0, v94 :: v_dual_add_f32 v98, 1.0, v95
	v_add_f32_e32 v96, -1.0, v97
	s_delay_alu instid0(VALU_DEP_1) | instskip(NEXT) | instid1(VALU_DEP_3)
	v_sub_f32_e32 v96, v94, v96
	v_sub_f32_e32 v94, v94, v98
	s_delay_alu instid0(VALU_DEP_2) | instskip(NEXT) | instid1(VALU_DEP_2)
	v_add_f32_e32 v96, v13, v96
	v_add_f32_e32 v13, v13, v94
	s_delay_alu instid0(VALU_DEP_1) | instskip(NEXT) | instid1(VALU_DEP_1)
	v_dual_add_f32 v99, v95, v13 :: v_dual_add_f32 v98, v97, v96
	v_sub_f32_e32 v95, v95, v99
	s_delay_alu instid0(VALU_DEP_2) | instskip(SKIP_1) | instid1(VALU_DEP_1)
	v_rcp_f32_e32 v94, v98
	v_sub_f32_e32 v97, v97, v98
	v_dual_add_f32 v13, v13, v95 :: v_dual_add_f32 v96, v96, v97
	s_waitcnt_depctr 0xfff
	v_mul_f32_e32 v100, v99, v94
	s_delay_alu instid0(VALU_DEP_1) | instskip(NEXT) | instid1(VALU_DEP_1)
	v_mul_f32_e32 v101, v98, v100
	v_fma_f32 v97, v100, v98, -v101
	s_delay_alu instid0(VALU_DEP_1) | instskip(NEXT) | instid1(VALU_DEP_1)
	v_fmac_f32_e32 v97, v100, v96
	v_add_f32_e32 v102, v101, v97
	s_delay_alu instid0(VALU_DEP_1) | instskip(SKIP_1) | instid1(VALU_DEP_2)
	v_sub_f32_e32 v103, v99, v102
	v_sub_f32_e32 v95, v102, v101
	;; [unrolled: 1-line block ×3, first 2 shown]
	s_delay_alu instid0(VALU_DEP_2) | instskip(NEXT) | instid1(VALU_DEP_2)
	v_sub_f32_e32 v95, v95, v97
	v_sub_f32_e32 v99, v99, v102
	s_delay_alu instid0(VALU_DEP_1) | instskip(NEXT) | instid1(VALU_DEP_1)
	v_add_f32_e32 v13, v13, v99
	v_add_f32_e32 v13, v95, v13
	s_delay_alu instid0(VALU_DEP_1) | instskip(NEXT) | instid1(VALU_DEP_1)
	v_add_f32_e32 v95, v103, v13
	v_mul_f32_e32 v97, v94, v95
	s_delay_alu instid0(VALU_DEP_1) | instskip(NEXT) | instid1(VALU_DEP_1)
	v_dual_sub_f32 v102, v103, v95 :: v_dual_mul_f32 v99, v98, v97
	v_add_f32_e32 v13, v13, v102
	s_delay_alu instid0(VALU_DEP_2) | instskip(NEXT) | instid1(VALU_DEP_1)
	v_fma_f32 v98, v97, v98, -v99
	v_fmac_f32_e32 v98, v97, v96
	s_delay_alu instid0(VALU_DEP_1) | instskip(NEXT) | instid1(VALU_DEP_1)
	v_add_f32_e32 v96, v99, v98
	v_sub_f32_e32 v101, v95, v96
	s_delay_alu instid0(VALU_DEP_1) | instskip(NEXT) | instid1(VALU_DEP_1)
	v_sub_f32_e32 v95, v95, v101
	v_sub_f32_e32 v95, v95, v96
	s_delay_alu instid0(VALU_DEP_1) | instskip(SKIP_2) | instid1(VALU_DEP_1)
	v_add_f32_e32 v13, v13, v95
	v_add_f32_e32 v95, v100, v97
	v_sub_f32_e32 v99, v96, v99
	v_sub_f32_e32 v96, v99, v98
	s_delay_alu instid0(VALU_DEP_1) | instskip(NEXT) | instid1(VALU_DEP_1)
	v_dual_add_f32 v13, v96, v13 :: v_dual_sub_f32 v96, v95, v100
	v_add_f32_e32 v13, v101, v13
	s_delay_alu instid0(VALU_DEP_1) | instskip(NEXT) | instid1(VALU_DEP_1)
	v_dual_sub_f32 v96, v97, v96 :: v_dual_mul_f32 v13, v94, v13
	v_add_f32_e32 v13, v96, v13
	s_delay_alu instid0(VALU_DEP_1) | instskip(NEXT) | instid1(VALU_DEP_1)
	v_add_f32_e32 v94, v95, v13
	v_mul_f32_e32 v96, v94, v94
	s_delay_alu instid0(VALU_DEP_1) | instskip(SKIP_1) | instid1(VALU_DEP_2)
	v_fmaak_f32 v97, s83, v96, 0x3ecc95a3
	v_mul_f32_e32 v98, v94, v96
	v_fmaak_f32 v96, v96, v97, 0x3f2aaada
	v_ldexp_f32 v97, v94, 1
	v_sub_f32_e32 v94, v94, v95
	s_delay_alu instid0(VALU_DEP_3) | instskip(NEXT) | instid1(VALU_DEP_2)
	v_mul_f32_e32 v96, v98, v96
	v_dual_mul_f32 v98, 0x3f317218, v12 :: v_dual_sub_f32 v13, v13, v94
	s_delay_alu instid0(VALU_DEP_2) | instskip(NEXT) | instid1(VALU_DEP_2)
	v_add_f32_e32 v95, v97, v96
	v_ldexp_f32 v13, v13, 1
	s_delay_alu instid0(VALU_DEP_2) | instskip(NEXT) | instid1(VALU_DEP_4)
	v_sub_f32_e32 v94, v95, v97
	v_fma_f32 v97, 0x3f317218, v12, -v98
	s_delay_alu instid0(VALU_DEP_1) | instskip(NEXT) | instid1(VALU_DEP_1)
	v_dual_sub_f32 v94, v96, v94 :: v_dual_fmac_f32 v97, 0xb102e308, v12
	v_add_f32_e32 v12, v13, v94
	s_delay_alu instid0(VALU_DEP_1) | instskip(NEXT) | instid1(VALU_DEP_1)
	v_add_f32_e32 v94, v95, v12
	v_sub_f32_e32 v95, v94, v95
	s_delay_alu instid0(VALU_DEP_1) | instskip(NEXT) | instid1(VALU_DEP_1)
	v_dual_sub_f32 v12, v12, v95 :: v_dual_add_f32 v13, v98, v97
	v_add_f32_e32 v96, v13, v94
	s_delay_alu instid0(VALU_DEP_1) | instskip(NEXT) | instid1(VALU_DEP_1)
	v_dual_sub_f32 v98, v13, v98 :: v_dual_sub_f32 v99, v96, v13
	v_dual_sub_f32 v97, v97, v98 :: v_dual_sub_f32 v100, v96, v99
	s_delay_alu instid0(VALU_DEP_1) | instskip(NEXT) | instid1(VALU_DEP_2)
	v_dual_sub_f32 v94, v94, v99 :: v_dual_add_f32 v95, v97, v12
	v_sub_f32_e32 v13, v13, v100
	s_delay_alu instid0(VALU_DEP_1) | instskip(NEXT) | instid1(VALU_DEP_3)
	v_add_f32_e32 v13, v94, v13
	v_sub_f32_e32 v94, v95, v97
	s_delay_alu instid0(VALU_DEP_2) | instskip(NEXT) | instid1(VALU_DEP_2)
	v_add_f32_e32 v13, v95, v13
	v_sub_f32_e32 v95, v95, v94
	v_sub_f32_e32 v12, v12, v94
	s_delay_alu instid0(VALU_DEP_2) | instskip(NEXT) | instid1(VALU_DEP_1)
	v_dual_add_f32 v98, v96, v13 :: v_dual_sub_f32 v95, v97, v95
	v_sub_f32_e32 v94, v98, v96
	s_delay_alu instid0(VALU_DEP_1) | instskip(NEXT) | instid1(VALU_DEP_1)
	v_dual_add_f32 v12, v12, v95 :: v_dual_sub_f32 v13, v13, v94
	v_add_f32_e32 v12, v12, v13
	s_delay_alu instid0(VALU_DEP_1) | instskip(NEXT) | instid1(VALU_DEP_1)
	v_add_f32_e32 v12, v98, v12
	v_cndmask_b32_e32 v94, v12, v17, vcc_lo
.LBB50_84:                              ;   in Loop: Header=BB50_12 Depth=1
	s_or_b32 exec_lo, exec_lo, s29
	v_and_b32_e32 v12, 0xffff0000, v14
	s_delay_alu instid0(VALU_DEP_1) | instskip(NEXT) | instid1(VALU_DEP_1)
	v_add_f32_e32 v95, s66, v12
	v_cmp_ge_f32_e32 vcc_lo, 0x41a00000, v95
	s_and_b32 s28, s79, vcc_lo
	s_delay_alu instid0(SALU_CYCLE_1)
	s_and_saveexec_b32 s29, s28
	s_cbranch_execz .LBB50_86
; %bb.85:                               ;   in Loop: Header=BB50_12 Depth=1
	v_mul_f32_e32 v12, 0x3fb8aa3b, v95
	v_cmp_ngt_f32_e32 vcc_lo, 0xc2ce8ed0, v95
	s_delay_alu instid0(VALU_DEP_2) | instskip(SKIP_1) | instid1(VALU_DEP_2)
	v_rndne_f32_e32 v13, v12
	v_fma_f32 v14, 0x3fb8aa3b, v95, -v12
	v_sub_f32_e32 v12, v12, v13
	s_delay_alu instid0(VALU_DEP_2) | instskip(SKIP_1) | instid1(VALU_DEP_2)
	v_fmac_f32_e32 v14, 0x32a5705f, v95
	v_cvt_i32_f32_e32 v13, v13
	v_add_f32_e32 v12, v12, v14
	s_delay_alu instid0(VALU_DEP_1) | instskip(SKIP_2) | instid1(VALU_DEP_1)
	v_exp_f32_e32 v12, v12
	s_waitcnt_depctr 0xfff
	v_ldexp_f32 v12, v12, v13
	v_cndmask_b32_e32 v12, 0, v12, vcc_lo
	v_cmp_nlt_f32_e32 vcc_lo, 0x42b17218, v95
	s_delay_alu instid0(VALU_DEP_2) | instskip(NEXT) | instid1(VALU_DEP_1)
	v_cndmask_b32_e32 v14, 0x7f800000, v12, vcc_lo
	v_add_f32_e32 v17, 1.0, v14
	s_delay_alu instid0(VALU_DEP_1) | instskip(NEXT) | instid1(VALU_DEP_1)
	v_cvt_f64_f32_e32 v[12:13], v17
	v_frexp_exp_i32_f64_e32 v12, v[12:13]
	v_frexp_mant_f32_e32 v13, v17
	s_delay_alu instid0(VALU_DEP_1) | instskip(SKIP_1) | instid1(VALU_DEP_1)
	v_cmp_gt_f32_e32 vcc_lo, 0x3f2aaaab, v13
	v_add_f32_e32 v13, -1.0, v17
	v_sub_f32_e32 v96, v13, v17
	v_sub_f32_e32 v13, v14, v13
	v_subrev_co_ci_u32_e32 v12, vcc_lo, 0, v12, vcc_lo
	s_delay_alu instid0(VALU_DEP_1) | instskip(SKIP_1) | instid1(VALU_DEP_2)
	v_sub_nc_u32_e32 v95, 0, v12
	v_cvt_f32_i32_e32 v12, v12
	v_ldexp_f32 v17, v17, v95
	s_delay_alu instid0(VALU_DEP_1) | instskip(NEXT) | instid1(VALU_DEP_1)
	v_dual_add_f32 v96, 1.0, v96 :: v_dual_add_f32 v97, 1.0, v17
	v_dual_add_f32 v13, v13, v96 :: v_dual_add_f32 v96, -1.0, v97
	s_delay_alu instid0(VALU_DEP_1) | instskip(SKIP_4) | instid1(VALU_DEP_4)
	v_ldexp_f32 v13, v13, v95
	v_add_f32_e32 v95, -1.0, v17
	v_cmp_eq_f32_e32 vcc_lo, 0x7f800000, v14
	v_cmp_gt_f32_e64 s28, 0x33800000, v14
	v_sub_f32_e32 v96, v17, v96
	v_add_f32_e32 v98, 1.0, v95
	s_delay_alu instid0(VALU_DEP_3) | instskip(NEXT) | instid1(VALU_DEP_2)
	s_or_b32 vcc_lo, s28, vcc_lo
	v_add_f32_e32 v96, v13, v96
	s_delay_alu instid0(VALU_DEP_2) | instskip(NEXT) | instid1(VALU_DEP_1)
	v_sub_f32_e32 v17, v17, v98
	v_add_f32_e32 v13, v13, v17
	s_delay_alu instid0(VALU_DEP_1) | instskip(NEXT) | instid1(VALU_DEP_1)
	v_dual_add_f32 v99, v95, v13 :: v_dual_add_f32 v98, v97, v96
	v_sub_f32_e32 v95, v95, v99
	s_delay_alu instid0(VALU_DEP_2) | instskip(SKIP_1) | instid1(VALU_DEP_1)
	v_rcp_f32_e32 v17, v98
	v_sub_f32_e32 v97, v97, v98
	v_dual_add_f32 v13, v13, v95 :: v_dual_add_f32 v96, v96, v97
	s_waitcnt_depctr 0xfff
	v_mul_f32_e32 v100, v99, v17
	s_delay_alu instid0(VALU_DEP_1) | instskip(NEXT) | instid1(VALU_DEP_1)
	v_mul_f32_e32 v101, v98, v100
	v_fma_f32 v97, v100, v98, -v101
	s_delay_alu instid0(VALU_DEP_1) | instskip(NEXT) | instid1(VALU_DEP_1)
	v_fmac_f32_e32 v97, v100, v96
	v_add_f32_e32 v102, v101, v97
	s_delay_alu instid0(VALU_DEP_1) | instskip(NEXT) | instid1(VALU_DEP_1)
	v_sub_f32_e32 v103, v99, v102
	v_sub_f32_e32 v99, v99, v103
	;; [unrolled: 1-line block ×3, first 2 shown]
	s_delay_alu instid0(VALU_DEP_2) | instskip(NEXT) | instid1(VALU_DEP_2)
	v_sub_f32_e32 v99, v99, v102
	v_sub_f32_e32 v95, v95, v97
	s_delay_alu instid0(VALU_DEP_2) | instskip(NEXT) | instid1(VALU_DEP_1)
	v_add_f32_e32 v13, v13, v99
	v_add_f32_e32 v13, v95, v13
	s_delay_alu instid0(VALU_DEP_1) | instskip(NEXT) | instid1(VALU_DEP_1)
	v_add_f32_e32 v95, v103, v13
	v_mul_f32_e32 v97, v17, v95
	s_delay_alu instid0(VALU_DEP_1) | instskip(NEXT) | instid1(VALU_DEP_1)
	v_dual_sub_f32 v102, v103, v95 :: v_dual_mul_f32 v99, v98, v97
	v_add_f32_e32 v13, v13, v102
	s_delay_alu instid0(VALU_DEP_2) | instskip(NEXT) | instid1(VALU_DEP_1)
	v_fma_f32 v98, v97, v98, -v99
	v_fmac_f32_e32 v98, v97, v96
	s_delay_alu instid0(VALU_DEP_1) | instskip(NEXT) | instid1(VALU_DEP_1)
	v_add_f32_e32 v96, v99, v98
	v_sub_f32_e32 v101, v95, v96
	v_sub_f32_e32 v99, v96, v99
	s_delay_alu instid0(VALU_DEP_2) | instskip(NEXT) | instid1(VALU_DEP_1)
	v_sub_f32_e32 v95, v95, v101
	v_sub_f32_e32 v95, v95, v96
	s_delay_alu instid0(VALU_DEP_1) | instskip(SKIP_1) | instid1(VALU_DEP_1)
	v_dual_sub_f32 v96, v99, v98 :: v_dual_add_f32 v13, v13, v95
	v_add_f32_e32 v95, v100, v97
	v_dual_add_f32 v13, v96, v13 :: v_dual_sub_f32 v96, v95, v100
	s_delay_alu instid0(VALU_DEP_1) | instskip(NEXT) | instid1(VALU_DEP_2)
	v_add_f32_e32 v13, v101, v13
	v_sub_f32_e32 v96, v97, v96
	s_delay_alu instid0(VALU_DEP_2) | instskip(NEXT) | instid1(VALU_DEP_1)
	v_mul_f32_e32 v13, v17, v13
	v_add_f32_e32 v13, v96, v13
	s_delay_alu instid0(VALU_DEP_1) | instskip(NEXT) | instid1(VALU_DEP_1)
	v_add_f32_e32 v17, v95, v13
	v_mul_f32_e32 v96, v17, v17
	s_delay_alu instid0(VALU_DEP_1) | instskip(SKIP_1) | instid1(VALU_DEP_2)
	v_fmaak_f32 v97, s83, v96, 0x3ecc95a3
	v_mul_f32_e32 v98, v17, v96
	v_fmaak_f32 v96, v96, v97, 0x3f2aaada
	v_ldexp_f32 v97, v17, 1
	s_delay_alu instid0(VALU_DEP_2) | instskip(NEXT) | instid1(VALU_DEP_1)
	v_dual_sub_f32 v17, v17, v95 :: v_dual_mul_f32 v96, v98, v96
	v_dual_mul_f32 v98, 0x3f317218, v12 :: v_dual_sub_f32 v13, v13, v17
	s_delay_alu instid0(VALU_DEP_2) | instskip(NEXT) | instid1(VALU_DEP_2)
	v_add_f32_e32 v95, v97, v96
	v_ldexp_f32 v13, v13, 1
	s_delay_alu instid0(VALU_DEP_2) | instskip(NEXT) | instid1(VALU_DEP_4)
	v_sub_f32_e32 v17, v95, v97
	v_fma_f32 v97, 0x3f317218, v12, -v98
	s_delay_alu instid0(VALU_DEP_2) | instskip(NEXT) | instid1(VALU_DEP_1)
	v_sub_f32_e32 v17, v96, v17
	v_dual_fmac_f32 v97, 0xb102e308, v12 :: v_dual_add_f32 v12, v13, v17
	s_delay_alu instid0(VALU_DEP_1) | instskip(NEXT) | instid1(VALU_DEP_1)
	v_add_f32_e32 v13, v98, v97
	v_dual_add_f32 v17, v95, v12 :: v_dual_sub_f32 v98, v13, v98
	s_delay_alu instid0(VALU_DEP_1) | instskip(SKIP_1) | instid1(VALU_DEP_3)
	v_add_f32_e32 v96, v13, v17
	v_sub_f32_e32 v95, v17, v95
	v_sub_f32_e32 v97, v97, v98
	s_delay_alu instid0(VALU_DEP_3) | instskip(NEXT) | instid1(VALU_DEP_3)
	v_sub_f32_e32 v99, v96, v13
	v_sub_f32_e32 v12, v12, v95
	s_delay_alu instid0(VALU_DEP_2) | instskip(SKIP_1) | instid1(VALU_DEP_3)
	v_sub_f32_e32 v100, v96, v99
	v_sub_f32_e32 v17, v17, v99
	v_add_f32_e32 v95, v97, v12
	s_delay_alu instid0(VALU_DEP_3) | instskip(NEXT) | instid1(VALU_DEP_1)
	v_sub_f32_e32 v13, v13, v100
	v_add_f32_e32 v13, v17, v13
	s_delay_alu instid0(VALU_DEP_3) | instskip(NEXT) | instid1(VALU_DEP_2)
	v_sub_f32_e32 v17, v95, v97
	v_add_f32_e32 v13, v95, v13
	s_delay_alu instid0(VALU_DEP_2) | instskip(SKIP_1) | instid1(VALU_DEP_2)
	v_sub_f32_e32 v95, v95, v17
	v_sub_f32_e32 v12, v12, v17
	v_dual_add_f32 v98, v96, v13 :: v_dual_sub_f32 v95, v97, v95
	s_delay_alu instid0(VALU_DEP_1) | instskip(NEXT) | instid1(VALU_DEP_1)
	v_dual_sub_f32 v17, v98, v96 :: v_dual_add_f32 v12, v12, v95
	v_sub_f32_e32 v13, v13, v17
	s_delay_alu instid0(VALU_DEP_1) | instskip(NEXT) | instid1(VALU_DEP_1)
	v_add_f32_e32 v12, v12, v13
	v_add_f32_e32 v12, v98, v12
	s_delay_alu instid0(VALU_DEP_1)
	v_cndmask_b32_e32 v95, v12, v14, vcc_lo
.LBB50_86:                              ;   in Loop: Header=BB50_12 Depth=1
	s_or_b32 exec_lo, exec_lo, s29
	v_lshlrev_b32_e32 v12, 16, v15
	s_delay_alu instid0(VALU_DEP_1) | instskip(NEXT) | instid1(VALU_DEP_1)
	v_add_f32_e32 v96, s66, v12
	v_cmp_ge_f32_e32 vcc_lo, 0x41a00000, v96
	s_and_b32 s28, s79, vcc_lo
	s_delay_alu instid0(SALU_CYCLE_1)
	s_and_saveexec_b32 s29, s28
	s_cbranch_execz .LBB50_88
; %bb.87:                               ;   in Loop: Header=BB50_12 Depth=1
	v_mul_f32_e32 v12, 0x3fb8aa3b, v96
	v_cmp_ngt_f32_e32 vcc_lo, 0xc2ce8ed0, v96
	s_delay_alu instid0(VALU_DEP_2) | instskip(SKIP_1) | instid1(VALU_DEP_2)
	v_rndne_f32_e32 v13, v12
	v_fma_f32 v14, 0x3fb8aa3b, v96, -v12
	v_sub_f32_e32 v12, v12, v13
	s_delay_alu instid0(VALU_DEP_2) | instskip(SKIP_1) | instid1(VALU_DEP_2)
	v_fmac_f32_e32 v14, 0x32a5705f, v96
	v_cvt_i32_f32_e32 v13, v13
	v_add_f32_e32 v12, v12, v14
	s_delay_alu instid0(VALU_DEP_1) | instskip(SKIP_2) | instid1(VALU_DEP_1)
	v_exp_f32_e32 v12, v12
	s_waitcnt_depctr 0xfff
	v_ldexp_f32 v12, v12, v13
	v_cndmask_b32_e32 v12, 0, v12, vcc_lo
	v_cmp_nlt_f32_e32 vcc_lo, 0x42b17218, v96
	s_delay_alu instid0(VALU_DEP_2) | instskip(NEXT) | instid1(VALU_DEP_1)
	v_cndmask_b32_e32 v14, 0x7f800000, v12, vcc_lo
	v_add_f32_e32 v17, 1.0, v14
	s_delay_alu instid0(VALU_DEP_1) | instskip(NEXT) | instid1(VALU_DEP_1)
	v_cvt_f64_f32_e32 v[12:13], v17
	v_frexp_exp_i32_f64_e32 v12, v[12:13]
	v_frexp_mant_f32_e32 v13, v17
	s_delay_alu instid0(VALU_DEP_1) | instskip(SKIP_1) | instid1(VALU_DEP_1)
	v_cmp_gt_f32_e32 vcc_lo, 0x3f2aaaab, v13
	v_add_f32_e32 v13, -1.0, v17
	v_sub_f32_e32 v97, v13, v17
	s_delay_alu instid0(VALU_DEP_1) | instskip(SKIP_2) | instid1(VALU_DEP_2)
	v_add_f32_e32 v97, 1.0, v97
	v_sub_f32_e32 v13, v14, v13
	v_cmp_gt_f32_e64 s28, 0x33800000, v14
	v_add_f32_e32 v13, v13, v97
	v_subrev_co_ci_u32_e32 v12, vcc_lo, 0, v12, vcc_lo
	v_cmp_eq_f32_e32 vcc_lo, 0x7f800000, v14
	s_delay_alu instid0(VALU_DEP_2) | instskip(SKIP_2) | instid1(VALU_DEP_2)
	v_sub_nc_u32_e32 v96, 0, v12
	v_cvt_f32_i32_e32 v12, v12
	s_or_b32 vcc_lo, s28, vcc_lo
	v_ldexp_f32 v17, v17, v96
	v_ldexp_f32 v13, v13, v96
	s_delay_alu instid0(VALU_DEP_2) | instskip(NEXT) | instid1(VALU_DEP_1)
	v_add_f32_e32 v96, -1.0, v17
	v_dual_add_f32 v98, 1.0, v17 :: v_dual_add_f32 v99, 1.0, v96
	s_delay_alu instid0(VALU_DEP_1) | instskip(NEXT) | instid1(VALU_DEP_1)
	v_add_f32_e32 v97, -1.0, v98
	v_sub_f32_e32 v97, v17, v97
	s_delay_alu instid0(VALU_DEP_3) | instskip(NEXT) | instid1(VALU_DEP_2)
	v_sub_f32_e32 v17, v17, v99
	v_add_f32_e32 v97, v13, v97
	s_delay_alu instid0(VALU_DEP_2) | instskip(NEXT) | instid1(VALU_DEP_1)
	v_add_f32_e32 v13, v13, v17
	v_add_f32_e32 v100, v96, v13
	s_delay_alu instid0(VALU_DEP_1) | instskip(NEXT) | instid1(VALU_DEP_1)
	v_dual_sub_f32 v96, v96, v100 :: v_dual_add_f32 v99, v98, v97
	v_add_f32_e32 v13, v13, v96
	s_delay_alu instid0(VALU_DEP_2) | instskip(SKIP_1) | instid1(VALU_DEP_1)
	v_rcp_f32_e32 v17, v99
	v_sub_f32_e32 v98, v98, v99
	v_add_f32_e32 v97, v97, v98
	s_waitcnt_depctr 0xfff
	v_mul_f32_e32 v101, v100, v17
	s_delay_alu instid0(VALU_DEP_1) | instskip(NEXT) | instid1(VALU_DEP_1)
	v_mul_f32_e32 v102, v99, v101
	v_fma_f32 v98, v101, v99, -v102
	s_delay_alu instid0(VALU_DEP_1) | instskip(NEXT) | instid1(VALU_DEP_1)
	v_fmac_f32_e32 v98, v101, v97
	v_add_f32_e32 v103, v102, v98
	s_delay_alu instid0(VALU_DEP_1) | instskip(SKIP_1) | instid1(VALU_DEP_2)
	v_sub_f32_e32 v104, v100, v103
	v_sub_f32_e32 v96, v103, v102
	;; [unrolled: 1-line block ×3, first 2 shown]
	s_delay_alu instid0(VALU_DEP_1) | instskip(NEXT) | instid1(VALU_DEP_1)
	v_sub_f32_e32 v100, v100, v103
	v_dual_sub_f32 v96, v96, v98 :: v_dual_add_f32 v13, v13, v100
	s_delay_alu instid0(VALU_DEP_1) | instskip(NEXT) | instid1(VALU_DEP_1)
	v_add_f32_e32 v13, v96, v13
	v_add_f32_e32 v96, v104, v13
	s_delay_alu instid0(VALU_DEP_1) | instskip(NEXT) | instid1(VALU_DEP_1)
	v_mul_f32_e32 v98, v17, v96
	v_dual_sub_f32 v103, v104, v96 :: v_dual_mul_f32 v100, v99, v98
	s_delay_alu instid0(VALU_DEP_1) | instskip(NEXT) | instid1(VALU_DEP_2)
	v_add_f32_e32 v13, v13, v103
	v_fma_f32 v99, v98, v99, -v100
	s_delay_alu instid0(VALU_DEP_1) | instskip(NEXT) | instid1(VALU_DEP_1)
	v_fmac_f32_e32 v99, v98, v97
	v_add_f32_e32 v97, v100, v99
	s_delay_alu instid0(VALU_DEP_1) | instskip(NEXT) | instid1(VALU_DEP_1)
	v_sub_f32_e32 v102, v96, v97
	v_sub_f32_e32 v96, v96, v102
	s_delay_alu instid0(VALU_DEP_1) | instskip(NEXT) | instid1(VALU_DEP_1)
	v_sub_f32_e32 v96, v96, v97
	v_add_f32_e32 v13, v13, v96
	v_add_f32_e32 v96, v101, v98
	v_sub_f32_e32 v100, v97, v100
	s_delay_alu instid0(VALU_DEP_1) | instskip(NEXT) | instid1(VALU_DEP_1)
	v_sub_f32_e32 v97, v100, v99
	v_add_f32_e32 v13, v97, v13
	s_delay_alu instid0(VALU_DEP_4) | instskip(NEXT) | instid1(VALU_DEP_2)
	v_sub_f32_e32 v97, v96, v101
	v_add_f32_e32 v13, v102, v13
	s_delay_alu instid0(VALU_DEP_2) | instskip(NEXT) | instid1(VALU_DEP_2)
	v_sub_f32_e32 v97, v98, v97
	v_mul_f32_e32 v13, v17, v13
	s_delay_alu instid0(VALU_DEP_1) | instskip(NEXT) | instid1(VALU_DEP_1)
	v_add_f32_e32 v13, v97, v13
	v_add_f32_e32 v17, v96, v13
	s_delay_alu instid0(VALU_DEP_1) | instskip(NEXT) | instid1(VALU_DEP_1)
	v_mul_f32_e32 v97, v17, v17
	v_fmaak_f32 v98, s83, v97, 0x3ecc95a3
	v_mul_f32_e32 v99, v17, v97
	s_delay_alu instid0(VALU_DEP_2) | instskip(SKIP_1) | instid1(VALU_DEP_2)
	v_fmaak_f32 v97, v97, v98, 0x3f2aaada
	v_ldexp_f32 v98, v17, 1
	v_mul_f32_e32 v97, v99, v97
	s_delay_alu instid0(VALU_DEP_1) | instskip(NEXT) | instid1(VALU_DEP_1)
	v_dual_sub_f32 v17, v17, v96 :: v_dual_add_f32 v96, v98, v97
	v_sub_f32_e32 v13, v13, v17
	s_delay_alu instid0(VALU_DEP_2) | instskip(NEXT) | instid1(VALU_DEP_2)
	v_sub_f32_e32 v17, v96, v98
	v_ldexp_f32 v13, v13, 1
	s_delay_alu instid0(VALU_DEP_2) | instskip(SKIP_1) | instid1(VALU_DEP_1)
	v_sub_f32_e32 v17, v97, v17
	v_mul_f32_e32 v99, 0x3f317218, v12
	v_fma_f32 v98, 0x3f317218, v12, -v99
	s_delay_alu instid0(VALU_DEP_1) | instskip(NEXT) | instid1(VALU_DEP_1)
	v_fmac_f32_e32 v98, 0xb102e308, v12
	v_dual_add_f32 v12, v13, v17 :: v_dual_add_f32 v13, v99, v98
	s_delay_alu instid0(VALU_DEP_1) | instskip(NEXT) | instid1(VALU_DEP_1)
	v_add_f32_e32 v17, v96, v12
	v_add_f32_e32 v97, v13, v17
	v_sub_f32_e32 v96, v17, v96
	s_delay_alu instid0(VALU_DEP_2) | instskip(NEXT) | instid1(VALU_DEP_2)
	v_sub_f32_e32 v100, v97, v13
	v_dual_sub_f32 v12, v12, v96 :: v_dual_sub_f32 v99, v13, v99
	s_delay_alu instid0(VALU_DEP_2) | instskip(NEXT) | instid1(VALU_DEP_2)
	v_sub_f32_e32 v101, v97, v100
	v_dual_sub_f32 v17, v17, v100 :: v_dual_sub_f32 v98, v98, v99
	s_delay_alu instid0(VALU_DEP_1) | instskip(NEXT) | instid1(VALU_DEP_1)
	v_dual_sub_f32 v13, v13, v101 :: v_dual_add_f32 v96, v98, v12
	v_add_f32_e32 v13, v17, v13
	s_delay_alu instid0(VALU_DEP_2) | instskip(NEXT) | instid1(VALU_DEP_2)
	v_sub_f32_e32 v17, v96, v98
	v_add_f32_e32 v13, v96, v13
	s_delay_alu instid0(VALU_DEP_2) | instskip(SKIP_1) | instid1(VALU_DEP_2)
	v_sub_f32_e32 v96, v96, v17
	v_sub_f32_e32 v12, v12, v17
	v_dual_add_f32 v99, v97, v13 :: v_dual_sub_f32 v96, v98, v96
	s_delay_alu instid0(VALU_DEP_1) | instskip(NEXT) | instid1(VALU_DEP_1)
	v_dual_sub_f32 v17, v99, v97 :: v_dual_add_f32 v12, v12, v96
	v_sub_f32_e32 v13, v13, v17
	s_delay_alu instid0(VALU_DEP_1) | instskip(NEXT) | instid1(VALU_DEP_1)
	v_add_f32_e32 v12, v12, v13
	v_add_f32_e32 v12, v99, v12
	s_delay_alu instid0(VALU_DEP_1)
	v_cndmask_b32_e32 v96, v12, v14, vcc_lo
.LBB50_88:                              ;   in Loop: Header=BB50_12 Depth=1
	s_or_b32 exec_lo, exec_lo, s29
	v_and_b32_e32 v12, 0xffff0000, v15
	s_delay_alu instid0(VALU_DEP_1) | instskip(NEXT) | instid1(VALU_DEP_1)
	v_add_f32_e32 v97, s66, v12
	v_cmp_ge_f32_e32 vcc_lo, 0x41a00000, v97
	s_and_b32 s28, s79, vcc_lo
	s_delay_alu instid0(SALU_CYCLE_1)
	s_and_saveexec_b32 s29, s28
	s_cbranch_execz .LBB50_90
; %bb.89:                               ;   in Loop: Header=BB50_12 Depth=1
	v_mul_f32_e32 v12, 0x3fb8aa3b, v97
	v_cmp_ngt_f32_e32 vcc_lo, 0xc2ce8ed0, v97
	s_delay_alu instid0(VALU_DEP_2) | instskip(SKIP_1) | instid1(VALU_DEP_2)
	v_rndne_f32_e32 v13, v12
	v_fma_f32 v14, 0x3fb8aa3b, v97, -v12
	v_sub_f32_e32 v12, v12, v13
	s_delay_alu instid0(VALU_DEP_2) | instskip(SKIP_1) | instid1(VALU_DEP_2)
	v_fmac_f32_e32 v14, 0x32a5705f, v97
	v_cvt_i32_f32_e32 v13, v13
	v_add_f32_e32 v12, v12, v14
	s_delay_alu instid0(VALU_DEP_1) | instskip(SKIP_2) | instid1(VALU_DEP_1)
	v_exp_f32_e32 v12, v12
	s_waitcnt_depctr 0xfff
	v_ldexp_f32 v12, v12, v13
	v_cndmask_b32_e32 v12, 0, v12, vcc_lo
	v_cmp_nlt_f32_e32 vcc_lo, 0x42b17218, v97
	s_delay_alu instid0(VALU_DEP_2) | instskip(NEXT) | instid1(VALU_DEP_1)
	v_cndmask_b32_e32 v14, 0x7f800000, v12, vcc_lo
	v_add_f32_e32 v15, 1.0, v14
	s_delay_alu instid0(VALU_DEP_1) | instskip(NEXT) | instid1(VALU_DEP_1)
	v_cvt_f64_f32_e32 v[12:13], v15
	v_frexp_exp_i32_f64_e32 v12, v[12:13]
	v_frexp_mant_f32_e32 v13, v15
	s_delay_alu instid0(VALU_DEP_1) | instskip(SKIP_1) | instid1(VALU_DEP_1)
	v_cmp_gt_f32_e32 vcc_lo, 0x3f2aaaab, v13
	v_add_f32_e32 v13, -1.0, v15
	v_sub_f32_e32 v97, v13, v15
	v_sub_f32_e32 v13, v14, v13
	s_delay_alu instid0(VALU_DEP_2) | instskip(NEXT) | instid1(VALU_DEP_1)
	v_add_f32_e32 v97, 1.0, v97
	v_add_f32_e32 v13, v13, v97
	v_cmp_gt_f32_e64 s28, 0x33800000, v14
	v_subrev_co_ci_u32_e32 v12, vcc_lo, 0, v12, vcc_lo
	v_cmp_eq_f32_e32 vcc_lo, 0x7f800000, v14
	s_delay_alu instid0(VALU_DEP_2) | instskip(SKIP_2) | instid1(VALU_DEP_2)
	v_sub_nc_u32_e32 v17, 0, v12
	v_cvt_f32_i32_e32 v12, v12
	s_or_b32 vcc_lo, s28, vcc_lo
	v_ldexp_f32 v15, v15, v17
	v_ldexp_f32 v13, v13, v17
	s_delay_alu instid0(VALU_DEP_2) | instskip(SKIP_1) | instid1(VALU_DEP_2)
	v_add_f32_e32 v98, 1.0, v15
	v_add_f32_e32 v17, -1.0, v15
	v_add_f32_e32 v97, -1.0, v98
	s_delay_alu instid0(VALU_DEP_2) | instskip(NEXT) | instid1(VALU_DEP_2)
	v_add_f32_e32 v99, 1.0, v17
	v_sub_f32_e32 v97, v15, v97
	s_delay_alu instid0(VALU_DEP_2) | instskip(NEXT) | instid1(VALU_DEP_2)
	v_sub_f32_e32 v15, v15, v99
	v_add_f32_e32 v97, v13, v97
	s_delay_alu instid0(VALU_DEP_2) | instskip(NEXT) | instid1(VALU_DEP_1)
	v_add_f32_e32 v13, v13, v15
	v_add_f32_e32 v100, v17, v13
	s_delay_alu instid0(VALU_DEP_3) | instskip(NEXT) | instid1(VALU_DEP_1)
	v_add_f32_e32 v99, v98, v97
	v_rcp_f32_e32 v15, v99
	v_sub_f32_e32 v98, v98, v99
	s_delay_alu instid0(VALU_DEP_1) | instskip(SKIP_2) | instid1(VALU_DEP_1)
	v_add_f32_e32 v97, v97, v98
	s_waitcnt_depctr 0xfff
	v_mul_f32_e32 v101, v100, v15
	v_dual_mul_f32 v102, v99, v101 :: v_dual_sub_f32 v17, v17, v100
	s_delay_alu instid0(VALU_DEP_1) | instskip(NEXT) | instid1(VALU_DEP_2)
	v_fma_f32 v98, v101, v99, -v102
	v_add_f32_e32 v13, v13, v17
	s_delay_alu instid0(VALU_DEP_2) | instskip(NEXT) | instid1(VALU_DEP_1)
	v_fmac_f32_e32 v98, v101, v97
	v_add_f32_e32 v103, v102, v98
	s_delay_alu instid0(VALU_DEP_1) | instskip(NEXT) | instid1(VALU_DEP_1)
	v_dual_sub_f32 v104, v100, v103 :: v_dual_sub_f32 v17, v103, v102
	v_dual_sub_f32 v100, v100, v104 :: v_dual_sub_f32 v17, v17, v98
	s_delay_alu instid0(VALU_DEP_1) | instskip(NEXT) | instid1(VALU_DEP_1)
	v_sub_f32_e32 v100, v100, v103
	v_add_f32_e32 v13, v13, v100
	s_delay_alu instid0(VALU_DEP_1) | instskip(NEXT) | instid1(VALU_DEP_1)
	v_add_f32_e32 v13, v17, v13
	v_add_f32_e32 v17, v104, v13
	s_delay_alu instid0(VALU_DEP_1) | instskip(NEXT) | instid1(VALU_DEP_1)
	v_mul_f32_e32 v98, v15, v17
	v_dual_sub_f32 v103, v104, v17 :: v_dual_mul_f32 v100, v99, v98
	s_delay_alu instid0(VALU_DEP_1) | instskip(NEXT) | instid1(VALU_DEP_2)
	v_add_f32_e32 v13, v13, v103
	v_fma_f32 v99, v98, v99, -v100
	s_delay_alu instid0(VALU_DEP_1) | instskip(NEXT) | instid1(VALU_DEP_1)
	v_fmac_f32_e32 v99, v98, v97
	v_add_f32_e32 v97, v100, v99
	s_delay_alu instid0(VALU_DEP_1) | instskip(SKIP_1) | instid1(VALU_DEP_2)
	v_sub_f32_e32 v102, v17, v97
	v_sub_f32_e32 v100, v97, v100
	;; [unrolled: 1-line block ×3, first 2 shown]
	s_delay_alu instid0(VALU_DEP_1) | instskip(NEXT) | instid1(VALU_DEP_3)
	v_sub_f32_e32 v17, v17, v97
	v_sub_f32_e32 v97, v100, v99
	s_delay_alu instid0(VALU_DEP_2) | instskip(SKIP_1) | instid1(VALU_DEP_2)
	v_add_f32_e32 v13, v13, v17
	v_add_f32_e32 v17, v101, v98
	;; [unrolled: 1-line block ×3, first 2 shown]
	s_delay_alu instid0(VALU_DEP_2) | instskip(NEXT) | instid1(VALU_DEP_2)
	v_sub_f32_e32 v97, v17, v101
	v_add_f32_e32 v13, v102, v13
	s_delay_alu instid0(VALU_DEP_2) | instskip(NEXT) | instid1(VALU_DEP_2)
	v_sub_f32_e32 v97, v98, v97
	v_mul_f32_e32 v13, v15, v13
	s_delay_alu instid0(VALU_DEP_1) | instskip(NEXT) | instid1(VALU_DEP_1)
	v_add_f32_e32 v13, v97, v13
	v_add_f32_e32 v15, v17, v13
	s_delay_alu instid0(VALU_DEP_1) | instskip(NEXT) | instid1(VALU_DEP_1)
	v_mul_f32_e32 v97, v15, v15
	v_fmaak_f32 v98, s83, v97, 0x3ecc95a3
	v_mul_f32_e32 v99, v15, v97
	s_delay_alu instid0(VALU_DEP_2) | instskip(SKIP_2) | instid1(VALU_DEP_3)
	v_fmaak_f32 v97, v97, v98, 0x3f2aaada
	v_ldexp_f32 v98, v15, 1
	v_sub_f32_e32 v15, v15, v17
	v_mul_f32_e32 v97, v99, v97
	v_mul_f32_e32 v99, 0x3f317218, v12
	s_delay_alu instid0(VALU_DEP_3) | instskip(NEXT) | instid1(VALU_DEP_3)
	v_sub_f32_e32 v13, v13, v15
	v_add_f32_e32 v17, v98, v97
	s_delay_alu instid0(VALU_DEP_2) | instskip(NEXT) | instid1(VALU_DEP_2)
	v_ldexp_f32 v13, v13, 1
	v_sub_f32_e32 v15, v17, v98
	v_fma_f32 v98, 0x3f317218, v12, -v99
	s_delay_alu instid0(VALU_DEP_1) | instskip(NEXT) | instid1(VALU_DEP_1)
	v_dual_sub_f32 v15, v97, v15 :: v_dual_fmac_f32 v98, 0xb102e308, v12
	v_dual_add_f32 v12, v13, v15 :: v_dual_add_f32 v13, v99, v98
	s_delay_alu instid0(VALU_DEP_1) | instskip(NEXT) | instid1(VALU_DEP_1)
	v_add_f32_e32 v15, v17, v12
	v_add_f32_e32 v97, v13, v15
	v_sub_f32_e32 v17, v15, v17
	s_delay_alu instid0(VALU_DEP_2) | instskip(NEXT) | instid1(VALU_DEP_2)
	v_sub_f32_e32 v100, v97, v13
	v_dual_sub_f32 v99, v13, v99 :: v_dual_sub_f32 v12, v12, v17
	s_delay_alu instid0(VALU_DEP_1) | instskip(SKIP_1) | instid1(VALU_DEP_2)
	v_dual_sub_f32 v101, v97, v100 :: v_dual_sub_f32 v98, v98, v99
	v_sub_f32_e32 v15, v15, v100
	v_sub_f32_e32 v13, v13, v101
	s_delay_alu instid0(VALU_DEP_3) | instskip(NEXT) | instid1(VALU_DEP_2)
	v_add_f32_e32 v17, v98, v12
	v_add_f32_e32 v13, v15, v13
	s_delay_alu instid0(VALU_DEP_2) | instskip(NEXT) | instid1(VALU_DEP_2)
	v_sub_f32_e32 v15, v17, v98
	v_add_f32_e32 v13, v17, v13
	s_delay_alu instid0(VALU_DEP_2) | instskip(NEXT) | instid1(VALU_DEP_2)
	v_sub_f32_e32 v17, v17, v15
	v_dual_sub_f32 v12, v12, v15 :: v_dual_add_f32 v99, v97, v13
	s_delay_alu instid0(VALU_DEP_2) | instskip(NEXT) | instid1(VALU_DEP_2)
	v_sub_f32_e32 v17, v98, v17
	v_sub_f32_e32 v15, v99, v97
	s_delay_alu instid0(VALU_DEP_1) | instskip(NEXT) | instid1(VALU_DEP_1)
	v_dual_add_f32 v12, v12, v17 :: v_dual_sub_f32 v13, v13, v15
	v_add_f32_e32 v12, v12, v13
	s_delay_alu instid0(VALU_DEP_1) | instskip(NEXT) | instid1(VALU_DEP_1)
	v_add_f32_e32 v12, v99, v12
	v_cndmask_b32_e32 v97, v12, v14, vcc_lo
.LBB50_90:                              ;   in Loop: Header=BB50_12 Depth=1
	s_or_b32 exec_lo, exec_lo, s29
	s_waitcnt lgkmcnt(0)
	v_lshlrev_b32_e32 v12, 16, v8
	s_delay_alu instid0(VALU_DEP_1) | instskip(NEXT) | instid1(VALU_DEP_1)
	v_add_f32_e32 v98, s66, v12
	v_cmp_ge_f32_e32 vcc_lo, 0x41a00000, v98
	s_and_b32 s28, s79, vcc_lo
	s_delay_alu instid0(SALU_CYCLE_1)
	s_and_saveexec_b32 s29, s28
	s_cbranch_execz .LBB50_92
; %bb.91:                               ;   in Loop: Header=BB50_12 Depth=1
	v_mul_f32_e32 v12, 0x3fb8aa3b, v98
	v_cmp_ngt_f32_e32 vcc_lo, 0xc2ce8ed0, v98
	s_delay_alu instid0(VALU_DEP_2) | instskip(SKIP_1) | instid1(VALU_DEP_2)
	v_rndne_f32_e32 v13, v12
	v_fma_f32 v14, 0x3fb8aa3b, v98, -v12
	v_sub_f32_e32 v12, v12, v13
	s_delay_alu instid0(VALU_DEP_2) | instskip(SKIP_1) | instid1(VALU_DEP_2)
	v_fmac_f32_e32 v14, 0x32a5705f, v98
	v_cvt_i32_f32_e32 v13, v13
	v_add_f32_e32 v12, v12, v14
	s_delay_alu instid0(VALU_DEP_1) | instskip(SKIP_2) | instid1(VALU_DEP_1)
	v_exp_f32_e32 v12, v12
	s_waitcnt_depctr 0xfff
	v_ldexp_f32 v12, v12, v13
	v_cndmask_b32_e32 v12, 0, v12, vcc_lo
	v_cmp_nlt_f32_e32 vcc_lo, 0x42b17218, v98
	s_delay_alu instid0(VALU_DEP_2) | instskip(NEXT) | instid1(VALU_DEP_1)
	v_cndmask_b32_e32 v14, 0x7f800000, v12, vcc_lo
	v_add_f32_e32 v15, 1.0, v14
	s_delay_alu instid0(VALU_DEP_1) | instskip(NEXT) | instid1(VALU_DEP_1)
	v_cvt_f64_f32_e32 v[12:13], v15
	v_frexp_exp_i32_f64_e32 v12, v[12:13]
	v_frexp_mant_f32_e32 v13, v15
	s_delay_alu instid0(VALU_DEP_1) | instskip(SKIP_1) | instid1(VALU_DEP_1)
	v_cmp_gt_f32_e32 vcc_lo, 0x3f2aaaab, v13
	v_add_f32_e32 v13, -1.0, v15
	v_dual_sub_f32 v98, v13, v15 :: v_dual_sub_f32 v13, v14, v13
	s_delay_alu instid0(VALU_DEP_1) | instskip(NEXT) | instid1(VALU_DEP_1)
	v_add_f32_e32 v98, 1.0, v98
	v_add_f32_e32 v13, v13, v98
	v_subrev_co_ci_u32_e32 v12, vcc_lo, 0, v12, vcc_lo
	s_delay_alu instid0(VALU_DEP_1) | instskip(SKIP_1) | instid1(VALU_DEP_2)
	v_sub_nc_u32_e32 v17, 0, v12
	v_cvt_f32_i32_e32 v12, v12
	v_ldexp_f32 v15, v15, v17
	v_ldexp_f32 v13, v13, v17
	s_delay_alu instid0(VALU_DEP_2) | instskip(SKIP_3) | instid1(VALU_DEP_4)
	v_add_f32_e32 v99, 1.0, v15
	v_add_f32_e32 v17, -1.0, v15
	v_cmp_eq_f32_e32 vcc_lo, 0x7f800000, v14
	v_cmp_gt_f32_e64 s28, 0x33800000, v14
	v_add_f32_e32 v98, -1.0, v99
	s_delay_alu instid0(VALU_DEP_4) | instskip(NEXT) | instid1(VALU_DEP_3)
	v_add_f32_e32 v100, 1.0, v17
	s_or_b32 vcc_lo, s28, vcc_lo
	s_delay_alu instid0(VALU_DEP_2) | instskip(NEXT) | instid1(VALU_DEP_1)
	v_sub_f32_e32 v98, v15, v98
	v_dual_sub_f32 v15, v15, v100 :: v_dual_add_f32 v98, v13, v98
	s_delay_alu instid0(VALU_DEP_1) | instskip(NEXT) | instid1(VALU_DEP_1)
	v_add_f32_e32 v13, v13, v15
	v_dual_add_f32 v101, v17, v13 :: v_dual_add_f32 v100, v99, v98
	s_delay_alu instid0(VALU_DEP_1) | instskip(NEXT) | instid1(VALU_DEP_2)
	v_sub_f32_e32 v17, v17, v101
	v_rcp_f32_e32 v15, v100
	v_sub_f32_e32 v99, v99, v100
	s_delay_alu instid0(VALU_DEP_1) | instskip(SKIP_2) | instid1(VALU_DEP_1)
	v_dual_add_f32 v98, v98, v99 :: v_dual_add_f32 v13, v13, v17
	s_waitcnt_depctr 0xfff
	v_mul_f32_e32 v102, v101, v15
	v_mul_f32_e32 v103, v100, v102
	s_delay_alu instid0(VALU_DEP_1) | instskip(NEXT) | instid1(VALU_DEP_1)
	v_fma_f32 v99, v102, v100, -v103
	v_fmac_f32_e32 v99, v102, v98
	s_delay_alu instid0(VALU_DEP_1) | instskip(NEXT) | instid1(VALU_DEP_1)
	v_add_f32_e32 v104, v103, v99
	v_sub_f32_e32 v105, v101, v104
	s_delay_alu instid0(VALU_DEP_1) | instskip(SKIP_1) | instid1(VALU_DEP_2)
	v_sub_f32_e32 v101, v101, v105
	v_sub_f32_e32 v17, v104, v103
	;; [unrolled: 1-line block ×3, first 2 shown]
	s_delay_alu instid0(VALU_DEP_2) | instskip(NEXT) | instid1(VALU_DEP_2)
	v_sub_f32_e32 v17, v17, v99
	v_add_f32_e32 v13, v13, v101
	s_delay_alu instid0(VALU_DEP_1) | instskip(NEXT) | instid1(VALU_DEP_1)
	v_add_f32_e32 v13, v17, v13
	v_add_f32_e32 v17, v105, v13
	s_delay_alu instid0(VALU_DEP_1) | instskip(NEXT) | instid1(VALU_DEP_1)
	v_mul_f32_e32 v99, v15, v17
	v_dual_sub_f32 v104, v105, v17 :: v_dual_mul_f32 v101, v100, v99
	s_delay_alu instid0(VALU_DEP_1) | instskip(NEXT) | instid1(VALU_DEP_2)
	v_add_f32_e32 v13, v13, v104
	v_fma_f32 v100, v99, v100, -v101
	s_delay_alu instid0(VALU_DEP_1) | instskip(NEXT) | instid1(VALU_DEP_1)
	v_fmac_f32_e32 v100, v99, v98
	v_add_f32_e32 v98, v101, v100
	s_delay_alu instid0(VALU_DEP_1) | instskip(NEXT) | instid1(VALU_DEP_1)
	v_sub_f32_e32 v103, v17, v98
	v_sub_f32_e32 v17, v17, v103
	s_delay_alu instid0(VALU_DEP_1) | instskip(NEXT) | instid1(VALU_DEP_1)
	v_sub_f32_e32 v17, v17, v98
	v_add_f32_e32 v13, v13, v17
	v_add_f32_e32 v17, v102, v99
	v_sub_f32_e32 v101, v98, v101
	s_delay_alu instid0(VALU_DEP_1) | instskip(NEXT) | instid1(VALU_DEP_1)
	v_sub_f32_e32 v98, v101, v100
	v_dual_add_f32 v13, v98, v13 :: v_dual_sub_f32 v98, v17, v102
	s_delay_alu instid0(VALU_DEP_1) | instskip(NEXT) | instid1(VALU_DEP_2)
	v_add_f32_e32 v13, v103, v13
	v_sub_f32_e32 v98, v99, v98
	s_delay_alu instid0(VALU_DEP_2) | instskip(NEXT) | instid1(VALU_DEP_1)
	v_mul_f32_e32 v13, v15, v13
	v_add_f32_e32 v13, v98, v13
	s_delay_alu instid0(VALU_DEP_1) | instskip(NEXT) | instid1(VALU_DEP_1)
	v_add_f32_e32 v15, v17, v13
	v_mul_f32_e32 v98, v15, v15
	s_delay_alu instid0(VALU_DEP_1) | instskip(SKIP_1) | instid1(VALU_DEP_2)
	v_fmaak_f32 v99, s83, v98, 0x3ecc95a3
	v_mul_f32_e32 v100, v15, v98
	v_fmaak_f32 v98, v98, v99, 0x3f2aaada
	v_ldexp_f32 v99, v15, 1
	s_delay_alu instid0(VALU_DEP_2) | instskip(NEXT) | instid1(VALU_DEP_1)
	v_dual_sub_f32 v15, v15, v17 :: v_dual_mul_f32 v98, v100, v98
	v_dual_mul_f32 v100, 0x3f317218, v12 :: v_dual_sub_f32 v13, v13, v15
	s_delay_alu instid0(VALU_DEP_2) | instskip(NEXT) | instid1(VALU_DEP_2)
	v_add_f32_e32 v17, v99, v98
	v_ldexp_f32 v13, v13, 1
	s_delay_alu instid0(VALU_DEP_2) | instskip(NEXT) | instid1(VALU_DEP_4)
	v_sub_f32_e32 v15, v17, v99
	v_fma_f32 v99, 0x3f317218, v12, -v100
	s_delay_alu instid0(VALU_DEP_2) | instskip(NEXT) | instid1(VALU_DEP_1)
	v_sub_f32_e32 v15, v98, v15
	v_dual_fmac_f32 v99, 0xb102e308, v12 :: v_dual_add_f32 v12, v13, v15
	s_delay_alu instid0(VALU_DEP_1) | instskip(NEXT) | instid1(VALU_DEP_2)
	v_add_f32_e32 v13, v100, v99
	v_add_f32_e32 v15, v17, v12
	s_delay_alu instid0(VALU_DEP_2) | instskip(NEXT) | instid1(VALU_DEP_2)
	v_sub_f32_e32 v100, v13, v100
	v_dual_add_f32 v98, v13, v15 :: v_dual_sub_f32 v17, v15, v17
	s_delay_alu instid0(VALU_DEP_2) | instskip(NEXT) | instid1(VALU_DEP_2)
	v_sub_f32_e32 v99, v99, v100
	v_sub_f32_e32 v101, v98, v13
	s_delay_alu instid0(VALU_DEP_3) | instskip(NEXT) | instid1(VALU_DEP_2)
	v_sub_f32_e32 v12, v12, v17
	v_sub_f32_e32 v102, v98, v101
	v_sub_f32_e32 v15, v15, v101
	s_delay_alu instid0(VALU_DEP_3) | instskip(NEXT) | instid1(VALU_DEP_3)
	v_add_f32_e32 v17, v99, v12
	v_sub_f32_e32 v13, v13, v102
	s_delay_alu instid0(VALU_DEP_1) | instskip(NEXT) | instid1(VALU_DEP_3)
	v_add_f32_e32 v13, v15, v13
	v_sub_f32_e32 v15, v17, v99
	s_delay_alu instid0(VALU_DEP_2) | instskip(NEXT) | instid1(VALU_DEP_2)
	v_add_f32_e32 v13, v17, v13
	v_sub_f32_e32 v17, v17, v15
	v_sub_f32_e32 v12, v12, v15
	s_delay_alu instid0(VALU_DEP_3) | instskip(NEXT) | instid1(VALU_DEP_3)
	v_add_f32_e32 v100, v98, v13
	v_sub_f32_e32 v17, v99, v17
	s_delay_alu instid0(VALU_DEP_2) | instskip(NEXT) | instid1(VALU_DEP_1)
	v_sub_f32_e32 v15, v100, v98
	v_dual_add_f32 v12, v12, v17 :: v_dual_sub_f32 v13, v13, v15
	s_delay_alu instid0(VALU_DEP_1) | instskip(NEXT) | instid1(VALU_DEP_1)
	v_add_f32_e32 v12, v12, v13
	v_add_f32_e32 v12, v100, v12
	s_delay_alu instid0(VALU_DEP_1)
	v_cndmask_b32_e32 v98, v12, v14, vcc_lo
.LBB50_92:                              ;   in Loop: Header=BB50_12 Depth=1
	s_or_b32 exec_lo, exec_lo, s29
	v_and_b32_e32 v8, 0xffff0000, v8
	s_delay_alu instid0(VALU_DEP_1) | instskip(NEXT) | instid1(VALU_DEP_1)
	v_add_f32_e32 v99, s66, v8
	v_cmp_ge_f32_e32 vcc_lo, 0x41a00000, v99
	s_and_b32 s28, s79, vcc_lo
	s_delay_alu instid0(SALU_CYCLE_1)
	s_and_saveexec_b32 s29, s28
	s_cbranch_execz .LBB50_94
; %bb.93:                               ;   in Loop: Header=BB50_12 Depth=1
	v_mul_f32_e32 v8, 0x3fb8aa3b, v99
	v_cmp_ngt_f32_e32 vcc_lo, 0xc2ce8ed0, v99
	s_delay_alu instid0(VALU_DEP_2) | instskip(SKIP_1) | instid1(VALU_DEP_1)
	v_rndne_f32_e32 v12, v8
	v_fma_f32 v13, 0x3fb8aa3b, v99, -v8
	v_dual_sub_f32 v8, v8, v12 :: v_dual_fmac_f32 v13, 0x32a5705f, v99
	v_cvt_i32_f32_e32 v12, v12
	s_delay_alu instid0(VALU_DEP_2) | instskip(NEXT) | instid1(VALU_DEP_1)
	v_add_f32_e32 v8, v8, v13
	v_exp_f32_e32 v8, v8
	s_waitcnt_depctr 0xfff
	v_ldexp_f32 v8, v8, v12
	s_delay_alu instid0(VALU_DEP_1) | instskip(SKIP_1) | instid1(VALU_DEP_2)
	v_cndmask_b32_e32 v8, 0, v8, vcc_lo
	v_cmp_nlt_f32_e32 vcc_lo, 0x42b17218, v99
	v_cndmask_b32_e32 v8, 0x7f800000, v8, vcc_lo
	s_delay_alu instid0(VALU_DEP_1) | instskip(NEXT) | instid1(VALU_DEP_1)
	v_add_f32_e32 v14, 1.0, v8
	v_cvt_f64_f32_e32 v[12:13], v14
	s_delay_alu instid0(VALU_DEP_1) | instskip(SKIP_1) | instid1(VALU_DEP_1)
	v_frexp_exp_i32_f64_e32 v12, v[12:13]
	v_frexp_mant_f32_e32 v13, v14
	v_cmp_gt_f32_e32 vcc_lo, 0x3f2aaaab, v13
	v_add_f32_e32 v13, -1.0, v14
	s_delay_alu instid0(VALU_DEP_1) | instskip(NEXT) | instid1(VALU_DEP_1)
	v_sub_f32_e32 v17, v13, v14
	v_add_f32_e32 v17, 1.0, v17
	v_subrev_co_ci_u32_e32 v12, vcc_lo, 0, v12, vcc_lo
	s_delay_alu instid0(VALU_DEP_1) | instskip(SKIP_1) | instid1(VALU_DEP_2)
	v_sub_nc_u32_e32 v15, 0, v12
	v_cvt_f32_i32_e32 v12, v12
	v_ldexp_f32 v14, v14, v15
	s_delay_alu instid0(VALU_DEP_1) | instskip(SKIP_3) | instid1(VALU_DEP_3)
	v_add_f32_e32 v99, 1.0, v14
	v_sub_f32_e32 v13, v8, v13
	v_cmp_eq_f32_e32 vcc_lo, 0x7f800000, v8
	v_cmp_gt_f32_e64 s28, 0x33800000, v8
	v_add_f32_e32 v13, v13, v17
	s_delay_alu instid0(VALU_DEP_2) | instskip(NEXT) | instid1(VALU_DEP_1)
	s_or_b32 vcc_lo, s28, vcc_lo
	v_ldexp_f32 v13, v13, v15
	v_add_f32_e32 v15, -1.0, v14
	s_delay_alu instid0(VALU_DEP_1) | instskip(SKIP_1) | instid1(VALU_DEP_1)
	v_add_f32_e32 v100, 1.0, v15
	v_add_f32_e32 v17, -1.0, v99
	v_sub_f32_e32 v17, v14, v17
	s_delay_alu instid0(VALU_DEP_1) | instskip(NEXT) | instid1(VALU_DEP_1)
	v_dual_sub_f32 v14, v14, v100 :: v_dual_add_f32 v17, v13, v17
	v_add_f32_e32 v100, v99, v17
	s_delay_alu instid0(VALU_DEP_1) | instskip(NEXT) | instid1(VALU_DEP_1)
	v_sub_f32_e32 v99, v99, v100
	v_add_f32_e32 v17, v17, v99
	s_delay_alu instid0(VALU_DEP_4) | instskip(SKIP_1) | instid1(VALU_DEP_1)
	v_add_f32_e32 v13, v13, v14
	v_rcp_f32_e32 v14, v100
	v_add_f32_e32 v101, v15, v13
	s_waitcnt_depctr 0xfff
	v_dual_sub_f32 v15, v15, v101 :: v_dual_mul_f32 v102, v101, v14
	s_delay_alu instid0(VALU_DEP_1) | instskip(NEXT) | instid1(VALU_DEP_2)
	v_add_f32_e32 v13, v13, v15
	v_mul_f32_e32 v103, v100, v102
	s_delay_alu instid0(VALU_DEP_1) | instskip(NEXT) | instid1(VALU_DEP_1)
	v_fma_f32 v99, v102, v100, -v103
	v_fmac_f32_e32 v99, v102, v17
	s_delay_alu instid0(VALU_DEP_1) | instskip(NEXT) | instid1(VALU_DEP_1)
	v_add_f32_e32 v104, v103, v99
	v_sub_f32_e32 v105, v101, v104
	v_sub_f32_e32 v15, v104, v103
	s_delay_alu instid0(VALU_DEP_2) | instskip(NEXT) | instid1(VALU_DEP_2)
	v_sub_f32_e32 v101, v101, v105
	v_sub_f32_e32 v15, v15, v99
	s_delay_alu instid0(VALU_DEP_2) | instskip(NEXT) | instid1(VALU_DEP_1)
	v_sub_f32_e32 v101, v101, v104
	v_add_f32_e32 v13, v13, v101
	s_delay_alu instid0(VALU_DEP_1) | instskip(NEXT) | instid1(VALU_DEP_1)
	v_add_f32_e32 v13, v15, v13
	v_add_f32_e32 v15, v105, v13
	s_delay_alu instid0(VALU_DEP_1) | instskip(SKIP_1) | instid1(VALU_DEP_2)
	v_mul_f32_e32 v99, v14, v15
	v_sub_f32_e32 v104, v105, v15
	v_mul_f32_e32 v101, v100, v99
	s_delay_alu instid0(VALU_DEP_2) | instskip(NEXT) | instid1(VALU_DEP_2)
	v_add_f32_e32 v13, v13, v104
	v_fma_f32 v100, v99, v100, -v101
	s_delay_alu instid0(VALU_DEP_1) | instskip(NEXT) | instid1(VALU_DEP_1)
	v_fmac_f32_e32 v100, v99, v17
	v_add_f32_e32 v17, v101, v100
	s_delay_alu instid0(VALU_DEP_1) | instskip(SKIP_1) | instid1(VALU_DEP_2)
	v_sub_f32_e32 v103, v15, v17
	v_sub_f32_e32 v101, v17, v101
	;; [unrolled: 1-line block ×3, first 2 shown]
	s_delay_alu instid0(VALU_DEP_1) | instskip(NEXT) | instid1(VALU_DEP_3)
	v_sub_f32_e32 v15, v15, v17
	v_sub_f32_e32 v17, v101, v100
	s_delay_alu instid0(VALU_DEP_2) | instskip(SKIP_1) | instid1(VALU_DEP_2)
	v_add_f32_e32 v13, v13, v15
	v_add_f32_e32 v15, v102, v99
	;; [unrolled: 1-line block ×3, first 2 shown]
	s_delay_alu instid0(VALU_DEP_2) | instskip(NEXT) | instid1(VALU_DEP_2)
	v_sub_f32_e32 v17, v15, v102
	v_add_f32_e32 v13, v103, v13
	s_delay_alu instid0(VALU_DEP_2) | instskip(NEXT) | instid1(VALU_DEP_2)
	v_sub_f32_e32 v17, v99, v17
	v_mul_f32_e32 v13, v14, v13
	s_delay_alu instid0(VALU_DEP_1) | instskip(NEXT) | instid1(VALU_DEP_1)
	v_add_f32_e32 v13, v17, v13
	v_add_f32_e32 v14, v15, v13
	s_delay_alu instid0(VALU_DEP_1) | instskip(NEXT) | instid1(VALU_DEP_1)
	v_mul_f32_e32 v17, v14, v14
	v_fmaak_f32 v99, s83, v17, 0x3ecc95a3
	s_delay_alu instid0(VALU_DEP_1) | instskip(SKIP_1) | instid1(VALU_DEP_2)
	v_dual_mul_f32 v100, v14, v17 :: v_dual_fmaak_f32 v17, v17, v99, 0x3f2aaada
	v_ldexp_f32 v99, v14, 1
	v_dual_sub_f32 v14, v14, v15 :: v_dual_mul_f32 v17, v100, v17
	s_delay_alu instid0(VALU_DEP_1) | instskip(NEXT) | instid1(VALU_DEP_2)
	v_dual_mul_f32 v100, 0x3f317218, v12 :: v_dual_sub_f32 v13, v13, v14
	v_add_f32_e32 v15, v99, v17
	s_delay_alu instid0(VALU_DEP_2) | instskip(NEXT) | instid1(VALU_DEP_2)
	v_ldexp_f32 v13, v13, 1
	v_sub_f32_e32 v14, v15, v99
	s_delay_alu instid0(VALU_DEP_4) | instskip(NEXT) | instid1(VALU_DEP_1)
	v_fma_f32 v99, 0x3f317218, v12, -v100
	v_dual_sub_f32 v14, v17, v14 :: v_dual_fmac_f32 v99, 0xb102e308, v12
	s_delay_alu instid0(VALU_DEP_1) | instskip(NEXT) | instid1(VALU_DEP_1)
	v_dual_add_f32 v12, v13, v14 :: v_dual_add_f32 v13, v100, v99
	v_add_f32_e32 v14, v15, v12
	s_delay_alu instid0(VALU_DEP_2) | instskip(NEXT) | instid1(VALU_DEP_2)
	v_sub_f32_e32 v100, v13, v100
	v_add_f32_e32 v17, v13, v14
	v_sub_f32_e32 v15, v14, v15
	s_delay_alu instid0(VALU_DEP_3) | instskip(NEXT) | instid1(VALU_DEP_2)
	v_sub_f32_e32 v99, v99, v100
	v_dual_sub_f32 v101, v17, v13 :: v_dual_sub_f32 v12, v12, v15
	s_delay_alu instid0(VALU_DEP_1) | instskip(NEXT) | instid1(VALU_DEP_2)
	v_sub_f32_e32 v102, v17, v101
	v_dual_sub_f32 v14, v14, v101 :: v_dual_add_f32 v15, v99, v12
	s_delay_alu instid0(VALU_DEP_2) | instskip(NEXT) | instid1(VALU_DEP_1)
	v_sub_f32_e32 v13, v13, v102
	v_dual_add_f32 v13, v14, v13 :: v_dual_sub_f32 v14, v15, v99
	s_delay_alu instid0(VALU_DEP_1) | instskip(NEXT) | instid1(VALU_DEP_2)
	v_add_f32_e32 v13, v15, v13
	v_sub_f32_e32 v15, v15, v14
	v_sub_f32_e32 v12, v12, v14
	s_delay_alu instid0(VALU_DEP_2) | instskip(NEXT) | instid1(VALU_DEP_1)
	v_dual_add_f32 v100, v17, v13 :: v_dual_sub_f32 v15, v99, v15
	v_sub_f32_e32 v14, v100, v17
	s_delay_alu instid0(VALU_DEP_1) | instskip(NEXT) | instid1(VALU_DEP_1)
	v_dual_add_f32 v12, v12, v15 :: v_dual_sub_f32 v13, v13, v14
	v_add_f32_e32 v12, v12, v13
	s_delay_alu instid0(VALU_DEP_1) | instskip(NEXT) | instid1(VALU_DEP_1)
	v_add_f32_e32 v12, v100, v12
	v_cndmask_b32_e32 v99, v12, v8, vcc_lo
.LBB50_94:                              ;   in Loop: Header=BB50_12 Depth=1
	s_or_b32 exec_lo, exec_lo, s29
	v_lshlrev_b32_e32 v8, 16, v9
	s_delay_alu instid0(VALU_DEP_1) | instskip(NEXT) | instid1(VALU_DEP_1)
	v_add_f32_e32 v100, s66, v8
	v_cmp_ge_f32_e32 vcc_lo, 0x41a00000, v100
	s_and_b32 s28, s79, vcc_lo
	s_delay_alu instid0(SALU_CYCLE_1)
	s_and_saveexec_b32 s29, s28
	s_cbranch_execz .LBB50_96
; %bb.95:                               ;   in Loop: Header=BB50_12 Depth=1
	v_mul_f32_e32 v8, 0x3fb8aa3b, v100
	v_cmp_ngt_f32_e32 vcc_lo, 0xc2ce8ed0, v100
	s_delay_alu instid0(VALU_DEP_2) | instskip(SKIP_1) | instid1(VALU_DEP_2)
	v_rndne_f32_e32 v12, v8
	v_fma_f32 v13, 0x3fb8aa3b, v100, -v8
	v_sub_f32_e32 v8, v8, v12
	s_delay_alu instid0(VALU_DEP_2) | instskip(SKIP_1) | instid1(VALU_DEP_2)
	v_fmac_f32_e32 v13, 0x32a5705f, v100
	v_cvt_i32_f32_e32 v12, v12
	v_add_f32_e32 v8, v8, v13
	s_delay_alu instid0(VALU_DEP_1) | instskip(SKIP_2) | instid1(VALU_DEP_1)
	v_exp_f32_e32 v8, v8
	s_waitcnt_depctr 0xfff
	v_ldexp_f32 v8, v8, v12
	v_cndmask_b32_e32 v8, 0, v8, vcc_lo
	v_cmp_nlt_f32_e32 vcc_lo, 0x42b17218, v100
	s_delay_alu instid0(VALU_DEP_2) | instskip(NEXT) | instid1(VALU_DEP_1)
	v_cndmask_b32_e32 v8, 0x7f800000, v8, vcc_lo
	v_add_f32_e32 v14, 1.0, v8
	s_delay_alu instid0(VALU_DEP_1) | instskip(NEXT) | instid1(VALU_DEP_1)
	v_cvt_f64_f32_e32 v[12:13], v14
	v_frexp_exp_i32_f64_e32 v12, v[12:13]
	v_frexp_mant_f32_e32 v13, v14
	s_delay_alu instid0(VALU_DEP_1) | instskip(SKIP_1) | instid1(VALU_DEP_1)
	v_cmp_gt_f32_e32 vcc_lo, 0x3f2aaaab, v13
	v_add_f32_e32 v13, -1.0, v14
	v_sub_f32_e32 v17, v13, v14
	v_sub_f32_e32 v13, v8, v13
	s_delay_alu instid0(VALU_DEP_2) | instskip(NEXT) | instid1(VALU_DEP_1)
	v_add_f32_e32 v17, 1.0, v17
	v_add_f32_e32 v13, v13, v17
	v_cmp_gt_f32_e64 s28, 0x33800000, v8
	v_subrev_co_ci_u32_e32 v12, vcc_lo, 0, v12, vcc_lo
	v_cmp_eq_f32_e32 vcc_lo, 0x7f800000, v8
	s_delay_alu instid0(VALU_DEP_2) | instskip(SKIP_2) | instid1(VALU_DEP_2)
	v_sub_nc_u32_e32 v15, 0, v12
	v_cvt_f32_i32_e32 v12, v12
	s_or_b32 vcc_lo, s28, vcc_lo
	v_ldexp_f32 v14, v14, v15
	v_ldexp_f32 v13, v13, v15
	s_delay_alu instid0(VALU_DEP_2) | instskip(SKIP_1) | instid1(VALU_DEP_2)
	v_add_f32_e32 v100, 1.0, v14
	v_add_f32_e32 v15, -1.0, v14
	v_add_f32_e32 v17, -1.0, v100
	s_delay_alu instid0(VALU_DEP_2) | instskip(NEXT) | instid1(VALU_DEP_2)
	v_add_f32_e32 v101, 1.0, v15
	v_sub_f32_e32 v17, v14, v17
	s_delay_alu instid0(VALU_DEP_2) | instskip(NEXT) | instid1(VALU_DEP_2)
	v_sub_f32_e32 v14, v14, v101
	v_add_f32_e32 v17, v13, v17
	s_delay_alu instid0(VALU_DEP_1) | instskip(NEXT) | instid1(VALU_DEP_1)
	v_add_f32_e32 v101, v100, v17
	v_dual_add_f32 v13, v13, v14 :: v_dual_sub_f32 v100, v100, v101
	v_rcp_f32_e32 v14, v101
	s_delay_alu instid0(VALU_DEP_1) | instskip(NEXT) | instid1(VALU_DEP_1)
	v_dual_add_f32 v102, v15, v13 :: v_dual_add_f32 v17, v17, v100
	v_sub_f32_e32 v15, v15, v102
	s_waitcnt_depctr 0xfff
	v_mul_f32_e32 v103, v102, v14
	v_add_f32_e32 v13, v13, v15
	s_delay_alu instid0(VALU_DEP_2) | instskip(NEXT) | instid1(VALU_DEP_1)
	v_mul_f32_e32 v104, v101, v103
	v_fma_f32 v100, v103, v101, -v104
	s_delay_alu instid0(VALU_DEP_1) | instskip(NEXT) | instid1(VALU_DEP_1)
	v_fmac_f32_e32 v100, v103, v17
	v_add_f32_e32 v105, v104, v100
	s_delay_alu instid0(VALU_DEP_1) | instskip(NEXT) | instid1(VALU_DEP_1)
	v_dual_sub_f32 v106, v102, v105 :: v_dual_sub_f32 v15, v105, v104
	v_dual_sub_f32 v102, v102, v106 :: v_dual_sub_f32 v15, v15, v100
	s_delay_alu instid0(VALU_DEP_1) | instskip(NEXT) | instid1(VALU_DEP_1)
	v_sub_f32_e32 v102, v102, v105
	v_add_f32_e32 v13, v13, v102
	s_delay_alu instid0(VALU_DEP_1) | instskip(NEXT) | instid1(VALU_DEP_1)
	v_add_f32_e32 v13, v15, v13
	v_add_f32_e32 v15, v106, v13
	s_delay_alu instid0(VALU_DEP_1) | instskip(NEXT) | instid1(VALU_DEP_1)
	v_mul_f32_e32 v100, v14, v15
	v_dual_sub_f32 v105, v106, v15 :: v_dual_mul_f32 v102, v101, v100
	s_delay_alu instid0(VALU_DEP_1) | instskip(NEXT) | instid1(VALU_DEP_2)
	v_add_f32_e32 v13, v13, v105
	v_fma_f32 v101, v100, v101, -v102
	s_delay_alu instid0(VALU_DEP_1) | instskip(NEXT) | instid1(VALU_DEP_1)
	v_fmac_f32_e32 v101, v100, v17
	v_add_f32_e32 v17, v102, v101
	s_delay_alu instid0(VALU_DEP_1) | instskip(NEXT) | instid1(VALU_DEP_1)
	v_sub_f32_e32 v104, v15, v17
	v_dual_sub_f32 v102, v17, v102 :: v_dual_sub_f32 v15, v15, v104
	s_delay_alu instid0(VALU_DEP_1) | instskip(NEXT) | instid1(VALU_DEP_2)
	v_sub_f32_e32 v15, v15, v17
	v_sub_f32_e32 v17, v102, v101
	s_delay_alu instid0(VALU_DEP_2) | instskip(SKIP_1) | instid1(VALU_DEP_2)
	v_add_f32_e32 v13, v13, v15
	v_add_f32_e32 v15, v103, v100
	v_add_f32_e32 v13, v17, v13
	s_delay_alu instid0(VALU_DEP_2) | instskip(NEXT) | instid1(VALU_DEP_2)
	v_sub_f32_e32 v17, v15, v103
	v_add_f32_e32 v13, v104, v13
	s_delay_alu instid0(VALU_DEP_2) | instskip(NEXT) | instid1(VALU_DEP_2)
	v_sub_f32_e32 v17, v100, v17
	v_mul_f32_e32 v13, v14, v13
	s_delay_alu instid0(VALU_DEP_1) | instskip(NEXT) | instid1(VALU_DEP_1)
	v_add_f32_e32 v13, v17, v13
	v_add_f32_e32 v14, v15, v13
	s_delay_alu instid0(VALU_DEP_1) | instskip(NEXT) | instid1(VALU_DEP_1)
	v_mul_f32_e32 v17, v14, v14
	v_fmaak_f32 v100, s83, v17, 0x3ecc95a3
	v_mul_f32_e32 v101, v14, v17
	s_delay_alu instid0(VALU_DEP_2) | instskip(SKIP_1) | instid1(VALU_DEP_2)
	v_fmaak_f32 v17, v17, v100, 0x3f2aaada
	v_ldexp_f32 v100, v14, 1
	v_dual_sub_f32 v14, v14, v15 :: v_dual_mul_f32 v17, v101, v17
	v_mul_f32_e32 v101, 0x3f317218, v12
	s_delay_alu instid0(VALU_DEP_2) | instskip(NEXT) | instid1(VALU_DEP_3)
	v_sub_f32_e32 v13, v13, v14
	v_add_f32_e32 v15, v100, v17
	s_delay_alu instid0(VALU_DEP_2) | instskip(NEXT) | instid1(VALU_DEP_2)
	v_ldexp_f32 v13, v13, 1
	v_sub_f32_e32 v14, v15, v100
	v_fma_f32 v100, 0x3f317218, v12, -v101
	s_delay_alu instid0(VALU_DEP_2) | instskip(NEXT) | instid1(VALU_DEP_2)
	v_sub_f32_e32 v14, v17, v14
	v_fmac_f32_e32 v100, 0xb102e308, v12
	s_delay_alu instid0(VALU_DEP_2) | instskip(NEXT) | instid1(VALU_DEP_2)
	v_add_f32_e32 v12, v13, v14
	v_add_f32_e32 v13, v101, v100
	s_delay_alu instid0(VALU_DEP_1) | instskip(NEXT) | instid1(VALU_DEP_1)
	v_dual_add_f32 v14, v15, v12 :: v_dual_sub_f32 v101, v13, v101
	v_add_f32_e32 v17, v13, v14
	s_delay_alu instid0(VALU_DEP_2) | instskip(NEXT) | instid1(VALU_DEP_2)
	v_dual_sub_f32 v15, v14, v15 :: v_dual_sub_f32 v100, v100, v101
	v_sub_f32_e32 v102, v17, v13
	s_delay_alu instid0(VALU_DEP_1) | instskip(NEXT) | instid1(VALU_DEP_1)
	v_dual_sub_f32 v12, v12, v15 :: v_dual_sub_f32 v103, v17, v102
	v_dual_sub_f32 v14, v14, v102 :: v_dual_add_f32 v15, v100, v12
	s_delay_alu instid0(VALU_DEP_2) | instskip(NEXT) | instid1(VALU_DEP_1)
	v_sub_f32_e32 v13, v13, v103
	v_dual_add_f32 v13, v14, v13 :: v_dual_sub_f32 v14, v15, v100
	s_delay_alu instid0(VALU_DEP_1) | instskip(NEXT) | instid1(VALU_DEP_2)
	v_add_f32_e32 v13, v15, v13
	v_sub_f32_e32 v15, v15, v14
	s_delay_alu instid0(VALU_DEP_2) | instskip(NEXT) | instid1(VALU_DEP_1)
	v_dual_sub_f32 v12, v12, v14 :: v_dual_add_f32 v101, v17, v13
	v_dual_sub_f32 v15, v100, v15 :: v_dual_sub_f32 v14, v101, v17
	s_delay_alu instid0(VALU_DEP_1) | instskip(NEXT) | instid1(VALU_DEP_1)
	v_dual_add_f32 v12, v12, v15 :: v_dual_sub_f32 v13, v13, v14
	v_add_f32_e32 v12, v12, v13
	s_delay_alu instid0(VALU_DEP_1) | instskip(NEXT) | instid1(VALU_DEP_1)
	v_add_f32_e32 v12, v101, v12
	v_cndmask_b32_e32 v100, v12, v8, vcc_lo
.LBB50_96:                              ;   in Loop: Header=BB50_12 Depth=1
	s_or_b32 exec_lo, exec_lo, s29
	v_and_b32_e32 v8, 0xffff0000, v9
	s_delay_alu instid0(VALU_DEP_1) | instskip(NEXT) | instid1(VALU_DEP_1)
	v_add_f32_e32 v101, s66, v8
	v_cmp_ge_f32_e32 vcc_lo, 0x41a00000, v101
	s_and_b32 s28, s79, vcc_lo
	s_delay_alu instid0(SALU_CYCLE_1)
	s_and_saveexec_b32 s29, s28
	s_cbranch_execz .LBB50_98
; %bb.97:                               ;   in Loop: Header=BB50_12 Depth=1
	v_mul_f32_e32 v8, 0x3fb8aa3b, v101
	v_cmp_ngt_f32_e32 vcc_lo, 0xc2ce8ed0, v101
	s_delay_alu instid0(VALU_DEP_2) | instskip(SKIP_1) | instid1(VALU_DEP_2)
	v_rndne_f32_e32 v9, v8
	v_fma_f32 v12, 0x3fb8aa3b, v101, -v8
	v_sub_f32_e32 v8, v8, v9
	s_delay_alu instid0(VALU_DEP_2) | instskip(SKIP_1) | instid1(VALU_DEP_2)
	v_fmac_f32_e32 v12, 0x32a5705f, v101
	v_cvt_i32_f32_e32 v9, v9
	v_add_f32_e32 v8, v8, v12
	s_delay_alu instid0(VALU_DEP_1) | instskip(SKIP_2) | instid1(VALU_DEP_1)
	v_exp_f32_e32 v8, v8
	s_waitcnt_depctr 0xfff
	v_ldexp_f32 v8, v8, v9
	v_cndmask_b32_e32 v8, 0, v8, vcc_lo
	v_cmp_nlt_f32_e32 vcc_lo, 0x42b17218, v101
	s_delay_alu instid0(VALU_DEP_2) | instskip(NEXT) | instid1(VALU_DEP_1)
	v_cndmask_b32_e32 v12, 0x7f800000, v8, vcc_lo
	v_add_f32_e32 v13, 1.0, v12
	s_delay_alu instid0(VALU_DEP_1) | instskip(NEXT) | instid1(VALU_DEP_1)
	v_cvt_f64_f32_e32 v[8:9], v13
	v_frexp_exp_i32_f64_e32 v8, v[8:9]
	v_frexp_mant_f32_e32 v9, v13
	s_delay_alu instid0(VALU_DEP_1) | instskip(SKIP_1) | instid1(VALU_DEP_1)
	v_cmp_gt_f32_e32 vcc_lo, 0x3f2aaaab, v9
	v_add_f32_e32 v9, -1.0, v13
	v_sub_f32_e32 v15, v9, v13
	s_delay_alu instid0(VALU_DEP_1) | instskip(SKIP_1) | instid1(VALU_DEP_1)
	v_add_f32_e32 v15, 1.0, v15
	v_subrev_co_ci_u32_e32 v8, vcc_lo, 0, v8, vcc_lo
	v_sub_nc_u32_e32 v14, 0, v8
	v_cvt_f32_i32_e32 v8, v8
	s_delay_alu instid0(VALU_DEP_2) | instskip(NEXT) | instid1(VALU_DEP_1)
	v_ldexp_f32 v13, v13, v14
	v_add_f32_e32 v17, 1.0, v13
	v_sub_f32_e32 v9, v12, v9
	v_cmp_eq_f32_e32 vcc_lo, 0x7f800000, v12
	v_cmp_gt_f32_e64 s28, 0x33800000, v12
	s_delay_alu instid0(VALU_DEP_3) | instskip(NEXT) | instid1(VALU_DEP_2)
	v_add_f32_e32 v9, v9, v15
	s_or_b32 vcc_lo, s28, vcc_lo
	s_delay_alu instid0(VALU_DEP_1) | instskip(SKIP_2) | instid1(VALU_DEP_1)
	v_ldexp_f32 v9, v9, v14
	v_add_f32_e32 v14, -1.0, v13
	v_add_f32_e32 v15, -1.0, v17
	v_sub_f32_e32 v15, v13, v15
	s_delay_alu instid0(VALU_DEP_3) | instskip(NEXT) | instid1(VALU_DEP_2)
	v_add_f32_e32 v101, 1.0, v14
	v_add_f32_e32 v15, v9, v15
	s_delay_alu instid0(VALU_DEP_2) | instskip(NEXT) | instid1(VALU_DEP_2)
	v_sub_f32_e32 v13, v13, v101
	v_add_f32_e32 v101, v17, v15
	s_delay_alu instid0(VALU_DEP_2) | instskip(NEXT) | instid1(VALU_DEP_2)
	v_add_f32_e32 v9, v9, v13
	v_rcp_f32_e32 v13, v101
	s_delay_alu instid0(VALU_DEP_1) | instskip(NEXT) | instid1(VALU_DEP_1)
	v_add_f32_e32 v102, v14, v9
	v_dual_sub_f32 v17, v17, v101 :: v_dual_sub_f32 v14, v14, v102
	s_delay_alu instid0(VALU_DEP_1) | instskip(SKIP_2) | instid1(VALU_DEP_1)
	v_add_f32_e32 v15, v15, v17
	s_waitcnt_depctr 0xfff
	v_mul_f32_e32 v103, v102, v13
	v_mul_f32_e32 v104, v101, v103
	s_delay_alu instid0(VALU_DEP_1) | instskip(NEXT) | instid1(VALU_DEP_1)
	v_fma_f32 v17, v103, v101, -v104
	v_fmac_f32_e32 v17, v103, v15
	v_add_f32_e32 v9, v9, v14
	s_delay_alu instid0(VALU_DEP_2) | instskip(NEXT) | instid1(VALU_DEP_1)
	v_add_f32_e32 v105, v104, v17
	v_sub_f32_e32 v106, v102, v105
	v_sub_f32_e32 v14, v105, v104
	s_delay_alu instid0(VALU_DEP_2) | instskip(NEXT) | instid1(VALU_DEP_2)
	v_sub_f32_e32 v102, v102, v106
	v_sub_f32_e32 v14, v14, v17
	s_delay_alu instid0(VALU_DEP_2) | instskip(NEXT) | instid1(VALU_DEP_1)
	v_sub_f32_e32 v102, v102, v105
	v_add_f32_e32 v9, v9, v102
	s_delay_alu instid0(VALU_DEP_1) | instskip(NEXT) | instid1(VALU_DEP_1)
	v_add_f32_e32 v9, v14, v9
	v_add_f32_e32 v14, v106, v9
	s_delay_alu instid0(VALU_DEP_1) | instskip(NEXT) | instid1(VALU_DEP_1)
	v_mul_f32_e32 v17, v13, v14
	v_dual_sub_f32 v105, v106, v14 :: v_dual_mul_f32 v102, v101, v17
	s_delay_alu instid0(VALU_DEP_1) | instskip(NEXT) | instid1(VALU_DEP_2)
	v_add_f32_e32 v9, v9, v105
	v_fma_f32 v101, v17, v101, -v102
	s_delay_alu instid0(VALU_DEP_1) | instskip(NEXT) | instid1(VALU_DEP_1)
	v_fmac_f32_e32 v101, v17, v15
	v_add_f32_e32 v15, v102, v101
	s_delay_alu instid0(VALU_DEP_1) | instskip(SKIP_1) | instid1(VALU_DEP_2)
	v_sub_f32_e32 v104, v14, v15
	v_sub_f32_e32 v102, v15, v102
	;; [unrolled: 1-line block ×3, first 2 shown]
	s_delay_alu instid0(VALU_DEP_1) | instskip(NEXT) | instid1(VALU_DEP_1)
	v_sub_f32_e32 v14, v14, v15
	v_dual_add_f32 v9, v9, v14 :: v_dual_add_f32 v14, v103, v17
	s_delay_alu instid0(VALU_DEP_4) | instskip(NEXT) | instid1(VALU_DEP_1)
	v_sub_f32_e32 v15, v102, v101
	v_add_f32_e32 v9, v15, v9
	s_delay_alu instid0(VALU_DEP_3) | instskip(NEXT) | instid1(VALU_DEP_2)
	v_sub_f32_e32 v15, v14, v103
	v_add_f32_e32 v9, v104, v9
	s_delay_alu instid0(VALU_DEP_2) | instskip(NEXT) | instid1(VALU_DEP_2)
	v_sub_f32_e32 v15, v17, v15
	v_mul_f32_e32 v9, v13, v9
	s_delay_alu instid0(VALU_DEP_1) | instskip(NEXT) | instid1(VALU_DEP_1)
	v_add_f32_e32 v9, v15, v9
	v_add_f32_e32 v13, v14, v9
	s_delay_alu instid0(VALU_DEP_1) | instskip(NEXT) | instid1(VALU_DEP_1)
	v_mul_f32_e32 v15, v13, v13
	v_fmaak_f32 v17, s83, v15, 0x3ecc95a3
	v_mul_f32_e32 v101, v13, v15
	s_delay_alu instid0(VALU_DEP_2) | instskip(SKIP_2) | instid1(VALU_DEP_3)
	v_fmaak_f32 v15, v15, v17, 0x3f2aaada
	v_ldexp_f32 v17, v13, 1
	v_sub_f32_e32 v13, v13, v14
	v_mul_f32_e32 v15, v101, v15
	v_mul_f32_e32 v101, 0x3f317218, v8
	s_delay_alu instid0(VALU_DEP_3) | instskip(NEXT) | instid1(VALU_DEP_3)
	v_sub_f32_e32 v9, v9, v13
	v_add_f32_e32 v14, v17, v15
	s_delay_alu instid0(VALU_DEP_2) | instskip(NEXT) | instid1(VALU_DEP_2)
	v_ldexp_f32 v9, v9, 1
	v_sub_f32_e32 v13, v14, v17
	v_fma_f32 v17, 0x3f317218, v8, -v101
	s_delay_alu instid0(VALU_DEP_2) | instskip(NEXT) | instid1(VALU_DEP_1)
	v_sub_f32_e32 v13, v15, v13
	v_dual_fmac_f32 v17, 0xb102e308, v8 :: v_dual_add_f32 v8, v9, v13
	s_delay_alu instid0(VALU_DEP_1) | instskip(NEXT) | instid1(VALU_DEP_2)
	v_add_f32_e32 v9, v101, v17
	v_add_f32_e32 v13, v14, v8
	s_delay_alu instid0(VALU_DEP_2) | instskip(NEXT) | instid1(VALU_DEP_2)
	v_sub_f32_e32 v101, v9, v101
	v_add_f32_e32 v15, v9, v13
	v_sub_f32_e32 v14, v13, v14
	s_delay_alu instid0(VALU_DEP_3) | instskip(NEXT) | instid1(VALU_DEP_3)
	v_sub_f32_e32 v17, v17, v101
	v_sub_f32_e32 v102, v15, v9
	s_delay_alu instid0(VALU_DEP_3) | instskip(NEXT) | instid1(VALU_DEP_2)
	v_sub_f32_e32 v8, v8, v14
	v_sub_f32_e32 v103, v15, v102
	;; [unrolled: 1-line block ×3, first 2 shown]
	s_delay_alu instid0(VALU_DEP_3) | instskip(NEXT) | instid1(VALU_DEP_3)
	v_add_f32_e32 v14, v17, v8
	v_sub_f32_e32 v9, v9, v103
	s_delay_alu instid0(VALU_DEP_1) | instskip(NEXT) | instid1(VALU_DEP_3)
	v_add_f32_e32 v9, v13, v9
	v_sub_f32_e32 v13, v14, v17
	s_delay_alu instid0(VALU_DEP_2) | instskip(NEXT) | instid1(VALU_DEP_2)
	v_add_f32_e32 v9, v14, v9
	v_sub_f32_e32 v14, v14, v13
	v_sub_f32_e32 v8, v8, v13
	s_delay_alu instid0(VALU_DEP_2) | instskip(NEXT) | instid1(VALU_DEP_1)
	v_dual_add_f32 v101, v15, v9 :: v_dual_sub_f32 v14, v17, v14
	v_dual_sub_f32 v13, v101, v15 :: v_dual_add_f32 v8, v8, v14
	s_delay_alu instid0(VALU_DEP_1) | instskip(NEXT) | instid1(VALU_DEP_1)
	v_sub_f32_e32 v9, v9, v13
	v_add_f32_e32 v8, v8, v9
	s_delay_alu instid0(VALU_DEP_1) | instskip(NEXT) | instid1(VALU_DEP_1)
	v_add_f32_e32 v8, v101, v8
	v_cndmask_b32_e32 v101, v8, v12, vcc_lo
.LBB50_98:                              ;   in Loop: Header=BB50_12 Depth=1
	s_or_b32 exec_lo, exec_lo, s29
	v_lshlrev_b32_e32 v8, 16, v10
	s_delay_alu instid0(VALU_DEP_1) | instskip(NEXT) | instid1(VALU_DEP_1)
	v_add_f32_e32 v102, s66, v8
	v_cmp_ge_f32_e32 vcc_lo, 0x41a00000, v102
	s_and_b32 s28, s79, vcc_lo
	s_delay_alu instid0(SALU_CYCLE_1)
	s_and_saveexec_b32 s29, s28
	s_cbranch_execz .LBB50_100
; %bb.99:                               ;   in Loop: Header=BB50_12 Depth=1
	v_mul_f32_e32 v8, 0x3fb8aa3b, v102
	v_cmp_ngt_f32_e32 vcc_lo, 0xc2ce8ed0, v102
	s_delay_alu instid0(VALU_DEP_2) | instskip(SKIP_1) | instid1(VALU_DEP_2)
	v_rndne_f32_e32 v9, v8
	v_fma_f32 v12, 0x3fb8aa3b, v102, -v8
	v_sub_f32_e32 v8, v8, v9
	s_delay_alu instid0(VALU_DEP_2) | instskip(SKIP_1) | instid1(VALU_DEP_2)
	v_fmac_f32_e32 v12, 0x32a5705f, v102
	v_cvt_i32_f32_e32 v9, v9
	v_add_f32_e32 v8, v8, v12
	s_delay_alu instid0(VALU_DEP_1) | instskip(SKIP_2) | instid1(VALU_DEP_1)
	v_exp_f32_e32 v8, v8
	s_waitcnt_depctr 0xfff
	v_ldexp_f32 v8, v8, v9
	v_cndmask_b32_e32 v8, 0, v8, vcc_lo
	v_cmp_nlt_f32_e32 vcc_lo, 0x42b17218, v102
	s_delay_alu instid0(VALU_DEP_2) | instskip(NEXT) | instid1(VALU_DEP_1)
	v_cndmask_b32_e32 v12, 0x7f800000, v8, vcc_lo
	v_add_f32_e32 v13, 1.0, v12
	s_delay_alu instid0(VALU_DEP_1) | instskip(NEXT) | instid1(VALU_DEP_1)
	v_cvt_f64_f32_e32 v[8:9], v13
	v_frexp_exp_i32_f64_e32 v8, v[8:9]
	v_frexp_mant_f32_e32 v9, v13
	s_delay_alu instid0(VALU_DEP_1) | instskip(SKIP_1) | instid1(VALU_DEP_1)
	v_cmp_gt_f32_e32 vcc_lo, 0x3f2aaaab, v9
	v_add_f32_e32 v9, -1.0, v13
	v_sub_f32_e32 v15, v9, v13
	s_delay_alu instid0(VALU_DEP_1) | instskip(SKIP_1) | instid1(VALU_DEP_1)
	v_add_f32_e32 v15, 1.0, v15
	v_subrev_co_ci_u32_e32 v8, vcc_lo, 0, v8, vcc_lo
	v_sub_nc_u32_e32 v14, 0, v8
	v_cvt_f32_i32_e32 v8, v8
	s_delay_alu instid0(VALU_DEP_2) | instskip(NEXT) | instid1(VALU_DEP_1)
	v_ldexp_f32 v13, v13, v14
	v_add_f32_e32 v17, 1.0, v13
	v_sub_f32_e32 v9, v12, v9
	v_cmp_eq_f32_e32 vcc_lo, 0x7f800000, v12
	v_cmp_gt_f32_e64 s28, 0x33800000, v12
	s_delay_alu instid0(VALU_DEP_3) | instskip(NEXT) | instid1(VALU_DEP_2)
	v_add_f32_e32 v9, v9, v15
	s_or_b32 vcc_lo, s28, vcc_lo
	s_delay_alu instid0(VALU_DEP_1) | instskip(SKIP_1) | instid1(VALU_DEP_1)
	v_ldexp_f32 v9, v9, v14
	v_add_f32_e32 v14, -1.0, v13
	v_dual_add_f32 v15, -1.0, v17 :: v_dual_add_f32 v102, 1.0, v14
	s_delay_alu instid0(VALU_DEP_1) | instskip(NEXT) | instid1(VALU_DEP_2)
	v_sub_f32_e32 v15, v13, v15
	v_sub_f32_e32 v13, v13, v102
	s_delay_alu instid0(VALU_DEP_2) | instskip(NEXT) | instid1(VALU_DEP_2)
	v_add_f32_e32 v15, v9, v15
	v_add_f32_e32 v9, v9, v13
	s_delay_alu instid0(VALU_DEP_1) | instskip(NEXT) | instid1(VALU_DEP_1)
	v_dual_add_f32 v102, v17, v15 :: v_dual_add_f32 v103, v14, v9
	v_rcp_f32_e32 v13, v102
	s_delay_alu instid0(VALU_DEP_1) | instskip(NEXT) | instid1(VALU_DEP_1)
	v_dual_sub_f32 v17, v17, v102 :: v_dual_sub_f32 v14, v14, v103
	v_add_f32_e32 v15, v15, v17
	s_waitcnt_depctr 0xfff
	v_dual_add_f32 v9, v9, v14 :: v_dual_mul_f32 v104, v103, v13
	s_delay_alu instid0(VALU_DEP_1) | instskip(NEXT) | instid1(VALU_DEP_1)
	v_mul_f32_e32 v105, v102, v104
	v_fma_f32 v17, v104, v102, -v105
	s_delay_alu instid0(VALU_DEP_1) | instskip(NEXT) | instid1(VALU_DEP_1)
	v_fmac_f32_e32 v17, v104, v15
	v_add_f32_e32 v106, v105, v17
	s_delay_alu instid0(VALU_DEP_1) | instskip(NEXT) | instid1(VALU_DEP_1)
	v_sub_f32_e32 v107, v103, v106
	v_dual_sub_f32 v103, v103, v107 :: v_dual_sub_f32 v14, v106, v105
	s_delay_alu instid0(VALU_DEP_1) | instskip(NEXT) | instid1(VALU_DEP_1)
	v_dual_sub_f32 v103, v103, v106 :: v_dual_sub_f32 v14, v14, v17
	v_add_f32_e32 v9, v9, v103
	s_delay_alu instid0(VALU_DEP_1) | instskip(NEXT) | instid1(VALU_DEP_1)
	v_add_f32_e32 v9, v14, v9
	v_add_f32_e32 v14, v107, v9
	s_delay_alu instid0(VALU_DEP_1) | instskip(NEXT) | instid1(VALU_DEP_1)
	v_mul_f32_e32 v17, v13, v14
	v_dual_sub_f32 v106, v107, v14 :: v_dual_mul_f32 v103, v102, v17
	s_delay_alu instid0(VALU_DEP_1) | instskip(NEXT) | instid1(VALU_DEP_2)
	v_add_f32_e32 v9, v9, v106
	v_fma_f32 v102, v17, v102, -v103
	s_delay_alu instid0(VALU_DEP_1) | instskip(NEXT) | instid1(VALU_DEP_1)
	v_fmac_f32_e32 v102, v17, v15
	v_add_f32_e32 v15, v103, v102
	s_delay_alu instid0(VALU_DEP_1) | instskip(NEXT) | instid1(VALU_DEP_1)
	v_sub_f32_e32 v105, v14, v15
	v_dual_sub_f32 v103, v15, v103 :: v_dual_sub_f32 v14, v14, v105
	s_delay_alu instid0(VALU_DEP_1) | instskip(NEXT) | instid1(VALU_DEP_1)
	v_dual_sub_f32 v14, v14, v15 :: v_dual_sub_f32 v15, v103, v102
	v_dual_add_f32 v9, v9, v14 :: v_dual_add_f32 v14, v104, v17
	s_delay_alu instid0(VALU_DEP_1) | instskip(NEXT) | instid1(VALU_DEP_2)
	v_add_f32_e32 v9, v15, v9
	v_sub_f32_e32 v15, v14, v104
	s_delay_alu instid0(VALU_DEP_2) | instskip(NEXT) | instid1(VALU_DEP_2)
	v_add_f32_e32 v9, v105, v9
	v_sub_f32_e32 v15, v17, v15
	s_delay_alu instid0(VALU_DEP_2) | instskip(NEXT) | instid1(VALU_DEP_1)
	v_mul_f32_e32 v9, v13, v9
	v_add_f32_e32 v9, v15, v9
	s_delay_alu instid0(VALU_DEP_1) | instskip(NEXT) | instid1(VALU_DEP_1)
	v_add_f32_e32 v13, v14, v9
	v_mul_f32_e32 v15, v13, v13
	s_delay_alu instid0(VALU_DEP_1) | instskip(NEXT) | instid1(VALU_DEP_1)
	v_fmaak_f32 v17, s83, v15, 0x3ecc95a3
	v_dual_mul_f32 v102, v13, v15 :: v_dual_fmaak_f32 v15, v15, v17, 0x3f2aaada
	v_ldexp_f32 v17, v13, 1
	v_sub_f32_e32 v13, v13, v14
	s_delay_alu instid0(VALU_DEP_3) | instskip(NEXT) | instid1(VALU_DEP_2)
	v_dual_mul_f32 v15, v102, v15 :: v_dual_mul_f32 v102, 0x3f317218, v8
	v_sub_f32_e32 v9, v9, v13
	s_delay_alu instid0(VALU_DEP_2) | instskip(NEXT) | instid1(VALU_DEP_2)
	v_add_f32_e32 v14, v17, v15
	v_ldexp_f32 v9, v9, 1
	s_delay_alu instid0(VALU_DEP_2) | instskip(SKIP_1) | instid1(VALU_DEP_2)
	v_sub_f32_e32 v13, v14, v17
	v_fma_f32 v17, 0x3f317218, v8, -v102
	v_sub_f32_e32 v13, v15, v13
	s_delay_alu instid0(VALU_DEP_1) | instskip(NEXT) | instid1(VALU_DEP_1)
	v_dual_fmac_f32 v17, 0xb102e308, v8 :: v_dual_add_f32 v8, v9, v13
	v_add_f32_e32 v9, v102, v17
	s_delay_alu instid0(VALU_DEP_1) | instskip(NEXT) | instid1(VALU_DEP_1)
	v_dual_add_f32 v13, v14, v8 :: v_dual_sub_f32 v102, v9, v102
	v_add_f32_e32 v15, v9, v13
	v_sub_f32_e32 v14, v13, v14
	s_delay_alu instid0(VALU_DEP_3) | instskip(NEXT) | instid1(VALU_DEP_2)
	v_sub_f32_e32 v17, v17, v102
	v_dual_sub_f32 v103, v15, v9 :: v_dual_sub_f32 v8, v8, v14
	s_delay_alu instid0(VALU_DEP_1) | instskip(SKIP_1) | instid1(VALU_DEP_3)
	v_sub_f32_e32 v104, v15, v103
	v_sub_f32_e32 v13, v13, v103
	v_add_f32_e32 v14, v17, v8
	s_delay_alu instid0(VALU_DEP_3) | instskip(NEXT) | instid1(VALU_DEP_1)
	v_sub_f32_e32 v9, v9, v104
	v_add_f32_e32 v9, v13, v9
	s_delay_alu instid0(VALU_DEP_3) | instskip(NEXT) | instid1(VALU_DEP_2)
	v_sub_f32_e32 v13, v14, v17
	v_add_f32_e32 v9, v14, v9
	s_delay_alu instid0(VALU_DEP_2) | instskip(SKIP_1) | instid1(VALU_DEP_3)
	v_sub_f32_e32 v14, v14, v13
	v_sub_f32_e32 v8, v8, v13
	v_add_f32_e32 v102, v15, v9
	s_delay_alu instid0(VALU_DEP_1) | instskip(NEXT) | instid1(VALU_DEP_1)
	v_dual_sub_f32 v14, v17, v14 :: v_dual_sub_f32 v13, v102, v15
	v_dual_add_f32 v8, v8, v14 :: v_dual_sub_f32 v9, v9, v13
	s_delay_alu instid0(VALU_DEP_1) | instskip(NEXT) | instid1(VALU_DEP_1)
	v_add_f32_e32 v8, v8, v9
	v_add_f32_e32 v8, v102, v8
	s_delay_alu instid0(VALU_DEP_1)
	v_cndmask_b32_e32 v102, v8, v12, vcc_lo
.LBB50_100:                             ;   in Loop: Header=BB50_12 Depth=1
	s_or_b32 exec_lo, exec_lo, s29
	v_and_b32_e32 v8, 0xffff0000, v10
	s_delay_alu instid0(VALU_DEP_1) | instskip(NEXT) | instid1(VALU_DEP_1)
	v_add_f32_e32 v103, s66, v8
	v_cmp_ge_f32_e32 vcc_lo, 0x41a00000, v103
	s_and_b32 s28, s79, vcc_lo
	s_delay_alu instid0(SALU_CYCLE_1)
	s_and_saveexec_b32 s29, s28
	s_cbranch_execz .LBB50_102
; %bb.101:                              ;   in Loop: Header=BB50_12 Depth=1
	v_mul_f32_e32 v8, 0x3fb8aa3b, v103
	v_cmp_ngt_f32_e32 vcc_lo, 0xc2ce8ed0, v103
	s_delay_alu instid0(VALU_DEP_2) | instskip(SKIP_1) | instid1(VALU_DEP_2)
	v_rndne_f32_e32 v9, v8
	v_fma_f32 v10, 0x3fb8aa3b, v103, -v8
	v_sub_f32_e32 v8, v8, v9
	s_delay_alu instid0(VALU_DEP_2) | instskip(SKIP_1) | instid1(VALU_DEP_2)
	v_fmac_f32_e32 v10, 0x32a5705f, v103
	v_cvt_i32_f32_e32 v9, v9
	v_add_f32_e32 v8, v8, v10
	s_delay_alu instid0(VALU_DEP_1) | instskip(SKIP_2) | instid1(VALU_DEP_1)
	v_exp_f32_e32 v8, v8
	s_waitcnt_depctr 0xfff
	v_ldexp_f32 v8, v8, v9
	v_cndmask_b32_e32 v8, 0, v8, vcc_lo
	v_cmp_nlt_f32_e32 vcc_lo, 0x42b17218, v103
	s_delay_alu instid0(VALU_DEP_2) | instskip(NEXT) | instid1(VALU_DEP_1)
	v_cndmask_b32_e32 v10, 0x7f800000, v8, vcc_lo
	v_add_f32_e32 v12, 1.0, v10
	s_delay_alu instid0(VALU_DEP_1) | instskip(NEXT) | instid1(VALU_DEP_1)
	v_cvt_f64_f32_e32 v[8:9], v12
	v_frexp_exp_i32_f64_e32 v8, v[8:9]
	v_frexp_mant_f32_e32 v9, v12
	s_delay_alu instid0(VALU_DEP_1) | instskip(SKIP_1) | instid1(VALU_DEP_1)
	v_cmp_gt_f32_e32 vcc_lo, 0x3f2aaaab, v9
	v_add_f32_e32 v9, -1.0, v12
	v_dual_sub_f32 v14, v9, v12 :: v_dual_sub_f32 v9, v10, v9
	v_subrev_co_ci_u32_e32 v8, vcc_lo, 0, v8, vcc_lo
	s_delay_alu instid0(VALU_DEP_1) | instskip(SKIP_1) | instid1(VALU_DEP_2)
	v_sub_nc_u32_e32 v13, 0, v8
	v_cvt_f32_i32_e32 v8, v8
	v_ldexp_f32 v12, v12, v13
	s_delay_alu instid0(VALU_DEP_1) | instskip(NEXT) | instid1(VALU_DEP_1)
	v_dual_add_f32 v14, 1.0, v14 :: v_dual_add_f32 v15, 1.0, v12
	v_add_f32_e32 v9, v9, v14
	s_delay_alu instid0(VALU_DEP_1) | instskip(NEXT) | instid1(VALU_DEP_3)
	v_ldexp_f32 v9, v9, v13
	v_dual_add_f32 v13, -1.0, v12 :: v_dual_add_f32 v14, -1.0, v15
	s_delay_alu instid0(VALU_DEP_1) | instskip(NEXT) | instid1(VALU_DEP_1)
	v_dual_add_f32 v17, 1.0, v13 :: v_dual_sub_f32 v14, v12, v14
	v_sub_f32_e32 v12, v12, v17
	s_delay_alu instid0(VALU_DEP_2) | instskip(NEXT) | instid1(VALU_DEP_2)
	v_add_f32_e32 v14, v9, v14
	v_add_f32_e32 v9, v9, v12
	s_delay_alu instid0(VALU_DEP_2) | instskip(SKIP_2) | instid1(VALU_DEP_4)
	v_add_f32_e32 v17, v15, v14
	v_cmp_eq_f32_e32 vcc_lo, 0x7f800000, v10
	v_cmp_gt_f32_e64 s28, 0x33800000, v10
	v_add_f32_e32 v103, v13, v9
	s_delay_alu instid0(VALU_DEP_4) | instskip(SKIP_1) | instid1(VALU_DEP_3)
	v_rcp_f32_e32 v12, v17
	v_sub_f32_e32 v15, v15, v17
	s_or_b32 vcc_lo, s28, vcc_lo
	s_delay_alu instid0(VALU_DEP_2) | instskip(NEXT) | instid1(VALU_DEP_1)
	v_sub_f32_e32 v13, v13, v103
	v_dual_add_f32 v14, v14, v15 :: v_dual_add_f32 v9, v9, v13
	s_waitcnt_depctr 0xfff
	v_mul_f32_e32 v104, v103, v12
	s_delay_alu instid0(VALU_DEP_1) | instskip(NEXT) | instid1(VALU_DEP_1)
	v_mul_f32_e32 v105, v17, v104
	v_fma_f32 v15, v104, v17, -v105
	s_delay_alu instid0(VALU_DEP_1) | instskip(NEXT) | instid1(VALU_DEP_1)
	v_fmac_f32_e32 v15, v104, v14
	v_add_f32_e32 v106, v105, v15
	s_delay_alu instid0(VALU_DEP_1) | instskip(SKIP_1) | instid1(VALU_DEP_2)
	v_sub_f32_e32 v107, v103, v106
	v_sub_f32_e32 v13, v106, v105
	;; [unrolled: 1-line block ×3, first 2 shown]
	s_delay_alu instid0(VALU_DEP_2) | instskip(NEXT) | instid1(VALU_DEP_2)
	v_sub_f32_e32 v13, v13, v15
	v_sub_f32_e32 v103, v103, v106
	s_delay_alu instid0(VALU_DEP_1) | instskip(NEXT) | instid1(VALU_DEP_1)
	v_add_f32_e32 v9, v9, v103
	v_add_f32_e32 v9, v13, v9
	s_delay_alu instid0(VALU_DEP_1) | instskip(NEXT) | instid1(VALU_DEP_1)
	v_add_f32_e32 v13, v107, v9
	v_mul_f32_e32 v15, v12, v13
	s_delay_alu instid0(VALU_DEP_1) | instskip(NEXT) | instid1(VALU_DEP_1)
	v_dual_sub_f32 v106, v107, v13 :: v_dual_mul_f32 v103, v17, v15
	v_add_f32_e32 v9, v9, v106
	s_delay_alu instid0(VALU_DEP_2) | instskip(NEXT) | instid1(VALU_DEP_1)
	v_fma_f32 v17, v15, v17, -v103
	v_fmac_f32_e32 v17, v15, v14
	s_delay_alu instid0(VALU_DEP_1) | instskip(NEXT) | instid1(VALU_DEP_1)
	v_add_f32_e32 v14, v103, v17
	v_sub_f32_e32 v105, v13, v14
	v_sub_f32_e32 v103, v14, v103
	s_delay_alu instid0(VALU_DEP_2) | instskip(NEXT) | instid1(VALU_DEP_1)
	v_sub_f32_e32 v13, v13, v105
	v_dual_sub_f32 v13, v13, v14 :: v_dual_sub_f32 v14, v103, v17
	s_delay_alu instid0(VALU_DEP_1) | instskip(SKIP_1) | instid1(VALU_DEP_1)
	v_add_f32_e32 v9, v9, v13
	v_add_f32_e32 v13, v104, v15
	v_dual_add_f32 v9, v14, v9 :: v_dual_sub_f32 v14, v13, v104
	s_delay_alu instid0(VALU_DEP_1) | instskip(NEXT) | instid1(VALU_DEP_1)
	v_dual_add_f32 v9, v105, v9 :: v_dual_sub_f32 v14, v15, v14
	v_mul_f32_e32 v9, v12, v9
	s_delay_alu instid0(VALU_DEP_1) | instskip(NEXT) | instid1(VALU_DEP_1)
	v_add_f32_e32 v9, v14, v9
	v_add_f32_e32 v12, v13, v9
	s_delay_alu instid0(VALU_DEP_1) | instskip(NEXT) | instid1(VALU_DEP_1)
	v_mul_f32_e32 v14, v12, v12
	v_fmaak_f32 v15, s83, v14, 0x3ecc95a3
	s_delay_alu instid0(VALU_DEP_1) | instskip(SKIP_2) | instid1(VALU_DEP_3)
	v_dual_mul_f32 v17, v12, v14 :: v_dual_fmaak_f32 v14, v14, v15, 0x3f2aaada
	v_ldexp_f32 v15, v12, 1
	v_sub_f32_e32 v12, v12, v13
	v_dual_mul_f32 v14, v17, v14 :: v_dual_mul_f32 v17, 0x3f317218, v8
	s_delay_alu instid0(VALU_DEP_2) | instskip(NEXT) | instid1(VALU_DEP_2)
	v_sub_f32_e32 v9, v9, v12
	v_add_f32_e32 v13, v15, v14
	s_delay_alu instid0(VALU_DEP_2) | instskip(NEXT) | instid1(VALU_DEP_2)
	v_ldexp_f32 v9, v9, 1
	v_sub_f32_e32 v12, v13, v15
	v_fma_f32 v15, 0x3f317218, v8, -v17
	s_delay_alu instid0(VALU_DEP_2) | instskip(NEXT) | instid1(VALU_DEP_2)
	v_sub_f32_e32 v12, v14, v12
	v_fmac_f32_e32 v15, 0xb102e308, v8
	s_delay_alu instid0(VALU_DEP_2) | instskip(NEXT) | instid1(VALU_DEP_2)
	v_add_f32_e32 v8, v9, v12
	v_add_f32_e32 v9, v17, v15
	s_delay_alu instid0(VALU_DEP_2) | instskip(NEXT) | instid1(VALU_DEP_2)
	v_add_f32_e32 v12, v13, v8
	v_sub_f32_e32 v17, v9, v17
	s_delay_alu instid0(VALU_DEP_2) | instskip(NEXT) | instid1(VALU_DEP_2)
	v_dual_add_f32 v14, v9, v12 :: v_dual_sub_f32 v13, v12, v13
	v_sub_f32_e32 v15, v15, v17
	s_delay_alu instid0(VALU_DEP_2) | instskip(NEXT) | instid1(VALU_DEP_3)
	v_sub_f32_e32 v103, v14, v9
	v_sub_f32_e32 v8, v8, v13
	s_delay_alu instid0(VALU_DEP_2) | instskip(NEXT) | instid1(VALU_DEP_2)
	v_sub_f32_e32 v104, v14, v103
	v_dual_sub_f32 v12, v12, v103 :: v_dual_add_f32 v13, v15, v8
	s_delay_alu instid0(VALU_DEP_2) | instskip(NEXT) | instid1(VALU_DEP_1)
	v_sub_f32_e32 v9, v9, v104
	v_dual_add_f32 v9, v12, v9 :: v_dual_sub_f32 v12, v13, v15
	s_delay_alu instid0(VALU_DEP_1) | instskip(NEXT) | instid1(VALU_DEP_2)
	v_add_f32_e32 v9, v13, v9
	v_sub_f32_e32 v13, v13, v12
	s_delay_alu instid0(VALU_DEP_2) | instskip(NEXT) | instid1(VALU_DEP_1)
	v_dual_sub_f32 v8, v8, v12 :: v_dual_add_f32 v17, v14, v9
	v_dual_sub_f32 v13, v15, v13 :: v_dual_sub_f32 v12, v17, v14
	s_delay_alu instid0(VALU_DEP_1) | instskip(NEXT) | instid1(VALU_DEP_1)
	v_dual_add_f32 v8, v8, v13 :: v_dual_sub_f32 v9, v9, v12
	v_add_f32_e32 v8, v8, v9
	s_delay_alu instid0(VALU_DEP_1) | instskip(NEXT) | instid1(VALU_DEP_1)
	v_add_f32_e32 v8, v17, v8
	v_cndmask_b32_e32 v103, v8, v10, vcc_lo
.LBB50_102:                             ;   in Loop: Header=BB50_12 Depth=1
	s_or_b32 exec_lo, exec_lo, s29
	v_lshlrev_b32_e32 v8, 16, v11
	s_delay_alu instid0(VALU_DEP_1) | instskip(NEXT) | instid1(VALU_DEP_1)
	v_add_f32_e32 v104, s66, v8
	v_cmp_ge_f32_e32 vcc_lo, 0x41a00000, v104
	s_and_b32 s28, s79, vcc_lo
	s_delay_alu instid0(SALU_CYCLE_1)
	s_and_saveexec_b32 s29, s28
	s_cbranch_execz .LBB50_104
; %bb.103:                              ;   in Loop: Header=BB50_12 Depth=1
	v_mul_f32_e32 v8, 0x3fb8aa3b, v104
	v_cmp_ngt_f32_e32 vcc_lo, 0xc2ce8ed0, v104
	s_delay_alu instid0(VALU_DEP_2) | instskip(SKIP_1) | instid1(VALU_DEP_2)
	v_rndne_f32_e32 v9, v8
	v_fma_f32 v10, 0x3fb8aa3b, v104, -v8
	v_sub_f32_e32 v8, v8, v9
	s_delay_alu instid0(VALU_DEP_2) | instskip(SKIP_1) | instid1(VALU_DEP_2)
	v_fmac_f32_e32 v10, 0x32a5705f, v104
	v_cvt_i32_f32_e32 v9, v9
	v_add_f32_e32 v8, v8, v10
	s_delay_alu instid0(VALU_DEP_1) | instskip(SKIP_2) | instid1(VALU_DEP_1)
	v_exp_f32_e32 v8, v8
	s_waitcnt_depctr 0xfff
	v_ldexp_f32 v8, v8, v9
	v_cndmask_b32_e32 v8, 0, v8, vcc_lo
	v_cmp_nlt_f32_e32 vcc_lo, 0x42b17218, v104
	s_delay_alu instid0(VALU_DEP_2) | instskip(NEXT) | instid1(VALU_DEP_1)
	v_cndmask_b32_e32 v10, 0x7f800000, v8, vcc_lo
	v_add_f32_e32 v12, 1.0, v10
	s_delay_alu instid0(VALU_DEP_1) | instskip(NEXT) | instid1(VALU_DEP_1)
	v_cvt_f64_f32_e32 v[8:9], v12
	v_frexp_exp_i32_f64_e32 v8, v[8:9]
	v_frexp_mant_f32_e32 v9, v12
	s_delay_alu instid0(VALU_DEP_1) | instskip(SKIP_1) | instid1(VALU_DEP_1)
	v_cmp_gt_f32_e32 vcc_lo, 0x3f2aaaab, v9
	v_add_f32_e32 v9, -1.0, v12
	v_dual_sub_f32 v14, v9, v12 :: v_dual_sub_f32 v9, v10, v9
	v_subrev_co_ci_u32_e32 v8, vcc_lo, 0, v8, vcc_lo
	s_delay_alu instid0(VALU_DEP_1) | instskip(SKIP_1) | instid1(VALU_DEP_2)
	v_sub_nc_u32_e32 v13, 0, v8
	v_cvt_f32_i32_e32 v8, v8
	v_ldexp_f32 v12, v12, v13
	s_delay_alu instid0(VALU_DEP_1) | instskip(NEXT) | instid1(VALU_DEP_1)
	v_dual_add_f32 v14, 1.0, v14 :: v_dual_add_f32 v15, 1.0, v12
	v_add_f32_e32 v9, v9, v14
	s_delay_alu instid0(VALU_DEP_1) | instskip(NEXT) | instid1(VALU_DEP_3)
	v_ldexp_f32 v9, v9, v13
	v_dual_add_f32 v13, -1.0, v12 :: v_dual_add_f32 v14, -1.0, v15
	s_delay_alu instid0(VALU_DEP_1) | instskip(NEXT) | instid1(VALU_DEP_1)
	v_dual_add_f32 v17, 1.0, v13 :: v_dual_sub_f32 v14, v12, v14
	v_sub_f32_e32 v12, v12, v17
	s_delay_alu instid0(VALU_DEP_2) | instskip(NEXT) | instid1(VALU_DEP_2)
	v_add_f32_e32 v14, v9, v14
	v_add_f32_e32 v9, v9, v12
	s_delay_alu instid0(VALU_DEP_2) | instskip(SKIP_2) | instid1(VALU_DEP_4)
	v_add_f32_e32 v17, v15, v14
	v_cmp_eq_f32_e32 vcc_lo, 0x7f800000, v10
	v_cmp_gt_f32_e64 s28, 0x33800000, v10
	v_add_f32_e32 v104, v13, v9
	s_delay_alu instid0(VALU_DEP_4) | instskip(SKIP_1) | instid1(VALU_DEP_3)
	v_rcp_f32_e32 v12, v17
	v_sub_f32_e32 v15, v15, v17
	s_or_b32 vcc_lo, s28, vcc_lo
	s_delay_alu instid0(VALU_DEP_2) | instskip(NEXT) | instid1(VALU_DEP_1)
	v_sub_f32_e32 v13, v13, v104
	v_add_f32_e32 v9, v9, v13
	s_waitcnt_depctr 0xfff
	v_dual_mul_f32 v105, v104, v12 :: v_dual_add_f32 v14, v14, v15
	s_delay_alu instid0(VALU_DEP_1) | instskip(NEXT) | instid1(VALU_DEP_1)
	v_mul_f32_e32 v106, v17, v105
	v_fma_f32 v15, v105, v17, -v106
	s_delay_alu instid0(VALU_DEP_1) | instskip(NEXT) | instid1(VALU_DEP_1)
	v_fmac_f32_e32 v15, v105, v14
	v_add_f32_e32 v107, v106, v15
	s_delay_alu instid0(VALU_DEP_1) | instskip(NEXT) | instid1(VALU_DEP_1)
	v_dual_sub_f32 v13, v107, v106 :: v_dual_sub_f32 v108, v104, v107
	v_dual_sub_f32 v13, v13, v15 :: v_dual_sub_f32 v104, v104, v108
	s_delay_alu instid0(VALU_DEP_1) | instskip(NEXT) | instid1(VALU_DEP_1)
	v_sub_f32_e32 v104, v104, v107
	v_add_f32_e32 v9, v9, v104
	s_delay_alu instid0(VALU_DEP_1) | instskip(NEXT) | instid1(VALU_DEP_1)
	v_add_f32_e32 v9, v13, v9
	v_add_f32_e32 v13, v108, v9
	s_delay_alu instid0(VALU_DEP_1) | instskip(NEXT) | instid1(VALU_DEP_1)
	v_mul_f32_e32 v15, v12, v13
	v_mul_f32_e32 v104, v17, v15
	s_delay_alu instid0(VALU_DEP_1) | instskip(NEXT) | instid1(VALU_DEP_1)
	v_fma_f32 v17, v15, v17, -v104
	v_fmac_f32_e32 v17, v15, v14
	s_delay_alu instid0(VALU_DEP_1) | instskip(NEXT) | instid1(VALU_DEP_1)
	v_add_f32_e32 v14, v104, v17
	v_dual_sub_f32 v107, v108, v13 :: v_dual_sub_f32 v106, v13, v14
	s_delay_alu instid0(VALU_DEP_1) | instskip(NEXT) | instid1(VALU_DEP_2)
	v_dual_sub_f32 v13, v13, v106 :: v_dual_sub_f32 v104, v14, v104
	v_add_f32_e32 v9, v9, v107
	s_delay_alu instid0(VALU_DEP_2) | instskip(NEXT) | instid1(VALU_DEP_1)
	v_dual_sub_f32 v13, v13, v14 :: v_dual_sub_f32 v14, v104, v17
	v_add_f32_e32 v9, v9, v13
	v_add_f32_e32 v13, v105, v15
	s_delay_alu instid0(VALU_DEP_2) | instskip(NEXT) | instid1(VALU_DEP_2)
	v_add_f32_e32 v9, v14, v9
	v_sub_f32_e32 v14, v13, v105
	s_delay_alu instid0(VALU_DEP_1) | instskip(NEXT) | instid1(VALU_DEP_1)
	v_dual_add_f32 v9, v106, v9 :: v_dual_sub_f32 v14, v15, v14
	v_mul_f32_e32 v9, v12, v9
	s_delay_alu instid0(VALU_DEP_1) | instskip(NEXT) | instid1(VALU_DEP_1)
	v_add_f32_e32 v9, v14, v9
	v_add_f32_e32 v12, v13, v9
	s_delay_alu instid0(VALU_DEP_1) | instskip(NEXT) | instid1(VALU_DEP_1)
	v_mul_f32_e32 v14, v12, v12
	v_fmaak_f32 v15, s83, v14, 0x3ecc95a3
	s_delay_alu instid0(VALU_DEP_1) | instskip(SKIP_1) | instid1(VALU_DEP_2)
	v_dual_mul_f32 v17, v12, v14 :: v_dual_fmaak_f32 v14, v14, v15, 0x3f2aaada
	v_ldexp_f32 v15, v12, 1
	v_mul_f32_e32 v14, v17, v14
	v_dual_sub_f32 v12, v12, v13 :: v_dual_mul_f32 v17, 0x3f317218, v8
	s_delay_alu instid0(VALU_DEP_2) | instskip(NEXT) | instid1(VALU_DEP_2)
	v_add_f32_e32 v13, v15, v14
	v_sub_f32_e32 v9, v9, v12
	s_delay_alu instid0(VALU_DEP_2) | instskip(NEXT) | instid1(VALU_DEP_4)
	v_sub_f32_e32 v12, v13, v15
	v_fma_f32 v15, 0x3f317218, v8, -v17
	s_delay_alu instid0(VALU_DEP_3) | instskip(NEXT) | instid1(VALU_DEP_3)
	v_ldexp_f32 v9, v9, 1
	v_sub_f32_e32 v12, v14, v12
	s_delay_alu instid0(VALU_DEP_3) | instskip(NEXT) | instid1(VALU_DEP_2)
	v_fmac_f32_e32 v15, 0xb102e308, v8
	v_add_f32_e32 v8, v9, v12
	s_delay_alu instid0(VALU_DEP_1) | instskip(NEXT) | instid1(VALU_DEP_3)
	v_add_f32_e32 v12, v13, v8
	v_add_f32_e32 v9, v17, v15
	s_delay_alu instid0(VALU_DEP_1) | instskip(NEXT) | instid1(VALU_DEP_1)
	v_dual_sub_f32 v13, v12, v13 :: v_dual_add_f32 v14, v9, v12
	v_sub_f32_e32 v8, v8, v13
	s_delay_alu instid0(VALU_DEP_2) | instskip(NEXT) | instid1(VALU_DEP_1)
	v_sub_f32_e32 v104, v14, v9
	v_dual_sub_f32 v12, v12, v104 :: v_dual_sub_f32 v17, v9, v17
	s_delay_alu instid0(VALU_DEP_1) | instskip(NEXT) | instid1(VALU_DEP_1)
	v_sub_f32_e32 v15, v15, v17
	v_add_f32_e32 v13, v15, v8
	v_sub_f32_e32 v105, v14, v104
	s_delay_alu instid0(VALU_DEP_1) | instskip(NEXT) | instid1(VALU_DEP_1)
	v_sub_f32_e32 v9, v9, v105
	v_dual_add_f32 v9, v12, v9 :: v_dual_sub_f32 v12, v13, v15
	s_delay_alu instid0(VALU_DEP_1) | instskip(NEXT) | instid1(VALU_DEP_2)
	v_add_f32_e32 v9, v13, v9
	v_sub_f32_e32 v13, v13, v12
	s_delay_alu instid0(VALU_DEP_2) | instskip(NEXT) | instid1(VALU_DEP_1)
	v_dual_sub_f32 v8, v8, v12 :: v_dual_add_f32 v17, v14, v9
	v_dual_sub_f32 v12, v17, v14 :: v_dual_sub_f32 v13, v15, v13
	s_delay_alu instid0(VALU_DEP_1) | instskip(NEXT) | instid1(VALU_DEP_1)
	v_dual_sub_f32 v9, v9, v12 :: v_dual_add_f32 v8, v8, v13
	v_add_f32_e32 v8, v8, v9
	s_delay_alu instid0(VALU_DEP_1) | instskip(NEXT) | instid1(VALU_DEP_1)
	v_add_f32_e32 v8, v17, v8
	v_cndmask_b32_e32 v104, v8, v10, vcc_lo
.LBB50_104:                             ;   in Loop: Header=BB50_12 Depth=1
	s_or_b32 exec_lo, exec_lo, s29
	v_and_b32_e32 v8, 0xffff0000, v11
	s_delay_alu instid0(VALU_DEP_1) | instskip(NEXT) | instid1(VALU_DEP_1)
	v_add_f32_e32 v121, s66, v8
	v_cmp_ge_f32_e32 vcc_lo, 0x41a00000, v121
	s_and_b32 s28, s79, vcc_lo
	s_delay_alu instid0(SALU_CYCLE_1)
	s_and_saveexec_b32 s29, s28
	s_cbranch_execz .LBB50_106
; %bb.105:                              ;   in Loop: Header=BB50_12 Depth=1
	v_mul_f32_e32 v8, 0x3fb8aa3b, v121
	v_cmp_ngt_f32_e32 vcc_lo, 0xc2ce8ed0, v121
	s_delay_alu instid0(VALU_DEP_2) | instskip(SKIP_1) | instid1(VALU_DEP_2)
	v_rndne_f32_e32 v9, v8
	v_fma_f32 v10, 0x3fb8aa3b, v121, -v8
	v_sub_f32_e32 v8, v8, v9
	s_delay_alu instid0(VALU_DEP_2) | instskip(SKIP_1) | instid1(VALU_DEP_2)
	v_fmac_f32_e32 v10, 0x32a5705f, v121
	v_cvt_i32_f32_e32 v9, v9
	v_add_f32_e32 v8, v8, v10
	s_delay_alu instid0(VALU_DEP_1) | instskip(SKIP_2) | instid1(VALU_DEP_1)
	v_exp_f32_e32 v8, v8
	s_waitcnt_depctr 0xfff
	v_ldexp_f32 v8, v8, v9
	v_cndmask_b32_e32 v8, 0, v8, vcc_lo
	v_cmp_nlt_f32_e32 vcc_lo, 0x42b17218, v121
	s_delay_alu instid0(VALU_DEP_2) | instskip(NEXT) | instid1(VALU_DEP_1)
	v_cndmask_b32_e32 v10, 0x7f800000, v8, vcc_lo
	v_add_f32_e32 v11, 1.0, v10
	s_delay_alu instid0(VALU_DEP_1) | instskip(NEXT) | instid1(VALU_DEP_1)
	v_cvt_f64_f32_e32 v[8:9], v11
	v_frexp_exp_i32_f64_e32 v8, v[8:9]
	v_frexp_mant_f32_e32 v9, v11
	s_delay_alu instid0(VALU_DEP_1) | instskip(SKIP_1) | instid1(VALU_DEP_1)
	v_cmp_gt_f32_e32 vcc_lo, 0x3f2aaaab, v9
	v_add_f32_e32 v9, -1.0, v11
	v_sub_f32_e32 v13, v9, v11
	v_sub_f32_e32 v9, v10, v9
	s_delay_alu instid0(VALU_DEP_2) | instskip(NEXT) | instid1(VALU_DEP_1)
	v_add_f32_e32 v13, 1.0, v13
	v_add_f32_e32 v9, v9, v13
	v_cmp_gt_f32_e64 s28, 0x33800000, v10
	v_subrev_co_ci_u32_e32 v8, vcc_lo, 0, v8, vcc_lo
	v_cmp_eq_f32_e32 vcc_lo, 0x7f800000, v10
	s_delay_alu instid0(VALU_DEP_2) | instskip(SKIP_2) | instid1(VALU_DEP_2)
	v_sub_nc_u32_e32 v12, 0, v8
	v_cvt_f32_i32_e32 v8, v8
	s_or_b32 vcc_lo, s28, vcc_lo
	v_ldexp_f32 v11, v11, v12
	v_ldexp_f32 v9, v9, v12
	s_delay_alu instid0(VALU_DEP_2) | instskip(NEXT) | instid1(VALU_DEP_1)
	v_add_f32_e32 v14, 1.0, v11
	v_dual_add_f32 v12, -1.0, v11 :: v_dual_add_f32 v13, -1.0, v14
	s_delay_alu instid0(VALU_DEP_1) | instskip(NEXT) | instid1(VALU_DEP_2)
	v_add_f32_e32 v15, 1.0, v12
	v_sub_f32_e32 v13, v11, v13
	s_delay_alu instid0(VALU_DEP_2) | instskip(NEXT) | instid1(VALU_DEP_2)
	v_sub_f32_e32 v11, v11, v15
	v_add_f32_e32 v13, v9, v13
	s_delay_alu instid0(VALU_DEP_2) | instskip(NEXT) | instid1(VALU_DEP_1)
	v_add_f32_e32 v9, v9, v11
	v_add_f32_e32 v17, v12, v9
	s_delay_alu instid0(VALU_DEP_3) | instskip(NEXT) | instid1(VALU_DEP_2)
	v_add_f32_e32 v15, v14, v13
	v_sub_f32_e32 v12, v12, v17
	s_delay_alu instid0(VALU_DEP_2) | instskip(SKIP_1) | instid1(VALU_DEP_1)
	v_rcp_f32_e32 v11, v15
	v_sub_f32_e32 v14, v14, v15
	v_add_f32_e32 v13, v13, v14
	s_waitcnt_depctr 0xfff
	v_mul_f32_e32 v105, v17, v11
	s_delay_alu instid0(VALU_DEP_1) | instskip(NEXT) | instid1(VALU_DEP_1)
	v_dual_mul_f32 v106, v15, v105 :: v_dual_add_f32 v9, v9, v12
	v_fma_f32 v14, v105, v15, -v106
	s_delay_alu instid0(VALU_DEP_1) | instskip(NEXT) | instid1(VALU_DEP_1)
	v_fmac_f32_e32 v14, v105, v13
	v_add_f32_e32 v107, v106, v14
	s_delay_alu instid0(VALU_DEP_1) | instskip(SKIP_1) | instid1(VALU_DEP_1)
	v_sub_f32_e32 v12, v107, v106
	v_sub_f32_e32 v108, v17, v107
	v_dual_sub_f32 v12, v12, v14 :: v_dual_sub_f32 v17, v17, v108
	s_delay_alu instid0(VALU_DEP_1) | instskip(NEXT) | instid1(VALU_DEP_1)
	v_sub_f32_e32 v17, v17, v107
	v_add_f32_e32 v9, v9, v17
	s_delay_alu instid0(VALU_DEP_1) | instskip(NEXT) | instid1(VALU_DEP_1)
	v_add_f32_e32 v9, v12, v9
	v_add_f32_e32 v12, v108, v9
	s_delay_alu instid0(VALU_DEP_1) | instskip(SKIP_1) | instid1(VALU_DEP_2)
	v_mul_f32_e32 v14, v11, v12
	v_sub_f32_e32 v107, v108, v12
	v_mul_f32_e32 v17, v15, v14
	s_delay_alu instid0(VALU_DEP_2) | instskip(NEXT) | instid1(VALU_DEP_2)
	v_add_f32_e32 v9, v9, v107
	v_fma_f32 v15, v14, v15, -v17
	s_delay_alu instid0(VALU_DEP_1) | instskip(NEXT) | instid1(VALU_DEP_1)
	v_fmac_f32_e32 v15, v14, v13
	v_add_f32_e32 v13, v17, v15
	s_delay_alu instid0(VALU_DEP_1) | instskip(NEXT) | instid1(VALU_DEP_1)
	v_sub_f32_e32 v106, v12, v13
	v_dual_sub_f32 v17, v13, v17 :: v_dual_sub_f32 v12, v12, v106
	s_delay_alu instid0(VALU_DEP_1) | instskip(NEXT) | instid1(VALU_DEP_1)
	v_dual_sub_f32 v12, v12, v13 :: v_dual_sub_f32 v13, v17, v15
	v_add_f32_e32 v9, v9, v12
	v_add_f32_e32 v12, v105, v14
	s_delay_alu instid0(VALU_DEP_2) | instskip(NEXT) | instid1(VALU_DEP_2)
	v_add_f32_e32 v9, v13, v9
	v_sub_f32_e32 v13, v12, v105
	s_delay_alu instid0(VALU_DEP_2) | instskip(NEXT) | instid1(VALU_DEP_2)
	v_add_f32_e32 v9, v106, v9
	v_sub_f32_e32 v13, v14, v13
	s_delay_alu instid0(VALU_DEP_2) | instskip(NEXT) | instid1(VALU_DEP_1)
	v_mul_f32_e32 v9, v11, v9
	v_add_f32_e32 v9, v13, v9
	s_delay_alu instid0(VALU_DEP_1) | instskip(NEXT) | instid1(VALU_DEP_1)
	v_add_f32_e32 v11, v12, v9
	v_mul_f32_e32 v13, v11, v11
	s_delay_alu instid0(VALU_DEP_1) | instskip(SKIP_1) | instid1(VALU_DEP_2)
	v_fmaak_f32 v14, s83, v13, 0x3ecc95a3
	v_mul_f32_e32 v15, v11, v13
	v_fmaak_f32 v13, v13, v14, 0x3f2aaada
	v_ldexp_f32 v14, v11, 1
	v_sub_f32_e32 v11, v11, v12
	s_delay_alu instid0(VALU_DEP_3) | instskip(SKIP_1) | instid1(VALU_DEP_2)
	v_mul_f32_e32 v13, v15, v13
	v_mul_f32_e32 v15, 0x3f317218, v8
	v_dual_sub_f32 v9, v9, v11 :: v_dual_add_f32 v12, v14, v13
	s_delay_alu instid0(VALU_DEP_1) | instskip(NEXT) | instid1(VALU_DEP_2)
	v_ldexp_f32 v9, v9, 1
	v_sub_f32_e32 v11, v12, v14
	s_delay_alu instid0(VALU_DEP_4) | instskip(NEXT) | instid1(VALU_DEP_1)
	v_fma_f32 v14, 0x3f317218, v8, -v15
	v_dual_sub_f32 v11, v13, v11 :: v_dual_fmac_f32 v14, 0xb102e308, v8
	s_delay_alu instid0(VALU_DEP_1) | instskip(NEXT) | instid1(VALU_DEP_1)
	v_dual_add_f32 v8, v9, v11 :: v_dual_add_f32 v9, v15, v14
	v_add_f32_e32 v11, v12, v8
	s_delay_alu instid0(VALU_DEP_2) | instskip(NEXT) | instid1(VALU_DEP_2)
	v_sub_f32_e32 v15, v9, v15
	v_dual_add_f32 v13, v9, v11 :: v_dual_sub_f32 v12, v11, v12
	s_delay_alu instid0(VALU_DEP_1) | instskip(NEXT) | instid1(VALU_DEP_1)
	v_dual_sub_f32 v14, v14, v15 :: v_dual_sub_f32 v17, v13, v9
	v_dual_sub_f32 v8, v8, v12 :: v_dual_sub_f32 v105, v13, v17
	s_delay_alu instid0(VALU_DEP_1) | instskip(NEXT) | instid1(VALU_DEP_2)
	v_dual_sub_f32 v11, v11, v17 :: v_dual_add_f32 v12, v14, v8
	v_sub_f32_e32 v9, v9, v105
	s_delay_alu instid0(VALU_DEP_1) | instskip(NEXT) | instid1(VALU_DEP_3)
	v_add_f32_e32 v9, v11, v9
	v_sub_f32_e32 v11, v12, v14
	s_delay_alu instid0(VALU_DEP_2) | instskip(NEXT) | instid1(VALU_DEP_2)
	v_add_f32_e32 v9, v12, v9
	v_sub_f32_e32 v12, v12, v11
	s_delay_alu instid0(VALU_DEP_2) | instskip(NEXT) | instid1(VALU_DEP_1)
	v_dual_sub_f32 v8, v8, v11 :: v_dual_add_f32 v15, v13, v9
	v_dual_sub_f32 v12, v14, v12 :: v_dual_sub_f32 v11, v15, v13
	s_delay_alu instid0(VALU_DEP_1) | instskip(NEXT) | instid1(VALU_DEP_1)
	v_dual_add_f32 v8, v8, v12 :: v_dual_sub_f32 v9, v9, v11
	v_add_f32_e32 v8, v8, v9
	s_delay_alu instid0(VALU_DEP_1) | instskip(NEXT) | instid1(VALU_DEP_1)
	v_add_f32_e32 v8, v15, v8
	v_cndmask_b32_e32 v121, v8, v10, vcc_lo
.LBB50_106:                             ;   in Loop: Header=BB50_12 Depth=1
	s_or_b32 exec_lo, exec_lo, s29
	v_and_b32_e32 v11, 0xffff0000, v3
	v_and_b32_e32 v9, 0xffff0000, v6
	v_lshlrev_b32_e32 v6, 16, v6
	v_and_b32_e32 v15, 0xffff0000, v0
	v_lshlrev_b32_e32 v8, 16, v7
	v_mul_f32_e32 v115, s67, v11
	v_mul_f32_e32 v105, s67, v9
	v_dual_mul_f32 v107, s67, v6 :: v_dual_and_b32 v10, 0xffff0000, v5
	v_and_b32_e32 v14, 0xffff0000, v7
	v_and_b32_e32 v7, 0xffff0000, v4
	v_lshlrev_b32_e32 v5, 16, v5
	s_delay_alu instid0(VALU_DEP_4) | instskip(NEXT) | instid1(VALU_DEP_4)
	v_dual_mul_f32 v109, s67, v10 :: v_dual_lshlrev_b32 v0, 16, v0
	v_mul_f32_e32 v111, s67, v14
	v_and_b32_e32 v13, 0xffff0000, v1
	v_lshlrev_b32_e32 v3, 16, v3
	v_mul_f32_e32 v108, s67, v7
	v_mul_f32_e32 v120, s67, v0
	s_delay_alu instid0(VALU_DEP_4) | instskip(SKIP_3) | instid1(VALU_DEP_4)
	v_dual_mul_f32 v113, s67, v13 :: v_dual_and_b32 v12, 0xffff0000, v2
	v_lshlrev_b32_e32 v1, 16, v1
	v_mul_f32_e32 v110, s67, v5
	v_mul_f32_e32 v106, s67, v8
	;; [unrolled: 1-line block ×5, first 2 shown]
	v_dual_mul_f32 v119, s67, v15 :: v_dual_lshlrev_b32 v2, 16, v2
	v_lshlrev_b32_e32 v4, 16, v4
	s_and_b32 vcc_lo, exec_lo, s80
	s_delay_alu instid0(VALU_DEP_2) | instskip(SKIP_1) | instid1(VALU_DEP_2)
	v_mul_f32_e32 v117, s67, v2
	s_barrier
	v_mul_f32_e32 v112, s67, v4
	buffer_gl0_inv
	s_cbranch_vccz .LBB50_202
; %bb.107:                              ;   in Loop: Header=BB50_12 Depth=1
	v_dual_mul_f32 v122, v121, v14 :: v_dual_mul_f32 v127, v104, v8
	v_add_co_u32 v14, s28, s53, v16
	s_delay_alu instid0(VALU_DEP_1) | instskip(SKIP_1) | instid1(VALU_DEP_1)
	v_add_co_ci_u32_e64 v17, null, s73, 0, s28
	v_add_co_u32 v16, s28, s57, v16
	v_add_co_ci_u32_e64 v126, null, s74, 0, s28
	s_delay_alu instid0(VALU_DEP_4) | instskip(NEXT) | instid1(VALU_DEP_4)
	v_add_co_u32 v123, vcc_lo, v14, v89
	v_add_co_ci_u32_e32 v124, vcc_lo, 0, v17, vcc_lo
	s_delay_alu instid0(VALU_DEP_4) | instskip(NEXT) | instid1(VALU_DEP_4)
	v_add_co_u32 v125, vcc_lo, v16, v89
	v_add_co_ci_u32_e32 v126, vcc_lo, 0, v126, vcc_lo
	v_cmp_gt_u32_e32 vcc_lo, s40, v18
	s_cmp_lg_u32 s85, 0
	v_cmp_gt_u32_e64 s30, s40, v75
	s_cselect_b32 s51, -1, 0
	s_cmp_eq_u32 s85, s82
	v_cmp_gt_u32_e64 s31, s40, v76
	s_cselect_b32 s86, -1, 0
	s_or_b32 s28, s81, vcc_lo
	v_cmp_gt_u32_e32 vcc_lo, s40, v74
	v_cmp_gt_u32_e64 s33, s40, v77
	v_cmp_gt_u32_e64 s34, s40, v78
	;; [unrolled: 1-line block ×4, first 2 shown]
	s_or_b32 s29, s81, vcc_lo
	v_cmp_gt_u32_e32 vcc_lo, s40, v79
	v_cmp_gt_u32_e64 s38, s40, v82
	v_cmp_gt_u32_e64 s39, s40, v83
	;; [unrolled: 1-line block ×4, first 2 shown]
	s_or_b32 s35, s81, vcc_lo
	v_cmp_gt_u32_e32 vcc_lo, s40, v84
	v_cmp_gt_u32_e64 s43, s40, v87
	v_cmp_gt_u32_e64 s44, s40, v88
	v_dual_mul_f32 v128, v103, v9 :: v_dual_mul_f32 v129, v102, v6
	v_dual_mul_f32 v130, v101, v10 :: v_dual_mul_f32 v131, v100, v5
	;; [unrolled: 1-line block ×7, first 2 shown]
	s_mov_b32 s64, 0
	s_or_b32 s30, s81, s30
	s_or_b32 s31, s81, s31
	;; [unrolled: 1-line block ×8, first 2 shown]
	s_or_b32 s40, s81, vcc_lo
	s_or_b32 s41, s81, s41
	s_or_b32 s42, s81, s42
	;; [unrolled: 1-line block ×4, first 2 shown]
	s_mov_b32 s54, s64
	s_mov_b32 s58, s64
	;; [unrolled: 1-line block ×5, first 2 shown]
	s_branch .LBB50_109
.LBB50_108:                             ;   in Loop: Header=BB50_109 Depth=2
	s_or_b32 exec_lo, exec_lo, s45
	v_cndmask_b32_e64 v9, v171, v11, s11
	v_cndmask_b32_e64 v10, v170, v10, s11
	s_add_i32 s87, s87, -1
	s_add_i32 s88, s88, 8
	s_add_i32 s60, s60, s62
	v_fma_f32 v9, v9, v145, v144
	v_mul_f32_e32 v10, v10, v145
	s_add_i32 s58, s58, s56
	s_add_i32 s54, s54, s52
	;; [unrolled: 1-line block ×3, first 2 shown]
	v_cndmask_b32_e64 v9, v9, v144, s10
	v_cndmask_b32_e64 v10, v10, v145, s10
	s_cmp_eq_u32 s87, 0
	s_waitcnt lgkmcnt(0)
	s_delay_alu instid0(VALU_DEP_1) | instskip(NEXT) | instid1(VALU_DEP_1)
	v_dual_fmac_f32 v9, v8, v10 :: v_dual_and_b32 v10, 0xffff0000, v5
	v_dual_fmac_f32 v12, v9, v147 :: v_dual_lshlrev_b32 v5, 16, v5
	s_delay_alu instid0(VALU_DEP_1) | instskip(NEXT) | instid1(VALU_DEP_1)
	v_fmac_f32_e32 v13, v12, v148
	v_dual_fmac_f32 v118, v13, v5 :: v_dual_and_b32 v17, 0xffff0000, v0
	v_fmac_f32_e32 v14, v13, v150
	s_delay_alu instid0(VALU_DEP_1) | instskip(NEXT) | instid1(VALU_DEP_1)
	v_fmac_f32_e32 v15, v14, v153
	v_fmac_f32_e32 v142, v15, v154
	s_delay_alu instid0(VALU_DEP_1) | instskip(NEXT) | instid1(VALU_DEP_1)
	v_fmac_f32_e32 v143, v142, v155
	v_fmac_f32_e32 v146, v143, v156
	s_delay_alu instid0(VALU_DEP_1) | instskip(SKIP_1) | instid1(VALU_DEP_2)
	v_dual_fmac_f32 v149, v146, v158 :: v_dual_and_b32 v8, 0xffff0000, v4
	v_lshlrev_b32_e32 v4, 16, v4
	v_dual_fmac_f32 v119, v12, v8 :: v_dual_and_b32 v16, 0xffff0000, v7
	s_delay_alu instid0(VALU_DEP_3) | instskip(SKIP_1) | instid1(VALU_DEP_4)
	v_fmac_f32_e32 v151, v149, v159
	v_and_b32_e32 v11, 0xffff0000, v6
	v_dual_fmac_f32 v120, v9, v4 :: v_dual_lshlrev_b32 v7, 16, v7
	s_delay_alu instid0(VALU_DEP_4) | instskip(NEXT) | instid1(VALU_DEP_4)
	v_fmac_f32_e32 v115, v146, v16
	v_fmac_f32_e32 v152, v151, v160
	s_delay_alu instid0(VALU_DEP_4) | instskip(NEXT) | instid1(VALU_DEP_2)
	v_fmac_f32_e32 v114, v142, v11
	v_dual_fmac_f32 v108, v151, v17 :: v_dual_fmac_f32 v157, v152, v168
	v_lshlrev_b32_e32 v6, 16, v6
	v_dual_fmac_f32 v113, v14, v10 :: v_dual_lshlrev_b32 v0, 16, v0
	v_and_b32_e32 v147, 0xffff0000, v3
	s_delay_alu instid0(VALU_DEP_4) | instskip(SKIP_3) | instid1(VALU_DEP_4)
	v_fmac_f32_e32 v161, v157, v163
	v_and_b32_e32 v145, 0xffff0000, v2
	v_lshlrev_b32_e32 v2, 16, v2
	v_dual_fmac_f32 v117, v15, v6 :: v_dual_and_b32 v144, 0xffff0000, v1
	v_fmac_f32_e32 v162, v161, v165
	v_lshlrev_b32_e32 v1, 16, v1
	v_lshlrev_b32_e32 v3, 16, v3
	v_dual_fmac_f32 v107, v161, v2 :: v_dual_fmac_f32 v116, v143, v7
	s_delay_alu instid0(VALU_DEP_4) | instskip(SKIP_1) | instid1(VALU_DEP_2)
	v_dual_fmac_f32 v109, v157, v144 :: v_dual_fmac_f32 v164, v162, v167
	v_dual_fmac_f32 v112, v149, v0 :: v_dual_fmac_f32 v105, v162, v145
	v_fmac_f32_e32 v106, v164, v3
	v_fmac_f32_e32 v166, v164, v169
	s_delay_alu instid0(VALU_DEP_1)
	v_dual_fmac_f32 v110, v152, v1 :: v_dual_fmac_f32 v111, v166, v147
	s_cbranch_scc1 .LBB50_202
.LBB50_109:                             ;   Parent Loop BB50_12 Depth=1
                                        ; =>  This Inner Loop Header: Depth=2
	s_lshl_b64 s[90:91], s[64:65], 2
	s_mov_b32 s55, s65
	s_add_u32 s90, s72, s90
	s_addc_u32 s91, s63, s91
	v_dual_mov_b32 v2, 0 :: v_dual_mov_b32 v3, 0
	global_load_b32 v142, v21, s[90:91]
	s_lshl_b64 s[90:91], s[54:55], 1
	s_delay_alu instid0(SALU_CYCLE_1)
	v_add_co_u32 v0, vcc_lo, v123, s90
	v_add_co_ci_u32_e32 v1, vcc_lo, s91, v124, vcc_lo
	s_and_saveexec_b32 s45, s12
	s_cbranch_execz .LBB50_111
; %bb.110:                              ;   in Loop: Header=BB50_109 Depth=2
	global_load_u16 v3, v[0:1], off
.LBB50_111:                             ;   in Loop: Header=BB50_109 Depth=2
	s_or_b32 exec_lo, exec_lo, s45
	s_and_saveexec_b32 s45, s13
	s_cbranch_execz .LBB50_113
; %bb.112:                              ;   in Loop: Header=BB50_109 Depth=2
	global_load_u16 v2, v[0:1], off offset:64
.LBB50_113:                             ;   in Loop: Header=BB50_109 Depth=2
	s_or_b32 exec_lo, exec_lo, s45
	v_dual_mov_b32 v4, 0 :: v_dual_mov_b32 v5, 0
	s_and_saveexec_b32 s45, s14
	s_cbranch_execz .LBB50_115
; %bb.114:                              ;   in Loop: Header=BB50_109 Depth=2
	global_load_u16 v5, v[0:1], off offset:128
.LBB50_115:                             ;   in Loop: Header=BB50_109 Depth=2
	s_or_b32 exec_lo, exec_lo, s45
	s_and_saveexec_b32 s45, s15
	s_cbranch_execz .LBB50_117
; %bb.116:                              ;   in Loop: Header=BB50_109 Depth=2
	global_load_u16 v4, v[0:1], off offset:192
.LBB50_117:                             ;   in Loop: Header=BB50_109 Depth=2
	s_or_b32 exec_lo, exec_lo, s45
	v_dual_mov_b32 v6, 0 :: v_dual_mov_b32 v7, 0
	s_and_saveexec_b32 s45, s16
	s_cbranch_execz .LBB50_119
; %bb.118:                              ;   in Loop: Header=BB50_109 Depth=2
	global_load_u16 v7, v[0:1], off offset:256
.LBB50_119:                             ;   in Loop: Header=BB50_109 Depth=2
	;; [unrolled: 13-line block ×7, first 2 shown]
	s_or_b32 exec_lo, exec_lo, s45
	s_and_saveexec_b32 s45, s27
	s_cbranch_execz .LBB50_141
; %bb.140:                              ;   in Loop: Header=BB50_109 Depth=2
	global_load_u16 v16, v[0:1], off offset:960
.LBB50_141:                             ;   in Loop: Header=BB50_109 Depth=2
	s_or_b32 exec_lo, exec_lo, s45
	s_waitcnt vmcnt(0)
	ds_store_b16 v37, v3
	ds_store_b16 v37, v2 offset:64
	ds_store_b16 v38, v5 offset:128
	;; [unrolled: 1-line block ×15, first 2 shown]
	; wave barrier
	ds_load_b128 v[12:15], v52
	ds_load_b128 v[8:11], v52 offset:16
	s_mov_b32 s59, s65
	v_dual_mov_b32 v2, 0 :: v_dual_mov_b32 v3, 0
	s_lshl_b64 s[90:91], s[58:59], 1
	s_delay_alu instid0(SALU_CYCLE_1)
	v_add_co_u32 v0, vcc_lo, v125, s90
	v_add_co_ci_u32_e32 v1, vcc_lo, s91, v126, vcc_lo
	s_and_saveexec_b32 s45, s12
	s_cbranch_execz .LBB50_143
; %bb.142:                              ;   in Loop: Header=BB50_109 Depth=2
	global_load_u16 v3, v[0:1], off
.LBB50_143:                             ;   in Loop: Header=BB50_109 Depth=2
	s_or_b32 exec_lo, exec_lo, s45
	s_and_saveexec_b32 s45, s13
	s_cbranch_execz .LBB50_145
; %bb.144:                              ;   in Loop: Header=BB50_109 Depth=2
	global_load_u16 v2, v[0:1], off offset:64
.LBB50_145:                             ;   in Loop: Header=BB50_109 Depth=2
	s_or_b32 exec_lo, exec_lo, s45
	v_dual_mov_b32 v4, 0 :: v_dual_mov_b32 v5, 0
	s_and_saveexec_b32 s45, s14
	s_cbranch_execz .LBB50_147
; %bb.146:                              ;   in Loop: Header=BB50_109 Depth=2
	global_load_u16 v5, v[0:1], off offset:128
.LBB50_147:                             ;   in Loop: Header=BB50_109 Depth=2
	s_or_b32 exec_lo, exec_lo, s45
	s_and_saveexec_b32 s45, s15
	s_cbranch_execz .LBB50_149
; %bb.148:                              ;   in Loop: Header=BB50_109 Depth=2
	global_load_u16 v4, v[0:1], off offset:192
.LBB50_149:                             ;   in Loop: Header=BB50_109 Depth=2
	s_or_b32 exec_lo, exec_lo, s45
	v_dual_mov_b32 v6, 0 :: v_dual_mov_b32 v7, 0
	s_and_saveexec_b32 s45, s16
	s_cbranch_execz .LBB50_151
; %bb.150:                              ;   in Loop: Header=BB50_109 Depth=2
	global_load_u16 v7, v[0:1], off offset:256
.LBB50_151:                             ;   in Loop: Header=BB50_109 Depth=2
	;; [unrolled: 13-line block ×7, first 2 shown]
	s_or_b32 exec_lo, exec_lo, s45
	s_and_saveexec_b32 s45, s27
	s_cbranch_execz .LBB50_173
; %bb.172:                              ;   in Loop: Header=BB50_109 Depth=2
	global_load_u16 v149, v[0:1], off offset:960
.LBB50_173:                             ;   in Loop: Header=BB50_109 Depth=2
	s_or_b32 exec_lo, exec_lo, s45
	s_waitcnt vmcnt(0)
	ds_store_b16 v37, v3 offset:2112
	ds_store_b16 v53, v2 offset:64
	;; [unrolled: 1-line block ×16, first 2 shown]
	; wave barrier
	ds_load_b128 v[4:7], v52 offset:2112
	ds_load_b128 v[0:3], v68 offset:16
	s_and_not1_b32 vcc_lo, exec_lo, s51
	s_cbranch_vccnz .LBB50_175
; %bb.174:                              ;   in Loop: Header=BB50_109 Depth=2
	v_mov_b32_e32 v16, s88
	ds_load_b64 v[16:17], v16
	s_cbranch_execz .LBB50_176
	s_branch .LBB50_179
.LBB50_175:                             ;   in Loop: Header=BB50_109 Depth=2
                                        ; implicit-def: $vgpr16
.LBB50_176:                             ;   in Loop: Header=BB50_109 Depth=2
	s_waitcnt lgkmcnt(0)
	v_mov_b32_e32 v17, 0
	s_and_not1_b32 vcc_lo, exec_lo, s47
	s_cbranch_vccnz .LBB50_178
; %bb.177:                              ;   in Loop: Header=BB50_109 Depth=2
	s_mov_b32 s61, s65
	s_delay_alu instid0(SALU_CYCLE_1) | instskip(NEXT) | instid1(SALU_CYCLE_1)
	s_lshl_b64 s[90:91], s[60:61], 2
	s_add_u32 s90, s75, s90
	s_addc_u32 s91, s76, s91
	global_load_b32 v17, v21, s[90:91]
.LBB50_178:                             ;   in Loop: Header=BB50_109 Depth=2
	v_mov_b32_e32 v16, 1.0
.LBB50_179:                             ;   in Loop: Header=BB50_109 Depth=2
	s_waitcnt lgkmcnt(19)
	v_dual_mul_f32 v164, 0x3fb8aa3b, v142 :: v_dual_lshlrev_b32 v143, 16, v12
	v_and_b32_e32 v12, 0xffff0000, v12
	v_lshlrev_b32_e32 v142, 16, v13
	v_and_b32_e32 v146, 0xffff0000, v13
	v_lshlrev_b32_e32 v149, 16, v14
	v_mul_f32_e32 v13, v164, v90
	v_dual_mul_f32 v14, v164, v91 :: v_dual_and_b32 v151, 0xffff0000, v14
	v_dual_mul_f32 v145, v164, v93 :: v_dual_lshlrev_b32 v152, 16, v15
	s_delay_alu instid0(VALU_DEP_3) | instskip(SKIP_1) | instid1(VALU_DEP_4)
	v_cmp_gt_f32_e32 vcc_lo, 0xc2fc0000, v13
	v_dual_mul_f32 v12, v140, v12 :: v_dual_and_b32 v155, 0xffff0000, v15
	v_cmp_gt_f32_e64 s45, 0xc2fc0000, v14
	v_mul_f32_e32 v15, v164, v92
	v_cndmask_b32_e64 v13, 0, 0x42800000, vcc_lo
	v_cndmask_b32_e64 v144, 1.0, 0x1f800000, vcc_lo
	s_waitcnt lgkmcnt(18)
	v_lshlrev_b32_e32 v161, 16, v10
	v_cndmask_b32_e64 v14, 0, 0x42800000, s45
	v_mul_f32_e32 v143, v141, v143
	v_fmac_f32_e32 v13, v164, v90
	v_dual_mul_f32 v142, v139, v142 :: v_dual_lshlrev_b32 v157, 16, v8
	v_and_b32_e32 v8, 0xffff0000, v8
	v_fmac_f32_e32 v14, v164, v91
	s_delay_alu instid0(VALU_DEP_4) | instskip(SKIP_2) | instid1(VALU_DEP_3)
	v_exp_f32_e32 v13, v13
	v_cmp_gt_f32_e32 vcc_lo, 0xc2fc0000, v15
	v_dual_mul_f32 v151, v136, v151 :: v_dual_and_b32 v10, 0xffff0000, v10
	v_exp_f32_e32 v14, v14
	v_dual_mul_f32 v157, v133, v157 :: v_dual_mul_f32 v8, v132, v8
	v_cndmask_b32_e64 v15, 0, 0x42800000, vcc_lo
	v_lshlrev_b32_e32 v166, 16, v11
	v_and_b32_e32 v11, 0xffff0000, v11
	s_delay_alu instid0(TRANS32_DEP_2)
	v_mul_f32_e32 v13, v13, v144
	v_cndmask_b32_e64 v144, 0, v143, s28
	v_cndmask_b32_e64 v143, 1.0, 0x1f800000, s45
	v_cmp_gt_f32_e64 s45, 0xc2fc0000, v145
	v_fmac_f32_e32 v15, v164, v92
	v_cndmask_b32_e64 v145, 1.0, v13, s28
	v_cndmask_b32_e64 v12, 0, v12, s29
	v_mul_f32_e32 v13, v14, v143
	v_cndmask_b32_e64 v147, 0, 0x42800000, s45
	v_exp_f32_e32 v14, v15
	v_cndmask_b32_e64 v143, 1.0, 0x1f800000, vcc_lo
	v_lshlrev_b32_e32 v159, 16, v9
	v_mul_f32_e32 v15, v164, v94
	v_fmac_f32_e32 v147, v164, v93
	v_and_b32_e32 v9, 0xffff0000, v9
	v_mul_f32_e32 v167, v164, v103
	v_mul_f32_e32 v169, v164, v121
	v_cmp_gt_f32_e32 vcc_lo, 0xc2fc0000, v15
	v_exp_f32_e32 v150, v147
	v_mul_f32_e32 v14, v14, v143
	v_cndmask_b32_e64 v143, 1.0, 0x1f800000, s45
	v_mul_f32_e32 v153, v164, v97
	v_cndmask_b32_e64 v15, 0, 0x42800000, vcc_lo
	v_mul_f32_e32 v156, v164, v98
	v_cndmask_b32_e64 v148, 1.0, v14, s30
	v_mul_f32_e32 v14, v138, v146
	v_mul_f32_e32 v146, v164, v96
	v_fmac_f32_e32 v15, v164, v94
	v_mul_f32_e32 v143, v150, v143
	v_cmp_gt_f32_e64 s46, 0xc2fc0000, v153
	v_cndmask_b32_e64 v14, 0, v14, s31
	v_mul_f32_e32 v158, v164, v100
	v_exp_f32_e32 v15, v15
	v_cndmask_b32_e64 v150, 1.0, v143, s31
	v_cndmask_b32_e64 v143, 1.0, 0x1f800000, vcc_lo
	v_cmp_gt_f32_e32 vcc_lo, 0xc2fc0000, v146
	v_mul_f32_e32 v166, v127, v166
	v_dual_mul_f32 v10, v128, v10 :: v_dual_mul_f32 v11, v122, v11
	v_cndmask_b32_e64 v146, 0, 0x42800000, vcc_lo
	s_delay_alu instid0(TRANS32_DEP_1) | instskip(SKIP_2) | instid1(VALU_DEP_4)
	v_mul_f32_e32 v143, v15, v143
	v_mul_f32_e32 v15, v137, v149
	v_cndmask_b32_e64 v149, 0, 0x42800000, s46
	v_fmac_f32_e32 v146, v164, v96
	v_cndmask_b32_e64 v147, 1.0, v13, s29
	v_cndmask_b32_e64 v13, 0, v142, s30
	v_mul_f32_e32 v142, v164, v95
	v_cndmask_b32_e64 v153, 1.0, v143, s33
	v_exp_f32_e32 v146, v146
	v_fma_f32 v165, v147, v144, v12
	v_cndmask_b32_e64 v15, 0, v15, s33
	v_cmp_gt_f32_e64 s45, 0xc2fc0000, v142
	s_delay_alu instid0(VALU_DEP_1) | instskip(SKIP_1) | instid1(VALU_DEP_2)
	v_cndmask_b32_e64 v142, 0, 0x42800000, s45
	v_cndmask_b32_e64 v154, 1.0, 0x1f800000, s45
	v_fmac_f32_e32 v142, v164, v95
	s_delay_alu instid0(VALU_DEP_1)
	v_exp_f32_e32 v142, v142
	s_waitcnt_depctr 0xfff
	v_mul_f32_e32 v143, v142, v154
	v_cndmask_b32_e64 v142, 0, v151, s34
	v_cndmask_b32_e64 v151, 1.0, 0x1f800000, vcc_lo
	v_cmp_gt_f32_e32 vcc_lo, 0xc2fc0000, v156
	v_mul_f32_e32 v156, v134, v155
	v_cndmask_b32_e64 v154, 1.0, v143, s34
	s_delay_alu instid0(VALU_DEP_4)
	v_dual_mul_f32 v143, v135, v152 :: v_dual_mul_f32 v146, v146, v151
	v_cndmask_b32_e64 v151, 1.0, 0x1f800000, s46
	v_cmp_gt_f32_e64 s46, 0xc2fc0000, v158
	v_mul_f32_e32 v158, v164, v101
	v_cndmask_b32_e64 v152, 0, 0x42800000, vcc_lo
	v_cndmask_b32_e64 v160, 1.0, 0x1f800000, vcc_lo
	v_cndmask_b32_e64 v155, 1.0, v146, s35
	v_cndmask_b32_e64 v146, 0, v156, s36
	v_cmp_gt_f32_e32 vcc_lo, 0xc2fc0000, v158
	v_fmac_f32_e32 v152, v164, v98
	v_cndmask_b32_e64 v143, 0, v143, s35
	v_cndmask_b32_e64 v162, 0, 0x42800000, vcc_lo
	v_cndmask_b32_e64 v163, 1.0, 0x1f800000, vcc_lo
	s_delay_alu instid0(VALU_DEP_2) | instskip(NEXT) | instid1(VALU_DEP_1)
	v_fmac_f32_e32 v162, v164, v101
	v_exp_f32_e32 v162, v162
	v_fmac_f32_e32 v149, v164, v97
	s_delay_alu instid0(VALU_DEP_1) | instskip(SKIP_3) | instid1(VALU_DEP_2)
	v_exp_f32_e32 v149, v149
	s_waitcnt_depctr 0xfff
	v_mul_f32_e32 v149, v149, v151
	v_mul_f32_e32 v151, v164, v99
	v_cndmask_b32_e64 v156, 1.0, v149, s36
	s_delay_alu instid0(VALU_DEP_2) | instskip(SKIP_2) | instid1(VALU_DEP_2)
	v_cmp_gt_f32_e64 s45, 0xc2fc0000, v151
	v_exp_f32_e32 v149, v152
	v_cndmask_b32_e64 v152, 0, 0x42800000, s46
	v_cndmask_b32_e64 v151, 0, 0x42800000, s45
	s_delay_alu instid0(VALU_DEP_2)
	v_fmac_f32_e32 v152, v164, v100
	s_waitcnt_depctr 0xfff
	v_dual_fmac_f32 v151, v164, v99 :: v_dual_mul_f32 v158, v149, v160
	v_cndmask_b32_e64 v149, 0, v157, s37
	v_exp_f32_e32 v152, v152
	v_cndmask_b32_e64 v157, 1.0, 0x1f800000, s45
	s_delay_alu instid0(VALU_DEP_3) | instskip(SKIP_3) | instid1(VALU_DEP_2)
	v_exp_f32_e32 v151, v151
	v_cndmask_b32_e64 v160, 1.0, 0x1f800000, s46
	v_cmp_gt_f32_e64 s45, 0xc2fc0000, v167
	v_cndmask_b32_e64 v158, 1.0, v158, s37
	v_cndmask_b32_e64 v167, 1.0, 0x1f800000, s45
	s_waitcnt_depctr 0xfff
	v_dual_mul_f32 v160, v152, v160 :: v_dual_mul_f32 v157, v151, v157
	v_cndmask_b32_e64 v151, 0, v8, s38
	v_mul_f32_e32 v8, v131, v159
	s_delay_alu instid0(VALU_DEP_3) | instskip(NEXT) | instid1(VALU_DEP_4)
	v_cndmask_b32_e64 v160, 1.0, v160, s39
	v_cndmask_b32_e64 v159, 1.0, v157, s38
	v_mul_f32_e32 v157, v164, v102
	s_delay_alu instid0(VALU_DEP_4) | instskip(SKIP_1) | instid1(VALU_DEP_3)
	v_cndmask_b32_e64 v152, 0, v8, s39
	v_dual_mul_f32 v8, v162, v163 :: v_dual_mul_f32 v163, v147, v145
	v_cmp_gt_f32_e32 vcc_lo, 0xc2fc0000, v157
	s_delay_alu instid0(VALU_DEP_2) | instskip(SKIP_3) | instid1(VALU_DEP_3)
	v_cndmask_b32_e64 v168, 1.0, v8, s40
	v_cndmask_b32_e64 v162, 0, 0x42800000, vcc_lo
	v_mul_f32_e32 v9, v130, v9
	v_cndmask_b32_e64 v8, 1.0, 0x1f800000, vcc_lo
	v_fmac_f32_e32 v162, v164, v102
	s_delay_alu instid0(VALU_DEP_3)
	v_cndmask_b32_e64 v157, 0, v9, s40
	v_mul_f32_e32 v9, v163, v148
	v_fma_f32 v163, v165, v148, v13
	v_cndmask_b32_e64 v165, 0, 0x42800000, s45
	v_exp_f32_e32 v162, v162
	v_cmp_gt_f32_e64 s45, 0xc2fc0000, v169
	v_mul_f32_e32 v9, v9, v150
	v_fma_f32 v163, v163, v150, v14
	v_fmac_f32_e32 v165, v164, v103
	s_delay_alu instid0(VALU_DEP_3) | instskip(NEXT) | instid1(VALU_DEP_3)
	v_mul_f32_e32 v9, v9, v153
	v_fma_f32 v163, v163, v153, v15
	s_delay_alu instid0(VALU_DEP_3)
	v_exp_f32_e32 v165, v165
	s_delay_alu instid0(TRANS32_DEP_2) | instid1(VALU_DEP_2)
	v_dual_mul_f32 v8, v162, v8 :: v_dual_mul_f32 v9, v9, v154
	s_delay_alu instid0(VALU_DEP_2) | instskip(NEXT) | instid1(VALU_DEP_2)
	v_fma_f32 v162, v163, v154, v142
	v_cndmask_b32_e64 v163, 1.0, v8, s41
	s_delay_alu instid0(VALU_DEP_3) | instskip(NEXT) | instid1(VALU_DEP_3)
	v_mul_f32_e32 v8, v9, v155
	v_fma_f32 v9, v162, v155, v143
	v_mul_f32_e32 v162, v164, v104
	s_delay_alu instid0(VALU_DEP_3) | instskip(NEXT) | instid1(VALU_DEP_3)
	v_mul_f32_e32 v8, v8, v156
	v_fma_f32 v9, v9, v156, v146
	s_delay_alu instid0(VALU_DEP_3)
	v_cmp_gt_f32_e32 vcc_lo, 0xc2fc0000, v162
	v_mul_f32_e32 v161, v129, v161
	v_cndmask_b32_e64 v162, 0, v10, s42
	v_mul_f32_e32 v8, v8, v158
	v_fma_f32 v9, v9, v158, v149
	v_cndmask_b32_e64 v10, 0, 0x42800000, s45
	v_mul_f32_e32 v165, v165, v167
	v_cndmask_b32_e64 v167, 0, 0x42800000, vcc_lo
	v_mul_f32_e32 v8, v8, v159
	v_fma_f32 v9, v9, v159, v151
	v_fmac_f32_e32 v10, v164, v121
	v_cndmask_b32_e64 v161, 0, v161, s41
	v_fmac_f32_e32 v167, v164, v104
	v_mul_f32_e32 v8, v8, v160
	v_fma_f32 v9, v9, v160, v152
	v_cndmask_b32_e64 v164, 1.0, 0x1f800000, vcc_lo
	v_exp_f32_e32 v10, v10
	v_exp_f32_e32 v167, v167
	v_mul_f32_e32 v8, v8, v168
	v_fma_f32 v9, v9, v168, v157
	v_cndmask_b32_e64 v165, 1.0, v165, s42
	s_delay_alu instid0(VALU_DEP_3) | instskip(NEXT) | instid1(VALU_DEP_3)
	v_mul_f32_e32 v8, v8, v163
	v_fma_f32 v9, v9, v163, v161
	s_waitcnt_depctr 0xfff
	v_mul_f32_e32 v167, v167, v164
	v_cndmask_b32_e64 v164, 0, v166, s43
	v_cndmask_b32_e64 v166, 1.0, 0x1f800000, s45
	v_mul_f32_e32 v8, v8, v165
	v_fma_f32 v9, v9, v165, v162
	v_cndmask_b32_e64 v167, 1.0, v167, s43
	s_delay_alu instid0(VALU_DEP_4) | instskip(SKIP_1) | instid1(VALU_DEP_3)
	v_mul_f32_e32 v10, v10, v166
	v_cndmask_b32_e64 v166, 0, v11, s44
	v_mul_f32_e32 v8, v8, v167
	v_fma_f32 v9, v9, v167, v164
	s_delay_alu instid0(VALU_DEP_4) | instskip(NEXT) | instid1(VALU_DEP_1)
	v_cndmask_b32_e64 v169, 1.0, v10, s44
	v_mul_f32_e32 v8, v8, v169
	s_delay_alu instid0(VALU_DEP_3) | instskip(NEXT) | instid1(VALU_DEP_2)
	v_fma_f32 v9, v9, v169, v166
	v_mov_b32_dpp v11, v8 row_shr:1 row_mask:0xf bank_mask:0xf
	s_delay_alu instid0(VALU_DEP_2)
	v_mov_b32_dpp v10, v9 row_shr:1 row_mask:0xf bank_mask:0xf
	s_and_saveexec_b32 s45, s0
; %bb.180:                              ;   in Loop: Header=BB50_109 Depth=2
	s_delay_alu instid0(VALU_DEP_2) | instskip(NEXT) | instid1(VALU_DEP_1)
	v_mul_f32_e32 v11, v8, v11
	v_dual_fmac_f32 v9, v8, v10 :: v_dual_mov_b32 v8, v11
; %bb.181:                              ;   in Loop: Header=BB50_109 Depth=2
	s_or_b32 exec_lo, exec_lo, s45
	s_delay_alu instid0(VALU_DEP_1) | instskip(NEXT) | instid1(VALU_DEP_2)
	v_mov_b32_dpp v10, v8 row_shr:2 row_mask:0xf bank_mask:0xf
	v_mov_b32_dpp v11, v9 row_shr:2 row_mask:0xf bank_mask:0xf
	s_and_saveexec_b32 s45, s1
; %bb.182:                              ;   in Loop: Header=BB50_109 Depth=2
	s_delay_alu instid0(VALU_DEP_1) | instskip(NEXT) | instid1(VALU_DEP_3)
	v_fmac_f32_e32 v9, v8, v11
	v_mul_f32_e32 v8, v8, v10
; %bb.183:                              ;   in Loop: Header=BB50_109 Depth=2
	s_or_b32 exec_lo, exec_lo, s45
	s_delay_alu instid0(VALU_DEP_1) | instskip(NEXT) | instid1(VALU_DEP_3)
	v_mov_b32_dpp v10, v8 row_shr:4 row_mask:0xf bank_mask:0xf
	v_mov_b32_dpp v11, v9 row_shr:4 row_mask:0xf bank_mask:0xf
	s_and_saveexec_b32 s45, s2
; %bb.184:                              ;   in Loop: Header=BB50_109 Depth=2
	s_delay_alu instid0(VALU_DEP_1) | instskip(NEXT) | instid1(VALU_DEP_3)
	v_fmac_f32_e32 v9, v8, v11
	v_mul_f32_e32 v8, v8, v10
; %bb.185:                              ;   in Loop: Header=BB50_109 Depth=2
	s_or_b32 exec_lo, exec_lo, s45
	s_delay_alu instid0(VALU_DEP_1) | instskip(NEXT) | instid1(VALU_DEP_3)
	v_mov_b32_dpp v10, v8 row_shr:8 row_mask:0xf bank_mask:0xf
	v_mov_b32_dpp v11, v9 row_shr:8 row_mask:0xf bank_mask:0xf
	s_and_saveexec_b32 s45, s3
; %bb.186:                              ;   in Loop: Header=BB50_109 Depth=2
	s_delay_alu instid0(VALU_DEP_1) | instskip(NEXT) | instid1(VALU_DEP_3)
	v_fmac_f32_e32 v9, v8, v11
	v_mul_f32_e32 v8, v8, v10
; %bb.187:                              ;   in Loop: Header=BB50_109 Depth=2
	s_or_b32 exec_lo, exec_lo, s45
	ds_swizzle_b32 v11, v8 offset:swizzle(BROADCAST,32,15)
	ds_swizzle_b32 v10, v9 offset:swizzle(BROADCAST,32,15)
	s_and_saveexec_b32 s45, s4
	s_cbranch_execz .LBB50_189
; %bb.188:                              ;   in Loop: Header=BB50_109 Depth=2
	s_waitcnt lgkmcnt(1)
	v_mul_f32_e32 v11, v8, v11
	s_waitcnt lgkmcnt(0)
	s_delay_alu instid0(VALU_DEP_1)
	v_dual_fmac_f32 v9, v8, v10 :: v_dual_mov_b32 v8, v11
.LBB50_189:                             ;   in Loop: Header=BB50_109 Depth=2
	s_or_b32 exec_lo, exec_lo, s45
	s_and_saveexec_b32 s45, s5
	s_cbranch_execz .LBB50_191
; %bb.190:                              ;   in Loop: Header=BB50_109 Depth=2
	ds_store_b64 v69, v[8:9] offset:4224
.LBB50_191:                             ;   in Loop: Header=BB50_109 Depth=2
	s_or_b32 exec_lo, exec_lo, s45
	s_waitcnt vmcnt(0) lgkmcnt(0)
	s_waitcnt_vscnt null, 0x0
	s_barrier
	buffer_gl0_inv
	s_and_saveexec_b32 s45, s6
	s_cbranch_execz .LBB50_193
; %bb.192:                              ;   in Loop: Header=BB50_109 Depth=2
	ds_load_b64 v[10:11], v70 offset:4224
	s_waitcnt lgkmcnt(0)
	v_mov_b32_dpp v170, v10 row_shr:1 row_mask:0xf bank_mask:0xf
	v_mov_b32_dpp v171, v11 row_shr:1 row_mask:0xf bank_mask:0xf
	s_delay_alu instid0(VALU_DEP_2) | instskip(NEXT) | instid1(VALU_DEP_2)
	v_mul_f32_e32 v170, v10, v170
	v_fma_f32 v171, v10, v171, v11
	s_delay_alu instid0(VALU_DEP_2) | instskip(NEXT) | instid1(VALU_DEP_2)
	v_cndmask_b32_e64 v10, v170, v10, s7
	v_cndmask_b32_e64 v11, v171, v11, s7
	ds_store_b64 v70, v[10:11] offset:4224
.LBB50_193:                             ;   in Loop: Header=BB50_109 Depth=2
	s_or_b32 exec_lo, exec_lo, s45
	s_waitcnt lgkmcnt(0)
	s_barrier
	buffer_gl0_inv
                                        ; implicit-def: $vgpr11
	s_and_saveexec_b32 s45, s9
	s_cbranch_execz .LBB50_195
; %bb.194:                              ;   in Loop: Header=BB50_109 Depth=2
	ds_load_b64 v[10:11], v69 offset:4216
	s_waitcnt lgkmcnt(0)
	v_mul_f32_e32 v170, v8, v10
	s_delay_alu instid0(VALU_DEP_1)
	v_dual_fmac_f32 v9, v8, v11 :: v_dual_mov_b32 v8, v170
.LBB50_195:                             ;   in Loop: Header=BB50_109 Depth=2
	s_or_b32 exec_lo, exec_lo, s45
	ds_bpermute_b32 v170, v71, v8
	ds_bpermute_b32 v171, v71, v9
	s_and_saveexec_b32 s45, s8
	s_cbranch_execz .LBB50_199
; %bb.196:                              ;   in Loop: Header=BB50_109 Depth=2
	ds_load_b64 v[8:9], v21 offset:4232
	s_and_saveexec_b32 s46, s10
	s_cbranch_execz .LBB50_198
; %bb.197:                              ;   in Loop: Header=BB50_109 Depth=2
	ds_store_b64 v21, v[16:17] offset:4232
.LBB50_198:                             ;   in Loop: Header=BB50_109 Depth=2
	s_or_b32 exec_lo, exec_lo, s46
	s_waitcnt lgkmcnt(0)
	v_fmac_f32_e32 v9, v17, v8
	s_delay_alu instid0(VALU_DEP_1)
	v_dual_mul_f32 v16, v16, v8 :: v_dual_mov_b32 v17, v9
.LBB50_199:                             ;   in Loop: Header=BB50_109 Depth=2
	s_or_b32 exec_lo, exec_lo, s45
	s_waitcnt lgkmcnt(0)
	s_barrier
	buffer_gl0_inv
	ds_load_b32 v8, v21 offset:4236
	s_and_saveexec_b32 s45, s10
	s_cbranch_execz .LBB50_108
; %bb.200:                              ;   in Loop: Header=BB50_109 Depth=2
	v_mov_b32_e32 v9, s88
	s_and_not1_b32 vcc_lo, exec_lo, s86
	ds_store_b64 v9, v[16:17]
	s_cbranch_vccnz .LBB50_108
; %bb.201:                              ;   in Loop: Header=BB50_109 Depth=2
	s_mov_b32 s61, s65
	s_delay_alu instid0(SALU_CYCLE_1) | instskip(NEXT) | instid1(SALU_CYCLE_1)
	s_lshl_b64 s[90:91], s[60:61], 2
	s_add_u32 s90, s75, s90
	s_addc_u32 s91, s76, s91
	global_store_b32 v21, v17, s[90:91]
	s_branch .LBB50_108
.LBB50_202:                             ;   in Loop: Header=BB50_12 Depth=1
	v_bfe_u32 v0, v120, 16, 1
	v_bfe_u32 v1, v119, 16, 1
	v_cmp_o_f32_e32 vcc_lo, v120, v120
	v_bfe_u32 v2, v118, 16, 1
	v_bfe_u32 v4, v114, 16, 1
	v_add3_u32 v0, v120, v0, 0x7fff
	v_add3_u32 v1, v119, v1, 0x7fff
	v_bfe_u32 v7, v116, 16, 1
	v_add3_u32 v2, v118, v2, 0x7fff
	v_bfe_u32 v6, v115, 16, 1
	v_lshrrev_b32_e32 v0, 16, v0
	v_lshrrev_b32_e32 v1, 16, v1
	v_add3_u32 v4, v114, v4, 0x7fff
	v_lshrrev_b32_e32 v2, 16, v2
	v_add3_u32 v7, v116, v7, 0x7fff
	v_cndmask_b32_e32 v0, 0x7fc0, v0, vcc_lo
	v_cmp_o_f32_e32 vcc_lo, v119, v119
	v_add3_u32 v6, v115, v6, 0x7fff
	v_bfe_u32 v3, v113, 16, 1
	v_bfe_u32 v10, v109, 16, 1
	;; [unrolled: 1-line block ×3, first 2 shown]
	v_cndmask_b32_e32 v5, 0x7fc0, v1, vcc_lo
	v_bfe_u32 v1, v117, 16, 1
	v_cmp_o_f32_e32 vcc_lo, v118, v118
	v_lshrrev_b32_e32 v6, 16, v6
	v_add3_u32 v3, v113, v3, 0x7fff
	v_bfe_u32 v12, v111, 16, 1
	v_add3_u32 v1, v117, v1, 0x7fff
	v_cndmask_b32_e32 v8, 0x7fc0, v2, vcc_lo
	v_cmp_o_f32_e32 vcc_lo, v117, v117
	v_lshrrev_b32_e32 v2, 16, v4
	v_lshrrev_b32_e32 v4, 16, v7
	;; [unrolled: 1-line block ×4, first 2 shown]
	v_bfe_u32 v7, v112, 16, 1
	v_add3_u32 v11, v106, v11, 0x7fff
	v_perm_b32 v0, v5, v0, 0x5040100
	v_cndmask_b32_e32 v1, 0x7fc0, v1, vcc_lo
	v_cmp_o_f32_e32 vcc_lo, v116, v116
	s_waitcnt_vscnt null, 0x0
	s_barrier
	buffer_gl0_inv
	s_mov_b32 s51, s65
	v_cndmask_b32_e32 v4, 0x7fc0, v4, vcc_lo
	v_cmp_o_f32_e32 vcc_lo, v115, v115
	s_lshl_b64 s[28:29], s[50:51], 1
	v_cndmask_b32_e32 v6, 0x7fc0, v6, vcc_lo
	v_cmp_o_f32_e32 vcc_lo, v114, v114
	v_cndmask_b32_e32 v2, 0x7fc0, v2, vcc_lo
	v_cmp_o_f32_e32 vcc_lo, v113, v113
	s_delay_alu instid0(VALU_DEP_2)
	v_perm_b32 v2, v2, v1, 0x5040100
	v_cndmask_b32_e32 v9, 0x7fc0, v3, vcc_lo
	v_perm_b32 v3, v6, v4, 0x5040100
	v_add3_u32 v6, v112, v7, 0x7fff
	v_bfe_u32 v7, v110, 16, 1
	v_cmp_o_f32_e32 vcc_lo, v112, v112
	v_perm_b32 v1, v9, v8, 0x5040100
	v_add3_u32 v8, v109, v10, 0x7fff
	v_lshrrev_b32_e32 v6, 16, v6
	v_add3_u32 v7, v110, v7, 0x7fff
	v_bfe_u32 v10, v105, 16, 1
	v_bfe_u32 v4, v108, 16, 1
	s_delay_alu instid0(VALU_DEP_4) | instskip(NEXT) | instid1(VALU_DEP_4)
	v_cndmask_b32_e32 v9, 0x7fc0, v6, vcc_lo
	v_lshrrev_b32_e32 v6, 16, v7
	v_lshrrev_b32_e32 v7, 16, v8
	v_bfe_u32 v8, v107, 16, 1
	v_cmp_o_f32_e32 vcc_lo, v110, v110
	v_add3_u32 v4, v108, v4, 0x7fff
	s_delay_alu instid0(VALU_DEP_3)
	v_add3_u32 v8, v107, v8, 0x7fff
	v_cndmask_b32_e32 v13, 0x7fc0, v6, vcc_lo
	v_cmp_o_f32_e32 vcc_lo, v109, v109
	v_add3_u32 v6, v105, v10, 0x7fff
	v_add3_u32 v10, v111, v12, 0x7fff
	v_lshrrev_b32_e32 v4, 16, v4
	v_cndmask_b32_e32 v12, 0x7fc0, v7, vcc_lo
	v_lshrrev_b32_e32 v7, 16, v8
	v_cmp_o_f32_e32 vcc_lo, v107, v107
	v_lshrrev_b32_e32 v8, 16, v11
	v_lshrrev_b32_e32 v10, 16, v10
	;; [unrolled: 1-line block ×3, first 2 shown]
	v_perm_b32 v5, v12, v13, 0x5040100
	v_cndmask_b32_e32 v11, 0x7fc0, v7, vcc_lo
	v_cmp_o_f32_e32 vcc_lo, v106, v106
	v_cndmask_b32_e32 v7, 0x7fc0, v8, vcc_lo
	v_cmp_o_f32_e32 vcc_lo, v111, v111
	;; [unrolled: 2-line block ×3, first 2 shown]
	s_delay_alu instid0(VALU_DEP_2) | instskip(SKIP_2) | instid1(VALU_DEP_2)
	v_perm_b32 v7, v8, v7, 0x5040100
	v_cndmask_b32_e32 v6, 0x7fc0, v6, vcc_lo
	v_cmp_o_f32_e32 vcc_lo, v108, v108
	v_perm_b32 v6, v6, v11, 0x5040100
	v_cndmask_b32_e32 v4, 0x7fc0, v4, vcc_lo
	s_delay_alu instid0(VALU_DEP_1)
	v_perm_b32 v4, v4, v9, 0x5040100
	ds_store_b128 v52, v[0:3]
	ds_store_b128 v52, v[4:7] offset:16
	; wave barrier
	ds_load_u16 v16, v37 offset:64
	ds_load_u16 v15, v38 offset:128
	;; [unrolled: 1-line block ×15, first 2 shown]
	v_add_co_u32 v0, vcc_lo, v72, s28
	v_add_co_ci_u32_e32 v1, vcc_lo, s29, v73, vcc_lo
	s_and_saveexec_b32 s28, s12
	s_cbranch_execnz .LBB50_220
; %bb.203:                              ;   in Loop: Header=BB50_12 Depth=1
	s_or_b32 exec_lo, exec_lo, s28
	s_and_saveexec_b32 s12, s13
	s_cbranch_execnz .LBB50_221
.LBB50_204:                             ;   in Loop: Header=BB50_12 Depth=1
	s_or_b32 exec_lo, exec_lo, s12
	s_and_saveexec_b32 s12, s14
	s_cbranch_execnz .LBB50_222
.LBB50_205:                             ;   in Loop: Header=BB50_12 Depth=1
	s_or_b32 exec_lo, exec_lo, s12
	s_and_saveexec_b32 s12, s15
	s_cbranch_execnz .LBB50_223
.LBB50_206:                             ;   in Loop: Header=BB50_12 Depth=1
	s_or_b32 exec_lo, exec_lo, s12
	s_and_saveexec_b32 s12, s16
	s_cbranch_execnz .LBB50_224
.LBB50_207:                             ;   in Loop: Header=BB50_12 Depth=1
	s_or_b32 exec_lo, exec_lo, s12
	s_and_saveexec_b32 s12, s17
	s_cbranch_execnz .LBB50_225
.LBB50_208:                             ;   in Loop: Header=BB50_12 Depth=1
	s_or_b32 exec_lo, exec_lo, s12
	s_and_saveexec_b32 s12, s18
	s_cbranch_execnz .LBB50_226
.LBB50_209:                             ;   in Loop: Header=BB50_12 Depth=1
	s_or_b32 exec_lo, exec_lo, s12
	s_and_saveexec_b32 s12, s19
	s_cbranch_execnz .LBB50_227
.LBB50_210:                             ;   in Loop: Header=BB50_12 Depth=1
	s_or_b32 exec_lo, exec_lo, s12
	s_and_saveexec_b32 s12, s20
	s_cbranch_execnz .LBB50_228
.LBB50_211:                             ;   in Loop: Header=BB50_12 Depth=1
	s_or_b32 exec_lo, exec_lo, s12
	s_and_saveexec_b32 s12, s21
	s_cbranch_execnz .LBB50_229
.LBB50_212:                             ;   in Loop: Header=BB50_12 Depth=1
	s_or_b32 exec_lo, exec_lo, s12
	s_and_saveexec_b32 s12, s22
	s_cbranch_execnz .LBB50_230
.LBB50_213:                             ;   in Loop: Header=BB50_12 Depth=1
	s_or_b32 exec_lo, exec_lo, s12
	s_and_saveexec_b32 s12, s23
	s_cbranch_execnz .LBB50_231
.LBB50_214:                             ;   in Loop: Header=BB50_12 Depth=1
	s_or_b32 exec_lo, exec_lo, s12
	s_and_saveexec_b32 s12, s24
	s_cbranch_execnz .LBB50_232
.LBB50_215:                             ;   in Loop: Header=BB50_12 Depth=1
	s_or_b32 exec_lo, exec_lo, s12
	s_and_saveexec_b32 s12, s25
	s_cbranch_execnz .LBB50_233
.LBB50_216:                             ;   in Loop: Header=BB50_12 Depth=1
	s_or_b32 exec_lo, exec_lo, s12
	s_and_saveexec_b32 s12, s26
	s_cbranch_execnz .LBB50_234
.LBB50_217:                             ;   in Loop: Header=BB50_12 Depth=1
	s_or_b32 exec_lo, exec_lo, s12
	s_and_saveexec_b32 s12, s27
	s_cbranch_execz .LBB50_11
	s_branch .LBB50_235
.LBB50_218:                             ;   in Loop: Header=BB50_12 Depth=1
	global_load_u16 v97, v[8:9], off offset:832
	s_or_b32 exec_lo, exec_lo, s28
	s_and_saveexec_b32 s28, s26
	s_cbranch_execz .LBB50_72
.LBB50_219:                             ;   in Loop: Header=BB50_12 Depth=1
	global_load_u16 v96, v[8:9], off offset:896
	s_or_b32 exec_lo, exec_lo, s28
	v_mov_b32_e32 v98, 0
	s_and_saveexec_b32 s28, s27
	s_cbranch_execnz .LBB50_73
	s_branch .LBB50_74
.LBB50_220:                             ;   in Loop: Header=BB50_12 Depth=1
	ds_load_u16 v17, v37
	s_waitcnt lgkmcnt(0)
	global_store_b16 v[0:1], v17, off
	s_or_b32 exec_lo, exec_lo, s28
	s_and_saveexec_b32 s12, s13
	s_cbranch_execz .LBB50_204
.LBB50_221:                             ;   in Loop: Header=BB50_12 Depth=1
	s_waitcnt lgkmcnt(14)
	global_store_b16 v[0:1], v16, off offset:64
	s_or_b32 exec_lo, exec_lo, s12
	s_and_saveexec_b32 s12, s14
	s_cbranch_execz .LBB50_205
.LBB50_222:                             ;   in Loop: Header=BB50_12 Depth=1
	s_waitcnt lgkmcnt(13)
	global_store_b16 v[0:1], v15, off offset:128
	s_or_b32 exec_lo, exec_lo, s12
	s_and_saveexec_b32 s12, s15
	s_cbranch_execz .LBB50_206
.LBB50_223:                             ;   in Loop: Header=BB50_12 Depth=1
	s_waitcnt lgkmcnt(12)
	global_store_b16 v[0:1], v14, off offset:192
	s_or_b32 exec_lo, exec_lo, s12
	s_and_saveexec_b32 s12, s16
	s_cbranch_execz .LBB50_207
.LBB50_224:                             ;   in Loop: Header=BB50_12 Depth=1
	s_waitcnt lgkmcnt(11)
	global_store_b16 v[0:1], v13, off offset:256
	s_or_b32 exec_lo, exec_lo, s12
	s_and_saveexec_b32 s12, s17
	s_cbranch_execz .LBB50_208
.LBB50_225:                             ;   in Loop: Header=BB50_12 Depth=1
	s_waitcnt lgkmcnt(10)
	global_store_b16 v[0:1], v12, off offset:320
	s_or_b32 exec_lo, exec_lo, s12
	s_and_saveexec_b32 s12, s18
	s_cbranch_execz .LBB50_209
.LBB50_226:                             ;   in Loop: Header=BB50_12 Depth=1
	s_waitcnt lgkmcnt(9)
	global_store_b16 v[0:1], v11, off offset:384
	s_or_b32 exec_lo, exec_lo, s12
	s_and_saveexec_b32 s12, s19
	s_cbranch_execz .LBB50_210
.LBB50_227:                             ;   in Loop: Header=BB50_12 Depth=1
	s_waitcnt lgkmcnt(8)
	global_store_b16 v[0:1], v10, off offset:448
	s_or_b32 exec_lo, exec_lo, s12
	s_and_saveexec_b32 s12, s20
	s_cbranch_execz .LBB50_211
.LBB50_228:                             ;   in Loop: Header=BB50_12 Depth=1
	s_waitcnt lgkmcnt(7)
	global_store_b16 v[0:1], v9, off offset:512
	s_or_b32 exec_lo, exec_lo, s12
	s_and_saveexec_b32 s12, s21
	s_cbranch_execz .LBB50_212
.LBB50_229:                             ;   in Loop: Header=BB50_12 Depth=1
	s_waitcnt lgkmcnt(6)
	global_store_b16 v[0:1], v8, off offset:576
	s_or_b32 exec_lo, exec_lo, s12
	s_and_saveexec_b32 s12, s22
	s_cbranch_execz .LBB50_213
.LBB50_230:                             ;   in Loop: Header=BB50_12 Depth=1
	s_waitcnt lgkmcnt(5)
	global_store_b16 v[0:1], v7, off offset:640
	s_or_b32 exec_lo, exec_lo, s12
	s_and_saveexec_b32 s12, s23
	s_cbranch_execz .LBB50_214
.LBB50_231:                             ;   in Loop: Header=BB50_12 Depth=1
	s_waitcnt lgkmcnt(4)
	global_store_b16 v[0:1], v6, off offset:704
	s_or_b32 exec_lo, exec_lo, s12
	s_and_saveexec_b32 s12, s24
	s_cbranch_execz .LBB50_215
.LBB50_232:                             ;   in Loop: Header=BB50_12 Depth=1
	s_waitcnt lgkmcnt(3)
	global_store_b16 v[0:1], v5, off offset:768
	s_or_b32 exec_lo, exec_lo, s12
	s_and_saveexec_b32 s12, s25
	s_cbranch_execz .LBB50_216
.LBB50_233:                             ;   in Loop: Header=BB50_12 Depth=1
	s_waitcnt lgkmcnt(2)
	global_store_b16 v[0:1], v4, off offset:832
	s_or_b32 exec_lo, exec_lo, s12
	s_and_saveexec_b32 s12, s26
	s_cbranch_execz .LBB50_217
.LBB50_234:                             ;   in Loop: Header=BB50_12 Depth=1
	s_waitcnt lgkmcnt(1)
	global_store_b16 v[0:1], v3, off offset:896
	s_or_b32 exec_lo, exec_lo, s12
	s_and_saveexec_b32 s12, s27
	s_cbranch_execz .LBB50_11
.LBB50_235:                             ;   in Loop: Header=BB50_12 Depth=1
	s_waitcnt lgkmcnt(0)
	global_store_b16 v[0:1], v2, off offset:960
	s_branch .LBB50_11
.LBB50_236:
	s_nop 0
	s_sendmsg sendmsg(MSG_DEALLOC_VGPRS)
	s_endpgm
	.section	.rodata,"a",@progbits
	.p2align	6, 0x0
	.amdhsa_kernel _Z25selective_scan_fwd_kernelI32Selective_Scan_fwd_kernel_traitsILi64ELi16ELi1ELb1ELb1ELb1ELb0ELb1EN3c108BFloat16EffEEv13SSMParamsBase
		.amdhsa_group_segment_fixed_size 0
		.amdhsa_private_segment_fixed_size 0
		.amdhsa_kernarg_size 248
		.amdhsa_user_sgpr_count 14
		.amdhsa_user_sgpr_dispatch_ptr 0
		.amdhsa_user_sgpr_queue_ptr 0
		.amdhsa_user_sgpr_kernarg_segment_ptr 1
		.amdhsa_user_sgpr_dispatch_id 0
		.amdhsa_user_sgpr_private_segment_size 0
		.amdhsa_wavefront_size32 1
		.amdhsa_uses_dynamic_stack 0
		.amdhsa_enable_private_segment 0
		.amdhsa_system_sgpr_workgroup_id_x 1
		.amdhsa_system_sgpr_workgroup_id_y 1
		.amdhsa_system_sgpr_workgroup_id_z 0
		.amdhsa_system_sgpr_workgroup_info 0
		.amdhsa_system_vgpr_workitem_id 0
		.amdhsa_next_free_vgpr 172
		.amdhsa_next_free_sgpr 92
		.amdhsa_reserve_vcc 1
		.amdhsa_float_round_mode_32 0
		.amdhsa_float_round_mode_16_64 0
		.amdhsa_float_denorm_mode_32 3
		.amdhsa_float_denorm_mode_16_64 3
		.amdhsa_dx10_clamp 1
		.amdhsa_ieee_mode 1
		.amdhsa_fp16_overflow 0
		.amdhsa_workgroup_processor_mode 1
		.amdhsa_memory_ordered 1
		.amdhsa_forward_progress 0
		.amdhsa_shared_vgpr_count 0
		.amdhsa_exception_fp_ieee_invalid_op 0
		.amdhsa_exception_fp_denorm_src 0
		.amdhsa_exception_fp_ieee_div_zero 0
		.amdhsa_exception_fp_ieee_overflow 0
		.amdhsa_exception_fp_ieee_underflow 0
		.amdhsa_exception_fp_ieee_inexact 0
		.amdhsa_exception_int_div_zero 0
	.end_amdhsa_kernel
	.section	.text._Z25selective_scan_fwd_kernelI32Selective_Scan_fwd_kernel_traitsILi64ELi16ELi1ELb1ELb1ELb1ELb0ELb1EN3c108BFloat16EffEEv13SSMParamsBase,"axG",@progbits,_Z25selective_scan_fwd_kernelI32Selective_Scan_fwd_kernel_traitsILi64ELi16ELi1ELb1ELb1ELb1ELb0ELb1EN3c108BFloat16EffEEv13SSMParamsBase,comdat
.Lfunc_end50:
	.size	_Z25selective_scan_fwd_kernelI32Selective_Scan_fwd_kernel_traitsILi64ELi16ELi1ELb1ELb1ELb1ELb0ELb1EN3c108BFloat16EffEEv13SSMParamsBase, .Lfunc_end50-_Z25selective_scan_fwd_kernelI32Selective_Scan_fwd_kernel_traitsILi64ELi16ELi1ELb1ELb1ELb1ELb0ELb1EN3c108BFloat16EffEEv13SSMParamsBase
                                        ; -- End function
	.section	.AMDGPU.csdata,"",@progbits
; Kernel info:
; codeLenInByte = 21444
; NumSgprs: 94
; NumVgprs: 172
; ScratchSize: 0
; MemoryBound: 0
; FloatMode: 240
; IeeeMode: 1
; LDSByteSize: 0 bytes/workgroup (compile time only)
; SGPRBlocks: 11
; VGPRBlocks: 21
; NumSGPRsForWavesPerEU: 94
; NumVGPRsForWavesPerEU: 172
; Occupancy: 8
; WaveLimiterHint : 1
; COMPUTE_PGM_RSRC2:SCRATCH_EN: 0
; COMPUTE_PGM_RSRC2:USER_SGPR: 14
; COMPUTE_PGM_RSRC2:TRAP_HANDLER: 0
; COMPUTE_PGM_RSRC2:TGID_X_EN: 1
; COMPUTE_PGM_RSRC2:TGID_Y_EN: 1
; COMPUTE_PGM_RSRC2:TGID_Z_EN: 0
; COMPUTE_PGM_RSRC2:TIDIG_COMP_CNT: 0
	.section	.text._Z25selective_scan_fwd_kernelI32Selective_Scan_fwd_kernel_traitsILi64ELi16ELi1ELb1ELb1ELb1ELb0ELb0EN3c108BFloat16EffEEv13SSMParamsBase,"axG",@progbits,_Z25selective_scan_fwd_kernelI32Selective_Scan_fwd_kernel_traitsILi64ELi16ELi1ELb1ELb1ELb1ELb0ELb0EN3c108BFloat16EffEEv13SSMParamsBase,comdat
	.protected	_Z25selective_scan_fwd_kernelI32Selective_Scan_fwd_kernel_traitsILi64ELi16ELi1ELb1ELb1ELb1ELb0ELb0EN3c108BFloat16EffEEv13SSMParamsBase ; -- Begin function _Z25selective_scan_fwd_kernelI32Selective_Scan_fwd_kernel_traitsILi64ELi16ELi1ELb1ELb1ELb1ELb0ELb0EN3c108BFloat16EffEEv13SSMParamsBase
	.globl	_Z25selective_scan_fwd_kernelI32Selective_Scan_fwd_kernel_traitsILi64ELi16ELi1ELb1ELb1ELb1ELb0ELb0EN3c108BFloat16EffEEv13SSMParamsBase
	.p2align	8
	.type	_Z25selective_scan_fwd_kernelI32Selective_Scan_fwd_kernel_traitsILi64ELi16ELi1ELb1ELb1ELb1ELb0ELb0EN3c108BFloat16EffEEv13SSMParamsBase,@function
_Z25selective_scan_fwd_kernelI32Selective_Scan_fwd_kernel_traitsILi64ELi16ELi1ELb1ELb1ELb1ELb0ELb0EN3c108BFloat16EffEEv13SSMParamsBase: ; @_Z25selective_scan_fwd_kernelI32Selective_Scan_fwd_kernel_traitsILi64ELi16ELi1ELb1ELb1ELb1ELb0ELb0EN3c108BFloat16EffEEv13SSMParamsBase
; %bb.0:
	s_clause 0x1
	s_load_b32 s9, s[0:1], 0x18
	s_load_b128 s[4:7], s[0:1], 0xe8
	s_mov_b32 s54, s15
	s_mov_b32 s33, 0
	s_waitcnt lgkmcnt(0)
	s_abs_i32 s8, s9
	s_cmp_eq_u64 s[6:7], 0
	v_cvt_f32_u32_e32 v1, s8
	s_delay_alu instid0(VALU_DEP_1) | instskip(SKIP_2) | instid1(VALU_DEP_1)
	v_rcp_iflag_f32_e32 v1, v1
	s_waitcnt_depctr 0xfff
	v_mul_f32_e32 v1, 0x4f7ffffe, v1
	v_cvt_u32_f32_e32 v1, v1
	s_delay_alu instid0(VALU_DEP_1)
	v_readfirstlane_b32 s10, v1
	s_cbranch_scc1 .LBB51_2
; %bb.1:
	v_mov_b32_e32 v1, 0
	s_ashr_i32 s3, s14, 31
	s_add_u32 s2, s6, s14
	s_addc_u32 s3, s7, s3
	global_load_u8 v1, v1, s[2:3]
	s_waitcnt vmcnt(0)
	v_and_b32_e32 v1, 1, v1
	s_delay_alu instid0(VALU_DEP_1)
	v_cmp_eq_u32_e64 s33, 1, v1
.LBB51_2:
	s_load_b64 s[6:7], s[0:1], 0x20
	s_cmp_eq_u64 s[4:5], 0
	s_cbranch_scc1 .LBB51_4
; %bb.3:
	s_ashr_i32 s15, s14, 31
	s_delay_alu instid0(SALU_CYCLE_1) | instskip(NEXT) | instid1(SALU_CYCLE_1)
	s_lshl_b64 s[2:3], s[14:15], 2
	s_add_u32 s2, s4, s2
	s_addc_u32 s3, s5, s3
	s_load_b32 s2, s[2:3], 0x0
	s_waitcnt lgkmcnt(0)
	s_ashr_i32 s3, s2, 31
	s_delay_alu instid0(SALU_CYCLE_1)
	s_cmp_eq_u64 s[6:7], s[2:3]
	s_cbranch_scc0 .LBB51_5
	s_branch .LBB51_84
.LBB51_4:
	s_mov_b32 s2, s14
	s_delay_alu instid0(SALU_CYCLE_1)
	s_ashr_i32 s3, s2, 31
	s_waitcnt lgkmcnt(0)
	s_cmp_eq_u64 s[6:7], s[2:3]
	s_cbranch_scc1 .LBB51_84
.LBB51_5:
	s_clause 0x1
	s_load_b512 s[16:31], s[0:1], 0x88
	s_load_b64 s[34:35], s[0:1], 0x8
	s_mov_b32 s56, 0
	s_mov_b32 s57, 0
	s_waitcnt lgkmcnt(0)
	s_cmp_eq_u64 s[22:23], 0
	s_cbranch_scc1 .LBB51_7
; %bb.6:
	s_ashr_i32 s55, s54, 31
	s_delay_alu instid0(SALU_CYCLE_1) | instskip(NEXT) | instid1(SALU_CYCLE_1)
	s_lshl_b64 s[4:5], s[54:55], 2
	s_add_u32 s4, s22, s4
	s_addc_u32 s5, s23, s5
	s_load_b32 s57, s[4:5], 0x0
.LBB51_7:
	s_cmp_eq_u64 s[28:29], 0
	s_cbranch_scc1 .LBB51_9
; %bb.8:
	s_ashr_i32 s55, s54, 31
	s_delay_alu instid0(SALU_CYCLE_1) | instskip(NEXT) | instid1(SALU_CYCLE_1)
	s_lshl_b64 s[4:5], s[54:55], 2
	s_add_u32 s4, s28, s4
	s_addc_u32 s5, s29, s5
	s_load_b32 s56, s[4:5], 0x0
.LBB51_9:
	s_cmp_lt_i32 s34, 1
	s_cbranch_scc1 .LBB51_84
; %bb.10:
	s_sub_i32 s3, 0, s8
	s_clause 0x1
	s_load_b64 s[4:5], s[0:1], 0x5c
	s_load_b128 s[44:47], s[0:1], 0x4c
	s_mul_i32 s3, s3, s10
	s_abs_i32 s6, s54
	s_mul_hi_u32 s3, s10, s3
	s_ashr_i32 s9, s9, 31
	s_add_i32 s10, s10, s3
	s_ashr_i32 s3, s54, 31
	s_mul_hi_u32 s7, s6, s10
	s_xor_b32 s3, s3, s9
	s_mul_i32 s10, s7, s8
	s_add_i32 s9, s7, 1
	s_sub_i32 s6, s6, s10
	s_load_b256 s[36:43], s[0:1], 0x2c
	s_sub_i32 s10, s6, s8
	s_cmp_ge_u32 s6, s8
	s_mov_b32 s53, 0
	s_cselect_b32 s7, s9, s7
	s_cselect_b32 s6, s10, s6
	s_add_i32 s9, s7, 1
	s_cmp_ge_u32 s6, s8
	s_waitcnt lgkmcnt(0)
	s_mul_i32 s52, s46, s14
	s_cselect_b32 s6, s9, s7
	s_load_b128 s[48:51], s[0:1], 0x7c
	s_xor_b32 s8, s6, s3
	s_lshl_b64 s[6:7], s[52:53], 1
	s_sub_i32 s3, s8, s3
	s_mul_i32 s52, s47, s54
	s_add_u32 s8, s24, s6
	s_addc_u32 s9, s25, s7
	s_lshl_b64 s[6:7], s[52:53], 1
	s_mul_i32 s52, s4, s14
	s_add_u32 s55, s8, s6
	s_addc_u32 s58, s9, s7
	s_lshl_b64 s[6:7], s[52:53], 1
	;; [unrolled: 4-line block ×3, first 2 shown]
	s_mul_i32 s52, s36, s54
	s_add_u32 s59, s6, s4
	s_addc_u32 s36, s7, s5
	s_load_b64 s[6:7], s[0:1], 0xc8
	s_lshl_b64 s[4:5], s[52:53], 2
	s_mul_i32 s52, s38, s14
	s_add_u32 s60, s16, s4
	s_waitcnt lgkmcnt(0)
	s_addc_u32 s51, s17, s5
	s_lshl_b64 s[4:5], s[52:53], 1
	s_mul_i32 s52, s3, s41
	s_add_u32 s8, s18, s4
	s_addc_u32 s9, s19, s5
	s_lshl_b64 s[4:5], s[52:53], 1
	s_mul_i32 s52, s42, s14
	s_add_u32 s41, s8, s4
	;; [unrolled: 4-line block ×3, first 2 shown]
	s_addc_u32 s3, s21, s5
	s_lshl_b64 s[4:5], s[52:53], 1
	s_mul_i32 s52, s2, s48
	v_dual_mov_b32 v34, 0 :: v_dual_lshlrev_b32 v1, 1, v0
	s_add_u32 s45, s8, s4
	s_addc_u32 s62, s3, s5
	s_lshl_b64 s[2:3], s[52:53], 2
	s_load_b64 s[12:13], s[0:1], 0x6c
	s_add_u32 s4, s6, s2
	s_load_b32 s6, s[0:1], 0x28
	v_mbcnt_lo_u32_b32 v2, -1, 0
	v_and_b32_e32 v1, 64, v1
	v_and_b32_e32 v4, 32, v0
	s_mul_i32 s52, s49, s54
	s_addc_u32 s5, s7, s3
	s_lshl_b64 s[2:3], s[52:53], 2
	v_or_b32_e32 v3, v2, v1
	s_add_u32 s63, s4, s2
	v_lshrrev_b32_e32 v5, 5, v1
	v_or_b32_e32 v7, v2, v4
	s_addc_u32 s64, s5, s3
	v_or_b32_e32 v6, 32, v3
	s_add_i32 s0, s34, 0x7ff
	v_add_nc_u32_e32 v5, v5, v3
	s_lshr_b32 s65, s0, 11
	v_cmp_gt_u32_e64 s0, 0x80, v3
	v_lshrrev_b32_e32 v8, 5, v6
	v_lshlrev_b32_e32 v9, 1, v7
	v_bfe_u32 v7, v7, 4, 27
	s_waitcnt lgkmcnt(0)
	s_bitcmp1_b32 s6, 0
	v_lshl_add_u32 v35, v5, 4, 0
	v_add_lshl_u32 v3, v8, v3, 4
	s_cselect_b32 s66, -1, 0
	s_cmp_gt_i32 s35, 0
	v_add_lshl_u32 v5, v7, v9, 4
	s_cselect_b32 s67, -1, 0
	s_add_i32 s2, 0, 0x840
	v_add_nc_u32_e32 v36, 0, v3
	v_add_nc_u32_e32 v38, s2, v3
	v_and_b32_e32 v3, 15, v2
	s_and_b32 s3, s34, 0x3ff
	v_add_nc_u32_e32 v39, s2, v5
	s_cmp_eq_u32 s3, 0
	s_mul_i32 s52, s12, s14
	v_cmp_ne_u32_e64 s2, 0, v3
	v_cmp_lt_u32_e64 s3, 1, v3
	v_cmp_lt_u32_e64 s4, 3, v3
	;; [unrolled: 1-line block ×3, first 2 shown]
	v_add_nc_u32_e32 v3, -1, v2
	s_cselect_b32 s68, -1, 0
	s_lshl_b64 s[14:15], s[52:53], 1
	s_add_i32 s69, s65, -1
	s_mul_i32 s52, s13, s54
	v_cmp_gt_i32_e32 vcc_lo, 0, v3
	v_add_nc_u32_e32 v37, 0, v5
	v_lshlrev_b32_e32 v40, 4, v0
	v_lshrrev_b32_e32 v5, 2, v0
	v_cmp_gt_u32_e64 s8, 2, v0
	v_cndmask_b32_e32 v3, v3, v2, vcc_lo
	v_or_b32_e32 v4, 31, v4
	v_lshl_add_u32 v42, v0, 3, 0
	v_cmp_gt_u32_e64 s10, 32, v0
	v_cmp_lt_u32_e64 s11, 31, v0
	v_cmp_eq_u32_e64 s12, 0, v0
	v_cmp_eq_u32_e64 s7, v4, v0
	s_add_u32 s16, s30, s14
	v_lshlrev_b32_e32 v0, 4, v2
	s_addc_u32 s13, s31, s15
	s_lshl_b64 s[14:15], s[52:53], 1
	v_and_b32_e32 v4, 1, v2
	s_add_u32 s14, s16, s14
	v_lshlrev_b32_e32 v43, 2, v3
	s_addc_u32 s13, s13, s15
	v_lshlrev_b32_e32 v3, 4, v1
	v_add_co_u32 v0, s14, s14, v0
	v_cmp_gt_u32_e64 s1, 0x80, v6
	v_and_b32_e32 v6, 16, v2
	v_and_b32_e32 v5, 8, v5
	v_cmp_eq_u32_e64 s9, 0, v4
	v_add_co_ci_u32_e64 v4, null, s13, 0, s14
	v_add_co_u32 v44, vcc_lo, v0, v3
	v_cmp_ne_u32_e64 s6, 0, v6
	v_add_nc_u32_e32 v41, 0, v5
	v_cmp_eq_u32_e64 s13, 0, v2
	v_add_co_ci_u32_e32 v45, vcc_lo, 0, v4, vcc_lo
	v_or_b32_e32 v46, 1, v40
	v_or_b32_e32 v47, 2, v40
	;; [unrolled: 1-line block ×15, first 2 shown]
	v_lshlrev_b32_e32 v61, 4, v2
	v_lshlrev_b32_e32 v62, 4, v1
	s_mov_b32 s54, 0x3e9b6dac
	s_add_i32 s70, 0, 0x1090
	s_mov_b32 s71, 0
                                        ; implicit-def: $vgpr4
                                        ; implicit-def: $vgpr0
                                        ; implicit-def: $vgpr12
                                        ; implicit-def: $vgpr8
	s_branch .LBB51_12
.LBB51_11:                              ;   in Loop: Header=BB51_12 Depth=1
	v_bfe_u32 v16, v93, 16, 1
	v_bfe_u32 v17, v92, 16, 1
	v_cmp_o_f32_e32 vcc_lo, v93, v93
	v_bfe_u32 v18, v91, 16, 1
	v_bfe_u32 v20, v87, 16, 1
	v_add3_u32 v16, v93, v16, 0x7fff
	v_add3_u32 v17, v92, v17, 0x7fff
	v_bfe_u32 v23, v89, 16, 1
	v_add3_u32 v18, v91, v18, 0x7fff
	v_bfe_u32 v22, v88, 16, 1
	v_lshrrev_b32_e32 v16, 16, v16
	v_lshrrev_b32_e32 v17, 16, v17
	v_add3_u32 v20, v87, v20, 0x7fff
	v_lshrrev_b32_e32 v18, 16, v18
	v_add3_u32 v23, v89, v23, 0x7fff
	v_cndmask_b32_e32 v16, 0x7fc0, v16, vcc_lo
	v_cmp_o_f32_e32 vcc_lo, v92, v92
	v_add3_u32 v22, v88, v22, 0x7fff
	v_bfe_u32 v19, v86, 16, 1
	v_bfe_u32 v26, v81, 16, 1
	v_bfe_u32 v27, v79, 16, 1
	v_cndmask_b32_e32 v21, 0x7fc0, v17, vcc_lo
	v_bfe_u32 v17, v90, 16, 1
	v_cmp_o_f32_e32 vcc_lo, v91, v91
	v_lshrrev_b32_e32 v22, 16, v22
	v_add3_u32 v19, v86, v19, 0x7fff
	v_bfe_u32 v28, v84, 16, 1
	v_add3_u32 v17, v90, v17, 0x7fff
	v_cndmask_b32_e32 v24, 0x7fc0, v18, vcc_lo
	v_cmp_o_f32_e32 vcc_lo, v90, v90
	v_lshrrev_b32_e32 v18, 16, v20
	v_lshrrev_b32_e32 v20, 16, v23
	;; [unrolled: 1-line block ×4, first 2 shown]
	v_bfe_u32 v23, v85, 16, 1
	v_add3_u32 v27, v79, v27, 0x7fff
	v_perm_b32 v16, v21, v16, 0x5040100
	v_cndmask_b32_e32 v17, 0x7fc0, v17, vcc_lo
	v_cmp_o_f32_e32 vcc_lo, v89, v89
	s_waitcnt_vscnt null, 0x0
	s_barrier
	buffer_gl0_inv
	s_add_u32 s59, s59, 0x800
	v_cndmask_b32_e32 v20, 0x7fc0, v20, vcc_lo
	v_cmp_o_f32_e32 vcc_lo, v88, v88
	s_addc_u32 s36, s36, 0
	s_mov_b32 s39, s53
	s_add_u32 s55, s55, 0x800
	s_addc_u32 s58, s58, 0
	v_cndmask_b32_e32 v22, 0x7fc0, v22, vcc_lo
	v_cmp_o_f32_e32 vcc_lo, v87, v87
	s_lshl_b64 s[14:15], s[38:39], 1
	s_add_u32 s41, s41, 0x800
	s_addc_u32 s61, s61, 0
	s_add_u32 s45, s45, 0x800
	v_cndmask_b32_e32 v18, 0x7fc0, v18, vcc_lo
	v_cmp_o_f32_e32 vcc_lo, v86, v86
	s_addc_u32 s62, s62, 0
	s_add_i32 s71, s71, 1
	s_delay_alu instid0(VALU_DEP_2)
	v_perm_b32 v18, v18, v17, 0x5040100
	v_cndmask_b32_e32 v25, 0x7fc0, v19, vcc_lo
	v_perm_b32 v19, v22, v20, 0x5040100
	v_add3_u32 v22, v85, v23, 0x7fff
	v_bfe_u32 v23, v83, 16, 1
	v_cmp_o_f32_e32 vcc_lo, v85, v85
	v_perm_b32 v17, v25, v24, 0x5040100
	v_add3_u32 v24, v81, v26, 0x7fff
	v_lshrrev_b32_e32 v22, 16, v22
	v_add3_u32 v23, v83, v23, 0x7fff
	v_bfe_u32 v26, v78, 16, 1
	v_bfe_u32 v20, v82, 16, 1
	s_cmp_eq_u32 s71, s65
	v_cndmask_b32_e32 v25, 0x7fc0, v22, vcc_lo
	v_lshrrev_b32_e32 v22, 16, v23
	v_lshrrev_b32_e32 v23, 16, v24
	v_bfe_u32 v24, v80, 16, 1
	v_cmp_o_f32_e32 vcc_lo, v83, v83
	v_add3_u32 v20, v82, v20, 0x7fff
	s_delay_alu instid0(VALU_DEP_3)
	v_add3_u32 v24, v80, v24, 0x7fff
	v_cndmask_b32_e32 v29, 0x7fc0, v22, vcc_lo
	v_cmp_o_f32_e32 vcc_lo, v81, v81
	v_add3_u32 v22, v78, v26, 0x7fff
	v_add3_u32 v26, v84, v28, 0x7fff
	v_lshrrev_b32_e32 v20, 16, v20
	v_cndmask_b32_e32 v28, 0x7fc0, v23, vcc_lo
	v_lshrrev_b32_e32 v23, 16, v24
	v_cmp_o_f32_e32 vcc_lo, v80, v80
	v_lshrrev_b32_e32 v24, 16, v27
	v_lshrrev_b32_e32 v26, 16, v26
	;; [unrolled: 1-line block ×3, first 2 shown]
	v_perm_b32 v21, v28, v29, 0x5040100
	v_cndmask_b32_e32 v27, 0x7fc0, v23, vcc_lo
	v_cmp_o_f32_e32 vcc_lo, v79, v79
	v_cndmask_b32_e32 v23, 0x7fc0, v24, vcc_lo
	v_cmp_o_f32_e32 vcc_lo, v84, v84
	;; [unrolled: 2-line block ×3, first 2 shown]
	s_delay_alu instid0(VALU_DEP_2) | instskip(SKIP_2) | instid1(VALU_DEP_2)
	v_perm_b32 v23, v24, v23, 0x5040100
	v_cndmask_b32_e32 v22, 0x7fc0, v22, vcc_lo
	v_cmp_o_f32_e32 vcc_lo, v82, v82
	v_perm_b32 v22, v22, v27, 0x5040100
	v_cndmask_b32_e32 v20, 0x7fc0, v20, vcc_lo
	v_add_co_u32 v24, vcc_lo, v44, s14
	s_delay_alu instid0(VALU_DEP_2)
	v_perm_b32 v20, v20, v25, 0x5040100
	ds_store_b128 v37, v[16:19]
	ds_store_b128 v37, v[20:23] offset:16
	; wave barrier
	ds_load_b128 v[16:19], v35
	ds_load_b128 v[20:23], v36 offset:512
	v_add_co_ci_u32_e32 v25, vcc_lo, s15, v45, vcc_lo
	s_waitcnt lgkmcnt(1)
	v_alignbit_b32 v27, v18, v17, 16
	v_alignbit_b32 v26, v17, v16, 16
	;; [unrolled: 1-line block ×3, first 2 shown]
	s_clause 0x3
	global_store_b16 v[24:25], v16, off
	global_store_d16_hi_b16 v[24:25], v19, off offset:14
	global_store_b32 v[24:25], v17, off offset:10
	global_store_b64 v[24:25], v[26:27], off offset:2
	s_waitcnt lgkmcnt(0)
	global_store_b128 v[24:25], v[20:23], off offset:512
	s_cbranch_scc1 .LBB51_84
.LBB51_12:                              ; =>This Loop Header: Depth=1
                                        ;     Child Loop BB51_55 Depth 2
	v_add_co_u32 v16, s14, s55, v61
	s_delay_alu instid0(VALU_DEP_1) | instskip(NEXT) | instid1(VALU_DEP_2)
	v_add_co_ci_u32_e64 v17, null, s58, 0, s14
	v_add_co_u32 v16, vcc_lo, v16, v62
	s_delay_alu instid0(VALU_DEP_2)
	v_add_co_ci_u32_e32 v17, vcc_lo, 0, v17, vcc_lo
	s_waitcnt_vscnt null, 0x0
	s_barrier
	buffer_gl0_inv
	s_and_saveexec_b32 s14, s0
	s_cbranch_execz .LBB51_14
; %bb.13:                               ;   in Loop: Header=BB51_12 Depth=1
	global_load_b128 v[12:15], v[16:17], off
.LBB51_14:                              ;   in Loop: Header=BB51_12 Depth=1
	s_or_b32 exec_lo, exec_lo, s14
	s_and_saveexec_b32 s14, s1
	s_cbranch_execz .LBB51_16
; %bb.15:                               ;   in Loop: Header=BB51_12 Depth=1
	global_load_b128 v[8:11], v[16:17], off offset:512
.LBB51_16:                              ;   in Loop: Header=BB51_12 Depth=1
	s_or_b32 exec_lo, exec_lo, s14
	s_waitcnt vmcnt(0)
	ds_store_b128 v35, v[12:15]
	ds_store_b128 v36, v[8:11] offset:512
	; wave barrier
	ds_load_b128 v[12:15], v37
	ds_load_b128 v[8:11], v37 offset:16
	v_add_co_u32 v16, s14, s59, v61
	s_delay_alu instid0(VALU_DEP_1) | instskip(SKIP_1) | instid1(VALU_DEP_2)
	v_add_co_ci_u32_e64 v17, null, s36, 0, s14
	s_waitcnt lgkmcnt(0)
	v_add_co_u32 v16, vcc_lo, v16, v62
	s_delay_alu instid0(VALU_DEP_2)
	v_add_co_ci_u32_e32 v17, vcc_lo, 0, v17, vcc_lo
	s_barrier
	buffer_gl0_inv
	s_and_saveexec_b32 s14, s0
	s_cbranch_execz .LBB51_18
; %bb.17:                               ;   in Loop: Header=BB51_12 Depth=1
	global_load_b128 v[4:7], v[16:17], off
.LBB51_18:                              ;   in Loop: Header=BB51_12 Depth=1
	s_or_b32 exec_lo, exec_lo, s14
	s_and_saveexec_b32 s14, s1
	s_cbranch_execz .LBB51_20
; %bb.19:                               ;   in Loop: Header=BB51_12 Depth=1
	global_load_b128 v[0:3], v[16:17], off offset:512
.LBB51_20:                              ;   in Loop: Header=BB51_12 Depth=1
	s_or_b32 exec_lo, exec_lo, s14
	s_waitcnt vmcnt(0)
	ds_store_b128 v35, v[4:7]
	ds_store_b128 v36, v[0:3] offset:512
	; wave barrier
	ds_load_b128 v[4:7], v37
	ds_load_b128 v[0:3], v37 offset:16
	s_waitcnt lgkmcnt(1)
	v_lshlrev_b32_e32 v16, 16, v4
	s_delay_alu instid0(VALU_DEP_1) | instskip(NEXT) | instid1(VALU_DEP_1)
	v_add_f32_e32 v63, s56, v16
	v_cmp_ge_f32_e32 vcc_lo, 0x41a00000, v63
	s_and_b32 s14, s66, vcc_lo
	s_delay_alu instid0(SALU_CYCLE_1)
	s_and_saveexec_b32 s15, s14
	s_cbranch_execz .LBB51_22
; %bb.21:                               ;   in Loop: Header=BB51_12 Depth=1
	v_mul_f32_e32 v16, 0x3fb8aa3b, v63
	v_cmp_ngt_f32_e32 vcc_lo, 0xc2ce8ed0, v63
	s_delay_alu instid0(VALU_DEP_2) | instskip(SKIP_1) | instid1(VALU_DEP_2)
	v_rndne_f32_e32 v17, v16
	v_fma_f32 v18, 0x3fb8aa3b, v63, -v16
	v_sub_f32_e32 v16, v16, v17
	s_delay_alu instid0(VALU_DEP_2) | instskip(SKIP_1) | instid1(VALU_DEP_2)
	v_fmac_f32_e32 v18, 0x32a5705f, v63
	v_cvt_i32_f32_e32 v17, v17
	v_add_f32_e32 v16, v16, v18
	s_delay_alu instid0(VALU_DEP_1) | instskip(SKIP_2) | instid1(VALU_DEP_1)
	v_exp_f32_e32 v16, v16
	s_waitcnt_depctr 0xfff
	v_ldexp_f32 v16, v16, v17
	v_cndmask_b32_e32 v16, 0, v16, vcc_lo
	v_cmp_nlt_f32_e32 vcc_lo, 0x42b17218, v63
	s_delay_alu instid0(VALU_DEP_2) | instskip(NEXT) | instid1(VALU_DEP_1)
	v_cndmask_b32_e32 v18, 0x7f800000, v16, vcc_lo
	v_add_f32_e32 v19, 1.0, v18
	s_delay_alu instid0(VALU_DEP_1) | instskip(NEXT) | instid1(VALU_DEP_1)
	v_cvt_f64_f32_e32 v[16:17], v19
	v_frexp_exp_i32_f64_e32 v16, v[16:17]
	v_frexp_mant_f32_e32 v17, v19
	s_delay_alu instid0(VALU_DEP_1) | instskip(SKIP_1) | instid1(VALU_DEP_1)
	v_cmp_gt_f32_e32 vcc_lo, 0x3f2aaaab, v17
	v_add_f32_e32 v17, -1.0, v19
	v_sub_f32_e32 v21, v17, v19
	v_sub_f32_e32 v17, v18, v17
	s_delay_alu instid0(VALU_DEP_2) | instskip(NEXT) | instid1(VALU_DEP_1)
	v_add_f32_e32 v21, 1.0, v21
	v_add_f32_e32 v17, v17, v21
	v_cmp_gt_f32_e64 s14, 0x33800000, v18
	v_subrev_co_ci_u32_e32 v16, vcc_lo, 0, v16, vcc_lo
	v_cmp_eq_f32_e32 vcc_lo, 0x7f800000, v18
	s_delay_alu instid0(VALU_DEP_2) | instskip(SKIP_2) | instid1(VALU_DEP_2)
	v_sub_nc_u32_e32 v20, 0, v16
	v_cvt_f32_i32_e32 v16, v16
	s_or_b32 vcc_lo, s14, vcc_lo
	v_ldexp_f32 v19, v19, v20
	v_ldexp_f32 v17, v17, v20
	s_delay_alu instid0(VALU_DEP_2) | instskip(NEXT) | instid1(VALU_DEP_1)
	v_add_f32_e32 v22, 1.0, v19
	v_dual_add_f32 v20, -1.0, v19 :: v_dual_add_f32 v21, -1.0, v22
	s_delay_alu instid0(VALU_DEP_1) | instskip(NEXT) | instid1(VALU_DEP_2)
	v_add_f32_e32 v23, 1.0, v20
	v_sub_f32_e32 v21, v19, v21
	s_delay_alu instid0(VALU_DEP_2) | instskip(NEXT) | instid1(VALU_DEP_2)
	v_sub_f32_e32 v19, v19, v23
	v_add_f32_e32 v21, v17, v21
	s_delay_alu instid0(VALU_DEP_2) | instskip(NEXT) | instid1(VALU_DEP_1)
	v_add_f32_e32 v17, v17, v19
	v_add_f32_e32 v24, v20, v17
	s_delay_alu instid0(VALU_DEP_1) | instskip(NEXT) | instid1(VALU_DEP_1)
	v_dual_add_f32 v23, v22, v21 :: v_dual_sub_f32 v20, v20, v24
	v_rcp_f32_e32 v19, v23
	v_sub_f32_e32 v22, v22, v23
	s_delay_alu instid0(VALU_DEP_1) | instskip(SKIP_2) | instid1(VALU_DEP_1)
	v_add_f32_e32 v21, v21, v22
	s_waitcnt_depctr 0xfff
	v_mul_f32_e32 v25, v24, v19
	v_mul_f32_e32 v26, v23, v25
	s_delay_alu instid0(VALU_DEP_1) | instskip(NEXT) | instid1(VALU_DEP_1)
	v_fma_f32 v22, v25, v23, -v26
	v_fmac_f32_e32 v22, v25, v21
	s_delay_alu instid0(VALU_DEP_1) | instskip(NEXT) | instid1(VALU_DEP_1)
	v_add_f32_e32 v27, v26, v22
	v_sub_f32_e32 v28, v24, v27
	s_delay_alu instid0(VALU_DEP_1) | instskip(SKIP_1) | instid1(VALU_DEP_2)
	v_sub_f32_e32 v24, v24, v28
	v_dual_add_f32 v17, v17, v20 :: v_dual_sub_f32 v20, v27, v26
	v_sub_f32_e32 v24, v24, v27
	s_delay_alu instid0(VALU_DEP_1) | instskip(NEXT) | instid1(VALU_DEP_1)
	v_dual_sub_f32 v20, v20, v22 :: v_dual_add_f32 v17, v17, v24
	v_add_f32_e32 v17, v20, v17
	s_delay_alu instid0(VALU_DEP_1) | instskip(NEXT) | instid1(VALU_DEP_1)
	v_add_f32_e32 v20, v28, v17
	v_mul_f32_e32 v22, v19, v20
	s_delay_alu instid0(VALU_DEP_1) | instskip(NEXT) | instid1(VALU_DEP_1)
	v_dual_sub_f32 v27, v28, v20 :: v_dual_mul_f32 v24, v23, v22
	v_add_f32_e32 v17, v17, v27
	s_delay_alu instid0(VALU_DEP_2) | instskip(NEXT) | instid1(VALU_DEP_1)
	v_fma_f32 v23, v22, v23, -v24
	v_fmac_f32_e32 v23, v22, v21
	s_delay_alu instid0(VALU_DEP_1) | instskip(NEXT) | instid1(VALU_DEP_1)
	v_add_f32_e32 v21, v24, v23
	v_sub_f32_e32 v26, v20, v21
	s_delay_alu instid0(VALU_DEP_1) | instskip(NEXT) | instid1(VALU_DEP_1)
	v_sub_f32_e32 v20, v20, v26
	v_sub_f32_e32 v20, v20, v21
	s_delay_alu instid0(VALU_DEP_1) | instskip(SKIP_2) | instid1(VALU_DEP_1)
	v_add_f32_e32 v17, v17, v20
	v_add_f32_e32 v20, v25, v22
	v_sub_f32_e32 v24, v21, v24
	v_sub_f32_e32 v21, v24, v23
	s_delay_alu instid0(VALU_DEP_1) | instskip(NEXT) | instid1(VALU_DEP_4)
	v_add_f32_e32 v17, v21, v17
	v_sub_f32_e32 v21, v20, v25
	s_delay_alu instid0(VALU_DEP_2) | instskip(NEXT) | instid1(VALU_DEP_2)
	v_add_f32_e32 v17, v26, v17
	v_sub_f32_e32 v21, v22, v21
	s_delay_alu instid0(VALU_DEP_2) | instskip(NEXT) | instid1(VALU_DEP_1)
	v_mul_f32_e32 v17, v19, v17
	v_add_f32_e32 v17, v21, v17
	s_delay_alu instid0(VALU_DEP_1) | instskip(NEXT) | instid1(VALU_DEP_1)
	v_add_f32_e32 v19, v20, v17
	v_mul_f32_e32 v21, v19, v19
	s_delay_alu instid0(VALU_DEP_1) | instskip(SKIP_1) | instid1(VALU_DEP_2)
	v_fmaak_f32 v22, s54, v21, 0x3ecc95a3
	v_mul_f32_e32 v23, v19, v21
	v_fmaak_f32 v21, v21, v22, 0x3f2aaada
	v_ldexp_f32 v22, v19, 1
	s_delay_alu instid0(VALU_DEP_2) | instskip(SKIP_1) | instid1(VALU_DEP_2)
	v_mul_f32_e32 v21, v23, v21
	v_sub_f32_e32 v19, v19, v20
	v_dual_mul_f32 v23, 0x3f317218, v16 :: v_dual_add_f32 v20, v22, v21
	s_delay_alu instid0(VALU_DEP_2) | instskip(NEXT) | instid1(VALU_DEP_2)
	v_sub_f32_e32 v17, v17, v19
	v_sub_f32_e32 v19, v20, v22
	s_delay_alu instid0(VALU_DEP_3) | instskip(NEXT) | instid1(VALU_DEP_3)
	v_fma_f32 v22, 0x3f317218, v16, -v23
	v_ldexp_f32 v17, v17, 1
	s_delay_alu instid0(VALU_DEP_2) | instskip(NEXT) | instid1(VALU_DEP_1)
	v_dual_sub_f32 v19, v21, v19 :: v_dual_fmac_f32 v22, 0xb102e308, v16
	v_dual_add_f32 v16, v17, v19 :: v_dual_add_f32 v17, v23, v22
	s_delay_alu instid0(VALU_DEP_1) | instskip(NEXT) | instid1(VALU_DEP_1)
	v_add_f32_e32 v19, v20, v16
	v_dual_add_f32 v21, v17, v19 :: v_dual_sub_f32 v20, v19, v20
	s_delay_alu instid0(VALU_DEP_1) | instskip(NEXT) | instid1(VALU_DEP_2)
	v_sub_f32_e32 v24, v21, v17
	v_dual_sub_f32 v23, v17, v23 :: v_dual_sub_f32 v16, v16, v20
	s_delay_alu instid0(VALU_DEP_1) | instskip(SKIP_1) | instid1(VALU_DEP_2)
	v_dual_sub_f32 v25, v21, v24 :: v_dual_sub_f32 v22, v22, v23
	v_sub_f32_e32 v19, v19, v24
	v_dual_sub_f32 v17, v17, v25 :: v_dual_add_f32 v20, v22, v16
	s_delay_alu instid0(VALU_DEP_1) | instskip(NEXT) | instid1(VALU_DEP_2)
	v_add_f32_e32 v17, v19, v17
	v_sub_f32_e32 v19, v20, v22
	s_delay_alu instid0(VALU_DEP_2) | instskip(NEXT) | instid1(VALU_DEP_2)
	v_add_f32_e32 v17, v20, v17
	v_sub_f32_e32 v20, v20, v19
	s_delay_alu instid0(VALU_DEP_2) | instskip(NEXT) | instid1(VALU_DEP_1)
	v_dual_sub_f32 v16, v16, v19 :: v_dual_add_f32 v23, v21, v17
	v_dual_sub_f32 v20, v22, v20 :: v_dual_sub_f32 v19, v23, v21
	s_delay_alu instid0(VALU_DEP_1) | instskip(NEXT) | instid1(VALU_DEP_1)
	v_dual_add_f32 v16, v16, v20 :: v_dual_sub_f32 v17, v17, v19
	v_add_f32_e32 v16, v16, v17
	s_delay_alu instid0(VALU_DEP_1) | instskip(NEXT) | instid1(VALU_DEP_1)
	v_add_f32_e32 v16, v23, v16
	v_cndmask_b32_e32 v63, v16, v18, vcc_lo
.LBB51_22:                              ;   in Loop: Header=BB51_12 Depth=1
	s_or_b32 exec_lo, exec_lo, s15
	v_and_b32_e32 v16, 0xffff0000, v4
	s_delay_alu instid0(VALU_DEP_1) | instskip(NEXT) | instid1(VALU_DEP_1)
	v_add_f32_e32 v64, s56, v16
	v_cmp_ge_f32_e32 vcc_lo, 0x41a00000, v64
	s_and_b32 s14, s66, vcc_lo
	s_delay_alu instid0(SALU_CYCLE_1)
	s_and_saveexec_b32 s15, s14
	s_cbranch_execz .LBB51_24
; %bb.23:                               ;   in Loop: Header=BB51_12 Depth=1
	v_mul_f32_e32 v16, 0x3fb8aa3b, v64
	v_cmp_ngt_f32_e32 vcc_lo, 0xc2ce8ed0, v64
	s_delay_alu instid0(VALU_DEP_2) | instskip(SKIP_1) | instid1(VALU_DEP_2)
	v_rndne_f32_e32 v17, v16
	v_fma_f32 v18, 0x3fb8aa3b, v64, -v16
	v_sub_f32_e32 v16, v16, v17
	s_delay_alu instid0(VALU_DEP_2) | instskip(SKIP_1) | instid1(VALU_DEP_2)
	v_fmac_f32_e32 v18, 0x32a5705f, v64
	v_cvt_i32_f32_e32 v17, v17
	v_add_f32_e32 v16, v16, v18
	s_delay_alu instid0(VALU_DEP_1) | instskip(SKIP_2) | instid1(VALU_DEP_1)
	v_exp_f32_e32 v16, v16
	s_waitcnt_depctr 0xfff
	v_ldexp_f32 v16, v16, v17
	v_cndmask_b32_e32 v16, 0, v16, vcc_lo
	v_cmp_nlt_f32_e32 vcc_lo, 0x42b17218, v64
	s_delay_alu instid0(VALU_DEP_2) | instskip(NEXT) | instid1(VALU_DEP_1)
	v_cndmask_b32_e32 v18, 0x7f800000, v16, vcc_lo
	v_add_f32_e32 v19, 1.0, v18
	s_delay_alu instid0(VALU_DEP_1) | instskip(NEXT) | instid1(VALU_DEP_1)
	v_cvt_f64_f32_e32 v[16:17], v19
	v_frexp_exp_i32_f64_e32 v16, v[16:17]
	v_frexp_mant_f32_e32 v17, v19
	s_delay_alu instid0(VALU_DEP_1) | instskip(SKIP_1) | instid1(VALU_DEP_1)
	v_cmp_gt_f32_e32 vcc_lo, 0x3f2aaaab, v17
	v_add_f32_e32 v17, -1.0, v19
	v_sub_f32_e32 v21, v17, v19
	v_sub_f32_e32 v17, v18, v17
	s_delay_alu instid0(VALU_DEP_2) | instskip(NEXT) | instid1(VALU_DEP_1)
	v_add_f32_e32 v21, 1.0, v21
	v_add_f32_e32 v17, v17, v21
	v_cmp_gt_f32_e64 s14, 0x33800000, v18
	v_subrev_co_ci_u32_e32 v16, vcc_lo, 0, v16, vcc_lo
	v_cmp_eq_f32_e32 vcc_lo, 0x7f800000, v18
	s_delay_alu instid0(VALU_DEP_2) | instskip(SKIP_2) | instid1(VALU_DEP_2)
	v_sub_nc_u32_e32 v20, 0, v16
	v_cvt_f32_i32_e32 v16, v16
	s_or_b32 vcc_lo, s14, vcc_lo
	v_ldexp_f32 v19, v19, v20
	v_ldexp_f32 v17, v17, v20
	s_delay_alu instid0(VALU_DEP_2) | instskip(NEXT) | instid1(VALU_DEP_1)
	v_add_f32_e32 v22, 1.0, v19
	v_dual_add_f32 v20, -1.0, v19 :: v_dual_add_f32 v21, -1.0, v22
	s_delay_alu instid0(VALU_DEP_1) | instskip(NEXT) | instid1(VALU_DEP_2)
	v_add_f32_e32 v23, 1.0, v20
	v_sub_f32_e32 v21, v19, v21
	s_delay_alu instid0(VALU_DEP_2) | instskip(NEXT) | instid1(VALU_DEP_2)
	v_sub_f32_e32 v19, v19, v23
	v_add_f32_e32 v21, v17, v21
	s_delay_alu instid0(VALU_DEP_2) | instskip(NEXT) | instid1(VALU_DEP_1)
	v_add_f32_e32 v17, v17, v19
	v_add_f32_e32 v24, v20, v17
	s_delay_alu instid0(VALU_DEP_1) | instskip(NEXT) | instid1(VALU_DEP_1)
	v_dual_add_f32 v23, v22, v21 :: v_dual_sub_f32 v20, v20, v24
	v_rcp_f32_e32 v19, v23
	v_sub_f32_e32 v22, v22, v23
	s_delay_alu instid0(VALU_DEP_1) | instskip(SKIP_2) | instid1(VALU_DEP_1)
	v_add_f32_e32 v21, v21, v22
	s_waitcnt_depctr 0xfff
	v_mul_f32_e32 v25, v24, v19
	v_mul_f32_e32 v26, v23, v25
	s_delay_alu instid0(VALU_DEP_1) | instskip(NEXT) | instid1(VALU_DEP_1)
	v_fma_f32 v22, v25, v23, -v26
	v_fmac_f32_e32 v22, v25, v21
	s_delay_alu instid0(VALU_DEP_1) | instskip(NEXT) | instid1(VALU_DEP_1)
	v_add_f32_e32 v27, v26, v22
	v_sub_f32_e32 v28, v24, v27
	s_delay_alu instid0(VALU_DEP_1) | instskip(SKIP_1) | instid1(VALU_DEP_2)
	v_sub_f32_e32 v24, v24, v28
	v_dual_add_f32 v17, v17, v20 :: v_dual_sub_f32 v20, v27, v26
	v_sub_f32_e32 v24, v24, v27
	s_delay_alu instid0(VALU_DEP_1) | instskip(NEXT) | instid1(VALU_DEP_1)
	v_dual_sub_f32 v20, v20, v22 :: v_dual_add_f32 v17, v17, v24
	v_add_f32_e32 v17, v20, v17
	s_delay_alu instid0(VALU_DEP_1) | instskip(NEXT) | instid1(VALU_DEP_1)
	v_add_f32_e32 v20, v28, v17
	v_mul_f32_e32 v22, v19, v20
	s_delay_alu instid0(VALU_DEP_1) | instskip(NEXT) | instid1(VALU_DEP_1)
	v_dual_sub_f32 v27, v28, v20 :: v_dual_mul_f32 v24, v23, v22
	v_add_f32_e32 v17, v17, v27
	s_delay_alu instid0(VALU_DEP_2) | instskip(NEXT) | instid1(VALU_DEP_1)
	v_fma_f32 v23, v22, v23, -v24
	v_fmac_f32_e32 v23, v22, v21
	s_delay_alu instid0(VALU_DEP_1) | instskip(NEXT) | instid1(VALU_DEP_1)
	v_add_f32_e32 v21, v24, v23
	v_sub_f32_e32 v26, v20, v21
	s_delay_alu instid0(VALU_DEP_1) | instskip(NEXT) | instid1(VALU_DEP_1)
	v_sub_f32_e32 v20, v20, v26
	v_sub_f32_e32 v20, v20, v21
	s_delay_alu instid0(VALU_DEP_1) | instskip(SKIP_2) | instid1(VALU_DEP_1)
	v_add_f32_e32 v17, v17, v20
	v_add_f32_e32 v20, v25, v22
	v_sub_f32_e32 v24, v21, v24
	v_sub_f32_e32 v21, v24, v23
	s_delay_alu instid0(VALU_DEP_1) | instskip(NEXT) | instid1(VALU_DEP_4)
	v_add_f32_e32 v17, v21, v17
	v_sub_f32_e32 v21, v20, v25
	s_delay_alu instid0(VALU_DEP_2) | instskip(NEXT) | instid1(VALU_DEP_2)
	v_add_f32_e32 v17, v26, v17
	v_sub_f32_e32 v21, v22, v21
	s_delay_alu instid0(VALU_DEP_2) | instskip(NEXT) | instid1(VALU_DEP_1)
	v_mul_f32_e32 v17, v19, v17
	v_add_f32_e32 v17, v21, v17
	s_delay_alu instid0(VALU_DEP_1) | instskip(NEXT) | instid1(VALU_DEP_1)
	v_add_f32_e32 v19, v20, v17
	v_mul_f32_e32 v21, v19, v19
	s_delay_alu instid0(VALU_DEP_1) | instskip(SKIP_1) | instid1(VALU_DEP_2)
	v_fmaak_f32 v22, s54, v21, 0x3ecc95a3
	v_mul_f32_e32 v23, v19, v21
	v_fmaak_f32 v21, v21, v22, 0x3f2aaada
	v_ldexp_f32 v22, v19, 1
	s_delay_alu instid0(VALU_DEP_2) | instskip(SKIP_1) | instid1(VALU_DEP_2)
	v_mul_f32_e32 v21, v23, v21
	v_sub_f32_e32 v19, v19, v20
	v_dual_mul_f32 v23, 0x3f317218, v16 :: v_dual_add_f32 v20, v22, v21
	s_delay_alu instid0(VALU_DEP_2) | instskip(NEXT) | instid1(VALU_DEP_2)
	v_sub_f32_e32 v17, v17, v19
	v_sub_f32_e32 v19, v20, v22
	s_delay_alu instid0(VALU_DEP_3) | instskip(NEXT) | instid1(VALU_DEP_3)
	v_fma_f32 v22, 0x3f317218, v16, -v23
	v_ldexp_f32 v17, v17, 1
	s_delay_alu instid0(VALU_DEP_2) | instskip(NEXT) | instid1(VALU_DEP_1)
	v_dual_sub_f32 v19, v21, v19 :: v_dual_fmac_f32 v22, 0xb102e308, v16
	v_dual_add_f32 v16, v17, v19 :: v_dual_add_f32 v17, v23, v22
	s_delay_alu instid0(VALU_DEP_1) | instskip(NEXT) | instid1(VALU_DEP_1)
	v_add_f32_e32 v19, v20, v16
	v_dual_add_f32 v21, v17, v19 :: v_dual_sub_f32 v20, v19, v20
	s_delay_alu instid0(VALU_DEP_1) | instskip(NEXT) | instid1(VALU_DEP_2)
	v_sub_f32_e32 v24, v21, v17
	v_dual_sub_f32 v23, v17, v23 :: v_dual_sub_f32 v16, v16, v20
	s_delay_alu instid0(VALU_DEP_1) | instskip(SKIP_1) | instid1(VALU_DEP_2)
	v_dual_sub_f32 v25, v21, v24 :: v_dual_sub_f32 v22, v22, v23
	v_sub_f32_e32 v19, v19, v24
	v_dual_sub_f32 v17, v17, v25 :: v_dual_add_f32 v20, v22, v16
	s_delay_alu instid0(VALU_DEP_1) | instskip(NEXT) | instid1(VALU_DEP_2)
	v_add_f32_e32 v17, v19, v17
	v_sub_f32_e32 v19, v20, v22
	s_delay_alu instid0(VALU_DEP_2) | instskip(NEXT) | instid1(VALU_DEP_2)
	v_add_f32_e32 v17, v20, v17
	v_sub_f32_e32 v20, v20, v19
	s_delay_alu instid0(VALU_DEP_2) | instskip(NEXT) | instid1(VALU_DEP_1)
	v_dual_sub_f32 v16, v16, v19 :: v_dual_add_f32 v23, v21, v17
	v_dual_sub_f32 v20, v22, v20 :: v_dual_sub_f32 v19, v23, v21
	s_delay_alu instid0(VALU_DEP_1) | instskip(NEXT) | instid1(VALU_DEP_1)
	v_dual_add_f32 v16, v16, v20 :: v_dual_sub_f32 v17, v17, v19
	v_add_f32_e32 v16, v16, v17
	s_delay_alu instid0(VALU_DEP_1) | instskip(NEXT) | instid1(VALU_DEP_1)
	v_add_f32_e32 v16, v23, v16
	v_cndmask_b32_e32 v64, v16, v18, vcc_lo
.LBB51_24:                              ;   in Loop: Header=BB51_12 Depth=1
	s_or_b32 exec_lo, exec_lo, s15
	v_lshlrev_b32_e32 v16, 16, v5
	s_delay_alu instid0(VALU_DEP_1) | instskip(NEXT) | instid1(VALU_DEP_1)
	v_add_f32_e32 v65, s56, v16
	v_cmp_ge_f32_e32 vcc_lo, 0x41a00000, v65
	s_and_b32 s14, s66, vcc_lo
	s_delay_alu instid0(SALU_CYCLE_1)
	s_and_saveexec_b32 s15, s14
	s_cbranch_execz .LBB51_26
; %bb.25:                               ;   in Loop: Header=BB51_12 Depth=1
	v_mul_f32_e32 v16, 0x3fb8aa3b, v65
	v_cmp_ngt_f32_e32 vcc_lo, 0xc2ce8ed0, v65
	s_delay_alu instid0(VALU_DEP_2) | instskip(SKIP_1) | instid1(VALU_DEP_2)
	v_rndne_f32_e32 v17, v16
	v_fma_f32 v18, 0x3fb8aa3b, v65, -v16
	v_sub_f32_e32 v16, v16, v17
	s_delay_alu instid0(VALU_DEP_2) | instskip(SKIP_1) | instid1(VALU_DEP_2)
	v_fmac_f32_e32 v18, 0x32a5705f, v65
	v_cvt_i32_f32_e32 v17, v17
	v_add_f32_e32 v16, v16, v18
	s_delay_alu instid0(VALU_DEP_1) | instskip(SKIP_2) | instid1(VALU_DEP_1)
	v_exp_f32_e32 v16, v16
	s_waitcnt_depctr 0xfff
	v_ldexp_f32 v16, v16, v17
	v_cndmask_b32_e32 v16, 0, v16, vcc_lo
	v_cmp_nlt_f32_e32 vcc_lo, 0x42b17218, v65
	s_delay_alu instid0(VALU_DEP_2) | instskip(NEXT) | instid1(VALU_DEP_1)
	v_cndmask_b32_e32 v18, 0x7f800000, v16, vcc_lo
	v_add_f32_e32 v19, 1.0, v18
	s_delay_alu instid0(VALU_DEP_1) | instskip(NEXT) | instid1(VALU_DEP_1)
	v_cvt_f64_f32_e32 v[16:17], v19
	v_frexp_exp_i32_f64_e32 v16, v[16:17]
	v_frexp_mant_f32_e32 v17, v19
	s_delay_alu instid0(VALU_DEP_1) | instskip(SKIP_1) | instid1(VALU_DEP_1)
	v_cmp_gt_f32_e32 vcc_lo, 0x3f2aaaab, v17
	v_add_f32_e32 v17, -1.0, v19
	v_sub_f32_e32 v21, v17, v19
	v_sub_f32_e32 v17, v18, v17
	s_delay_alu instid0(VALU_DEP_2) | instskip(NEXT) | instid1(VALU_DEP_1)
	v_add_f32_e32 v21, 1.0, v21
	v_add_f32_e32 v17, v17, v21
	v_cmp_gt_f32_e64 s14, 0x33800000, v18
	v_subrev_co_ci_u32_e32 v16, vcc_lo, 0, v16, vcc_lo
	v_cmp_eq_f32_e32 vcc_lo, 0x7f800000, v18
	s_delay_alu instid0(VALU_DEP_2) | instskip(SKIP_2) | instid1(VALU_DEP_2)
	v_sub_nc_u32_e32 v20, 0, v16
	v_cvt_f32_i32_e32 v16, v16
	s_or_b32 vcc_lo, s14, vcc_lo
	v_ldexp_f32 v19, v19, v20
	v_ldexp_f32 v17, v17, v20
	s_delay_alu instid0(VALU_DEP_2) | instskip(NEXT) | instid1(VALU_DEP_1)
	v_add_f32_e32 v22, 1.0, v19
	v_dual_add_f32 v20, -1.0, v19 :: v_dual_add_f32 v21, -1.0, v22
	s_delay_alu instid0(VALU_DEP_1) | instskip(NEXT) | instid1(VALU_DEP_2)
	v_add_f32_e32 v23, 1.0, v20
	v_sub_f32_e32 v21, v19, v21
	s_delay_alu instid0(VALU_DEP_2) | instskip(NEXT) | instid1(VALU_DEP_2)
	v_sub_f32_e32 v19, v19, v23
	v_add_f32_e32 v21, v17, v21
	s_delay_alu instid0(VALU_DEP_2) | instskip(NEXT) | instid1(VALU_DEP_1)
	v_add_f32_e32 v17, v17, v19
	v_add_f32_e32 v24, v20, v17
	s_delay_alu instid0(VALU_DEP_1) | instskip(NEXT) | instid1(VALU_DEP_1)
	v_dual_add_f32 v23, v22, v21 :: v_dual_sub_f32 v20, v20, v24
	v_rcp_f32_e32 v19, v23
	v_sub_f32_e32 v22, v22, v23
	s_delay_alu instid0(VALU_DEP_1) | instskip(SKIP_2) | instid1(VALU_DEP_1)
	v_add_f32_e32 v21, v21, v22
	s_waitcnt_depctr 0xfff
	v_mul_f32_e32 v25, v24, v19
	v_mul_f32_e32 v26, v23, v25
	s_delay_alu instid0(VALU_DEP_1) | instskip(NEXT) | instid1(VALU_DEP_1)
	v_fma_f32 v22, v25, v23, -v26
	v_fmac_f32_e32 v22, v25, v21
	s_delay_alu instid0(VALU_DEP_1) | instskip(NEXT) | instid1(VALU_DEP_1)
	v_add_f32_e32 v27, v26, v22
	v_sub_f32_e32 v28, v24, v27
	s_delay_alu instid0(VALU_DEP_1) | instskip(SKIP_1) | instid1(VALU_DEP_2)
	v_sub_f32_e32 v24, v24, v28
	v_dual_add_f32 v17, v17, v20 :: v_dual_sub_f32 v20, v27, v26
	v_sub_f32_e32 v24, v24, v27
	s_delay_alu instid0(VALU_DEP_1) | instskip(NEXT) | instid1(VALU_DEP_1)
	v_dual_sub_f32 v20, v20, v22 :: v_dual_add_f32 v17, v17, v24
	v_add_f32_e32 v17, v20, v17
	s_delay_alu instid0(VALU_DEP_1) | instskip(NEXT) | instid1(VALU_DEP_1)
	v_add_f32_e32 v20, v28, v17
	v_mul_f32_e32 v22, v19, v20
	s_delay_alu instid0(VALU_DEP_1) | instskip(NEXT) | instid1(VALU_DEP_1)
	v_dual_sub_f32 v27, v28, v20 :: v_dual_mul_f32 v24, v23, v22
	v_add_f32_e32 v17, v17, v27
	s_delay_alu instid0(VALU_DEP_2) | instskip(NEXT) | instid1(VALU_DEP_1)
	v_fma_f32 v23, v22, v23, -v24
	v_fmac_f32_e32 v23, v22, v21
	s_delay_alu instid0(VALU_DEP_1) | instskip(NEXT) | instid1(VALU_DEP_1)
	v_add_f32_e32 v21, v24, v23
	v_sub_f32_e32 v26, v20, v21
	s_delay_alu instid0(VALU_DEP_1) | instskip(NEXT) | instid1(VALU_DEP_1)
	v_sub_f32_e32 v20, v20, v26
	v_sub_f32_e32 v20, v20, v21
	s_delay_alu instid0(VALU_DEP_1) | instskip(SKIP_2) | instid1(VALU_DEP_1)
	v_add_f32_e32 v17, v17, v20
	v_add_f32_e32 v20, v25, v22
	v_sub_f32_e32 v24, v21, v24
	v_sub_f32_e32 v21, v24, v23
	s_delay_alu instid0(VALU_DEP_1) | instskip(NEXT) | instid1(VALU_DEP_4)
	v_add_f32_e32 v17, v21, v17
	v_sub_f32_e32 v21, v20, v25
	s_delay_alu instid0(VALU_DEP_2) | instskip(NEXT) | instid1(VALU_DEP_2)
	v_add_f32_e32 v17, v26, v17
	v_sub_f32_e32 v21, v22, v21
	s_delay_alu instid0(VALU_DEP_2) | instskip(NEXT) | instid1(VALU_DEP_1)
	v_mul_f32_e32 v17, v19, v17
	v_add_f32_e32 v17, v21, v17
	s_delay_alu instid0(VALU_DEP_1) | instskip(NEXT) | instid1(VALU_DEP_1)
	v_add_f32_e32 v19, v20, v17
	v_mul_f32_e32 v21, v19, v19
	s_delay_alu instid0(VALU_DEP_1) | instskip(SKIP_1) | instid1(VALU_DEP_2)
	v_fmaak_f32 v22, s54, v21, 0x3ecc95a3
	v_mul_f32_e32 v23, v19, v21
	v_fmaak_f32 v21, v21, v22, 0x3f2aaada
	v_ldexp_f32 v22, v19, 1
	s_delay_alu instid0(VALU_DEP_2) | instskip(SKIP_1) | instid1(VALU_DEP_2)
	v_mul_f32_e32 v21, v23, v21
	v_sub_f32_e32 v19, v19, v20
	v_dual_mul_f32 v23, 0x3f317218, v16 :: v_dual_add_f32 v20, v22, v21
	s_delay_alu instid0(VALU_DEP_2) | instskip(NEXT) | instid1(VALU_DEP_2)
	v_sub_f32_e32 v17, v17, v19
	v_sub_f32_e32 v19, v20, v22
	s_delay_alu instid0(VALU_DEP_3) | instskip(NEXT) | instid1(VALU_DEP_3)
	v_fma_f32 v22, 0x3f317218, v16, -v23
	v_ldexp_f32 v17, v17, 1
	s_delay_alu instid0(VALU_DEP_2) | instskip(NEXT) | instid1(VALU_DEP_1)
	v_dual_sub_f32 v19, v21, v19 :: v_dual_fmac_f32 v22, 0xb102e308, v16
	v_dual_add_f32 v16, v17, v19 :: v_dual_add_f32 v17, v23, v22
	s_delay_alu instid0(VALU_DEP_1) | instskip(NEXT) | instid1(VALU_DEP_1)
	v_add_f32_e32 v19, v20, v16
	v_dual_add_f32 v21, v17, v19 :: v_dual_sub_f32 v20, v19, v20
	s_delay_alu instid0(VALU_DEP_1) | instskip(NEXT) | instid1(VALU_DEP_2)
	v_sub_f32_e32 v24, v21, v17
	v_dual_sub_f32 v23, v17, v23 :: v_dual_sub_f32 v16, v16, v20
	s_delay_alu instid0(VALU_DEP_1) | instskip(SKIP_1) | instid1(VALU_DEP_2)
	v_dual_sub_f32 v25, v21, v24 :: v_dual_sub_f32 v22, v22, v23
	v_sub_f32_e32 v19, v19, v24
	v_dual_sub_f32 v17, v17, v25 :: v_dual_add_f32 v20, v22, v16
	s_delay_alu instid0(VALU_DEP_1) | instskip(NEXT) | instid1(VALU_DEP_2)
	v_add_f32_e32 v17, v19, v17
	v_sub_f32_e32 v19, v20, v22
	s_delay_alu instid0(VALU_DEP_2) | instskip(NEXT) | instid1(VALU_DEP_2)
	v_add_f32_e32 v17, v20, v17
	v_sub_f32_e32 v20, v20, v19
	s_delay_alu instid0(VALU_DEP_2) | instskip(NEXT) | instid1(VALU_DEP_1)
	v_dual_sub_f32 v16, v16, v19 :: v_dual_add_f32 v23, v21, v17
	v_dual_sub_f32 v20, v22, v20 :: v_dual_sub_f32 v19, v23, v21
	s_delay_alu instid0(VALU_DEP_1) | instskip(NEXT) | instid1(VALU_DEP_1)
	v_dual_add_f32 v16, v16, v20 :: v_dual_sub_f32 v17, v17, v19
	v_add_f32_e32 v16, v16, v17
	s_delay_alu instid0(VALU_DEP_1) | instskip(NEXT) | instid1(VALU_DEP_1)
	v_add_f32_e32 v16, v23, v16
	v_cndmask_b32_e32 v65, v16, v18, vcc_lo
.LBB51_26:                              ;   in Loop: Header=BB51_12 Depth=1
	s_or_b32 exec_lo, exec_lo, s15
	v_and_b32_e32 v16, 0xffff0000, v5
	s_delay_alu instid0(VALU_DEP_1) | instskip(NEXT) | instid1(VALU_DEP_1)
	v_add_f32_e32 v66, s56, v16
	v_cmp_ge_f32_e32 vcc_lo, 0x41a00000, v66
	s_and_b32 s14, s66, vcc_lo
	s_delay_alu instid0(SALU_CYCLE_1)
	s_and_saveexec_b32 s15, s14
	s_cbranch_execz .LBB51_28
; %bb.27:                               ;   in Loop: Header=BB51_12 Depth=1
	v_mul_f32_e32 v16, 0x3fb8aa3b, v66
	v_cmp_ngt_f32_e32 vcc_lo, 0xc2ce8ed0, v66
	s_delay_alu instid0(VALU_DEP_2) | instskip(SKIP_1) | instid1(VALU_DEP_2)
	v_rndne_f32_e32 v17, v16
	v_fma_f32 v18, 0x3fb8aa3b, v66, -v16
	v_sub_f32_e32 v16, v16, v17
	s_delay_alu instid0(VALU_DEP_2) | instskip(SKIP_1) | instid1(VALU_DEP_2)
	v_fmac_f32_e32 v18, 0x32a5705f, v66
	v_cvt_i32_f32_e32 v17, v17
	v_add_f32_e32 v16, v16, v18
	s_delay_alu instid0(VALU_DEP_1) | instskip(SKIP_2) | instid1(VALU_DEP_1)
	v_exp_f32_e32 v16, v16
	s_waitcnt_depctr 0xfff
	v_ldexp_f32 v16, v16, v17
	v_cndmask_b32_e32 v16, 0, v16, vcc_lo
	v_cmp_nlt_f32_e32 vcc_lo, 0x42b17218, v66
	s_delay_alu instid0(VALU_DEP_2) | instskip(NEXT) | instid1(VALU_DEP_1)
	v_cndmask_b32_e32 v18, 0x7f800000, v16, vcc_lo
	v_add_f32_e32 v19, 1.0, v18
	s_delay_alu instid0(VALU_DEP_1) | instskip(NEXT) | instid1(VALU_DEP_1)
	v_cvt_f64_f32_e32 v[16:17], v19
	v_frexp_exp_i32_f64_e32 v16, v[16:17]
	v_frexp_mant_f32_e32 v17, v19
	s_delay_alu instid0(VALU_DEP_1) | instskip(SKIP_1) | instid1(VALU_DEP_1)
	v_cmp_gt_f32_e32 vcc_lo, 0x3f2aaaab, v17
	v_add_f32_e32 v17, -1.0, v19
	v_sub_f32_e32 v21, v17, v19
	v_sub_f32_e32 v17, v18, v17
	s_delay_alu instid0(VALU_DEP_2) | instskip(NEXT) | instid1(VALU_DEP_1)
	v_add_f32_e32 v21, 1.0, v21
	v_add_f32_e32 v17, v17, v21
	v_cmp_gt_f32_e64 s14, 0x33800000, v18
	v_subrev_co_ci_u32_e32 v16, vcc_lo, 0, v16, vcc_lo
	v_cmp_eq_f32_e32 vcc_lo, 0x7f800000, v18
	s_delay_alu instid0(VALU_DEP_2) | instskip(SKIP_2) | instid1(VALU_DEP_2)
	v_sub_nc_u32_e32 v20, 0, v16
	v_cvt_f32_i32_e32 v16, v16
	s_or_b32 vcc_lo, s14, vcc_lo
	v_ldexp_f32 v19, v19, v20
	v_ldexp_f32 v17, v17, v20
	s_delay_alu instid0(VALU_DEP_2) | instskip(NEXT) | instid1(VALU_DEP_1)
	v_add_f32_e32 v22, 1.0, v19
	v_dual_add_f32 v20, -1.0, v19 :: v_dual_add_f32 v21, -1.0, v22
	s_delay_alu instid0(VALU_DEP_1) | instskip(NEXT) | instid1(VALU_DEP_2)
	v_add_f32_e32 v23, 1.0, v20
	v_sub_f32_e32 v21, v19, v21
	s_delay_alu instid0(VALU_DEP_2) | instskip(NEXT) | instid1(VALU_DEP_2)
	v_sub_f32_e32 v19, v19, v23
	v_add_f32_e32 v21, v17, v21
	s_delay_alu instid0(VALU_DEP_2) | instskip(NEXT) | instid1(VALU_DEP_1)
	v_add_f32_e32 v17, v17, v19
	v_add_f32_e32 v24, v20, v17
	s_delay_alu instid0(VALU_DEP_1) | instskip(NEXT) | instid1(VALU_DEP_1)
	v_dual_add_f32 v23, v22, v21 :: v_dual_sub_f32 v20, v20, v24
	v_rcp_f32_e32 v19, v23
	v_sub_f32_e32 v22, v22, v23
	s_delay_alu instid0(VALU_DEP_1) | instskip(SKIP_2) | instid1(VALU_DEP_1)
	v_add_f32_e32 v21, v21, v22
	s_waitcnt_depctr 0xfff
	v_mul_f32_e32 v25, v24, v19
	v_mul_f32_e32 v26, v23, v25
	s_delay_alu instid0(VALU_DEP_1) | instskip(NEXT) | instid1(VALU_DEP_1)
	v_fma_f32 v22, v25, v23, -v26
	v_fmac_f32_e32 v22, v25, v21
	s_delay_alu instid0(VALU_DEP_1) | instskip(NEXT) | instid1(VALU_DEP_1)
	v_add_f32_e32 v27, v26, v22
	v_sub_f32_e32 v28, v24, v27
	s_delay_alu instid0(VALU_DEP_1) | instskip(SKIP_1) | instid1(VALU_DEP_2)
	v_sub_f32_e32 v24, v24, v28
	v_dual_add_f32 v17, v17, v20 :: v_dual_sub_f32 v20, v27, v26
	v_sub_f32_e32 v24, v24, v27
	s_delay_alu instid0(VALU_DEP_1) | instskip(NEXT) | instid1(VALU_DEP_1)
	v_dual_sub_f32 v20, v20, v22 :: v_dual_add_f32 v17, v17, v24
	v_add_f32_e32 v17, v20, v17
	s_delay_alu instid0(VALU_DEP_1) | instskip(NEXT) | instid1(VALU_DEP_1)
	v_add_f32_e32 v20, v28, v17
	v_mul_f32_e32 v22, v19, v20
	s_delay_alu instid0(VALU_DEP_1) | instskip(NEXT) | instid1(VALU_DEP_1)
	v_dual_sub_f32 v27, v28, v20 :: v_dual_mul_f32 v24, v23, v22
	v_add_f32_e32 v17, v17, v27
	s_delay_alu instid0(VALU_DEP_2) | instskip(NEXT) | instid1(VALU_DEP_1)
	v_fma_f32 v23, v22, v23, -v24
	v_fmac_f32_e32 v23, v22, v21
	s_delay_alu instid0(VALU_DEP_1) | instskip(NEXT) | instid1(VALU_DEP_1)
	v_add_f32_e32 v21, v24, v23
	v_sub_f32_e32 v26, v20, v21
	s_delay_alu instid0(VALU_DEP_1) | instskip(NEXT) | instid1(VALU_DEP_1)
	v_sub_f32_e32 v20, v20, v26
	v_sub_f32_e32 v20, v20, v21
	s_delay_alu instid0(VALU_DEP_1) | instskip(SKIP_2) | instid1(VALU_DEP_1)
	v_add_f32_e32 v17, v17, v20
	v_add_f32_e32 v20, v25, v22
	v_sub_f32_e32 v24, v21, v24
	v_sub_f32_e32 v21, v24, v23
	s_delay_alu instid0(VALU_DEP_1) | instskip(NEXT) | instid1(VALU_DEP_4)
	v_add_f32_e32 v17, v21, v17
	v_sub_f32_e32 v21, v20, v25
	s_delay_alu instid0(VALU_DEP_2) | instskip(NEXT) | instid1(VALU_DEP_2)
	v_add_f32_e32 v17, v26, v17
	v_sub_f32_e32 v21, v22, v21
	s_delay_alu instid0(VALU_DEP_2) | instskip(NEXT) | instid1(VALU_DEP_1)
	v_mul_f32_e32 v17, v19, v17
	v_add_f32_e32 v17, v21, v17
	s_delay_alu instid0(VALU_DEP_1) | instskip(NEXT) | instid1(VALU_DEP_1)
	v_add_f32_e32 v19, v20, v17
	v_mul_f32_e32 v21, v19, v19
	s_delay_alu instid0(VALU_DEP_1) | instskip(SKIP_1) | instid1(VALU_DEP_2)
	v_fmaak_f32 v22, s54, v21, 0x3ecc95a3
	v_mul_f32_e32 v23, v19, v21
	v_fmaak_f32 v21, v21, v22, 0x3f2aaada
	v_ldexp_f32 v22, v19, 1
	s_delay_alu instid0(VALU_DEP_2) | instskip(SKIP_1) | instid1(VALU_DEP_2)
	v_mul_f32_e32 v21, v23, v21
	v_sub_f32_e32 v19, v19, v20
	v_dual_mul_f32 v23, 0x3f317218, v16 :: v_dual_add_f32 v20, v22, v21
	s_delay_alu instid0(VALU_DEP_2) | instskip(NEXT) | instid1(VALU_DEP_2)
	v_sub_f32_e32 v17, v17, v19
	v_sub_f32_e32 v19, v20, v22
	s_delay_alu instid0(VALU_DEP_3) | instskip(NEXT) | instid1(VALU_DEP_3)
	v_fma_f32 v22, 0x3f317218, v16, -v23
	v_ldexp_f32 v17, v17, 1
	s_delay_alu instid0(VALU_DEP_2) | instskip(NEXT) | instid1(VALU_DEP_1)
	v_dual_sub_f32 v19, v21, v19 :: v_dual_fmac_f32 v22, 0xb102e308, v16
	v_dual_add_f32 v16, v17, v19 :: v_dual_add_f32 v17, v23, v22
	s_delay_alu instid0(VALU_DEP_1) | instskip(NEXT) | instid1(VALU_DEP_1)
	v_add_f32_e32 v19, v20, v16
	v_dual_add_f32 v21, v17, v19 :: v_dual_sub_f32 v20, v19, v20
	s_delay_alu instid0(VALU_DEP_1) | instskip(NEXT) | instid1(VALU_DEP_2)
	v_sub_f32_e32 v24, v21, v17
	v_dual_sub_f32 v23, v17, v23 :: v_dual_sub_f32 v16, v16, v20
	s_delay_alu instid0(VALU_DEP_1) | instskip(SKIP_1) | instid1(VALU_DEP_2)
	v_dual_sub_f32 v25, v21, v24 :: v_dual_sub_f32 v22, v22, v23
	v_sub_f32_e32 v19, v19, v24
	v_dual_sub_f32 v17, v17, v25 :: v_dual_add_f32 v20, v22, v16
	s_delay_alu instid0(VALU_DEP_1) | instskip(NEXT) | instid1(VALU_DEP_2)
	v_add_f32_e32 v17, v19, v17
	v_sub_f32_e32 v19, v20, v22
	s_delay_alu instid0(VALU_DEP_2) | instskip(NEXT) | instid1(VALU_DEP_2)
	v_add_f32_e32 v17, v20, v17
	v_sub_f32_e32 v20, v20, v19
	s_delay_alu instid0(VALU_DEP_2) | instskip(NEXT) | instid1(VALU_DEP_1)
	v_dual_sub_f32 v16, v16, v19 :: v_dual_add_f32 v23, v21, v17
	v_dual_sub_f32 v20, v22, v20 :: v_dual_sub_f32 v19, v23, v21
	s_delay_alu instid0(VALU_DEP_1) | instskip(NEXT) | instid1(VALU_DEP_1)
	v_dual_add_f32 v16, v16, v20 :: v_dual_sub_f32 v17, v17, v19
	v_add_f32_e32 v16, v16, v17
	s_delay_alu instid0(VALU_DEP_1) | instskip(NEXT) | instid1(VALU_DEP_1)
	v_add_f32_e32 v16, v23, v16
	v_cndmask_b32_e32 v66, v16, v18, vcc_lo
.LBB51_28:                              ;   in Loop: Header=BB51_12 Depth=1
	s_or_b32 exec_lo, exec_lo, s15
	v_lshlrev_b32_e32 v16, 16, v6
	s_delay_alu instid0(VALU_DEP_1) | instskip(NEXT) | instid1(VALU_DEP_1)
	v_add_f32_e32 v67, s56, v16
	v_cmp_ge_f32_e32 vcc_lo, 0x41a00000, v67
	s_and_b32 s14, s66, vcc_lo
	s_delay_alu instid0(SALU_CYCLE_1)
	s_and_saveexec_b32 s15, s14
	s_cbranch_execz .LBB51_30
; %bb.29:                               ;   in Loop: Header=BB51_12 Depth=1
	v_mul_f32_e32 v16, 0x3fb8aa3b, v67
	v_cmp_ngt_f32_e32 vcc_lo, 0xc2ce8ed0, v67
	s_delay_alu instid0(VALU_DEP_2) | instskip(SKIP_1) | instid1(VALU_DEP_2)
	v_rndne_f32_e32 v17, v16
	v_fma_f32 v18, 0x3fb8aa3b, v67, -v16
	v_sub_f32_e32 v16, v16, v17
	s_delay_alu instid0(VALU_DEP_2) | instskip(SKIP_1) | instid1(VALU_DEP_2)
	v_fmac_f32_e32 v18, 0x32a5705f, v67
	v_cvt_i32_f32_e32 v17, v17
	v_add_f32_e32 v16, v16, v18
	s_delay_alu instid0(VALU_DEP_1) | instskip(SKIP_2) | instid1(VALU_DEP_1)
	v_exp_f32_e32 v16, v16
	s_waitcnt_depctr 0xfff
	v_ldexp_f32 v16, v16, v17
	v_cndmask_b32_e32 v16, 0, v16, vcc_lo
	v_cmp_nlt_f32_e32 vcc_lo, 0x42b17218, v67
	s_delay_alu instid0(VALU_DEP_2) | instskip(NEXT) | instid1(VALU_DEP_1)
	v_cndmask_b32_e32 v18, 0x7f800000, v16, vcc_lo
	v_add_f32_e32 v19, 1.0, v18
	s_delay_alu instid0(VALU_DEP_1) | instskip(NEXT) | instid1(VALU_DEP_1)
	v_cvt_f64_f32_e32 v[16:17], v19
	v_frexp_exp_i32_f64_e32 v16, v[16:17]
	v_frexp_mant_f32_e32 v17, v19
	s_delay_alu instid0(VALU_DEP_1) | instskip(SKIP_1) | instid1(VALU_DEP_1)
	v_cmp_gt_f32_e32 vcc_lo, 0x3f2aaaab, v17
	v_add_f32_e32 v17, -1.0, v19
	v_sub_f32_e32 v21, v17, v19
	v_sub_f32_e32 v17, v18, v17
	s_delay_alu instid0(VALU_DEP_2) | instskip(NEXT) | instid1(VALU_DEP_1)
	v_add_f32_e32 v21, 1.0, v21
	v_add_f32_e32 v17, v17, v21
	v_cmp_gt_f32_e64 s14, 0x33800000, v18
	v_subrev_co_ci_u32_e32 v16, vcc_lo, 0, v16, vcc_lo
	v_cmp_eq_f32_e32 vcc_lo, 0x7f800000, v18
	s_delay_alu instid0(VALU_DEP_2) | instskip(SKIP_2) | instid1(VALU_DEP_2)
	v_sub_nc_u32_e32 v20, 0, v16
	v_cvt_f32_i32_e32 v16, v16
	s_or_b32 vcc_lo, s14, vcc_lo
	v_ldexp_f32 v19, v19, v20
	v_ldexp_f32 v17, v17, v20
	s_delay_alu instid0(VALU_DEP_2) | instskip(NEXT) | instid1(VALU_DEP_1)
	v_add_f32_e32 v22, 1.0, v19
	v_dual_add_f32 v20, -1.0, v19 :: v_dual_add_f32 v21, -1.0, v22
	s_delay_alu instid0(VALU_DEP_1) | instskip(NEXT) | instid1(VALU_DEP_2)
	v_add_f32_e32 v23, 1.0, v20
	v_sub_f32_e32 v21, v19, v21
	s_delay_alu instid0(VALU_DEP_2) | instskip(NEXT) | instid1(VALU_DEP_2)
	v_sub_f32_e32 v19, v19, v23
	v_add_f32_e32 v21, v17, v21
	s_delay_alu instid0(VALU_DEP_2) | instskip(NEXT) | instid1(VALU_DEP_1)
	v_add_f32_e32 v17, v17, v19
	v_add_f32_e32 v24, v20, v17
	s_delay_alu instid0(VALU_DEP_1) | instskip(NEXT) | instid1(VALU_DEP_1)
	v_dual_add_f32 v23, v22, v21 :: v_dual_sub_f32 v20, v20, v24
	v_rcp_f32_e32 v19, v23
	v_sub_f32_e32 v22, v22, v23
	s_delay_alu instid0(VALU_DEP_1) | instskip(SKIP_2) | instid1(VALU_DEP_1)
	v_add_f32_e32 v21, v21, v22
	s_waitcnt_depctr 0xfff
	v_mul_f32_e32 v25, v24, v19
	v_mul_f32_e32 v26, v23, v25
	s_delay_alu instid0(VALU_DEP_1) | instskip(NEXT) | instid1(VALU_DEP_1)
	v_fma_f32 v22, v25, v23, -v26
	v_fmac_f32_e32 v22, v25, v21
	s_delay_alu instid0(VALU_DEP_1) | instskip(NEXT) | instid1(VALU_DEP_1)
	v_add_f32_e32 v27, v26, v22
	v_sub_f32_e32 v28, v24, v27
	s_delay_alu instid0(VALU_DEP_1) | instskip(SKIP_1) | instid1(VALU_DEP_2)
	v_sub_f32_e32 v24, v24, v28
	v_dual_add_f32 v17, v17, v20 :: v_dual_sub_f32 v20, v27, v26
	v_sub_f32_e32 v24, v24, v27
	s_delay_alu instid0(VALU_DEP_1) | instskip(NEXT) | instid1(VALU_DEP_1)
	v_dual_sub_f32 v20, v20, v22 :: v_dual_add_f32 v17, v17, v24
	v_add_f32_e32 v17, v20, v17
	s_delay_alu instid0(VALU_DEP_1) | instskip(NEXT) | instid1(VALU_DEP_1)
	v_add_f32_e32 v20, v28, v17
	v_mul_f32_e32 v22, v19, v20
	s_delay_alu instid0(VALU_DEP_1) | instskip(NEXT) | instid1(VALU_DEP_1)
	v_dual_sub_f32 v27, v28, v20 :: v_dual_mul_f32 v24, v23, v22
	v_add_f32_e32 v17, v17, v27
	s_delay_alu instid0(VALU_DEP_2) | instskip(NEXT) | instid1(VALU_DEP_1)
	v_fma_f32 v23, v22, v23, -v24
	v_fmac_f32_e32 v23, v22, v21
	s_delay_alu instid0(VALU_DEP_1) | instskip(NEXT) | instid1(VALU_DEP_1)
	v_add_f32_e32 v21, v24, v23
	v_sub_f32_e32 v26, v20, v21
	s_delay_alu instid0(VALU_DEP_1) | instskip(NEXT) | instid1(VALU_DEP_1)
	v_sub_f32_e32 v20, v20, v26
	v_sub_f32_e32 v20, v20, v21
	s_delay_alu instid0(VALU_DEP_1) | instskip(SKIP_2) | instid1(VALU_DEP_1)
	v_add_f32_e32 v17, v17, v20
	v_add_f32_e32 v20, v25, v22
	v_sub_f32_e32 v24, v21, v24
	v_sub_f32_e32 v21, v24, v23
	s_delay_alu instid0(VALU_DEP_1) | instskip(NEXT) | instid1(VALU_DEP_4)
	v_add_f32_e32 v17, v21, v17
	v_sub_f32_e32 v21, v20, v25
	s_delay_alu instid0(VALU_DEP_2) | instskip(NEXT) | instid1(VALU_DEP_2)
	v_add_f32_e32 v17, v26, v17
	v_sub_f32_e32 v21, v22, v21
	s_delay_alu instid0(VALU_DEP_2) | instskip(NEXT) | instid1(VALU_DEP_1)
	v_mul_f32_e32 v17, v19, v17
	v_add_f32_e32 v17, v21, v17
	s_delay_alu instid0(VALU_DEP_1) | instskip(NEXT) | instid1(VALU_DEP_1)
	v_add_f32_e32 v19, v20, v17
	v_mul_f32_e32 v21, v19, v19
	s_delay_alu instid0(VALU_DEP_1) | instskip(SKIP_1) | instid1(VALU_DEP_2)
	v_fmaak_f32 v22, s54, v21, 0x3ecc95a3
	v_mul_f32_e32 v23, v19, v21
	v_fmaak_f32 v21, v21, v22, 0x3f2aaada
	v_ldexp_f32 v22, v19, 1
	s_delay_alu instid0(VALU_DEP_2) | instskip(SKIP_1) | instid1(VALU_DEP_2)
	v_mul_f32_e32 v21, v23, v21
	v_sub_f32_e32 v19, v19, v20
	v_dual_mul_f32 v23, 0x3f317218, v16 :: v_dual_add_f32 v20, v22, v21
	s_delay_alu instid0(VALU_DEP_2) | instskip(NEXT) | instid1(VALU_DEP_2)
	v_sub_f32_e32 v17, v17, v19
	v_sub_f32_e32 v19, v20, v22
	s_delay_alu instid0(VALU_DEP_3) | instskip(NEXT) | instid1(VALU_DEP_3)
	v_fma_f32 v22, 0x3f317218, v16, -v23
	v_ldexp_f32 v17, v17, 1
	s_delay_alu instid0(VALU_DEP_2) | instskip(NEXT) | instid1(VALU_DEP_1)
	v_dual_sub_f32 v19, v21, v19 :: v_dual_fmac_f32 v22, 0xb102e308, v16
	v_dual_add_f32 v16, v17, v19 :: v_dual_add_f32 v17, v23, v22
	s_delay_alu instid0(VALU_DEP_1) | instskip(NEXT) | instid1(VALU_DEP_1)
	v_add_f32_e32 v19, v20, v16
	v_dual_add_f32 v21, v17, v19 :: v_dual_sub_f32 v20, v19, v20
	s_delay_alu instid0(VALU_DEP_1) | instskip(NEXT) | instid1(VALU_DEP_2)
	v_sub_f32_e32 v24, v21, v17
	v_dual_sub_f32 v23, v17, v23 :: v_dual_sub_f32 v16, v16, v20
	s_delay_alu instid0(VALU_DEP_1) | instskip(SKIP_1) | instid1(VALU_DEP_2)
	v_dual_sub_f32 v25, v21, v24 :: v_dual_sub_f32 v22, v22, v23
	v_sub_f32_e32 v19, v19, v24
	v_dual_sub_f32 v17, v17, v25 :: v_dual_add_f32 v20, v22, v16
	s_delay_alu instid0(VALU_DEP_1) | instskip(NEXT) | instid1(VALU_DEP_2)
	v_add_f32_e32 v17, v19, v17
	v_sub_f32_e32 v19, v20, v22
	s_delay_alu instid0(VALU_DEP_2) | instskip(NEXT) | instid1(VALU_DEP_2)
	v_add_f32_e32 v17, v20, v17
	v_sub_f32_e32 v20, v20, v19
	s_delay_alu instid0(VALU_DEP_2) | instskip(NEXT) | instid1(VALU_DEP_1)
	v_dual_sub_f32 v16, v16, v19 :: v_dual_add_f32 v23, v21, v17
	v_dual_sub_f32 v20, v22, v20 :: v_dual_sub_f32 v19, v23, v21
	s_delay_alu instid0(VALU_DEP_1) | instskip(NEXT) | instid1(VALU_DEP_1)
	v_dual_add_f32 v16, v16, v20 :: v_dual_sub_f32 v17, v17, v19
	v_add_f32_e32 v16, v16, v17
	s_delay_alu instid0(VALU_DEP_1) | instskip(NEXT) | instid1(VALU_DEP_1)
	v_add_f32_e32 v16, v23, v16
	v_cndmask_b32_e32 v67, v16, v18, vcc_lo
.LBB51_30:                              ;   in Loop: Header=BB51_12 Depth=1
	s_or_b32 exec_lo, exec_lo, s15
	v_and_b32_e32 v16, 0xffff0000, v6
	s_delay_alu instid0(VALU_DEP_1) | instskip(NEXT) | instid1(VALU_DEP_1)
	v_add_f32_e32 v68, s56, v16
	v_cmp_ge_f32_e32 vcc_lo, 0x41a00000, v68
	s_and_b32 s14, s66, vcc_lo
	s_delay_alu instid0(SALU_CYCLE_1)
	s_and_saveexec_b32 s15, s14
	s_cbranch_execz .LBB51_32
; %bb.31:                               ;   in Loop: Header=BB51_12 Depth=1
	v_mul_f32_e32 v16, 0x3fb8aa3b, v68
	v_cmp_ngt_f32_e32 vcc_lo, 0xc2ce8ed0, v68
	s_delay_alu instid0(VALU_DEP_2) | instskip(SKIP_1) | instid1(VALU_DEP_2)
	v_rndne_f32_e32 v17, v16
	v_fma_f32 v18, 0x3fb8aa3b, v68, -v16
	v_sub_f32_e32 v16, v16, v17
	s_delay_alu instid0(VALU_DEP_2) | instskip(SKIP_1) | instid1(VALU_DEP_2)
	v_fmac_f32_e32 v18, 0x32a5705f, v68
	v_cvt_i32_f32_e32 v17, v17
	v_add_f32_e32 v16, v16, v18
	s_delay_alu instid0(VALU_DEP_1) | instskip(SKIP_2) | instid1(VALU_DEP_1)
	v_exp_f32_e32 v16, v16
	s_waitcnt_depctr 0xfff
	v_ldexp_f32 v16, v16, v17
	v_cndmask_b32_e32 v16, 0, v16, vcc_lo
	v_cmp_nlt_f32_e32 vcc_lo, 0x42b17218, v68
	s_delay_alu instid0(VALU_DEP_2) | instskip(NEXT) | instid1(VALU_DEP_1)
	v_cndmask_b32_e32 v18, 0x7f800000, v16, vcc_lo
	v_add_f32_e32 v19, 1.0, v18
	s_delay_alu instid0(VALU_DEP_1) | instskip(NEXT) | instid1(VALU_DEP_1)
	v_cvt_f64_f32_e32 v[16:17], v19
	v_frexp_exp_i32_f64_e32 v16, v[16:17]
	v_frexp_mant_f32_e32 v17, v19
	s_delay_alu instid0(VALU_DEP_1) | instskip(SKIP_1) | instid1(VALU_DEP_1)
	v_cmp_gt_f32_e32 vcc_lo, 0x3f2aaaab, v17
	v_add_f32_e32 v17, -1.0, v19
	v_sub_f32_e32 v21, v17, v19
	v_sub_f32_e32 v17, v18, v17
	s_delay_alu instid0(VALU_DEP_2) | instskip(NEXT) | instid1(VALU_DEP_1)
	v_add_f32_e32 v21, 1.0, v21
	v_add_f32_e32 v17, v17, v21
	v_cmp_gt_f32_e64 s14, 0x33800000, v18
	v_subrev_co_ci_u32_e32 v16, vcc_lo, 0, v16, vcc_lo
	v_cmp_eq_f32_e32 vcc_lo, 0x7f800000, v18
	s_delay_alu instid0(VALU_DEP_2) | instskip(SKIP_2) | instid1(VALU_DEP_2)
	v_sub_nc_u32_e32 v20, 0, v16
	v_cvt_f32_i32_e32 v16, v16
	s_or_b32 vcc_lo, s14, vcc_lo
	v_ldexp_f32 v19, v19, v20
	v_ldexp_f32 v17, v17, v20
	s_delay_alu instid0(VALU_DEP_2) | instskip(NEXT) | instid1(VALU_DEP_1)
	v_add_f32_e32 v22, 1.0, v19
	v_dual_add_f32 v20, -1.0, v19 :: v_dual_add_f32 v21, -1.0, v22
	s_delay_alu instid0(VALU_DEP_1) | instskip(NEXT) | instid1(VALU_DEP_2)
	v_add_f32_e32 v23, 1.0, v20
	v_sub_f32_e32 v21, v19, v21
	s_delay_alu instid0(VALU_DEP_2) | instskip(NEXT) | instid1(VALU_DEP_2)
	v_sub_f32_e32 v19, v19, v23
	v_add_f32_e32 v21, v17, v21
	s_delay_alu instid0(VALU_DEP_2) | instskip(NEXT) | instid1(VALU_DEP_1)
	v_add_f32_e32 v17, v17, v19
	v_add_f32_e32 v24, v20, v17
	s_delay_alu instid0(VALU_DEP_1) | instskip(NEXT) | instid1(VALU_DEP_1)
	v_dual_add_f32 v23, v22, v21 :: v_dual_sub_f32 v20, v20, v24
	v_rcp_f32_e32 v19, v23
	v_sub_f32_e32 v22, v22, v23
	s_delay_alu instid0(VALU_DEP_1) | instskip(SKIP_2) | instid1(VALU_DEP_1)
	v_add_f32_e32 v21, v21, v22
	s_waitcnt_depctr 0xfff
	v_mul_f32_e32 v25, v24, v19
	v_mul_f32_e32 v26, v23, v25
	s_delay_alu instid0(VALU_DEP_1) | instskip(NEXT) | instid1(VALU_DEP_1)
	v_fma_f32 v22, v25, v23, -v26
	v_fmac_f32_e32 v22, v25, v21
	s_delay_alu instid0(VALU_DEP_1) | instskip(NEXT) | instid1(VALU_DEP_1)
	v_add_f32_e32 v27, v26, v22
	v_sub_f32_e32 v28, v24, v27
	s_delay_alu instid0(VALU_DEP_1) | instskip(SKIP_1) | instid1(VALU_DEP_2)
	v_sub_f32_e32 v24, v24, v28
	v_dual_add_f32 v17, v17, v20 :: v_dual_sub_f32 v20, v27, v26
	v_sub_f32_e32 v24, v24, v27
	s_delay_alu instid0(VALU_DEP_1) | instskip(NEXT) | instid1(VALU_DEP_1)
	v_dual_sub_f32 v20, v20, v22 :: v_dual_add_f32 v17, v17, v24
	v_add_f32_e32 v17, v20, v17
	s_delay_alu instid0(VALU_DEP_1) | instskip(NEXT) | instid1(VALU_DEP_1)
	v_add_f32_e32 v20, v28, v17
	v_mul_f32_e32 v22, v19, v20
	s_delay_alu instid0(VALU_DEP_1) | instskip(NEXT) | instid1(VALU_DEP_1)
	v_dual_sub_f32 v27, v28, v20 :: v_dual_mul_f32 v24, v23, v22
	v_add_f32_e32 v17, v17, v27
	s_delay_alu instid0(VALU_DEP_2) | instskip(NEXT) | instid1(VALU_DEP_1)
	v_fma_f32 v23, v22, v23, -v24
	v_fmac_f32_e32 v23, v22, v21
	s_delay_alu instid0(VALU_DEP_1) | instskip(NEXT) | instid1(VALU_DEP_1)
	v_add_f32_e32 v21, v24, v23
	v_sub_f32_e32 v26, v20, v21
	s_delay_alu instid0(VALU_DEP_1) | instskip(NEXT) | instid1(VALU_DEP_1)
	v_sub_f32_e32 v20, v20, v26
	v_sub_f32_e32 v20, v20, v21
	s_delay_alu instid0(VALU_DEP_1) | instskip(SKIP_2) | instid1(VALU_DEP_1)
	v_add_f32_e32 v17, v17, v20
	v_add_f32_e32 v20, v25, v22
	v_sub_f32_e32 v24, v21, v24
	v_sub_f32_e32 v21, v24, v23
	s_delay_alu instid0(VALU_DEP_1) | instskip(NEXT) | instid1(VALU_DEP_4)
	v_add_f32_e32 v17, v21, v17
	v_sub_f32_e32 v21, v20, v25
	s_delay_alu instid0(VALU_DEP_2) | instskip(NEXT) | instid1(VALU_DEP_2)
	v_add_f32_e32 v17, v26, v17
	v_sub_f32_e32 v21, v22, v21
	s_delay_alu instid0(VALU_DEP_2) | instskip(NEXT) | instid1(VALU_DEP_1)
	v_mul_f32_e32 v17, v19, v17
	v_add_f32_e32 v17, v21, v17
	s_delay_alu instid0(VALU_DEP_1) | instskip(NEXT) | instid1(VALU_DEP_1)
	v_add_f32_e32 v19, v20, v17
	v_mul_f32_e32 v21, v19, v19
	s_delay_alu instid0(VALU_DEP_1) | instskip(SKIP_1) | instid1(VALU_DEP_2)
	v_fmaak_f32 v22, s54, v21, 0x3ecc95a3
	v_mul_f32_e32 v23, v19, v21
	v_fmaak_f32 v21, v21, v22, 0x3f2aaada
	v_ldexp_f32 v22, v19, 1
	s_delay_alu instid0(VALU_DEP_2) | instskip(SKIP_1) | instid1(VALU_DEP_2)
	v_mul_f32_e32 v21, v23, v21
	v_sub_f32_e32 v19, v19, v20
	v_dual_mul_f32 v23, 0x3f317218, v16 :: v_dual_add_f32 v20, v22, v21
	s_delay_alu instid0(VALU_DEP_2) | instskip(NEXT) | instid1(VALU_DEP_2)
	v_sub_f32_e32 v17, v17, v19
	v_sub_f32_e32 v19, v20, v22
	s_delay_alu instid0(VALU_DEP_3) | instskip(NEXT) | instid1(VALU_DEP_3)
	v_fma_f32 v22, 0x3f317218, v16, -v23
	v_ldexp_f32 v17, v17, 1
	s_delay_alu instid0(VALU_DEP_2) | instskip(NEXT) | instid1(VALU_DEP_1)
	v_dual_sub_f32 v19, v21, v19 :: v_dual_fmac_f32 v22, 0xb102e308, v16
	v_dual_add_f32 v16, v17, v19 :: v_dual_add_f32 v17, v23, v22
	s_delay_alu instid0(VALU_DEP_1) | instskip(NEXT) | instid1(VALU_DEP_1)
	v_add_f32_e32 v19, v20, v16
	v_dual_add_f32 v21, v17, v19 :: v_dual_sub_f32 v20, v19, v20
	s_delay_alu instid0(VALU_DEP_1) | instskip(NEXT) | instid1(VALU_DEP_2)
	v_sub_f32_e32 v24, v21, v17
	v_dual_sub_f32 v23, v17, v23 :: v_dual_sub_f32 v16, v16, v20
	s_delay_alu instid0(VALU_DEP_1) | instskip(SKIP_1) | instid1(VALU_DEP_2)
	v_dual_sub_f32 v25, v21, v24 :: v_dual_sub_f32 v22, v22, v23
	v_sub_f32_e32 v19, v19, v24
	v_dual_sub_f32 v17, v17, v25 :: v_dual_add_f32 v20, v22, v16
	s_delay_alu instid0(VALU_DEP_1) | instskip(NEXT) | instid1(VALU_DEP_2)
	v_add_f32_e32 v17, v19, v17
	v_sub_f32_e32 v19, v20, v22
	s_delay_alu instid0(VALU_DEP_2) | instskip(NEXT) | instid1(VALU_DEP_2)
	v_add_f32_e32 v17, v20, v17
	v_sub_f32_e32 v20, v20, v19
	s_delay_alu instid0(VALU_DEP_2) | instskip(NEXT) | instid1(VALU_DEP_1)
	v_dual_sub_f32 v16, v16, v19 :: v_dual_add_f32 v23, v21, v17
	v_dual_sub_f32 v20, v22, v20 :: v_dual_sub_f32 v19, v23, v21
	s_delay_alu instid0(VALU_DEP_1) | instskip(NEXT) | instid1(VALU_DEP_1)
	v_dual_add_f32 v16, v16, v20 :: v_dual_sub_f32 v17, v17, v19
	v_add_f32_e32 v16, v16, v17
	s_delay_alu instid0(VALU_DEP_1) | instskip(NEXT) | instid1(VALU_DEP_1)
	v_add_f32_e32 v16, v23, v16
	v_cndmask_b32_e32 v68, v16, v18, vcc_lo
.LBB51_32:                              ;   in Loop: Header=BB51_12 Depth=1
	s_or_b32 exec_lo, exec_lo, s15
	v_lshlrev_b32_e32 v16, 16, v7
	s_delay_alu instid0(VALU_DEP_1) | instskip(NEXT) | instid1(VALU_DEP_1)
	v_add_f32_e32 v69, s56, v16
	v_cmp_ge_f32_e32 vcc_lo, 0x41a00000, v69
	s_and_b32 s14, s66, vcc_lo
	s_delay_alu instid0(SALU_CYCLE_1)
	s_and_saveexec_b32 s15, s14
	s_cbranch_execz .LBB51_34
; %bb.33:                               ;   in Loop: Header=BB51_12 Depth=1
	v_mul_f32_e32 v16, 0x3fb8aa3b, v69
	v_cmp_ngt_f32_e32 vcc_lo, 0xc2ce8ed0, v69
	s_delay_alu instid0(VALU_DEP_2) | instskip(SKIP_1) | instid1(VALU_DEP_2)
	v_rndne_f32_e32 v17, v16
	v_fma_f32 v18, 0x3fb8aa3b, v69, -v16
	v_sub_f32_e32 v16, v16, v17
	s_delay_alu instid0(VALU_DEP_2) | instskip(SKIP_1) | instid1(VALU_DEP_2)
	v_fmac_f32_e32 v18, 0x32a5705f, v69
	v_cvt_i32_f32_e32 v17, v17
	v_add_f32_e32 v16, v16, v18
	s_delay_alu instid0(VALU_DEP_1) | instskip(SKIP_2) | instid1(VALU_DEP_1)
	v_exp_f32_e32 v16, v16
	s_waitcnt_depctr 0xfff
	v_ldexp_f32 v16, v16, v17
	v_cndmask_b32_e32 v16, 0, v16, vcc_lo
	v_cmp_nlt_f32_e32 vcc_lo, 0x42b17218, v69
	s_delay_alu instid0(VALU_DEP_2) | instskip(NEXT) | instid1(VALU_DEP_1)
	v_cndmask_b32_e32 v18, 0x7f800000, v16, vcc_lo
	v_add_f32_e32 v19, 1.0, v18
	s_delay_alu instid0(VALU_DEP_1) | instskip(NEXT) | instid1(VALU_DEP_1)
	v_cvt_f64_f32_e32 v[16:17], v19
	v_frexp_exp_i32_f64_e32 v16, v[16:17]
	v_frexp_mant_f32_e32 v17, v19
	s_delay_alu instid0(VALU_DEP_1) | instskip(SKIP_1) | instid1(VALU_DEP_1)
	v_cmp_gt_f32_e32 vcc_lo, 0x3f2aaaab, v17
	v_add_f32_e32 v17, -1.0, v19
	v_sub_f32_e32 v21, v17, v19
	v_sub_f32_e32 v17, v18, v17
	s_delay_alu instid0(VALU_DEP_2) | instskip(NEXT) | instid1(VALU_DEP_1)
	v_add_f32_e32 v21, 1.0, v21
	v_add_f32_e32 v17, v17, v21
	v_cmp_gt_f32_e64 s14, 0x33800000, v18
	v_subrev_co_ci_u32_e32 v16, vcc_lo, 0, v16, vcc_lo
	v_cmp_eq_f32_e32 vcc_lo, 0x7f800000, v18
	s_delay_alu instid0(VALU_DEP_2) | instskip(SKIP_2) | instid1(VALU_DEP_2)
	v_sub_nc_u32_e32 v20, 0, v16
	v_cvt_f32_i32_e32 v16, v16
	s_or_b32 vcc_lo, s14, vcc_lo
	v_ldexp_f32 v19, v19, v20
	v_ldexp_f32 v17, v17, v20
	s_delay_alu instid0(VALU_DEP_2) | instskip(NEXT) | instid1(VALU_DEP_1)
	v_add_f32_e32 v22, 1.0, v19
	v_dual_add_f32 v20, -1.0, v19 :: v_dual_add_f32 v21, -1.0, v22
	s_delay_alu instid0(VALU_DEP_1) | instskip(NEXT) | instid1(VALU_DEP_2)
	v_add_f32_e32 v23, 1.0, v20
	v_sub_f32_e32 v21, v19, v21
	s_delay_alu instid0(VALU_DEP_2) | instskip(NEXT) | instid1(VALU_DEP_2)
	v_sub_f32_e32 v19, v19, v23
	v_add_f32_e32 v21, v17, v21
	s_delay_alu instid0(VALU_DEP_2) | instskip(NEXT) | instid1(VALU_DEP_1)
	v_add_f32_e32 v17, v17, v19
	v_add_f32_e32 v24, v20, v17
	s_delay_alu instid0(VALU_DEP_1) | instskip(NEXT) | instid1(VALU_DEP_1)
	v_dual_add_f32 v23, v22, v21 :: v_dual_sub_f32 v20, v20, v24
	v_rcp_f32_e32 v19, v23
	v_sub_f32_e32 v22, v22, v23
	s_delay_alu instid0(VALU_DEP_1) | instskip(SKIP_2) | instid1(VALU_DEP_1)
	v_add_f32_e32 v21, v21, v22
	s_waitcnt_depctr 0xfff
	v_mul_f32_e32 v25, v24, v19
	v_mul_f32_e32 v26, v23, v25
	s_delay_alu instid0(VALU_DEP_1) | instskip(NEXT) | instid1(VALU_DEP_1)
	v_fma_f32 v22, v25, v23, -v26
	v_fmac_f32_e32 v22, v25, v21
	s_delay_alu instid0(VALU_DEP_1) | instskip(NEXT) | instid1(VALU_DEP_1)
	v_add_f32_e32 v27, v26, v22
	v_sub_f32_e32 v28, v24, v27
	s_delay_alu instid0(VALU_DEP_1) | instskip(SKIP_1) | instid1(VALU_DEP_2)
	v_sub_f32_e32 v24, v24, v28
	v_dual_add_f32 v17, v17, v20 :: v_dual_sub_f32 v20, v27, v26
	v_sub_f32_e32 v24, v24, v27
	s_delay_alu instid0(VALU_DEP_1) | instskip(NEXT) | instid1(VALU_DEP_1)
	v_dual_sub_f32 v20, v20, v22 :: v_dual_add_f32 v17, v17, v24
	v_add_f32_e32 v17, v20, v17
	s_delay_alu instid0(VALU_DEP_1) | instskip(NEXT) | instid1(VALU_DEP_1)
	v_add_f32_e32 v20, v28, v17
	v_mul_f32_e32 v22, v19, v20
	s_delay_alu instid0(VALU_DEP_1) | instskip(NEXT) | instid1(VALU_DEP_1)
	v_dual_sub_f32 v27, v28, v20 :: v_dual_mul_f32 v24, v23, v22
	v_add_f32_e32 v17, v17, v27
	s_delay_alu instid0(VALU_DEP_2) | instskip(NEXT) | instid1(VALU_DEP_1)
	v_fma_f32 v23, v22, v23, -v24
	v_fmac_f32_e32 v23, v22, v21
	s_delay_alu instid0(VALU_DEP_1) | instskip(NEXT) | instid1(VALU_DEP_1)
	v_add_f32_e32 v21, v24, v23
	v_sub_f32_e32 v26, v20, v21
	s_delay_alu instid0(VALU_DEP_1) | instskip(NEXT) | instid1(VALU_DEP_1)
	v_sub_f32_e32 v20, v20, v26
	v_sub_f32_e32 v20, v20, v21
	s_delay_alu instid0(VALU_DEP_1) | instskip(SKIP_2) | instid1(VALU_DEP_1)
	v_add_f32_e32 v17, v17, v20
	v_add_f32_e32 v20, v25, v22
	v_sub_f32_e32 v24, v21, v24
	v_sub_f32_e32 v21, v24, v23
	s_delay_alu instid0(VALU_DEP_1) | instskip(NEXT) | instid1(VALU_DEP_4)
	v_add_f32_e32 v17, v21, v17
	v_sub_f32_e32 v21, v20, v25
	s_delay_alu instid0(VALU_DEP_2) | instskip(NEXT) | instid1(VALU_DEP_2)
	v_add_f32_e32 v17, v26, v17
	v_sub_f32_e32 v21, v22, v21
	s_delay_alu instid0(VALU_DEP_2) | instskip(NEXT) | instid1(VALU_DEP_1)
	v_mul_f32_e32 v17, v19, v17
	v_add_f32_e32 v17, v21, v17
	s_delay_alu instid0(VALU_DEP_1) | instskip(NEXT) | instid1(VALU_DEP_1)
	v_add_f32_e32 v19, v20, v17
	v_mul_f32_e32 v21, v19, v19
	s_delay_alu instid0(VALU_DEP_1) | instskip(SKIP_1) | instid1(VALU_DEP_2)
	v_fmaak_f32 v22, s54, v21, 0x3ecc95a3
	v_mul_f32_e32 v23, v19, v21
	v_fmaak_f32 v21, v21, v22, 0x3f2aaada
	v_ldexp_f32 v22, v19, 1
	s_delay_alu instid0(VALU_DEP_2) | instskip(SKIP_1) | instid1(VALU_DEP_2)
	v_mul_f32_e32 v21, v23, v21
	v_sub_f32_e32 v19, v19, v20
	v_dual_mul_f32 v23, 0x3f317218, v16 :: v_dual_add_f32 v20, v22, v21
	s_delay_alu instid0(VALU_DEP_2) | instskip(NEXT) | instid1(VALU_DEP_2)
	v_sub_f32_e32 v17, v17, v19
	v_sub_f32_e32 v19, v20, v22
	s_delay_alu instid0(VALU_DEP_3) | instskip(NEXT) | instid1(VALU_DEP_3)
	v_fma_f32 v22, 0x3f317218, v16, -v23
	v_ldexp_f32 v17, v17, 1
	s_delay_alu instid0(VALU_DEP_2) | instskip(NEXT) | instid1(VALU_DEP_1)
	v_dual_sub_f32 v19, v21, v19 :: v_dual_fmac_f32 v22, 0xb102e308, v16
	v_dual_add_f32 v16, v17, v19 :: v_dual_add_f32 v17, v23, v22
	s_delay_alu instid0(VALU_DEP_1) | instskip(NEXT) | instid1(VALU_DEP_1)
	v_add_f32_e32 v19, v20, v16
	v_dual_add_f32 v21, v17, v19 :: v_dual_sub_f32 v20, v19, v20
	s_delay_alu instid0(VALU_DEP_1) | instskip(NEXT) | instid1(VALU_DEP_2)
	v_sub_f32_e32 v24, v21, v17
	v_dual_sub_f32 v23, v17, v23 :: v_dual_sub_f32 v16, v16, v20
	s_delay_alu instid0(VALU_DEP_1) | instskip(SKIP_1) | instid1(VALU_DEP_2)
	v_dual_sub_f32 v25, v21, v24 :: v_dual_sub_f32 v22, v22, v23
	v_sub_f32_e32 v19, v19, v24
	v_dual_sub_f32 v17, v17, v25 :: v_dual_add_f32 v20, v22, v16
	s_delay_alu instid0(VALU_DEP_1) | instskip(NEXT) | instid1(VALU_DEP_2)
	v_add_f32_e32 v17, v19, v17
	v_sub_f32_e32 v19, v20, v22
	s_delay_alu instid0(VALU_DEP_2) | instskip(NEXT) | instid1(VALU_DEP_2)
	v_add_f32_e32 v17, v20, v17
	v_sub_f32_e32 v20, v20, v19
	s_delay_alu instid0(VALU_DEP_2) | instskip(NEXT) | instid1(VALU_DEP_1)
	v_dual_sub_f32 v16, v16, v19 :: v_dual_add_f32 v23, v21, v17
	v_dual_sub_f32 v20, v22, v20 :: v_dual_sub_f32 v19, v23, v21
	s_delay_alu instid0(VALU_DEP_1) | instskip(NEXT) | instid1(VALU_DEP_1)
	v_dual_add_f32 v16, v16, v20 :: v_dual_sub_f32 v17, v17, v19
	v_add_f32_e32 v16, v16, v17
	s_delay_alu instid0(VALU_DEP_1) | instskip(NEXT) | instid1(VALU_DEP_1)
	v_add_f32_e32 v16, v23, v16
	v_cndmask_b32_e32 v69, v16, v18, vcc_lo
.LBB51_34:                              ;   in Loop: Header=BB51_12 Depth=1
	s_or_b32 exec_lo, exec_lo, s15
	v_and_b32_e32 v16, 0xffff0000, v7
	s_delay_alu instid0(VALU_DEP_1) | instskip(NEXT) | instid1(VALU_DEP_1)
	v_add_f32_e32 v70, s56, v16
	v_cmp_ge_f32_e32 vcc_lo, 0x41a00000, v70
	s_and_b32 s14, s66, vcc_lo
	s_delay_alu instid0(SALU_CYCLE_1)
	s_and_saveexec_b32 s15, s14
	s_cbranch_execz .LBB51_36
; %bb.35:                               ;   in Loop: Header=BB51_12 Depth=1
	v_mul_f32_e32 v16, 0x3fb8aa3b, v70
	v_cmp_ngt_f32_e32 vcc_lo, 0xc2ce8ed0, v70
	s_delay_alu instid0(VALU_DEP_2) | instskip(SKIP_1) | instid1(VALU_DEP_2)
	v_rndne_f32_e32 v17, v16
	v_fma_f32 v18, 0x3fb8aa3b, v70, -v16
	v_sub_f32_e32 v16, v16, v17
	s_delay_alu instid0(VALU_DEP_2) | instskip(SKIP_1) | instid1(VALU_DEP_2)
	v_fmac_f32_e32 v18, 0x32a5705f, v70
	v_cvt_i32_f32_e32 v17, v17
	v_add_f32_e32 v16, v16, v18
	s_delay_alu instid0(VALU_DEP_1) | instskip(SKIP_2) | instid1(VALU_DEP_1)
	v_exp_f32_e32 v16, v16
	s_waitcnt_depctr 0xfff
	v_ldexp_f32 v16, v16, v17
	v_cndmask_b32_e32 v16, 0, v16, vcc_lo
	v_cmp_nlt_f32_e32 vcc_lo, 0x42b17218, v70
	s_delay_alu instid0(VALU_DEP_2) | instskip(NEXT) | instid1(VALU_DEP_1)
	v_cndmask_b32_e32 v18, 0x7f800000, v16, vcc_lo
	v_add_f32_e32 v19, 1.0, v18
	s_delay_alu instid0(VALU_DEP_1) | instskip(NEXT) | instid1(VALU_DEP_1)
	v_cvt_f64_f32_e32 v[16:17], v19
	v_frexp_exp_i32_f64_e32 v16, v[16:17]
	v_frexp_mant_f32_e32 v17, v19
	s_delay_alu instid0(VALU_DEP_1) | instskip(SKIP_1) | instid1(VALU_DEP_1)
	v_cmp_gt_f32_e32 vcc_lo, 0x3f2aaaab, v17
	v_add_f32_e32 v17, -1.0, v19
	v_sub_f32_e32 v21, v17, v19
	v_sub_f32_e32 v17, v18, v17
	s_delay_alu instid0(VALU_DEP_2) | instskip(NEXT) | instid1(VALU_DEP_1)
	v_add_f32_e32 v21, 1.0, v21
	v_add_f32_e32 v17, v17, v21
	v_cmp_gt_f32_e64 s14, 0x33800000, v18
	v_subrev_co_ci_u32_e32 v16, vcc_lo, 0, v16, vcc_lo
	v_cmp_eq_f32_e32 vcc_lo, 0x7f800000, v18
	s_delay_alu instid0(VALU_DEP_2) | instskip(SKIP_2) | instid1(VALU_DEP_2)
	v_sub_nc_u32_e32 v20, 0, v16
	v_cvt_f32_i32_e32 v16, v16
	s_or_b32 vcc_lo, s14, vcc_lo
	v_ldexp_f32 v19, v19, v20
	v_ldexp_f32 v17, v17, v20
	s_delay_alu instid0(VALU_DEP_2) | instskip(NEXT) | instid1(VALU_DEP_1)
	v_add_f32_e32 v22, 1.0, v19
	v_dual_add_f32 v20, -1.0, v19 :: v_dual_add_f32 v21, -1.0, v22
	s_delay_alu instid0(VALU_DEP_1) | instskip(NEXT) | instid1(VALU_DEP_2)
	v_add_f32_e32 v23, 1.0, v20
	v_sub_f32_e32 v21, v19, v21
	s_delay_alu instid0(VALU_DEP_2) | instskip(NEXT) | instid1(VALU_DEP_2)
	v_sub_f32_e32 v19, v19, v23
	v_add_f32_e32 v21, v17, v21
	s_delay_alu instid0(VALU_DEP_2) | instskip(NEXT) | instid1(VALU_DEP_1)
	v_add_f32_e32 v17, v17, v19
	v_add_f32_e32 v24, v20, v17
	s_delay_alu instid0(VALU_DEP_1) | instskip(NEXT) | instid1(VALU_DEP_1)
	v_dual_add_f32 v23, v22, v21 :: v_dual_sub_f32 v20, v20, v24
	v_rcp_f32_e32 v19, v23
	v_sub_f32_e32 v22, v22, v23
	s_delay_alu instid0(VALU_DEP_1) | instskip(SKIP_2) | instid1(VALU_DEP_1)
	v_add_f32_e32 v21, v21, v22
	s_waitcnt_depctr 0xfff
	v_mul_f32_e32 v25, v24, v19
	v_mul_f32_e32 v26, v23, v25
	s_delay_alu instid0(VALU_DEP_1) | instskip(NEXT) | instid1(VALU_DEP_1)
	v_fma_f32 v22, v25, v23, -v26
	v_fmac_f32_e32 v22, v25, v21
	s_delay_alu instid0(VALU_DEP_1) | instskip(NEXT) | instid1(VALU_DEP_1)
	v_add_f32_e32 v27, v26, v22
	v_sub_f32_e32 v28, v24, v27
	s_delay_alu instid0(VALU_DEP_1) | instskip(SKIP_1) | instid1(VALU_DEP_2)
	v_sub_f32_e32 v24, v24, v28
	v_dual_add_f32 v17, v17, v20 :: v_dual_sub_f32 v20, v27, v26
	v_sub_f32_e32 v24, v24, v27
	s_delay_alu instid0(VALU_DEP_1) | instskip(NEXT) | instid1(VALU_DEP_1)
	v_dual_sub_f32 v20, v20, v22 :: v_dual_add_f32 v17, v17, v24
	v_add_f32_e32 v17, v20, v17
	s_delay_alu instid0(VALU_DEP_1) | instskip(NEXT) | instid1(VALU_DEP_1)
	v_add_f32_e32 v20, v28, v17
	v_mul_f32_e32 v22, v19, v20
	s_delay_alu instid0(VALU_DEP_1) | instskip(NEXT) | instid1(VALU_DEP_1)
	v_dual_sub_f32 v27, v28, v20 :: v_dual_mul_f32 v24, v23, v22
	v_add_f32_e32 v17, v17, v27
	s_delay_alu instid0(VALU_DEP_2) | instskip(NEXT) | instid1(VALU_DEP_1)
	v_fma_f32 v23, v22, v23, -v24
	v_fmac_f32_e32 v23, v22, v21
	s_delay_alu instid0(VALU_DEP_1) | instskip(NEXT) | instid1(VALU_DEP_1)
	v_add_f32_e32 v21, v24, v23
	v_sub_f32_e32 v26, v20, v21
	s_delay_alu instid0(VALU_DEP_1) | instskip(NEXT) | instid1(VALU_DEP_1)
	v_sub_f32_e32 v20, v20, v26
	v_sub_f32_e32 v20, v20, v21
	s_delay_alu instid0(VALU_DEP_1) | instskip(SKIP_2) | instid1(VALU_DEP_1)
	v_add_f32_e32 v17, v17, v20
	v_add_f32_e32 v20, v25, v22
	v_sub_f32_e32 v24, v21, v24
	v_sub_f32_e32 v21, v24, v23
	s_delay_alu instid0(VALU_DEP_1) | instskip(NEXT) | instid1(VALU_DEP_4)
	v_add_f32_e32 v17, v21, v17
	v_sub_f32_e32 v21, v20, v25
	s_delay_alu instid0(VALU_DEP_2) | instskip(NEXT) | instid1(VALU_DEP_2)
	v_add_f32_e32 v17, v26, v17
	v_sub_f32_e32 v21, v22, v21
	s_delay_alu instid0(VALU_DEP_2) | instskip(NEXT) | instid1(VALU_DEP_1)
	v_mul_f32_e32 v17, v19, v17
	v_add_f32_e32 v17, v21, v17
	s_delay_alu instid0(VALU_DEP_1) | instskip(NEXT) | instid1(VALU_DEP_1)
	v_add_f32_e32 v19, v20, v17
	v_mul_f32_e32 v21, v19, v19
	s_delay_alu instid0(VALU_DEP_1) | instskip(SKIP_1) | instid1(VALU_DEP_2)
	v_fmaak_f32 v22, s54, v21, 0x3ecc95a3
	v_mul_f32_e32 v23, v19, v21
	v_fmaak_f32 v21, v21, v22, 0x3f2aaada
	v_ldexp_f32 v22, v19, 1
	s_delay_alu instid0(VALU_DEP_2) | instskip(SKIP_1) | instid1(VALU_DEP_2)
	v_mul_f32_e32 v21, v23, v21
	v_sub_f32_e32 v19, v19, v20
	v_dual_mul_f32 v23, 0x3f317218, v16 :: v_dual_add_f32 v20, v22, v21
	s_delay_alu instid0(VALU_DEP_2) | instskip(NEXT) | instid1(VALU_DEP_2)
	v_sub_f32_e32 v17, v17, v19
	v_sub_f32_e32 v19, v20, v22
	s_delay_alu instid0(VALU_DEP_3) | instskip(NEXT) | instid1(VALU_DEP_3)
	v_fma_f32 v22, 0x3f317218, v16, -v23
	v_ldexp_f32 v17, v17, 1
	s_delay_alu instid0(VALU_DEP_2) | instskip(NEXT) | instid1(VALU_DEP_1)
	v_dual_sub_f32 v19, v21, v19 :: v_dual_fmac_f32 v22, 0xb102e308, v16
	v_dual_add_f32 v16, v17, v19 :: v_dual_add_f32 v17, v23, v22
	s_delay_alu instid0(VALU_DEP_1) | instskip(NEXT) | instid1(VALU_DEP_1)
	v_add_f32_e32 v19, v20, v16
	v_dual_add_f32 v21, v17, v19 :: v_dual_sub_f32 v20, v19, v20
	s_delay_alu instid0(VALU_DEP_1) | instskip(NEXT) | instid1(VALU_DEP_2)
	v_sub_f32_e32 v24, v21, v17
	v_dual_sub_f32 v23, v17, v23 :: v_dual_sub_f32 v16, v16, v20
	s_delay_alu instid0(VALU_DEP_1) | instskip(SKIP_1) | instid1(VALU_DEP_2)
	v_dual_sub_f32 v25, v21, v24 :: v_dual_sub_f32 v22, v22, v23
	v_sub_f32_e32 v19, v19, v24
	v_dual_sub_f32 v17, v17, v25 :: v_dual_add_f32 v20, v22, v16
	s_delay_alu instid0(VALU_DEP_1) | instskip(NEXT) | instid1(VALU_DEP_2)
	v_add_f32_e32 v17, v19, v17
	v_sub_f32_e32 v19, v20, v22
	s_delay_alu instid0(VALU_DEP_2) | instskip(NEXT) | instid1(VALU_DEP_2)
	v_add_f32_e32 v17, v20, v17
	v_sub_f32_e32 v20, v20, v19
	s_delay_alu instid0(VALU_DEP_2) | instskip(NEXT) | instid1(VALU_DEP_1)
	v_dual_sub_f32 v16, v16, v19 :: v_dual_add_f32 v23, v21, v17
	v_dual_sub_f32 v20, v22, v20 :: v_dual_sub_f32 v19, v23, v21
	s_delay_alu instid0(VALU_DEP_1) | instskip(NEXT) | instid1(VALU_DEP_1)
	v_dual_add_f32 v16, v16, v20 :: v_dual_sub_f32 v17, v17, v19
	v_add_f32_e32 v16, v16, v17
	s_delay_alu instid0(VALU_DEP_1) | instskip(NEXT) | instid1(VALU_DEP_1)
	v_add_f32_e32 v16, v23, v16
	v_cndmask_b32_e32 v70, v16, v18, vcc_lo
.LBB51_36:                              ;   in Loop: Header=BB51_12 Depth=1
	s_or_b32 exec_lo, exec_lo, s15
	s_waitcnt lgkmcnt(0)
	v_lshlrev_b32_e32 v16, 16, v0
	s_delay_alu instid0(VALU_DEP_1) | instskip(NEXT) | instid1(VALU_DEP_1)
	v_add_f32_e32 v71, s56, v16
	v_cmp_ge_f32_e32 vcc_lo, 0x41a00000, v71
	s_and_b32 s14, s66, vcc_lo
	s_delay_alu instid0(SALU_CYCLE_1)
	s_and_saveexec_b32 s15, s14
	s_cbranch_execz .LBB51_38
; %bb.37:                               ;   in Loop: Header=BB51_12 Depth=1
	v_mul_f32_e32 v16, 0x3fb8aa3b, v71
	v_cmp_ngt_f32_e32 vcc_lo, 0xc2ce8ed0, v71
	s_delay_alu instid0(VALU_DEP_2) | instskip(SKIP_1) | instid1(VALU_DEP_2)
	v_rndne_f32_e32 v17, v16
	v_fma_f32 v18, 0x3fb8aa3b, v71, -v16
	v_sub_f32_e32 v16, v16, v17
	s_delay_alu instid0(VALU_DEP_2) | instskip(SKIP_1) | instid1(VALU_DEP_2)
	v_fmac_f32_e32 v18, 0x32a5705f, v71
	v_cvt_i32_f32_e32 v17, v17
	v_add_f32_e32 v16, v16, v18
	s_delay_alu instid0(VALU_DEP_1) | instskip(SKIP_2) | instid1(VALU_DEP_1)
	v_exp_f32_e32 v16, v16
	s_waitcnt_depctr 0xfff
	v_ldexp_f32 v16, v16, v17
	v_cndmask_b32_e32 v16, 0, v16, vcc_lo
	v_cmp_nlt_f32_e32 vcc_lo, 0x42b17218, v71
	s_delay_alu instid0(VALU_DEP_2) | instskip(NEXT) | instid1(VALU_DEP_1)
	v_cndmask_b32_e32 v18, 0x7f800000, v16, vcc_lo
	v_add_f32_e32 v19, 1.0, v18
	s_delay_alu instid0(VALU_DEP_1) | instskip(NEXT) | instid1(VALU_DEP_1)
	v_cvt_f64_f32_e32 v[16:17], v19
	v_frexp_exp_i32_f64_e32 v16, v[16:17]
	v_frexp_mant_f32_e32 v17, v19
	s_delay_alu instid0(VALU_DEP_1) | instskip(SKIP_1) | instid1(VALU_DEP_1)
	v_cmp_gt_f32_e32 vcc_lo, 0x3f2aaaab, v17
	v_add_f32_e32 v17, -1.0, v19
	v_sub_f32_e32 v21, v17, v19
	v_sub_f32_e32 v17, v18, v17
	s_delay_alu instid0(VALU_DEP_2) | instskip(NEXT) | instid1(VALU_DEP_1)
	v_add_f32_e32 v21, 1.0, v21
	v_add_f32_e32 v17, v17, v21
	v_cmp_gt_f32_e64 s14, 0x33800000, v18
	v_subrev_co_ci_u32_e32 v16, vcc_lo, 0, v16, vcc_lo
	v_cmp_eq_f32_e32 vcc_lo, 0x7f800000, v18
	s_delay_alu instid0(VALU_DEP_2) | instskip(SKIP_2) | instid1(VALU_DEP_2)
	v_sub_nc_u32_e32 v20, 0, v16
	v_cvt_f32_i32_e32 v16, v16
	s_or_b32 vcc_lo, s14, vcc_lo
	v_ldexp_f32 v19, v19, v20
	v_ldexp_f32 v17, v17, v20
	s_delay_alu instid0(VALU_DEP_2) | instskip(NEXT) | instid1(VALU_DEP_1)
	v_add_f32_e32 v22, 1.0, v19
	v_dual_add_f32 v20, -1.0, v19 :: v_dual_add_f32 v21, -1.0, v22
	s_delay_alu instid0(VALU_DEP_1) | instskip(NEXT) | instid1(VALU_DEP_2)
	v_add_f32_e32 v23, 1.0, v20
	v_sub_f32_e32 v21, v19, v21
	s_delay_alu instid0(VALU_DEP_2) | instskip(NEXT) | instid1(VALU_DEP_2)
	v_sub_f32_e32 v19, v19, v23
	v_add_f32_e32 v21, v17, v21
	s_delay_alu instid0(VALU_DEP_2) | instskip(NEXT) | instid1(VALU_DEP_1)
	v_add_f32_e32 v17, v17, v19
	v_add_f32_e32 v24, v20, v17
	s_delay_alu instid0(VALU_DEP_1) | instskip(NEXT) | instid1(VALU_DEP_1)
	v_dual_add_f32 v23, v22, v21 :: v_dual_sub_f32 v20, v20, v24
	v_rcp_f32_e32 v19, v23
	v_sub_f32_e32 v22, v22, v23
	s_delay_alu instid0(VALU_DEP_1) | instskip(SKIP_2) | instid1(VALU_DEP_1)
	v_add_f32_e32 v21, v21, v22
	s_waitcnt_depctr 0xfff
	v_mul_f32_e32 v25, v24, v19
	v_mul_f32_e32 v26, v23, v25
	s_delay_alu instid0(VALU_DEP_1) | instskip(NEXT) | instid1(VALU_DEP_1)
	v_fma_f32 v22, v25, v23, -v26
	v_fmac_f32_e32 v22, v25, v21
	s_delay_alu instid0(VALU_DEP_1) | instskip(NEXT) | instid1(VALU_DEP_1)
	v_add_f32_e32 v27, v26, v22
	v_sub_f32_e32 v28, v24, v27
	s_delay_alu instid0(VALU_DEP_1) | instskip(SKIP_1) | instid1(VALU_DEP_2)
	v_sub_f32_e32 v24, v24, v28
	v_dual_add_f32 v17, v17, v20 :: v_dual_sub_f32 v20, v27, v26
	v_sub_f32_e32 v24, v24, v27
	s_delay_alu instid0(VALU_DEP_1) | instskip(NEXT) | instid1(VALU_DEP_1)
	v_dual_sub_f32 v20, v20, v22 :: v_dual_add_f32 v17, v17, v24
	v_add_f32_e32 v17, v20, v17
	s_delay_alu instid0(VALU_DEP_1) | instskip(NEXT) | instid1(VALU_DEP_1)
	v_add_f32_e32 v20, v28, v17
	v_mul_f32_e32 v22, v19, v20
	s_delay_alu instid0(VALU_DEP_1) | instskip(NEXT) | instid1(VALU_DEP_1)
	v_dual_sub_f32 v27, v28, v20 :: v_dual_mul_f32 v24, v23, v22
	v_add_f32_e32 v17, v17, v27
	s_delay_alu instid0(VALU_DEP_2) | instskip(NEXT) | instid1(VALU_DEP_1)
	v_fma_f32 v23, v22, v23, -v24
	v_fmac_f32_e32 v23, v22, v21
	s_delay_alu instid0(VALU_DEP_1) | instskip(NEXT) | instid1(VALU_DEP_1)
	v_add_f32_e32 v21, v24, v23
	v_sub_f32_e32 v26, v20, v21
	s_delay_alu instid0(VALU_DEP_1) | instskip(NEXT) | instid1(VALU_DEP_1)
	v_sub_f32_e32 v20, v20, v26
	v_sub_f32_e32 v20, v20, v21
	s_delay_alu instid0(VALU_DEP_1) | instskip(SKIP_2) | instid1(VALU_DEP_1)
	v_add_f32_e32 v17, v17, v20
	v_add_f32_e32 v20, v25, v22
	v_sub_f32_e32 v24, v21, v24
	v_sub_f32_e32 v21, v24, v23
	s_delay_alu instid0(VALU_DEP_1) | instskip(NEXT) | instid1(VALU_DEP_4)
	v_add_f32_e32 v17, v21, v17
	v_sub_f32_e32 v21, v20, v25
	s_delay_alu instid0(VALU_DEP_2) | instskip(NEXT) | instid1(VALU_DEP_2)
	v_add_f32_e32 v17, v26, v17
	v_sub_f32_e32 v21, v22, v21
	s_delay_alu instid0(VALU_DEP_2) | instskip(NEXT) | instid1(VALU_DEP_1)
	v_mul_f32_e32 v17, v19, v17
	v_add_f32_e32 v17, v21, v17
	s_delay_alu instid0(VALU_DEP_1) | instskip(NEXT) | instid1(VALU_DEP_1)
	v_add_f32_e32 v19, v20, v17
	v_mul_f32_e32 v21, v19, v19
	s_delay_alu instid0(VALU_DEP_1) | instskip(SKIP_1) | instid1(VALU_DEP_2)
	v_fmaak_f32 v22, s54, v21, 0x3ecc95a3
	v_mul_f32_e32 v23, v19, v21
	v_fmaak_f32 v21, v21, v22, 0x3f2aaada
	v_ldexp_f32 v22, v19, 1
	s_delay_alu instid0(VALU_DEP_2) | instskip(SKIP_1) | instid1(VALU_DEP_2)
	v_mul_f32_e32 v21, v23, v21
	v_sub_f32_e32 v19, v19, v20
	v_dual_mul_f32 v23, 0x3f317218, v16 :: v_dual_add_f32 v20, v22, v21
	s_delay_alu instid0(VALU_DEP_2) | instskip(NEXT) | instid1(VALU_DEP_2)
	v_sub_f32_e32 v17, v17, v19
	v_sub_f32_e32 v19, v20, v22
	s_delay_alu instid0(VALU_DEP_3) | instskip(NEXT) | instid1(VALU_DEP_3)
	v_fma_f32 v22, 0x3f317218, v16, -v23
	v_ldexp_f32 v17, v17, 1
	s_delay_alu instid0(VALU_DEP_2) | instskip(NEXT) | instid1(VALU_DEP_1)
	v_dual_sub_f32 v19, v21, v19 :: v_dual_fmac_f32 v22, 0xb102e308, v16
	v_dual_add_f32 v16, v17, v19 :: v_dual_add_f32 v17, v23, v22
	s_delay_alu instid0(VALU_DEP_1) | instskip(NEXT) | instid1(VALU_DEP_1)
	v_add_f32_e32 v19, v20, v16
	v_dual_add_f32 v21, v17, v19 :: v_dual_sub_f32 v20, v19, v20
	s_delay_alu instid0(VALU_DEP_1) | instskip(NEXT) | instid1(VALU_DEP_2)
	v_sub_f32_e32 v24, v21, v17
	v_dual_sub_f32 v23, v17, v23 :: v_dual_sub_f32 v16, v16, v20
	s_delay_alu instid0(VALU_DEP_1) | instskip(SKIP_1) | instid1(VALU_DEP_2)
	v_dual_sub_f32 v25, v21, v24 :: v_dual_sub_f32 v22, v22, v23
	v_sub_f32_e32 v19, v19, v24
	v_dual_sub_f32 v17, v17, v25 :: v_dual_add_f32 v20, v22, v16
	s_delay_alu instid0(VALU_DEP_1) | instskip(NEXT) | instid1(VALU_DEP_2)
	v_add_f32_e32 v17, v19, v17
	v_sub_f32_e32 v19, v20, v22
	s_delay_alu instid0(VALU_DEP_2) | instskip(NEXT) | instid1(VALU_DEP_2)
	v_add_f32_e32 v17, v20, v17
	v_sub_f32_e32 v20, v20, v19
	s_delay_alu instid0(VALU_DEP_2) | instskip(NEXT) | instid1(VALU_DEP_1)
	v_dual_sub_f32 v16, v16, v19 :: v_dual_add_f32 v23, v21, v17
	v_dual_sub_f32 v20, v22, v20 :: v_dual_sub_f32 v19, v23, v21
	s_delay_alu instid0(VALU_DEP_1) | instskip(NEXT) | instid1(VALU_DEP_1)
	v_dual_add_f32 v16, v16, v20 :: v_dual_sub_f32 v17, v17, v19
	v_add_f32_e32 v16, v16, v17
	s_delay_alu instid0(VALU_DEP_1) | instskip(NEXT) | instid1(VALU_DEP_1)
	v_add_f32_e32 v16, v23, v16
	v_cndmask_b32_e32 v71, v16, v18, vcc_lo
.LBB51_38:                              ;   in Loop: Header=BB51_12 Depth=1
	s_or_b32 exec_lo, exec_lo, s15
	v_and_b32_e32 v16, 0xffff0000, v0
	s_delay_alu instid0(VALU_DEP_1) | instskip(NEXT) | instid1(VALU_DEP_1)
	v_add_f32_e32 v72, s56, v16
	v_cmp_ge_f32_e32 vcc_lo, 0x41a00000, v72
	s_and_b32 s14, s66, vcc_lo
	s_delay_alu instid0(SALU_CYCLE_1)
	s_and_saveexec_b32 s15, s14
	s_cbranch_execz .LBB51_40
; %bb.39:                               ;   in Loop: Header=BB51_12 Depth=1
	v_mul_f32_e32 v16, 0x3fb8aa3b, v72
	v_cmp_ngt_f32_e32 vcc_lo, 0xc2ce8ed0, v72
	s_delay_alu instid0(VALU_DEP_2) | instskip(SKIP_1) | instid1(VALU_DEP_2)
	v_rndne_f32_e32 v17, v16
	v_fma_f32 v18, 0x3fb8aa3b, v72, -v16
	v_sub_f32_e32 v16, v16, v17
	s_delay_alu instid0(VALU_DEP_2) | instskip(SKIP_1) | instid1(VALU_DEP_2)
	v_fmac_f32_e32 v18, 0x32a5705f, v72
	v_cvt_i32_f32_e32 v17, v17
	v_add_f32_e32 v16, v16, v18
	s_delay_alu instid0(VALU_DEP_1) | instskip(SKIP_2) | instid1(VALU_DEP_1)
	v_exp_f32_e32 v16, v16
	s_waitcnt_depctr 0xfff
	v_ldexp_f32 v16, v16, v17
	v_cndmask_b32_e32 v16, 0, v16, vcc_lo
	v_cmp_nlt_f32_e32 vcc_lo, 0x42b17218, v72
	s_delay_alu instid0(VALU_DEP_2) | instskip(NEXT) | instid1(VALU_DEP_1)
	v_cndmask_b32_e32 v18, 0x7f800000, v16, vcc_lo
	v_add_f32_e32 v19, 1.0, v18
	s_delay_alu instid0(VALU_DEP_1) | instskip(NEXT) | instid1(VALU_DEP_1)
	v_cvt_f64_f32_e32 v[16:17], v19
	v_frexp_exp_i32_f64_e32 v16, v[16:17]
	v_frexp_mant_f32_e32 v17, v19
	s_delay_alu instid0(VALU_DEP_1) | instskip(SKIP_1) | instid1(VALU_DEP_1)
	v_cmp_gt_f32_e32 vcc_lo, 0x3f2aaaab, v17
	v_add_f32_e32 v17, -1.0, v19
	v_sub_f32_e32 v21, v17, v19
	v_sub_f32_e32 v17, v18, v17
	s_delay_alu instid0(VALU_DEP_2) | instskip(NEXT) | instid1(VALU_DEP_1)
	v_add_f32_e32 v21, 1.0, v21
	v_add_f32_e32 v17, v17, v21
	v_cmp_gt_f32_e64 s14, 0x33800000, v18
	v_subrev_co_ci_u32_e32 v16, vcc_lo, 0, v16, vcc_lo
	v_cmp_eq_f32_e32 vcc_lo, 0x7f800000, v18
	s_delay_alu instid0(VALU_DEP_2) | instskip(SKIP_2) | instid1(VALU_DEP_2)
	v_sub_nc_u32_e32 v20, 0, v16
	v_cvt_f32_i32_e32 v16, v16
	s_or_b32 vcc_lo, s14, vcc_lo
	v_ldexp_f32 v19, v19, v20
	v_ldexp_f32 v17, v17, v20
	s_delay_alu instid0(VALU_DEP_2) | instskip(NEXT) | instid1(VALU_DEP_1)
	v_add_f32_e32 v22, 1.0, v19
	v_dual_add_f32 v20, -1.0, v19 :: v_dual_add_f32 v21, -1.0, v22
	s_delay_alu instid0(VALU_DEP_1) | instskip(NEXT) | instid1(VALU_DEP_2)
	v_add_f32_e32 v23, 1.0, v20
	v_sub_f32_e32 v21, v19, v21
	s_delay_alu instid0(VALU_DEP_2) | instskip(NEXT) | instid1(VALU_DEP_2)
	v_sub_f32_e32 v19, v19, v23
	v_add_f32_e32 v21, v17, v21
	s_delay_alu instid0(VALU_DEP_2) | instskip(NEXT) | instid1(VALU_DEP_1)
	v_add_f32_e32 v17, v17, v19
	v_add_f32_e32 v24, v20, v17
	s_delay_alu instid0(VALU_DEP_1) | instskip(NEXT) | instid1(VALU_DEP_1)
	v_dual_add_f32 v23, v22, v21 :: v_dual_sub_f32 v20, v20, v24
	v_rcp_f32_e32 v19, v23
	v_sub_f32_e32 v22, v22, v23
	s_delay_alu instid0(VALU_DEP_1) | instskip(SKIP_2) | instid1(VALU_DEP_1)
	v_add_f32_e32 v21, v21, v22
	s_waitcnt_depctr 0xfff
	v_mul_f32_e32 v25, v24, v19
	v_mul_f32_e32 v26, v23, v25
	s_delay_alu instid0(VALU_DEP_1) | instskip(NEXT) | instid1(VALU_DEP_1)
	v_fma_f32 v22, v25, v23, -v26
	v_fmac_f32_e32 v22, v25, v21
	s_delay_alu instid0(VALU_DEP_1) | instskip(NEXT) | instid1(VALU_DEP_1)
	v_add_f32_e32 v27, v26, v22
	v_sub_f32_e32 v28, v24, v27
	s_delay_alu instid0(VALU_DEP_1) | instskip(SKIP_1) | instid1(VALU_DEP_2)
	v_sub_f32_e32 v24, v24, v28
	v_dual_add_f32 v17, v17, v20 :: v_dual_sub_f32 v20, v27, v26
	v_sub_f32_e32 v24, v24, v27
	s_delay_alu instid0(VALU_DEP_1) | instskip(NEXT) | instid1(VALU_DEP_1)
	v_dual_sub_f32 v20, v20, v22 :: v_dual_add_f32 v17, v17, v24
	v_add_f32_e32 v17, v20, v17
	s_delay_alu instid0(VALU_DEP_1) | instskip(NEXT) | instid1(VALU_DEP_1)
	v_add_f32_e32 v20, v28, v17
	v_mul_f32_e32 v22, v19, v20
	s_delay_alu instid0(VALU_DEP_1) | instskip(NEXT) | instid1(VALU_DEP_1)
	v_dual_sub_f32 v27, v28, v20 :: v_dual_mul_f32 v24, v23, v22
	v_add_f32_e32 v17, v17, v27
	s_delay_alu instid0(VALU_DEP_2) | instskip(NEXT) | instid1(VALU_DEP_1)
	v_fma_f32 v23, v22, v23, -v24
	v_fmac_f32_e32 v23, v22, v21
	s_delay_alu instid0(VALU_DEP_1) | instskip(NEXT) | instid1(VALU_DEP_1)
	v_add_f32_e32 v21, v24, v23
	v_sub_f32_e32 v26, v20, v21
	s_delay_alu instid0(VALU_DEP_1) | instskip(NEXT) | instid1(VALU_DEP_1)
	v_sub_f32_e32 v20, v20, v26
	v_sub_f32_e32 v20, v20, v21
	s_delay_alu instid0(VALU_DEP_1) | instskip(SKIP_2) | instid1(VALU_DEP_1)
	v_add_f32_e32 v17, v17, v20
	v_add_f32_e32 v20, v25, v22
	v_sub_f32_e32 v24, v21, v24
	v_sub_f32_e32 v21, v24, v23
	s_delay_alu instid0(VALU_DEP_1) | instskip(NEXT) | instid1(VALU_DEP_4)
	v_add_f32_e32 v17, v21, v17
	v_sub_f32_e32 v21, v20, v25
	s_delay_alu instid0(VALU_DEP_2) | instskip(NEXT) | instid1(VALU_DEP_2)
	v_add_f32_e32 v17, v26, v17
	v_sub_f32_e32 v21, v22, v21
	s_delay_alu instid0(VALU_DEP_2) | instskip(NEXT) | instid1(VALU_DEP_1)
	v_mul_f32_e32 v17, v19, v17
	v_add_f32_e32 v17, v21, v17
	s_delay_alu instid0(VALU_DEP_1) | instskip(NEXT) | instid1(VALU_DEP_1)
	v_add_f32_e32 v19, v20, v17
	v_mul_f32_e32 v21, v19, v19
	s_delay_alu instid0(VALU_DEP_1) | instskip(SKIP_1) | instid1(VALU_DEP_2)
	v_fmaak_f32 v22, s54, v21, 0x3ecc95a3
	v_mul_f32_e32 v23, v19, v21
	v_fmaak_f32 v21, v21, v22, 0x3f2aaada
	v_ldexp_f32 v22, v19, 1
	s_delay_alu instid0(VALU_DEP_2) | instskip(SKIP_1) | instid1(VALU_DEP_2)
	v_mul_f32_e32 v21, v23, v21
	v_sub_f32_e32 v19, v19, v20
	v_dual_mul_f32 v23, 0x3f317218, v16 :: v_dual_add_f32 v20, v22, v21
	s_delay_alu instid0(VALU_DEP_2) | instskip(NEXT) | instid1(VALU_DEP_2)
	v_sub_f32_e32 v17, v17, v19
	v_sub_f32_e32 v19, v20, v22
	s_delay_alu instid0(VALU_DEP_3) | instskip(NEXT) | instid1(VALU_DEP_3)
	v_fma_f32 v22, 0x3f317218, v16, -v23
	v_ldexp_f32 v17, v17, 1
	s_delay_alu instid0(VALU_DEP_2) | instskip(NEXT) | instid1(VALU_DEP_1)
	v_dual_sub_f32 v19, v21, v19 :: v_dual_fmac_f32 v22, 0xb102e308, v16
	v_dual_add_f32 v16, v17, v19 :: v_dual_add_f32 v17, v23, v22
	s_delay_alu instid0(VALU_DEP_1) | instskip(NEXT) | instid1(VALU_DEP_1)
	v_add_f32_e32 v19, v20, v16
	v_dual_add_f32 v21, v17, v19 :: v_dual_sub_f32 v20, v19, v20
	s_delay_alu instid0(VALU_DEP_1) | instskip(NEXT) | instid1(VALU_DEP_2)
	v_sub_f32_e32 v24, v21, v17
	v_dual_sub_f32 v23, v17, v23 :: v_dual_sub_f32 v16, v16, v20
	s_delay_alu instid0(VALU_DEP_1) | instskip(SKIP_1) | instid1(VALU_DEP_2)
	v_dual_sub_f32 v25, v21, v24 :: v_dual_sub_f32 v22, v22, v23
	v_sub_f32_e32 v19, v19, v24
	v_dual_sub_f32 v17, v17, v25 :: v_dual_add_f32 v20, v22, v16
	s_delay_alu instid0(VALU_DEP_1) | instskip(NEXT) | instid1(VALU_DEP_2)
	v_add_f32_e32 v17, v19, v17
	v_sub_f32_e32 v19, v20, v22
	s_delay_alu instid0(VALU_DEP_2) | instskip(NEXT) | instid1(VALU_DEP_2)
	v_add_f32_e32 v17, v20, v17
	v_sub_f32_e32 v20, v20, v19
	s_delay_alu instid0(VALU_DEP_2) | instskip(NEXT) | instid1(VALU_DEP_1)
	v_dual_sub_f32 v16, v16, v19 :: v_dual_add_f32 v23, v21, v17
	v_dual_sub_f32 v20, v22, v20 :: v_dual_sub_f32 v19, v23, v21
	s_delay_alu instid0(VALU_DEP_1) | instskip(NEXT) | instid1(VALU_DEP_1)
	v_dual_add_f32 v16, v16, v20 :: v_dual_sub_f32 v17, v17, v19
	v_add_f32_e32 v16, v16, v17
	s_delay_alu instid0(VALU_DEP_1) | instskip(NEXT) | instid1(VALU_DEP_1)
	v_add_f32_e32 v16, v23, v16
	v_cndmask_b32_e32 v72, v16, v18, vcc_lo
.LBB51_40:                              ;   in Loop: Header=BB51_12 Depth=1
	s_or_b32 exec_lo, exec_lo, s15
	v_lshlrev_b32_e32 v16, 16, v1
	s_delay_alu instid0(VALU_DEP_1) | instskip(NEXT) | instid1(VALU_DEP_1)
	v_add_f32_e32 v73, s56, v16
	v_cmp_ge_f32_e32 vcc_lo, 0x41a00000, v73
	s_and_b32 s14, s66, vcc_lo
	s_delay_alu instid0(SALU_CYCLE_1)
	s_and_saveexec_b32 s15, s14
	s_cbranch_execz .LBB51_42
; %bb.41:                               ;   in Loop: Header=BB51_12 Depth=1
	v_mul_f32_e32 v16, 0x3fb8aa3b, v73
	v_cmp_ngt_f32_e32 vcc_lo, 0xc2ce8ed0, v73
	s_delay_alu instid0(VALU_DEP_2) | instskip(SKIP_1) | instid1(VALU_DEP_2)
	v_rndne_f32_e32 v17, v16
	v_fma_f32 v18, 0x3fb8aa3b, v73, -v16
	v_sub_f32_e32 v16, v16, v17
	s_delay_alu instid0(VALU_DEP_2) | instskip(SKIP_1) | instid1(VALU_DEP_2)
	v_fmac_f32_e32 v18, 0x32a5705f, v73
	v_cvt_i32_f32_e32 v17, v17
	v_add_f32_e32 v16, v16, v18
	s_delay_alu instid0(VALU_DEP_1) | instskip(SKIP_2) | instid1(VALU_DEP_1)
	v_exp_f32_e32 v16, v16
	s_waitcnt_depctr 0xfff
	v_ldexp_f32 v16, v16, v17
	v_cndmask_b32_e32 v16, 0, v16, vcc_lo
	v_cmp_nlt_f32_e32 vcc_lo, 0x42b17218, v73
	s_delay_alu instid0(VALU_DEP_2) | instskip(NEXT) | instid1(VALU_DEP_1)
	v_cndmask_b32_e32 v18, 0x7f800000, v16, vcc_lo
	v_add_f32_e32 v19, 1.0, v18
	s_delay_alu instid0(VALU_DEP_1) | instskip(NEXT) | instid1(VALU_DEP_1)
	v_cvt_f64_f32_e32 v[16:17], v19
	v_frexp_exp_i32_f64_e32 v16, v[16:17]
	v_frexp_mant_f32_e32 v17, v19
	s_delay_alu instid0(VALU_DEP_1) | instskip(SKIP_1) | instid1(VALU_DEP_1)
	v_cmp_gt_f32_e32 vcc_lo, 0x3f2aaaab, v17
	v_add_f32_e32 v17, -1.0, v19
	v_sub_f32_e32 v21, v17, v19
	v_sub_f32_e32 v17, v18, v17
	s_delay_alu instid0(VALU_DEP_2) | instskip(NEXT) | instid1(VALU_DEP_1)
	v_add_f32_e32 v21, 1.0, v21
	v_add_f32_e32 v17, v17, v21
	v_cmp_gt_f32_e64 s14, 0x33800000, v18
	v_subrev_co_ci_u32_e32 v16, vcc_lo, 0, v16, vcc_lo
	v_cmp_eq_f32_e32 vcc_lo, 0x7f800000, v18
	s_delay_alu instid0(VALU_DEP_2) | instskip(SKIP_2) | instid1(VALU_DEP_2)
	v_sub_nc_u32_e32 v20, 0, v16
	v_cvt_f32_i32_e32 v16, v16
	s_or_b32 vcc_lo, s14, vcc_lo
	v_ldexp_f32 v19, v19, v20
	v_ldexp_f32 v17, v17, v20
	s_delay_alu instid0(VALU_DEP_2) | instskip(NEXT) | instid1(VALU_DEP_1)
	v_add_f32_e32 v22, 1.0, v19
	v_dual_add_f32 v20, -1.0, v19 :: v_dual_add_f32 v21, -1.0, v22
	s_delay_alu instid0(VALU_DEP_1) | instskip(NEXT) | instid1(VALU_DEP_2)
	v_add_f32_e32 v23, 1.0, v20
	v_sub_f32_e32 v21, v19, v21
	s_delay_alu instid0(VALU_DEP_2) | instskip(NEXT) | instid1(VALU_DEP_2)
	v_sub_f32_e32 v19, v19, v23
	v_add_f32_e32 v21, v17, v21
	s_delay_alu instid0(VALU_DEP_2) | instskip(NEXT) | instid1(VALU_DEP_1)
	v_add_f32_e32 v17, v17, v19
	v_add_f32_e32 v24, v20, v17
	s_delay_alu instid0(VALU_DEP_1) | instskip(NEXT) | instid1(VALU_DEP_1)
	v_dual_add_f32 v23, v22, v21 :: v_dual_sub_f32 v20, v20, v24
	v_rcp_f32_e32 v19, v23
	v_sub_f32_e32 v22, v22, v23
	s_delay_alu instid0(VALU_DEP_1) | instskip(SKIP_2) | instid1(VALU_DEP_1)
	v_add_f32_e32 v21, v21, v22
	s_waitcnt_depctr 0xfff
	v_mul_f32_e32 v25, v24, v19
	v_mul_f32_e32 v26, v23, v25
	s_delay_alu instid0(VALU_DEP_1) | instskip(NEXT) | instid1(VALU_DEP_1)
	v_fma_f32 v22, v25, v23, -v26
	v_fmac_f32_e32 v22, v25, v21
	s_delay_alu instid0(VALU_DEP_1) | instskip(NEXT) | instid1(VALU_DEP_1)
	v_add_f32_e32 v27, v26, v22
	v_sub_f32_e32 v28, v24, v27
	s_delay_alu instid0(VALU_DEP_1) | instskip(SKIP_1) | instid1(VALU_DEP_2)
	v_sub_f32_e32 v24, v24, v28
	v_dual_add_f32 v17, v17, v20 :: v_dual_sub_f32 v20, v27, v26
	v_sub_f32_e32 v24, v24, v27
	s_delay_alu instid0(VALU_DEP_1) | instskip(NEXT) | instid1(VALU_DEP_1)
	v_dual_sub_f32 v20, v20, v22 :: v_dual_add_f32 v17, v17, v24
	v_add_f32_e32 v17, v20, v17
	s_delay_alu instid0(VALU_DEP_1) | instskip(NEXT) | instid1(VALU_DEP_1)
	v_add_f32_e32 v20, v28, v17
	v_mul_f32_e32 v22, v19, v20
	s_delay_alu instid0(VALU_DEP_1) | instskip(NEXT) | instid1(VALU_DEP_1)
	v_dual_sub_f32 v27, v28, v20 :: v_dual_mul_f32 v24, v23, v22
	v_add_f32_e32 v17, v17, v27
	s_delay_alu instid0(VALU_DEP_2) | instskip(NEXT) | instid1(VALU_DEP_1)
	v_fma_f32 v23, v22, v23, -v24
	v_fmac_f32_e32 v23, v22, v21
	s_delay_alu instid0(VALU_DEP_1) | instskip(NEXT) | instid1(VALU_DEP_1)
	v_add_f32_e32 v21, v24, v23
	v_sub_f32_e32 v26, v20, v21
	s_delay_alu instid0(VALU_DEP_1) | instskip(NEXT) | instid1(VALU_DEP_1)
	v_sub_f32_e32 v20, v20, v26
	v_sub_f32_e32 v20, v20, v21
	s_delay_alu instid0(VALU_DEP_1) | instskip(SKIP_2) | instid1(VALU_DEP_1)
	v_add_f32_e32 v17, v17, v20
	v_add_f32_e32 v20, v25, v22
	v_sub_f32_e32 v24, v21, v24
	v_sub_f32_e32 v21, v24, v23
	s_delay_alu instid0(VALU_DEP_1) | instskip(NEXT) | instid1(VALU_DEP_4)
	v_add_f32_e32 v17, v21, v17
	v_sub_f32_e32 v21, v20, v25
	s_delay_alu instid0(VALU_DEP_2) | instskip(NEXT) | instid1(VALU_DEP_2)
	v_add_f32_e32 v17, v26, v17
	v_sub_f32_e32 v21, v22, v21
	s_delay_alu instid0(VALU_DEP_2) | instskip(NEXT) | instid1(VALU_DEP_1)
	v_mul_f32_e32 v17, v19, v17
	v_add_f32_e32 v17, v21, v17
	s_delay_alu instid0(VALU_DEP_1) | instskip(NEXT) | instid1(VALU_DEP_1)
	v_add_f32_e32 v19, v20, v17
	v_mul_f32_e32 v21, v19, v19
	s_delay_alu instid0(VALU_DEP_1) | instskip(SKIP_1) | instid1(VALU_DEP_2)
	v_fmaak_f32 v22, s54, v21, 0x3ecc95a3
	v_mul_f32_e32 v23, v19, v21
	v_fmaak_f32 v21, v21, v22, 0x3f2aaada
	v_ldexp_f32 v22, v19, 1
	s_delay_alu instid0(VALU_DEP_2) | instskip(SKIP_1) | instid1(VALU_DEP_2)
	v_mul_f32_e32 v21, v23, v21
	v_sub_f32_e32 v19, v19, v20
	v_dual_mul_f32 v23, 0x3f317218, v16 :: v_dual_add_f32 v20, v22, v21
	s_delay_alu instid0(VALU_DEP_2) | instskip(NEXT) | instid1(VALU_DEP_2)
	v_sub_f32_e32 v17, v17, v19
	v_sub_f32_e32 v19, v20, v22
	s_delay_alu instid0(VALU_DEP_3) | instskip(NEXT) | instid1(VALU_DEP_3)
	v_fma_f32 v22, 0x3f317218, v16, -v23
	v_ldexp_f32 v17, v17, 1
	s_delay_alu instid0(VALU_DEP_2) | instskip(NEXT) | instid1(VALU_DEP_1)
	v_dual_sub_f32 v19, v21, v19 :: v_dual_fmac_f32 v22, 0xb102e308, v16
	v_dual_add_f32 v16, v17, v19 :: v_dual_add_f32 v17, v23, v22
	s_delay_alu instid0(VALU_DEP_1) | instskip(NEXT) | instid1(VALU_DEP_1)
	v_add_f32_e32 v19, v20, v16
	v_dual_add_f32 v21, v17, v19 :: v_dual_sub_f32 v20, v19, v20
	s_delay_alu instid0(VALU_DEP_1) | instskip(NEXT) | instid1(VALU_DEP_2)
	v_sub_f32_e32 v24, v21, v17
	v_dual_sub_f32 v23, v17, v23 :: v_dual_sub_f32 v16, v16, v20
	s_delay_alu instid0(VALU_DEP_1) | instskip(SKIP_1) | instid1(VALU_DEP_2)
	v_dual_sub_f32 v25, v21, v24 :: v_dual_sub_f32 v22, v22, v23
	v_sub_f32_e32 v19, v19, v24
	v_dual_sub_f32 v17, v17, v25 :: v_dual_add_f32 v20, v22, v16
	s_delay_alu instid0(VALU_DEP_1) | instskip(NEXT) | instid1(VALU_DEP_2)
	v_add_f32_e32 v17, v19, v17
	v_sub_f32_e32 v19, v20, v22
	s_delay_alu instid0(VALU_DEP_2) | instskip(NEXT) | instid1(VALU_DEP_2)
	v_add_f32_e32 v17, v20, v17
	v_sub_f32_e32 v20, v20, v19
	s_delay_alu instid0(VALU_DEP_2) | instskip(NEXT) | instid1(VALU_DEP_1)
	v_dual_sub_f32 v16, v16, v19 :: v_dual_add_f32 v23, v21, v17
	v_dual_sub_f32 v20, v22, v20 :: v_dual_sub_f32 v19, v23, v21
	s_delay_alu instid0(VALU_DEP_1) | instskip(NEXT) | instid1(VALU_DEP_1)
	v_dual_add_f32 v16, v16, v20 :: v_dual_sub_f32 v17, v17, v19
	v_add_f32_e32 v16, v16, v17
	s_delay_alu instid0(VALU_DEP_1) | instskip(NEXT) | instid1(VALU_DEP_1)
	v_add_f32_e32 v16, v23, v16
	v_cndmask_b32_e32 v73, v16, v18, vcc_lo
.LBB51_42:                              ;   in Loop: Header=BB51_12 Depth=1
	s_or_b32 exec_lo, exec_lo, s15
	v_and_b32_e32 v16, 0xffff0000, v1
	s_delay_alu instid0(VALU_DEP_1) | instskip(NEXT) | instid1(VALU_DEP_1)
	v_add_f32_e32 v74, s56, v16
	v_cmp_ge_f32_e32 vcc_lo, 0x41a00000, v74
	s_and_b32 s14, s66, vcc_lo
	s_delay_alu instid0(SALU_CYCLE_1)
	s_and_saveexec_b32 s15, s14
	s_cbranch_execz .LBB51_44
; %bb.43:                               ;   in Loop: Header=BB51_12 Depth=1
	v_mul_f32_e32 v16, 0x3fb8aa3b, v74
	v_cmp_ngt_f32_e32 vcc_lo, 0xc2ce8ed0, v74
	s_delay_alu instid0(VALU_DEP_2) | instskip(SKIP_1) | instid1(VALU_DEP_2)
	v_rndne_f32_e32 v17, v16
	v_fma_f32 v18, 0x3fb8aa3b, v74, -v16
	v_sub_f32_e32 v16, v16, v17
	s_delay_alu instid0(VALU_DEP_2) | instskip(SKIP_1) | instid1(VALU_DEP_2)
	v_fmac_f32_e32 v18, 0x32a5705f, v74
	v_cvt_i32_f32_e32 v17, v17
	v_add_f32_e32 v16, v16, v18
	s_delay_alu instid0(VALU_DEP_1) | instskip(SKIP_2) | instid1(VALU_DEP_1)
	v_exp_f32_e32 v16, v16
	s_waitcnt_depctr 0xfff
	v_ldexp_f32 v16, v16, v17
	v_cndmask_b32_e32 v16, 0, v16, vcc_lo
	v_cmp_nlt_f32_e32 vcc_lo, 0x42b17218, v74
	s_delay_alu instid0(VALU_DEP_2) | instskip(NEXT) | instid1(VALU_DEP_1)
	v_cndmask_b32_e32 v18, 0x7f800000, v16, vcc_lo
	v_add_f32_e32 v19, 1.0, v18
	s_delay_alu instid0(VALU_DEP_1) | instskip(NEXT) | instid1(VALU_DEP_1)
	v_cvt_f64_f32_e32 v[16:17], v19
	v_frexp_exp_i32_f64_e32 v16, v[16:17]
	v_frexp_mant_f32_e32 v17, v19
	s_delay_alu instid0(VALU_DEP_1) | instskip(SKIP_1) | instid1(VALU_DEP_1)
	v_cmp_gt_f32_e32 vcc_lo, 0x3f2aaaab, v17
	v_add_f32_e32 v17, -1.0, v19
	v_sub_f32_e32 v21, v17, v19
	v_sub_f32_e32 v17, v18, v17
	s_delay_alu instid0(VALU_DEP_2) | instskip(NEXT) | instid1(VALU_DEP_1)
	v_add_f32_e32 v21, 1.0, v21
	v_add_f32_e32 v17, v17, v21
	v_cmp_gt_f32_e64 s14, 0x33800000, v18
	v_subrev_co_ci_u32_e32 v16, vcc_lo, 0, v16, vcc_lo
	v_cmp_eq_f32_e32 vcc_lo, 0x7f800000, v18
	s_delay_alu instid0(VALU_DEP_2) | instskip(SKIP_2) | instid1(VALU_DEP_2)
	v_sub_nc_u32_e32 v20, 0, v16
	v_cvt_f32_i32_e32 v16, v16
	s_or_b32 vcc_lo, s14, vcc_lo
	v_ldexp_f32 v19, v19, v20
	v_ldexp_f32 v17, v17, v20
	s_delay_alu instid0(VALU_DEP_2) | instskip(NEXT) | instid1(VALU_DEP_1)
	v_add_f32_e32 v22, 1.0, v19
	v_dual_add_f32 v20, -1.0, v19 :: v_dual_add_f32 v21, -1.0, v22
	s_delay_alu instid0(VALU_DEP_1) | instskip(NEXT) | instid1(VALU_DEP_2)
	v_add_f32_e32 v23, 1.0, v20
	v_sub_f32_e32 v21, v19, v21
	s_delay_alu instid0(VALU_DEP_2) | instskip(NEXT) | instid1(VALU_DEP_2)
	v_sub_f32_e32 v19, v19, v23
	v_add_f32_e32 v21, v17, v21
	s_delay_alu instid0(VALU_DEP_2) | instskip(NEXT) | instid1(VALU_DEP_1)
	v_add_f32_e32 v17, v17, v19
	v_add_f32_e32 v24, v20, v17
	s_delay_alu instid0(VALU_DEP_1) | instskip(NEXT) | instid1(VALU_DEP_1)
	v_dual_add_f32 v23, v22, v21 :: v_dual_sub_f32 v20, v20, v24
	v_rcp_f32_e32 v19, v23
	v_sub_f32_e32 v22, v22, v23
	s_delay_alu instid0(VALU_DEP_1) | instskip(SKIP_2) | instid1(VALU_DEP_1)
	v_add_f32_e32 v21, v21, v22
	s_waitcnt_depctr 0xfff
	v_mul_f32_e32 v25, v24, v19
	v_mul_f32_e32 v26, v23, v25
	s_delay_alu instid0(VALU_DEP_1) | instskip(NEXT) | instid1(VALU_DEP_1)
	v_fma_f32 v22, v25, v23, -v26
	v_fmac_f32_e32 v22, v25, v21
	s_delay_alu instid0(VALU_DEP_1) | instskip(NEXT) | instid1(VALU_DEP_1)
	v_add_f32_e32 v27, v26, v22
	v_sub_f32_e32 v28, v24, v27
	s_delay_alu instid0(VALU_DEP_1) | instskip(SKIP_1) | instid1(VALU_DEP_2)
	v_sub_f32_e32 v24, v24, v28
	v_dual_add_f32 v17, v17, v20 :: v_dual_sub_f32 v20, v27, v26
	v_sub_f32_e32 v24, v24, v27
	s_delay_alu instid0(VALU_DEP_1) | instskip(NEXT) | instid1(VALU_DEP_1)
	v_dual_sub_f32 v20, v20, v22 :: v_dual_add_f32 v17, v17, v24
	v_add_f32_e32 v17, v20, v17
	s_delay_alu instid0(VALU_DEP_1) | instskip(NEXT) | instid1(VALU_DEP_1)
	v_add_f32_e32 v20, v28, v17
	v_mul_f32_e32 v22, v19, v20
	s_delay_alu instid0(VALU_DEP_1) | instskip(NEXT) | instid1(VALU_DEP_1)
	v_dual_sub_f32 v27, v28, v20 :: v_dual_mul_f32 v24, v23, v22
	v_add_f32_e32 v17, v17, v27
	s_delay_alu instid0(VALU_DEP_2) | instskip(NEXT) | instid1(VALU_DEP_1)
	v_fma_f32 v23, v22, v23, -v24
	v_fmac_f32_e32 v23, v22, v21
	s_delay_alu instid0(VALU_DEP_1) | instskip(NEXT) | instid1(VALU_DEP_1)
	v_add_f32_e32 v21, v24, v23
	v_sub_f32_e32 v26, v20, v21
	s_delay_alu instid0(VALU_DEP_1) | instskip(NEXT) | instid1(VALU_DEP_1)
	v_sub_f32_e32 v20, v20, v26
	v_sub_f32_e32 v20, v20, v21
	s_delay_alu instid0(VALU_DEP_1) | instskip(SKIP_2) | instid1(VALU_DEP_1)
	v_add_f32_e32 v17, v17, v20
	v_add_f32_e32 v20, v25, v22
	v_sub_f32_e32 v24, v21, v24
	v_sub_f32_e32 v21, v24, v23
	s_delay_alu instid0(VALU_DEP_1) | instskip(NEXT) | instid1(VALU_DEP_4)
	v_add_f32_e32 v17, v21, v17
	v_sub_f32_e32 v21, v20, v25
	s_delay_alu instid0(VALU_DEP_2) | instskip(NEXT) | instid1(VALU_DEP_2)
	v_add_f32_e32 v17, v26, v17
	v_sub_f32_e32 v21, v22, v21
	s_delay_alu instid0(VALU_DEP_2) | instskip(NEXT) | instid1(VALU_DEP_1)
	v_mul_f32_e32 v17, v19, v17
	v_add_f32_e32 v17, v21, v17
	s_delay_alu instid0(VALU_DEP_1) | instskip(NEXT) | instid1(VALU_DEP_1)
	v_add_f32_e32 v19, v20, v17
	v_mul_f32_e32 v21, v19, v19
	s_delay_alu instid0(VALU_DEP_1) | instskip(SKIP_1) | instid1(VALU_DEP_2)
	v_fmaak_f32 v22, s54, v21, 0x3ecc95a3
	v_mul_f32_e32 v23, v19, v21
	v_fmaak_f32 v21, v21, v22, 0x3f2aaada
	v_ldexp_f32 v22, v19, 1
	s_delay_alu instid0(VALU_DEP_2) | instskip(SKIP_1) | instid1(VALU_DEP_2)
	v_mul_f32_e32 v21, v23, v21
	v_sub_f32_e32 v19, v19, v20
	v_dual_mul_f32 v23, 0x3f317218, v16 :: v_dual_add_f32 v20, v22, v21
	s_delay_alu instid0(VALU_DEP_2) | instskip(NEXT) | instid1(VALU_DEP_2)
	v_sub_f32_e32 v17, v17, v19
	v_sub_f32_e32 v19, v20, v22
	s_delay_alu instid0(VALU_DEP_3) | instskip(NEXT) | instid1(VALU_DEP_3)
	v_fma_f32 v22, 0x3f317218, v16, -v23
	v_ldexp_f32 v17, v17, 1
	s_delay_alu instid0(VALU_DEP_2) | instskip(NEXT) | instid1(VALU_DEP_1)
	v_dual_sub_f32 v19, v21, v19 :: v_dual_fmac_f32 v22, 0xb102e308, v16
	v_dual_add_f32 v16, v17, v19 :: v_dual_add_f32 v17, v23, v22
	s_delay_alu instid0(VALU_DEP_1) | instskip(NEXT) | instid1(VALU_DEP_1)
	v_add_f32_e32 v19, v20, v16
	v_dual_add_f32 v21, v17, v19 :: v_dual_sub_f32 v20, v19, v20
	s_delay_alu instid0(VALU_DEP_1) | instskip(NEXT) | instid1(VALU_DEP_2)
	v_sub_f32_e32 v24, v21, v17
	v_dual_sub_f32 v23, v17, v23 :: v_dual_sub_f32 v16, v16, v20
	s_delay_alu instid0(VALU_DEP_1) | instskip(SKIP_1) | instid1(VALU_DEP_2)
	v_dual_sub_f32 v25, v21, v24 :: v_dual_sub_f32 v22, v22, v23
	v_sub_f32_e32 v19, v19, v24
	v_dual_sub_f32 v17, v17, v25 :: v_dual_add_f32 v20, v22, v16
	s_delay_alu instid0(VALU_DEP_1) | instskip(NEXT) | instid1(VALU_DEP_2)
	v_add_f32_e32 v17, v19, v17
	v_sub_f32_e32 v19, v20, v22
	s_delay_alu instid0(VALU_DEP_2) | instskip(NEXT) | instid1(VALU_DEP_2)
	v_add_f32_e32 v17, v20, v17
	v_sub_f32_e32 v20, v20, v19
	s_delay_alu instid0(VALU_DEP_2) | instskip(NEXT) | instid1(VALU_DEP_1)
	v_dual_sub_f32 v16, v16, v19 :: v_dual_add_f32 v23, v21, v17
	v_dual_sub_f32 v20, v22, v20 :: v_dual_sub_f32 v19, v23, v21
	s_delay_alu instid0(VALU_DEP_1) | instskip(NEXT) | instid1(VALU_DEP_1)
	v_dual_add_f32 v16, v16, v20 :: v_dual_sub_f32 v17, v17, v19
	v_add_f32_e32 v16, v16, v17
	s_delay_alu instid0(VALU_DEP_1) | instskip(NEXT) | instid1(VALU_DEP_1)
	v_add_f32_e32 v16, v23, v16
	v_cndmask_b32_e32 v74, v16, v18, vcc_lo
.LBB51_44:                              ;   in Loop: Header=BB51_12 Depth=1
	s_or_b32 exec_lo, exec_lo, s15
	v_lshlrev_b32_e32 v16, 16, v2
	s_delay_alu instid0(VALU_DEP_1) | instskip(NEXT) | instid1(VALU_DEP_1)
	v_add_f32_e32 v75, s56, v16
	v_cmp_ge_f32_e32 vcc_lo, 0x41a00000, v75
	s_and_b32 s14, s66, vcc_lo
	s_delay_alu instid0(SALU_CYCLE_1)
	s_and_saveexec_b32 s15, s14
	s_cbranch_execz .LBB51_46
; %bb.45:                               ;   in Loop: Header=BB51_12 Depth=1
	v_mul_f32_e32 v16, 0x3fb8aa3b, v75
	v_cmp_ngt_f32_e32 vcc_lo, 0xc2ce8ed0, v75
	s_delay_alu instid0(VALU_DEP_2) | instskip(SKIP_1) | instid1(VALU_DEP_2)
	v_rndne_f32_e32 v17, v16
	v_fma_f32 v18, 0x3fb8aa3b, v75, -v16
	v_sub_f32_e32 v16, v16, v17
	s_delay_alu instid0(VALU_DEP_2) | instskip(SKIP_1) | instid1(VALU_DEP_2)
	v_fmac_f32_e32 v18, 0x32a5705f, v75
	v_cvt_i32_f32_e32 v17, v17
	v_add_f32_e32 v16, v16, v18
	s_delay_alu instid0(VALU_DEP_1) | instskip(SKIP_2) | instid1(VALU_DEP_1)
	v_exp_f32_e32 v16, v16
	s_waitcnt_depctr 0xfff
	v_ldexp_f32 v16, v16, v17
	v_cndmask_b32_e32 v16, 0, v16, vcc_lo
	v_cmp_nlt_f32_e32 vcc_lo, 0x42b17218, v75
	s_delay_alu instid0(VALU_DEP_2) | instskip(NEXT) | instid1(VALU_DEP_1)
	v_cndmask_b32_e32 v18, 0x7f800000, v16, vcc_lo
	v_add_f32_e32 v19, 1.0, v18
	s_delay_alu instid0(VALU_DEP_1) | instskip(NEXT) | instid1(VALU_DEP_1)
	v_cvt_f64_f32_e32 v[16:17], v19
	v_frexp_exp_i32_f64_e32 v16, v[16:17]
	v_frexp_mant_f32_e32 v17, v19
	s_delay_alu instid0(VALU_DEP_1) | instskip(SKIP_1) | instid1(VALU_DEP_1)
	v_cmp_gt_f32_e32 vcc_lo, 0x3f2aaaab, v17
	v_add_f32_e32 v17, -1.0, v19
	v_sub_f32_e32 v21, v17, v19
	v_sub_f32_e32 v17, v18, v17
	s_delay_alu instid0(VALU_DEP_2) | instskip(NEXT) | instid1(VALU_DEP_1)
	v_add_f32_e32 v21, 1.0, v21
	v_add_f32_e32 v17, v17, v21
	v_cmp_gt_f32_e64 s14, 0x33800000, v18
	v_subrev_co_ci_u32_e32 v16, vcc_lo, 0, v16, vcc_lo
	v_cmp_eq_f32_e32 vcc_lo, 0x7f800000, v18
	s_delay_alu instid0(VALU_DEP_2) | instskip(SKIP_2) | instid1(VALU_DEP_2)
	v_sub_nc_u32_e32 v20, 0, v16
	v_cvt_f32_i32_e32 v16, v16
	s_or_b32 vcc_lo, s14, vcc_lo
	v_ldexp_f32 v19, v19, v20
	v_ldexp_f32 v17, v17, v20
	s_delay_alu instid0(VALU_DEP_2) | instskip(NEXT) | instid1(VALU_DEP_1)
	v_add_f32_e32 v22, 1.0, v19
	v_dual_add_f32 v20, -1.0, v19 :: v_dual_add_f32 v21, -1.0, v22
	s_delay_alu instid0(VALU_DEP_1) | instskip(NEXT) | instid1(VALU_DEP_2)
	v_add_f32_e32 v23, 1.0, v20
	v_sub_f32_e32 v21, v19, v21
	s_delay_alu instid0(VALU_DEP_2) | instskip(NEXT) | instid1(VALU_DEP_2)
	v_sub_f32_e32 v19, v19, v23
	v_add_f32_e32 v21, v17, v21
	s_delay_alu instid0(VALU_DEP_2) | instskip(NEXT) | instid1(VALU_DEP_1)
	v_add_f32_e32 v17, v17, v19
	v_add_f32_e32 v24, v20, v17
	s_delay_alu instid0(VALU_DEP_1) | instskip(NEXT) | instid1(VALU_DEP_1)
	v_dual_add_f32 v23, v22, v21 :: v_dual_sub_f32 v20, v20, v24
	v_rcp_f32_e32 v19, v23
	v_sub_f32_e32 v22, v22, v23
	s_delay_alu instid0(VALU_DEP_1) | instskip(SKIP_2) | instid1(VALU_DEP_1)
	v_add_f32_e32 v21, v21, v22
	s_waitcnt_depctr 0xfff
	v_mul_f32_e32 v25, v24, v19
	v_mul_f32_e32 v26, v23, v25
	s_delay_alu instid0(VALU_DEP_1) | instskip(NEXT) | instid1(VALU_DEP_1)
	v_fma_f32 v22, v25, v23, -v26
	v_fmac_f32_e32 v22, v25, v21
	s_delay_alu instid0(VALU_DEP_1) | instskip(NEXT) | instid1(VALU_DEP_1)
	v_add_f32_e32 v27, v26, v22
	v_sub_f32_e32 v28, v24, v27
	s_delay_alu instid0(VALU_DEP_1) | instskip(SKIP_1) | instid1(VALU_DEP_2)
	v_sub_f32_e32 v24, v24, v28
	v_dual_add_f32 v17, v17, v20 :: v_dual_sub_f32 v20, v27, v26
	v_sub_f32_e32 v24, v24, v27
	s_delay_alu instid0(VALU_DEP_1) | instskip(NEXT) | instid1(VALU_DEP_1)
	v_dual_sub_f32 v20, v20, v22 :: v_dual_add_f32 v17, v17, v24
	v_add_f32_e32 v17, v20, v17
	s_delay_alu instid0(VALU_DEP_1) | instskip(NEXT) | instid1(VALU_DEP_1)
	v_add_f32_e32 v20, v28, v17
	v_mul_f32_e32 v22, v19, v20
	s_delay_alu instid0(VALU_DEP_1) | instskip(NEXT) | instid1(VALU_DEP_1)
	v_dual_sub_f32 v27, v28, v20 :: v_dual_mul_f32 v24, v23, v22
	v_add_f32_e32 v17, v17, v27
	s_delay_alu instid0(VALU_DEP_2) | instskip(NEXT) | instid1(VALU_DEP_1)
	v_fma_f32 v23, v22, v23, -v24
	v_fmac_f32_e32 v23, v22, v21
	s_delay_alu instid0(VALU_DEP_1) | instskip(NEXT) | instid1(VALU_DEP_1)
	v_add_f32_e32 v21, v24, v23
	v_sub_f32_e32 v26, v20, v21
	s_delay_alu instid0(VALU_DEP_1) | instskip(NEXT) | instid1(VALU_DEP_1)
	v_sub_f32_e32 v20, v20, v26
	v_sub_f32_e32 v20, v20, v21
	s_delay_alu instid0(VALU_DEP_1) | instskip(SKIP_2) | instid1(VALU_DEP_1)
	v_add_f32_e32 v17, v17, v20
	v_add_f32_e32 v20, v25, v22
	v_sub_f32_e32 v24, v21, v24
	v_sub_f32_e32 v21, v24, v23
	s_delay_alu instid0(VALU_DEP_1) | instskip(NEXT) | instid1(VALU_DEP_4)
	v_add_f32_e32 v17, v21, v17
	v_sub_f32_e32 v21, v20, v25
	s_delay_alu instid0(VALU_DEP_2) | instskip(NEXT) | instid1(VALU_DEP_2)
	v_add_f32_e32 v17, v26, v17
	v_sub_f32_e32 v21, v22, v21
	s_delay_alu instid0(VALU_DEP_2) | instskip(NEXT) | instid1(VALU_DEP_1)
	v_mul_f32_e32 v17, v19, v17
	v_add_f32_e32 v17, v21, v17
	s_delay_alu instid0(VALU_DEP_1) | instskip(NEXT) | instid1(VALU_DEP_1)
	v_add_f32_e32 v19, v20, v17
	v_mul_f32_e32 v21, v19, v19
	s_delay_alu instid0(VALU_DEP_1) | instskip(SKIP_1) | instid1(VALU_DEP_2)
	v_fmaak_f32 v22, s54, v21, 0x3ecc95a3
	v_mul_f32_e32 v23, v19, v21
	v_fmaak_f32 v21, v21, v22, 0x3f2aaada
	v_ldexp_f32 v22, v19, 1
	s_delay_alu instid0(VALU_DEP_2) | instskip(SKIP_1) | instid1(VALU_DEP_2)
	v_mul_f32_e32 v21, v23, v21
	v_sub_f32_e32 v19, v19, v20
	v_dual_mul_f32 v23, 0x3f317218, v16 :: v_dual_add_f32 v20, v22, v21
	s_delay_alu instid0(VALU_DEP_2) | instskip(NEXT) | instid1(VALU_DEP_2)
	v_sub_f32_e32 v17, v17, v19
	v_sub_f32_e32 v19, v20, v22
	s_delay_alu instid0(VALU_DEP_3) | instskip(NEXT) | instid1(VALU_DEP_3)
	v_fma_f32 v22, 0x3f317218, v16, -v23
	v_ldexp_f32 v17, v17, 1
	s_delay_alu instid0(VALU_DEP_2) | instskip(NEXT) | instid1(VALU_DEP_1)
	v_dual_sub_f32 v19, v21, v19 :: v_dual_fmac_f32 v22, 0xb102e308, v16
	v_dual_add_f32 v16, v17, v19 :: v_dual_add_f32 v17, v23, v22
	s_delay_alu instid0(VALU_DEP_1) | instskip(NEXT) | instid1(VALU_DEP_1)
	v_add_f32_e32 v19, v20, v16
	v_dual_add_f32 v21, v17, v19 :: v_dual_sub_f32 v20, v19, v20
	s_delay_alu instid0(VALU_DEP_1) | instskip(NEXT) | instid1(VALU_DEP_2)
	v_sub_f32_e32 v24, v21, v17
	v_dual_sub_f32 v23, v17, v23 :: v_dual_sub_f32 v16, v16, v20
	s_delay_alu instid0(VALU_DEP_1) | instskip(SKIP_1) | instid1(VALU_DEP_2)
	v_dual_sub_f32 v25, v21, v24 :: v_dual_sub_f32 v22, v22, v23
	v_sub_f32_e32 v19, v19, v24
	v_dual_sub_f32 v17, v17, v25 :: v_dual_add_f32 v20, v22, v16
	s_delay_alu instid0(VALU_DEP_1) | instskip(NEXT) | instid1(VALU_DEP_2)
	v_add_f32_e32 v17, v19, v17
	v_sub_f32_e32 v19, v20, v22
	s_delay_alu instid0(VALU_DEP_2) | instskip(NEXT) | instid1(VALU_DEP_2)
	v_add_f32_e32 v17, v20, v17
	v_sub_f32_e32 v20, v20, v19
	s_delay_alu instid0(VALU_DEP_2) | instskip(NEXT) | instid1(VALU_DEP_1)
	v_dual_sub_f32 v16, v16, v19 :: v_dual_add_f32 v23, v21, v17
	v_dual_sub_f32 v20, v22, v20 :: v_dual_sub_f32 v19, v23, v21
	s_delay_alu instid0(VALU_DEP_1) | instskip(NEXT) | instid1(VALU_DEP_1)
	v_dual_add_f32 v16, v16, v20 :: v_dual_sub_f32 v17, v17, v19
	v_add_f32_e32 v16, v16, v17
	s_delay_alu instid0(VALU_DEP_1) | instskip(NEXT) | instid1(VALU_DEP_1)
	v_add_f32_e32 v16, v23, v16
	v_cndmask_b32_e32 v75, v16, v18, vcc_lo
.LBB51_46:                              ;   in Loop: Header=BB51_12 Depth=1
	s_or_b32 exec_lo, exec_lo, s15
	v_and_b32_e32 v16, 0xffff0000, v2
	s_delay_alu instid0(VALU_DEP_1) | instskip(NEXT) | instid1(VALU_DEP_1)
	v_add_f32_e32 v76, s56, v16
	v_cmp_ge_f32_e32 vcc_lo, 0x41a00000, v76
	s_and_b32 s14, s66, vcc_lo
	s_delay_alu instid0(SALU_CYCLE_1)
	s_and_saveexec_b32 s15, s14
	s_cbranch_execz .LBB51_48
; %bb.47:                               ;   in Loop: Header=BB51_12 Depth=1
	v_mul_f32_e32 v16, 0x3fb8aa3b, v76
	v_cmp_ngt_f32_e32 vcc_lo, 0xc2ce8ed0, v76
	s_delay_alu instid0(VALU_DEP_2) | instskip(SKIP_1) | instid1(VALU_DEP_2)
	v_rndne_f32_e32 v17, v16
	v_fma_f32 v18, 0x3fb8aa3b, v76, -v16
	v_sub_f32_e32 v16, v16, v17
	s_delay_alu instid0(VALU_DEP_2) | instskip(SKIP_1) | instid1(VALU_DEP_2)
	v_fmac_f32_e32 v18, 0x32a5705f, v76
	v_cvt_i32_f32_e32 v17, v17
	v_add_f32_e32 v16, v16, v18
	s_delay_alu instid0(VALU_DEP_1) | instskip(SKIP_2) | instid1(VALU_DEP_1)
	v_exp_f32_e32 v16, v16
	s_waitcnt_depctr 0xfff
	v_ldexp_f32 v16, v16, v17
	v_cndmask_b32_e32 v16, 0, v16, vcc_lo
	v_cmp_nlt_f32_e32 vcc_lo, 0x42b17218, v76
	s_delay_alu instid0(VALU_DEP_2) | instskip(NEXT) | instid1(VALU_DEP_1)
	v_cndmask_b32_e32 v18, 0x7f800000, v16, vcc_lo
	v_add_f32_e32 v19, 1.0, v18
	s_delay_alu instid0(VALU_DEP_1) | instskip(NEXT) | instid1(VALU_DEP_1)
	v_cvt_f64_f32_e32 v[16:17], v19
	v_frexp_exp_i32_f64_e32 v16, v[16:17]
	v_frexp_mant_f32_e32 v17, v19
	s_delay_alu instid0(VALU_DEP_1) | instskip(SKIP_1) | instid1(VALU_DEP_1)
	v_cmp_gt_f32_e32 vcc_lo, 0x3f2aaaab, v17
	v_add_f32_e32 v17, -1.0, v19
	v_sub_f32_e32 v21, v17, v19
	v_sub_f32_e32 v17, v18, v17
	s_delay_alu instid0(VALU_DEP_2) | instskip(NEXT) | instid1(VALU_DEP_1)
	v_add_f32_e32 v21, 1.0, v21
	v_add_f32_e32 v17, v17, v21
	v_cmp_gt_f32_e64 s14, 0x33800000, v18
	v_subrev_co_ci_u32_e32 v16, vcc_lo, 0, v16, vcc_lo
	v_cmp_eq_f32_e32 vcc_lo, 0x7f800000, v18
	s_delay_alu instid0(VALU_DEP_2) | instskip(SKIP_2) | instid1(VALU_DEP_2)
	v_sub_nc_u32_e32 v20, 0, v16
	v_cvt_f32_i32_e32 v16, v16
	s_or_b32 vcc_lo, s14, vcc_lo
	v_ldexp_f32 v19, v19, v20
	v_ldexp_f32 v17, v17, v20
	s_delay_alu instid0(VALU_DEP_2) | instskip(NEXT) | instid1(VALU_DEP_1)
	v_add_f32_e32 v22, 1.0, v19
	v_dual_add_f32 v20, -1.0, v19 :: v_dual_add_f32 v21, -1.0, v22
	s_delay_alu instid0(VALU_DEP_1) | instskip(NEXT) | instid1(VALU_DEP_2)
	v_add_f32_e32 v23, 1.0, v20
	v_sub_f32_e32 v21, v19, v21
	s_delay_alu instid0(VALU_DEP_2) | instskip(NEXT) | instid1(VALU_DEP_2)
	v_sub_f32_e32 v19, v19, v23
	v_add_f32_e32 v21, v17, v21
	s_delay_alu instid0(VALU_DEP_2) | instskip(NEXT) | instid1(VALU_DEP_1)
	v_add_f32_e32 v17, v17, v19
	v_add_f32_e32 v24, v20, v17
	s_delay_alu instid0(VALU_DEP_1) | instskip(NEXT) | instid1(VALU_DEP_1)
	v_dual_add_f32 v23, v22, v21 :: v_dual_sub_f32 v20, v20, v24
	v_rcp_f32_e32 v19, v23
	v_sub_f32_e32 v22, v22, v23
	s_delay_alu instid0(VALU_DEP_1) | instskip(SKIP_2) | instid1(VALU_DEP_1)
	v_add_f32_e32 v21, v21, v22
	s_waitcnt_depctr 0xfff
	v_mul_f32_e32 v25, v24, v19
	v_mul_f32_e32 v26, v23, v25
	s_delay_alu instid0(VALU_DEP_1) | instskip(NEXT) | instid1(VALU_DEP_1)
	v_fma_f32 v22, v25, v23, -v26
	v_fmac_f32_e32 v22, v25, v21
	s_delay_alu instid0(VALU_DEP_1) | instskip(NEXT) | instid1(VALU_DEP_1)
	v_add_f32_e32 v27, v26, v22
	v_sub_f32_e32 v28, v24, v27
	s_delay_alu instid0(VALU_DEP_1) | instskip(SKIP_1) | instid1(VALU_DEP_2)
	v_sub_f32_e32 v24, v24, v28
	v_dual_add_f32 v17, v17, v20 :: v_dual_sub_f32 v20, v27, v26
	v_sub_f32_e32 v24, v24, v27
	s_delay_alu instid0(VALU_DEP_1) | instskip(NEXT) | instid1(VALU_DEP_1)
	v_dual_sub_f32 v20, v20, v22 :: v_dual_add_f32 v17, v17, v24
	v_add_f32_e32 v17, v20, v17
	s_delay_alu instid0(VALU_DEP_1) | instskip(NEXT) | instid1(VALU_DEP_1)
	v_add_f32_e32 v20, v28, v17
	v_mul_f32_e32 v22, v19, v20
	s_delay_alu instid0(VALU_DEP_1) | instskip(NEXT) | instid1(VALU_DEP_1)
	v_dual_sub_f32 v27, v28, v20 :: v_dual_mul_f32 v24, v23, v22
	v_add_f32_e32 v17, v17, v27
	s_delay_alu instid0(VALU_DEP_2) | instskip(NEXT) | instid1(VALU_DEP_1)
	v_fma_f32 v23, v22, v23, -v24
	v_fmac_f32_e32 v23, v22, v21
	s_delay_alu instid0(VALU_DEP_1) | instskip(NEXT) | instid1(VALU_DEP_1)
	v_add_f32_e32 v21, v24, v23
	v_sub_f32_e32 v26, v20, v21
	s_delay_alu instid0(VALU_DEP_1) | instskip(NEXT) | instid1(VALU_DEP_1)
	v_sub_f32_e32 v20, v20, v26
	v_sub_f32_e32 v20, v20, v21
	s_delay_alu instid0(VALU_DEP_1) | instskip(SKIP_2) | instid1(VALU_DEP_1)
	v_add_f32_e32 v17, v17, v20
	v_add_f32_e32 v20, v25, v22
	v_sub_f32_e32 v24, v21, v24
	v_sub_f32_e32 v21, v24, v23
	s_delay_alu instid0(VALU_DEP_1) | instskip(NEXT) | instid1(VALU_DEP_4)
	v_add_f32_e32 v17, v21, v17
	v_sub_f32_e32 v21, v20, v25
	s_delay_alu instid0(VALU_DEP_2) | instskip(NEXT) | instid1(VALU_DEP_2)
	v_add_f32_e32 v17, v26, v17
	v_sub_f32_e32 v21, v22, v21
	s_delay_alu instid0(VALU_DEP_2) | instskip(NEXT) | instid1(VALU_DEP_1)
	v_mul_f32_e32 v17, v19, v17
	v_add_f32_e32 v17, v21, v17
	s_delay_alu instid0(VALU_DEP_1) | instskip(NEXT) | instid1(VALU_DEP_1)
	v_add_f32_e32 v19, v20, v17
	v_mul_f32_e32 v21, v19, v19
	s_delay_alu instid0(VALU_DEP_1) | instskip(SKIP_1) | instid1(VALU_DEP_2)
	v_fmaak_f32 v22, s54, v21, 0x3ecc95a3
	v_mul_f32_e32 v23, v19, v21
	v_fmaak_f32 v21, v21, v22, 0x3f2aaada
	v_ldexp_f32 v22, v19, 1
	s_delay_alu instid0(VALU_DEP_2) | instskip(SKIP_1) | instid1(VALU_DEP_2)
	v_mul_f32_e32 v21, v23, v21
	v_sub_f32_e32 v19, v19, v20
	v_dual_mul_f32 v23, 0x3f317218, v16 :: v_dual_add_f32 v20, v22, v21
	s_delay_alu instid0(VALU_DEP_2) | instskip(NEXT) | instid1(VALU_DEP_2)
	v_sub_f32_e32 v17, v17, v19
	v_sub_f32_e32 v19, v20, v22
	s_delay_alu instid0(VALU_DEP_3) | instskip(NEXT) | instid1(VALU_DEP_3)
	v_fma_f32 v22, 0x3f317218, v16, -v23
	v_ldexp_f32 v17, v17, 1
	s_delay_alu instid0(VALU_DEP_2) | instskip(NEXT) | instid1(VALU_DEP_1)
	v_dual_sub_f32 v19, v21, v19 :: v_dual_fmac_f32 v22, 0xb102e308, v16
	v_dual_add_f32 v16, v17, v19 :: v_dual_add_f32 v17, v23, v22
	s_delay_alu instid0(VALU_DEP_1) | instskip(NEXT) | instid1(VALU_DEP_1)
	v_add_f32_e32 v19, v20, v16
	v_dual_add_f32 v21, v17, v19 :: v_dual_sub_f32 v20, v19, v20
	s_delay_alu instid0(VALU_DEP_1) | instskip(NEXT) | instid1(VALU_DEP_2)
	v_sub_f32_e32 v24, v21, v17
	v_dual_sub_f32 v23, v17, v23 :: v_dual_sub_f32 v16, v16, v20
	s_delay_alu instid0(VALU_DEP_1) | instskip(SKIP_1) | instid1(VALU_DEP_2)
	v_dual_sub_f32 v25, v21, v24 :: v_dual_sub_f32 v22, v22, v23
	v_sub_f32_e32 v19, v19, v24
	v_dual_sub_f32 v17, v17, v25 :: v_dual_add_f32 v20, v22, v16
	s_delay_alu instid0(VALU_DEP_1) | instskip(NEXT) | instid1(VALU_DEP_2)
	v_add_f32_e32 v17, v19, v17
	v_sub_f32_e32 v19, v20, v22
	s_delay_alu instid0(VALU_DEP_2) | instskip(NEXT) | instid1(VALU_DEP_2)
	v_add_f32_e32 v17, v20, v17
	v_sub_f32_e32 v20, v20, v19
	s_delay_alu instid0(VALU_DEP_2) | instskip(NEXT) | instid1(VALU_DEP_1)
	v_dual_sub_f32 v16, v16, v19 :: v_dual_add_f32 v23, v21, v17
	v_dual_sub_f32 v20, v22, v20 :: v_dual_sub_f32 v19, v23, v21
	s_delay_alu instid0(VALU_DEP_1) | instskip(NEXT) | instid1(VALU_DEP_1)
	v_dual_add_f32 v16, v16, v20 :: v_dual_sub_f32 v17, v17, v19
	v_add_f32_e32 v16, v16, v17
	s_delay_alu instid0(VALU_DEP_1) | instskip(NEXT) | instid1(VALU_DEP_1)
	v_add_f32_e32 v16, v23, v16
	v_cndmask_b32_e32 v76, v16, v18, vcc_lo
.LBB51_48:                              ;   in Loop: Header=BB51_12 Depth=1
	s_or_b32 exec_lo, exec_lo, s15
	v_lshlrev_b32_e32 v16, 16, v3
	s_delay_alu instid0(VALU_DEP_1) | instskip(NEXT) | instid1(VALU_DEP_1)
	v_add_f32_e32 v77, s56, v16
	v_cmp_ge_f32_e32 vcc_lo, 0x41a00000, v77
	s_and_b32 s14, s66, vcc_lo
	s_delay_alu instid0(SALU_CYCLE_1)
	s_and_saveexec_b32 s15, s14
	s_cbranch_execz .LBB51_50
; %bb.49:                               ;   in Loop: Header=BB51_12 Depth=1
	v_mul_f32_e32 v16, 0x3fb8aa3b, v77
	v_cmp_ngt_f32_e32 vcc_lo, 0xc2ce8ed0, v77
	s_delay_alu instid0(VALU_DEP_2) | instskip(SKIP_1) | instid1(VALU_DEP_2)
	v_rndne_f32_e32 v17, v16
	v_fma_f32 v18, 0x3fb8aa3b, v77, -v16
	v_sub_f32_e32 v16, v16, v17
	s_delay_alu instid0(VALU_DEP_2) | instskip(SKIP_1) | instid1(VALU_DEP_2)
	v_fmac_f32_e32 v18, 0x32a5705f, v77
	v_cvt_i32_f32_e32 v17, v17
	v_add_f32_e32 v16, v16, v18
	s_delay_alu instid0(VALU_DEP_1) | instskip(SKIP_2) | instid1(VALU_DEP_1)
	v_exp_f32_e32 v16, v16
	s_waitcnt_depctr 0xfff
	v_ldexp_f32 v16, v16, v17
	v_cndmask_b32_e32 v16, 0, v16, vcc_lo
	v_cmp_nlt_f32_e32 vcc_lo, 0x42b17218, v77
	s_delay_alu instid0(VALU_DEP_2) | instskip(NEXT) | instid1(VALU_DEP_1)
	v_cndmask_b32_e32 v18, 0x7f800000, v16, vcc_lo
	v_add_f32_e32 v19, 1.0, v18
	s_delay_alu instid0(VALU_DEP_1) | instskip(NEXT) | instid1(VALU_DEP_1)
	v_cvt_f64_f32_e32 v[16:17], v19
	v_frexp_exp_i32_f64_e32 v16, v[16:17]
	v_frexp_mant_f32_e32 v17, v19
	s_delay_alu instid0(VALU_DEP_1) | instskip(SKIP_1) | instid1(VALU_DEP_1)
	v_cmp_gt_f32_e32 vcc_lo, 0x3f2aaaab, v17
	v_add_f32_e32 v17, -1.0, v19
	v_sub_f32_e32 v21, v17, v19
	v_sub_f32_e32 v17, v18, v17
	s_delay_alu instid0(VALU_DEP_2) | instskip(NEXT) | instid1(VALU_DEP_1)
	v_add_f32_e32 v21, 1.0, v21
	v_add_f32_e32 v17, v17, v21
	v_cmp_gt_f32_e64 s14, 0x33800000, v18
	v_subrev_co_ci_u32_e32 v16, vcc_lo, 0, v16, vcc_lo
	v_cmp_eq_f32_e32 vcc_lo, 0x7f800000, v18
	s_delay_alu instid0(VALU_DEP_2) | instskip(SKIP_2) | instid1(VALU_DEP_2)
	v_sub_nc_u32_e32 v20, 0, v16
	v_cvt_f32_i32_e32 v16, v16
	s_or_b32 vcc_lo, s14, vcc_lo
	v_ldexp_f32 v19, v19, v20
	v_ldexp_f32 v17, v17, v20
	s_delay_alu instid0(VALU_DEP_2) | instskip(NEXT) | instid1(VALU_DEP_1)
	v_add_f32_e32 v22, 1.0, v19
	v_dual_add_f32 v20, -1.0, v19 :: v_dual_add_f32 v21, -1.0, v22
	s_delay_alu instid0(VALU_DEP_1) | instskip(NEXT) | instid1(VALU_DEP_2)
	v_add_f32_e32 v23, 1.0, v20
	v_sub_f32_e32 v21, v19, v21
	s_delay_alu instid0(VALU_DEP_2) | instskip(NEXT) | instid1(VALU_DEP_2)
	v_sub_f32_e32 v19, v19, v23
	v_add_f32_e32 v21, v17, v21
	s_delay_alu instid0(VALU_DEP_2) | instskip(NEXT) | instid1(VALU_DEP_1)
	v_add_f32_e32 v17, v17, v19
	v_add_f32_e32 v24, v20, v17
	s_delay_alu instid0(VALU_DEP_1) | instskip(NEXT) | instid1(VALU_DEP_1)
	v_dual_add_f32 v23, v22, v21 :: v_dual_sub_f32 v20, v20, v24
	v_rcp_f32_e32 v19, v23
	v_sub_f32_e32 v22, v22, v23
	s_delay_alu instid0(VALU_DEP_1) | instskip(SKIP_2) | instid1(VALU_DEP_1)
	v_add_f32_e32 v21, v21, v22
	s_waitcnt_depctr 0xfff
	v_mul_f32_e32 v25, v24, v19
	v_mul_f32_e32 v26, v23, v25
	s_delay_alu instid0(VALU_DEP_1) | instskip(NEXT) | instid1(VALU_DEP_1)
	v_fma_f32 v22, v25, v23, -v26
	v_fmac_f32_e32 v22, v25, v21
	s_delay_alu instid0(VALU_DEP_1) | instskip(NEXT) | instid1(VALU_DEP_1)
	v_add_f32_e32 v27, v26, v22
	v_sub_f32_e32 v28, v24, v27
	s_delay_alu instid0(VALU_DEP_1) | instskip(SKIP_1) | instid1(VALU_DEP_2)
	v_sub_f32_e32 v24, v24, v28
	v_dual_add_f32 v17, v17, v20 :: v_dual_sub_f32 v20, v27, v26
	v_sub_f32_e32 v24, v24, v27
	s_delay_alu instid0(VALU_DEP_1) | instskip(NEXT) | instid1(VALU_DEP_1)
	v_dual_sub_f32 v20, v20, v22 :: v_dual_add_f32 v17, v17, v24
	v_add_f32_e32 v17, v20, v17
	s_delay_alu instid0(VALU_DEP_1) | instskip(NEXT) | instid1(VALU_DEP_1)
	v_add_f32_e32 v20, v28, v17
	v_mul_f32_e32 v22, v19, v20
	s_delay_alu instid0(VALU_DEP_1) | instskip(NEXT) | instid1(VALU_DEP_1)
	v_dual_sub_f32 v27, v28, v20 :: v_dual_mul_f32 v24, v23, v22
	v_add_f32_e32 v17, v17, v27
	s_delay_alu instid0(VALU_DEP_2) | instskip(NEXT) | instid1(VALU_DEP_1)
	v_fma_f32 v23, v22, v23, -v24
	v_fmac_f32_e32 v23, v22, v21
	s_delay_alu instid0(VALU_DEP_1) | instskip(NEXT) | instid1(VALU_DEP_1)
	v_add_f32_e32 v21, v24, v23
	v_sub_f32_e32 v26, v20, v21
	s_delay_alu instid0(VALU_DEP_1) | instskip(NEXT) | instid1(VALU_DEP_1)
	v_sub_f32_e32 v20, v20, v26
	v_sub_f32_e32 v20, v20, v21
	s_delay_alu instid0(VALU_DEP_1) | instskip(SKIP_2) | instid1(VALU_DEP_1)
	v_add_f32_e32 v17, v17, v20
	v_add_f32_e32 v20, v25, v22
	v_sub_f32_e32 v24, v21, v24
	v_sub_f32_e32 v21, v24, v23
	s_delay_alu instid0(VALU_DEP_1) | instskip(NEXT) | instid1(VALU_DEP_4)
	v_add_f32_e32 v17, v21, v17
	v_sub_f32_e32 v21, v20, v25
	s_delay_alu instid0(VALU_DEP_2) | instskip(NEXT) | instid1(VALU_DEP_2)
	v_add_f32_e32 v17, v26, v17
	v_sub_f32_e32 v21, v22, v21
	s_delay_alu instid0(VALU_DEP_2) | instskip(NEXT) | instid1(VALU_DEP_1)
	v_mul_f32_e32 v17, v19, v17
	v_add_f32_e32 v17, v21, v17
	s_delay_alu instid0(VALU_DEP_1) | instskip(NEXT) | instid1(VALU_DEP_1)
	v_add_f32_e32 v19, v20, v17
	v_mul_f32_e32 v21, v19, v19
	s_delay_alu instid0(VALU_DEP_1) | instskip(SKIP_1) | instid1(VALU_DEP_2)
	v_fmaak_f32 v22, s54, v21, 0x3ecc95a3
	v_mul_f32_e32 v23, v19, v21
	v_fmaak_f32 v21, v21, v22, 0x3f2aaada
	v_ldexp_f32 v22, v19, 1
	s_delay_alu instid0(VALU_DEP_2) | instskip(SKIP_1) | instid1(VALU_DEP_2)
	v_mul_f32_e32 v21, v23, v21
	v_sub_f32_e32 v19, v19, v20
	v_dual_mul_f32 v23, 0x3f317218, v16 :: v_dual_add_f32 v20, v22, v21
	s_delay_alu instid0(VALU_DEP_2) | instskip(NEXT) | instid1(VALU_DEP_2)
	v_sub_f32_e32 v17, v17, v19
	v_sub_f32_e32 v19, v20, v22
	s_delay_alu instid0(VALU_DEP_3) | instskip(NEXT) | instid1(VALU_DEP_3)
	v_fma_f32 v22, 0x3f317218, v16, -v23
	v_ldexp_f32 v17, v17, 1
	s_delay_alu instid0(VALU_DEP_2) | instskip(NEXT) | instid1(VALU_DEP_1)
	v_dual_sub_f32 v19, v21, v19 :: v_dual_fmac_f32 v22, 0xb102e308, v16
	v_dual_add_f32 v16, v17, v19 :: v_dual_add_f32 v17, v23, v22
	s_delay_alu instid0(VALU_DEP_1) | instskip(NEXT) | instid1(VALU_DEP_1)
	v_add_f32_e32 v19, v20, v16
	v_dual_add_f32 v21, v17, v19 :: v_dual_sub_f32 v20, v19, v20
	s_delay_alu instid0(VALU_DEP_1) | instskip(NEXT) | instid1(VALU_DEP_2)
	v_sub_f32_e32 v24, v21, v17
	v_dual_sub_f32 v23, v17, v23 :: v_dual_sub_f32 v16, v16, v20
	s_delay_alu instid0(VALU_DEP_1) | instskip(SKIP_1) | instid1(VALU_DEP_2)
	v_dual_sub_f32 v25, v21, v24 :: v_dual_sub_f32 v22, v22, v23
	v_sub_f32_e32 v19, v19, v24
	v_dual_sub_f32 v17, v17, v25 :: v_dual_add_f32 v20, v22, v16
	s_delay_alu instid0(VALU_DEP_1) | instskip(NEXT) | instid1(VALU_DEP_2)
	v_add_f32_e32 v17, v19, v17
	v_sub_f32_e32 v19, v20, v22
	s_delay_alu instid0(VALU_DEP_2) | instskip(NEXT) | instid1(VALU_DEP_2)
	v_add_f32_e32 v17, v20, v17
	v_sub_f32_e32 v20, v20, v19
	s_delay_alu instid0(VALU_DEP_2) | instskip(NEXT) | instid1(VALU_DEP_1)
	v_dual_sub_f32 v16, v16, v19 :: v_dual_add_f32 v23, v21, v17
	v_dual_sub_f32 v20, v22, v20 :: v_dual_sub_f32 v19, v23, v21
	s_delay_alu instid0(VALU_DEP_1) | instskip(NEXT) | instid1(VALU_DEP_1)
	v_dual_add_f32 v16, v16, v20 :: v_dual_sub_f32 v17, v17, v19
	v_add_f32_e32 v16, v16, v17
	s_delay_alu instid0(VALU_DEP_1) | instskip(NEXT) | instid1(VALU_DEP_1)
	v_add_f32_e32 v16, v23, v16
	v_cndmask_b32_e32 v77, v16, v18, vcc_lo
.LBB51_50:                              ;   in Loop: Header=BB51_12 Depth=1
	s_or_b32 exec_lo, exec_lo, s15
	v_and_b32_e32 v16, 0xffff0000, v3
	s_delay_alu instid0(VALU_DEP_1) | instskip(NEXT) | instid1(VALU_DEP_1)
	v_add_f32_e32 v94, s56, v16
	v_cmp_ge_f32_e32 vcc_lo, 0x41a00000, v94
	s_and_b32 s14, s66, vcc_lo
	s_delay_alu instid0(SALU_CYCLE_1)
	s_and_saveexec_b32 s15, s14
	s_cbranch_execz .LBB51_52
; %bb.51:                               ;   in Loop: Header=BB51_12 Depth=1
	v_mul_f32_e32 v16, 0x3fb8aa3b, v94
	v_cmp_ngt_f32_e32 vcc_lo, 0xc2ce8ed0, v94
	s_delay_alu instid0(VALU_DEP_2) | instskip(SKIP_1) | instid1(VALU_DEP_2)
	v_rndne_f32_e32 v17, v16
	v_fma_f32 v18, 0x3fb8aa3b, v94, -v16
	v_sub_f32_e32 v16, v16, v17
	s_delay_alu instid0(VALU_DEP_2) | instskip(SKIP_1) | instid1(VALU_DEP_2)
	v_fmac_f32_e32 v18, 0x32a5705f, v94
	v_cvt_i32_f32_e32 v17, v17
	v_add_f32_e32 v16, v16, v18
	s_delay_alu instid0(VALU_DEP_1) | instskip(SKIP_2) | instid1(VALU_DEP_1)
	v_exp_f32_e32 v16, v16
	s_waitcnt_depctr 0xfff
	v_ldexp_f32 v16, v16, v17
	v_cndmask_b32_e32 v16, 0, v16, vcc_lo
	v_cmp_nlt_f32_e32 vcc_lo, 0x42b17218, v94
	s_delay_alu instid0(VALU_DEP_2) | instskip(NEXT) | instid1(VALU_DEP_1)
	v_cndmask_b32_e32 v18, 0x7f800000, v16, vcc_lo
	v_add_f32_e32 v19, 1.0, v18
	s_delay_alu instid0(VALU_DEP_1) | instskip(NEXT) | instid1(VALU_DEP_1)
	v_cvt_f64_f32_e32 v[16:17], v19
	v_frexp_exp_i32_f64_e32 v16, v[16:17]
	v_frexp_mant_f32_e32 v17, v19
	s_delay_alu instid0(VALU_DEP_1) | instskip(SKIP_1) | instid1(VALU_DEP_1)
	v_cmp_gt_f32_e32 vcc_lo, 0x3f2aaaab, v17
	v_add_f32_e32 v17, -1.0, v19
	v_sub_f32_e32 v21, v17, v19
	v_sub_f32_e32 v17, v18, v17
	s_delay_alu instid0(VALU_DEP_2) | instskip(NEXT) | instid1(VALU_DEP_1)
	v_add_f32_e32 v21, 1.0, v21
	v_add_f32_e32 v17, v17, v21
	v_cmp_gt_f32_e64 s14, 0x33800000, v18
	v_subrev_co_ci_u32_e32 v16, vcc_lo, 0, v16, vcc_lo
	v_cmp_eq_f32_e32 vcc_lo, 0x7f800000, v18
	s_delay_alu instid0(VALU_DEP_2) | instskip(SKIP_2) | instid1(VALU_DEP_2)
	v_sub_nc_u32_e32 v20, 0, v16
	v_cvt_f32_i32_e32 v16, v16
	s_or_b32 vcc_lo, s14, vcc_lo
	v_ldexp_f32 v19, v19, v20
	v_ldexp_f32 v17, v17, v20
	s_delay_alu instid0(VALU_DEP_2) | instskip(NEXT) | instid1(VALU_DEP_1)
	v_add_f32_e32 v22, 1.0, v19
	v_dual_add_f32 v20, -1.0, v19 :: v_dual_add_f32 v21, -1.0, v22
	s_delay_alu instid0(VALU_DEP_1) | instskip(NEXT) | instid1(VALU_DEP_2)
	v_add_f32_e32 v23, 1.0, v20
	v_sub_f32_e32 v21, v19, v21
	s_delay_alu instid0(VALU_DEP_2) | instskip(NEXT) | instid1(VALU_DEP_2)
	v_sub_f32_e32 v19, v19, v23
	v_add_f32_e32 v21, v17, v21
	s_delay_alu instid0(VALU_DEP_2) | instskip(NEXT) | instid1(VALU_DEP_1)
	v_add_f32_e32 v17, v17, v19
	v_add_f32_e32 v24, v20, v17
	s_delay_alu instid0(VALU_DEP_1) | instskip(NEXT) | instid1(VALU_DEP_1)
	v_dual_add_f32 v23, v22, v21 :: v_dual_sub_f32 v20, v20, v24
	v_rcp_f32_e32 v19, v23
	v_sub_f32_e32 v22, v22, v23
	s_delay_alu instid0(VALU_DEP_1) | instskip(SKIP_2) | instid1(VALU_DEP_1)
	v_add_f32_e32 v21, v21, v22
	s_waitcnt_depctr 0xfff
	v_mul_f32_e32 v25, v24, v19
	v_mul_f32_e32 v26, v23, v25
	s_delay_alu instid0(VALU_DEP_1) | instskip(NEXT) | instid1(VALU_DEP_1)
	v_fma_f32 v22, v25, v23, -v26
	v_fmac_f32_e32 v22, v25, v21
	s_delay_alu instid0(VALU_DEP_1) | instskip(NEXT) | instid1(VALU_DEP_1)
	v_add_f32_e32 v27, v26, v22
	v_sub_f32_e32 v28, v24, v27
	s_delay_alu instid0(VALU_DEP_1) | instskip(SKIP_1) | instid1(VALU_DEP_2)
	v_sub_f32_e32 v24, v24, v28
	v_dual_add_f32 v17, v17, v20 :: v_dual_sub_f32 v20, v27, v26
	v_sub_f32_e32 v24, v24, v27
	s_delay_alu instid0(VALU_DEP_1) | instskip(NEXT) | instid1(VALU_DEP_1)
	v_dual_sub_f32 v20, v20, v22 :: v_dual_add_f32 v17, v17, v24
	v_add_f32_e32 v17, v20, v17
	s_delay_alu instid0(VALU_DEP_1) | instskip(NEXT) | instid1(VALU_DEP_1)
	v_add_f32_e32 v20, v28, v17
	v_mul_f32_e32 v22, v19, v20
	s_delay_alu instid0(VALU_DEP_1) | instskip(NEXT) | instid1(VALU_DEP_1)
	v_dual_sub_f32 v27, v28, v20 :: v_dual_mul_f32 v24, v23, v22
	v_add_f32_e32 v17, v17, v27
	s_delay_alu instid0(VALU_DEP_2) | instskip(NEXT) | instid1(VALU_DEP_1)
	v_fma_f32 v23, v22, v23, -v24
	v_fmac_f32_e32 v23, v22, v21
	s_delay_alu instid0(VALU_DEP_1) | instskip(NEXT) | instid1(VALU_DEP_1)
	v_add_f32_e32 v21, v24, v23
	v_sub_f32_e32 v26, v20, v21
	s_delay_alu instid0(VALU_DEP_1) | instskip(NEXT) | instid1(VALU_DEP_1)
	v_sub_f32_e32 v20, v20, v26
	v_sub_f32_e32 v20, v20, v21
	s_delay_alu instid0(VALU_DEP_1) | instskip(SKIP_2) | instid1(VALU_DEP_1)
	v_add_f32_e32 v17, v17, v20
	v_add_f32_e32 v20, v25, v22
	v_sub_f32_e32 v24, v21, v24
	v_sub_f32_e32 v21, v24, v23
	s_delay_alu instid0(VALU_DEP_1) | instskip(NEXT) | instid1(VALU_DEP_4)
	v_add_f32_e32 v17, v21, v17
	v_sub_f32_e32 v21, v20, v25
	s_delay_alu instid0(VALU_DEP_2) | instskip(NEXT) | instid1(VALU_DEP_2)
	v_add_f32_e32 v17, v26, v17
	v_sub_f32_e32 v21, v22, v21
	s_delay_alu instid0(VALU_DEP_2) | instskip(NEXT) | instid1(VALU_DEP_1)
	v_mul_f32_e32 v17, v19, v17
	v_add_f32_e32 v17, v21, v17
	s_delay_alu instid0(VALU_DEP_1) | instskip(NEXT) | instid1(VALU_DEP_1)
	v_add_f32_e32 v19, v20, v17
	v_mul_f32_e32 v21, v19, v19
	s_delay_alu instid0(VALU_DEP_1) | instskip(SKIP_1) | instid1(VALU_DEP_2)
	v_fmaak_f32 v22, s54, v21, 0x3ecc95a3
	v_mul_f32_e32 v23, v19, v21
	v_fmaak_f32 v21, v21, v22, 0x3f2aaada
	v_ldexp_f32 v22, v19, 1
	s_delay_alu instid0(VALU_DEP_2) | instskip(SKIP_1) | instid1(VALU_DEP_2)
	v_mul_f32_e32 v21, v23, v21
	v_sub_f32_e32 v19, v19, v20
	v_dual_mul_f32 v23, 0x3f317218, v16 :: v_dual_add_f32 v20, v22, v21
	s_delay_alu instid0(VALU_DEP_2) | instskip(NEXT) | instid1(VALU_DEP_2)
	v_sub_f32_e32 v17, v17, v19
	v_sub_f32_e32 v19, v20, v22
	s_delay_alu instid0(VALU_DEP_3) | instskip(NEXT) | instid1(VALU_DEP_3)
	v_fma_f32 v22, 0x3f317218, v16, -v23
	v_ldexp_f32 v17, v17, 1
	s_delay_alu instid0(VALU_DEP_2) | instskip(NEXT) | instid1(VALU_DEP_1)
	v_dual_sub_f32 v19, v21, v19 :: v_dual_fmac_f32 v22, 0xb102e308, v16
	v_dual_add_f32 v16, v17, v19 :: v_dual_add_f32 v17, v23, v22
	s_delay_alu instid0(VALU_DEP_1) | instskip(NEXT) | instid1(VALU_DEP_1)
	v_add_f32_e32 v19, v20, v16
	v_dual_add_f32 v21, v17, v19 :: v_dual_sub_f32 v20, v19, v20
	s_delay_alu instid0(VALU_DEP_1) | instskip(NEXT) | instid1(VALU_DEP_2)
	v_sub_f32_e32 v24, v21, v17
	v_dual_sub_f32 v23, v17, v23 :: v_dual_sub_f32 v16, v16, v20
	s_delay_alu instid0(VALU_DEP_1) | instskip(SKIP_1) | instid1(VALU_DEP_2)
	v_dual_sub_f32 v25, v21, v24 :: v_dual_sub_f32 v22, v22, v23
	v_sub_f32_e32 v19, v19, v24
	v_dual_sub_f32 v17, v17, v25 :: v_dual_add_f32 v20, v22, v16
	s_delay_alu instid0(VALU_DEP_1) | instskip(NEXT) | instid1(VALU_DEP_2)
	v_add_f32_e32 v17, v19, v17
	v_sub_f32_e32 v19, v20, v22
	s_delay_alu instid0(VALU_DEP_2) | instskip(NEXT) | instid1(VALU_DEP_2)
	v_add_f32_e32 v17, v20, v17
	v_sub_f32_e32 v20, v20, v19
	s_delay_alu instid0(VALU_DEP_2) | instskip(NEXT) | instid1(VALU_DEP_1)
	v_dual_sub_f32 v16, v16, v19 :: v_dual_add_f32 v23, v21, v17
	v_dual_sub_f32 v20, v22, v20 :: v_dual_sub_f32 v19, v23, v21
	s_delay_alu instid0(VALU_DEP_1) | instskip(NEXT) | instid1(VALU_DEP_1)
	v_dual_add_f32 v16, v16, v20 :: v_dual_sub_f32 v17, v17, v19
	v_add_f32_e32 v16, v16, v17
	s_delay_alu instid0(VALU_DEP_1) | instskip(NEXT) | instid1(VALU_DEP_1)
	v_add_f32_e32 v16, v23, v16
	v_cndmask_b32_e32 v94, v16, v18, vcc_lo
.LBB51_52:                              ;   in Loop: Header=BB51_12 Depth=1
	s_or_b32 exec_lo, exec_lo, s15
	v_lshlrev_b32_e32 v31, 16, v12
	v_and_b32_e32 v30, 0xffff0000, v12
	v_lshlrev_b32_e32 v20, 16, v9
	v_lshlrev_b32_e32 v16, 16, v11
	v_and_b32_e32 v21, 0xffff0000, v8
	v_mul_f32_e32 v93, s57, v31
	v_dual_mul_f32 v92, s57, v30 :: v_dual_lshlrev_b32 v29, 16, v13
	v_lshlrev_b32_e32 v24, 16, v15
	s_delay_alu instid0(VALU_DEP_4) | instskip(SKIP_1) | instid1(VALU_DEP_4)
	v_dual_mul_f32 v82, s57, v21 :: v_dual_and_b32 v17, 0xffff0000, v10
	v_and_b32_e32 v28, 0xffff0000, v13
	v_mul_f32_e32 v91, s57, v29
	s_delay_alu instid0(VALU_DEP_4) | instskip(NEXT) | instid1(VALU_DEP_4)
	v_mul_f32_e32 v89, s57, v24
	v_dual_mul_f32 v78, s57, v17 :: v_dual_lshlrev_b32 v27, 16, v14
	s_delay_alu instid0(VALU_DEP_4) | instskip(NEXT) | instid1(VALU_DEP_2)
	v_dual_mul_f32 v86, s57, v28 :: v_dual_and_b32 v23, 0xffff0000, v15
	v_dual_mul_f32 v90, s57, v27 :: v_dual_and_b32 v25, 0xffff0000, v14
	v_dual_mul_f32 v83, s57, v20 :: v_dual_lshlrev_b32 v18, 16, v10
	v_mul_f32_e32 v79, s57, v16
	v_and_b32_e32 v19, 0xffff0000, v9
	s_delay_alu instid0(VALU_DEP_4) | instskip(SKIP_1) | instid1(VALU_DEP_3)
	v_dual_mul_f32 v87, s57, v25 :: v_dual_lshlrev_b32 v22, 16, v8
	v_and_b32_e32 v26, 0xffff0000, v11
	v_dual_mul_f32 v80, s57, v18 :: v_dual_mul_f32 v81, s57, v19
	s_delay_alu instid0(VALU_DEP_3) | instskip(NEXT) | instid1(VALU_DEP_3)
	v_dual_mul_f32 v85, s57, v22 :: v_dual_mul_f32 v88, s57, v23
	v_mul_f32_e32 v84, s57, v26
	s_lshl_b32 s38, s71, 10
	s_and_b32 vcc_lo, exec_lo, s67
	s_barrier
	buffer_gl0_inv
	s_cbranch_vccz .LBB51_11
; %bb.53:                               ;   in Loop: Header=BB51_12 Depth=1
	v_dual_mul_f32 v95, v94, v26 :: v_dual_mul_f32 v100, v77, v16
	v_add_co_u32 v26, s14, s41, v61
	s_delay_alu instid0(VALU_DEP_1) | instskip(SKIP_1) | instid1(VALU_DEP_1)
	v_add_co_ci_u32_e64 v32, null, s61, 0, s14
	v_add_co_u32 v33, s14, s45, v61
	v_add_co_ci_u32_e64 v99, null, s62, 0, s14
	s_delay_alu instid0(VALU_DEP_4) | instskip(NEXT) | instid1(VALU_DEP_4)
	v_add_co_u32 v96, vcc_lo, v26, v62
	v_add_co_ci_u32_e32 v97, vcc_lo, 0, v32, vcc_lo
	s_delay_alu instid0(VALU_DEP_4)
	v_add_co_u32 v98, vcc_lo, v33, v62
	s_sub_i32 s25, s34, s38
	v_add_co_ci_u32_e32 v99, vcc_lo, 0, v99, vcc_lo
	v_cmp_gt_u32_e32 vcc_lo, s25, v40
	s_cmp_lg_u32 s71, 0
	v_cmp_gt_u32_e64 s16, s25, v47
	s_cselect_b32 s39, -1, 0
	s_cmp_eq_u32 s71, s69
	v_cmp_gt_u32_e64 s17, s25, v48
	s_cselect_b32 s72, -1, 0
	s_or_b32 s14, s68, vcc_lo
	v_cmp_gt_u32_e32 vcc_lo, s25, v46
	v_cmp_gt_u32_e64 s18, s25, v49
	v_cmp_gt_u32_e64 s19, s25, v50
	;; [unrolled: 1-line block ×4, first 2 shown]
	s_or_b32 s15, s68, vcc_lo
	v_cmp_gt_u32_e32 vcc_lo, s25, v51
	v_cmp_gt_u32_e64 s23, s25, v54
	v_cmp_gt_u32_e64 s24, s25, v55
	;; [unrolled: 1-line block ×4, first 2 shown]
	s_or_b32 s20, s68, vcc_lo
	v_cmp_gt_u32_e32 vcc_lo, s25, v56
	v_cmp_gt_u32_e64 s28, s25, v59
	v_cmp_gt_u32_e64 s29, s25, v60
	v_dual_mul_f32 v101, v76, v17 :: v_dual_mul_f32 v102, v75, v18
	v_dual_mul_f32 v103, v74, v19 :: v_dual_mul_f32 v104, v73, v20
	;; [unrolled: 1-line block ×7, first 2 shown]
	s_mov_b32 s52, 0
	s_or_b32 s16, s68, s16
	s_or_b32 s17, s68, s17
	;; [unrolled: 1-line block ×8, first 2 shown]
	s_or_b32 s25, s68, vcc_lo
	s_or_b32 s26, s68, s26
	s_or_b32 s27, s68, s27
	;; [unrolled: 1-line block ×4, first 2 shown]
	s_mov_b32 s42, s52
	s_mov_b32 s46, s52
	;; [unrolled: 1-line block ×5, first 2 shown]
	s_branch .LBB51_55
.LBB51_54:                              ;   in Loop: Header=BB51_55 Depth=2
	s_or_b32 exec_lo, exec_lo, s30
	v_cndmask_b32_e64 v25, v144, v27, s13
	v_cndmask_b32_e64 v26, v143, v26, s13
	s_add_i32 s73, s73, -1
	s_add_i32 s74, s74, 8
	s_add_i32 s48, s48, s50
	v_fma_f32 v25, v25, v118, v117
	v_mul_f32_e32 v26, v26, v118
	s_add_i32 s46, s46, s44
	s_add_i32 s42, s42, s40
	;; [unrolled: 1-line block ×3, first 2 shown]
	v_cndmask_b32_e64 v25, v25, v117, s12
	v_cndmask_b32_e64 v26, v26, v118, s12
	s_cmp_eq_u32 s73, 0
	v_and_b32_e32 v27, 0xffff0000, v22
	s_waitcnt lgkmcnt(0)
	s_delay_alu instid0(VALU_DEP_2) | instskip(SKIP_1) | instid1(VALU_DEP_2)
	v_dual_fmac_f32 v25, v24, v26 :: v_dual_and_b32 v24, 0xffff0000, v20
	v_lshlrev_b32_e32 v20, 16, v20
	v_fmac_f32_e32 v28, v25, v120
	s_delay_alu instid0(VALU_DEP_1) | instskip(NEXT) | instid1(VALU_DEP_1)
	v_fmac_f32_e32 v29, v28, v121
	v_fmac_f32_e32 v30, v29, v123
	s_delay_alu instid0(VALU_DEP_4) | instskip(SKIP_1) | instid1(VALU_DEP_3)
	v_dual_fmac_f32 v93, v25, v20 :: v_dual_and_b32 v26, 0xffff0000, v21
	v_lshlrev_b32_e32 v21, 16, v21
	v_dual_fmac_f32 v31, v30, v126 :: v_dual_and_b32 v32, 0xffff0000, v23
	v_dual_fmac_f32 v92, v28, v24 :: v_dual_lshlrev_b32 v23, 16, v23
	s_delay_alu instid0(VALU_DEP_3) | instskip(NEXT) | instid1(VALU_DEP_3)
	v_dual_fmac_f32 v91, v29, v21 :: v_dual_fmac_f32 v86, v30, v26
	v_dual_fmac_f32 v115, v31, v127 :: v_dual_and_b32 v118, 0xffff0000, v18
	s_delay_alu instid0(VALU_DEP_1) | instskip(SKIP_1) | instid1(VALU_DEP_1)
	v_fmac_f32_e32 v87, v115, v27
	v_fmac_f32_e32 v116, v115, v128
	v_dual_fmac_f32 v89, v116, v23 :: v_dual_lshlrev_b32 v18, 16, v18
	v_fmac_f32_e32 v119, v116, v129
	s_delay_alu instid0(VALU_DEP_1) | instskip(NEXT) | instid1(VALU_DEP_1)
	v_fmac_f32_e32 v122, v119, v131
	v_fmac_f32_e32 v124, v122, v132
	s_delay_alu instid0(VALU_DEP_1) | instskip(NEXT) | instid1(VALU_DEP_1)
	v_dual_fmac_f32 v125, v124, v133 :: v_dual_lshlrev_b32 v22, 16, v22
	v_dual_fmac_f32 v130, v125, v141 :: v_dual_and_b32 v33, 0xffff0000, v16
	v_and_b32_e32 v117, 0xffff0000, v17
	v_dual_fmac_f32 v88, v119, v32 :: v_dual_lshlrev_b32 v17, 16, v17
	s_delay_alu instid0(VALU_DEP_3) | instskip(NEXT) | instid1(VALU_DEP_2)
	v_fmac_f32_e32 v134, v130, v136
	v_dual_fmac_f32 v83, v125, v17 :: v_dual_lshlrev_b32 v16, 16, v16
	s_delay_alu instid0(VALU_DEP_2) | instskip(SKIP_1) | instid1(VALU_DEP_3)
	v_dual_fmac_f32 v135, v134, v138 :: v_dual_and_b32 v120, 0xffff0000, v19
	v_dual_fmac_f32 v90, v31, v22 :: v_dual_lshlrev_b32 v19, 16, v19
	v_fmac_f32_e32 v85, v122, v16
	s_delay_alu instid0(VALU_DEP_3) | instskip(SKIP_1) | instid1(VALU_DEP_2)
	v_dual_fmac_f32 v137, v135, v140 :: v_dual_fmac_f32 v82, v124, v33
	v_dual_fmac_f32 v81, v130, v117 :: v_dual_fmac_f32 v78, v135, v118
	v_dual_fmac_f32 v80, v134, v18 :: v_dual_fmac_f32 v79, v137, v19
	v_fmac_f32_e32 v139, v137, v142
	s_delay_alu instid0(VALU_DEP_1)
	v_fmac_f32_e32 v84, v139, v120
	s_cbranch_scc1 .LBB51_11
.LBB51_55:                              ;   Parent Loop BB51_12 Depth=1
                                        ; =>  This Inner Loop Header: Depth=2
	s_lshl_b64 s[30:31], s[52:53], 2
	s_mov_b32 s43, s53
	s_add_u32 s30, s60, s30
	s_addc_u32 s31, s51, s31
	s_lshl_b64 s[76:77], s[42:43], 1
	s_mov_b32 s47, s53
	v_add_co_u32 v20, vcc_lo, v96, s76
	v_add_co_ci_u32_e32 v21, vcc_lo, s77, v97, vcc_lo
	s_lshl_b64 s[76:77], s[46:47], 1
	s_clause 0x1
	global_load_b128 v[16:19], v[20:21], off
	global_load_b128 v[20:23], v[20:21], off offset:512
	v_add_co_u32 v24, vcc_lo, v98, s76
	v_add_co_ci_u32_e32 v25, vcc_lo, s77, v99, vcc_lo
	global_load_b32 v115, v34, s[30:31]
	s_and_not1_b32 vcc_lo, exec_lo, s39
	s_waitcnt vmcnt(2)
	ds_store_b128 v35, v[16:19]
	s_waitcnt vmcnt(1)
	ds_store_b128 v36, v[20:23] offset:512
	; wave barrier
	s_clause 0x1
	global_load_b128 v[16:19], v[24:25], off
	global_load_b128 v[20:23], v[24:25], off offset:512
	ds_load_b128 v[28:31], v37
	ds_load_b128 v[24:27], v37 offset:16
	s_waitcnt vmcnt(1)
	ds_store_b128 v35, v[16:19] offset:2112
	s_waitcnt vmcnt(0)
	ds_store_b128 v38, v[20:23] offset:512
	; wave barrier
	ds_load_b128 v[20:23], v37 offset:2112
	ds_load_b128 v[16:19], v39 offset:16
	s_cbranch_vccnz .LBB51_57
; %bb.56:                               ;   in Loop: Header=BB51_55 Depth=2
	v_mov_b32_e32 v32, s74
	ds_load_b64 v[32:33], v32
	s_cbranch_execz .LBB51_58
	s_branch .LBB51_61
.LBB51_57:                              ;   in Loop: Header=BB51_55 Depth=2
                                        ; implicit-def: $vgpr32
.LBB51_58:                              ;   in Loop: Header=BB51_55 Depth=2
	s_waitcnt lgkmcnt(0)
	v_mov_b32_e32 v33, 0
	s_and_not1_b32 vcc_lo, exec_lo, s33
	s_cbranch_vccnz .LBB51_60
; %bb.59:                               ;   in Loop: Header=BB51_55 Depth=2
	s_mov_b32 s49, s53
	s_delay_alu instid0(SALU_CYCLE_1) | instskip(NEXT) | instid1(SALU_CYCLE_1)
	s_lshl_b64 s[30:31], s[48:49], 2
	s_add_u32 s30, s63, s30
	s_addc_u32 s31, s64, s31
	global_load_b32 v33, v34, s[30:31]
.LBB51_60:                              ;   in Loop: Header=BB51_55 Depth=2
	v_mov_b32_e32 v32, 1.0
.LBB51_61:                              ;   in Loop: Header=BB51_55 Depth=2
	s_waitcnt lgkmcnt(5)
	v_dual_mul_f32 v137, 0x3fb8aa3b, v115 :: v_dual_lshlrev_b32 v116, 16, v29
	v_lshlrev_b32_e32 v115, 16, v28
	v_and_b32_e32 v28, 0xffff0000, v28
	v_and_b32_e32 v119, 0xffff0000, v29
	s_delay_alu instid0(VALU_DEP_4) | instskip(SKIP_3) | instid1(VALU_DEP_3)
	v_dual_mul_f32 v29, v137, v63 :: v_dual_and_b32 v124, 0xffff0000, v30
	v_mul_f32_e32 v118, v137, v66
	s_waitcnt lgkmcnt(4)
	v_dual_mul_f32 v115, v114, v115 :: v_dual_lshlrev_b32 v130, 16, v24
	v_cmp_gt_f32_e32 vcc_lo, 0xc2fc0000, v29
	v_dual_mul_f32 v131, v137, v73 :: v_dual_lshlrev_b32 v134, 16, v26
	s_delay_alu instid0(VALU_DEP_3)
	v_mul_f32_e32 v130, v106, v130
	v_mul_f32_e32 v142, v137, v94
	v_cndmask_b32_e64 v29, 0, 0x42800000, vcc_lo
	v_lshlrev_b32_e32 v122, 16, v30
	v_mul_f32_e32 v30, v137, v64
	v_cndmask_b32_e64 v117, 1.0, 0x1f800000, vcc_lo
	v_mul_f32_e32 v28, v113, v28
	v_dual_fmac_f32 v29, v137, v63 :: v_dual_mul_f32 v116, v112, v116
	s_delay_alu instid0(VALU_DEP_4) | instskip(NEXT) | instid1(VALU_DEP_3)
	v_cmp_gt_f32_e64 s30, 0xc2fc0000, v30
	v_cndmask_b32_e64 v28, 0, v28, s15
	s_delay_alu instid0(VALU_DEP_3) | instskip(SKIP_1) | instid1(VALU_DEP_3)
	v_exp_f32_e32 v29, v29
	v_and_b32_e32 v128, 0xffff0000, v31
	v_cndmask_b32_e64 v30, 0, 0x42800000, s30
	v_lshlrev_b32_e32 v125, 16, v31
	v_mul_f32_e32 v31, v137, v65
	v_mul_f32_e32 v124, v109, v124
	s_delay_alu instid0(VALU_DEP_4) | instskip(SKIP_1) | instid1(VALU_DEP_4)
	v_fmac_f32_e32 v30, v137, v64
	v_mul_f32_e32 v129, v137, v71
	v_cmp_gt_f32_e32 vcc_lo, 0xc2fc0000, v31
	s_delay_alu instid0(TRANS32_DEP_1)
	v_mul_f32_e32 v29, v29, v117
	v_cndmask_b32_e64 v117, 0, v115, s14
	v_exp_f32_e32 v30, v30
	v_cndmask_b32_e64 v115, 1.0, 0x1f800000, s30
	v_cndmask_b32_e64 v31, 0, 0x42800000, vcc_lo
	v_cmp_gt_f32_e64 s30, 0xc2fc0000, v118
	v_and_b32_e32 v24, 0xffff0000, v24
	v_lshlrev_b32_e32 v132, 16, v25
	v_cndmask_b32_e64 v118, 1.0, v29, s14
	v_fmac_f32_e32 v31, v137, v65
	v_cndmask_b32_e64 v120, 0, 0x42800000, s30
	v_lshlrev_b32_e32 v139, 16, v27
	v_mul_f32_e32 v29, v30, v115
	v_and_b32_e32 v27, 0xffff0000, v27
	v_exp_f32_e32 v30, v31
	v_fmac_f32_e32 v120, v137, v66
	v_mul_f32_e32 v31, v137, v67
	v_cndmask_b32_e64 v115, 1.0, 0x1f800000, vcc_lo
	v_dual_mul_f32 v140, v137, v76 :: v_dual_and_b32 v25, 0xffff0000, v25
	v_mul_f32_e32 v27, v95, v27
	v_exp_f32_e32 v123, v120
	v_cmp_gt_f32_e32 vcc_lo, 0xc2fc0000, v31
	v_cndmask_b32_e64 v120, 1.0, v29, s15
	s_delay_alu instid0(TRANS32_DEP_2)
	v_mul_f32_e32 v30, v30, v115
	v_cndmask_b32_e64 v115, 1.0, 0x1f800000, s30
	v_cndmask_b32_e64 v29, 0, v116, s16
	v_cndmask_b32_e64 v31, 0, 0x42800000, vcc_lo
	v_mul_f32_e32 v116, v137, v68
	v_and_b32_e32 v26, 0xffff0000, v26
	v_cndmask_b32_e64 v121, 1.0, v30, s16
	v_mul_f32_e32 v115, v123, v115
	v_fmac_f32_e32 v31, v137, v67
	v_cmp_gt_f32_e64 s30, 0xc2fc0000, v116
	v_dual_mul_f32 v30, v111, v119 :: v_dual_mul_f32 v119, v137, v69
	s_delay_alu instid0(VALU_DEP_4) | instskip(NEXT) | instid1(VALU_DEP_4)
	v_cndmask_b32_e64 v123, 1.0, v115, s17
	v_exp_f32_e32 v31, v31
	s_delay_alu instid0(VALU_DEP_3)
	v_cndmask_b32_e64 v116, 0, 0x42800000, s30
	v_cndmask_b32_e64 v115, 1.0, 0x1f800000, vcc_lo
	v_cmp_gt_f32_e32 vcc_lo, 0xc2fc0000, v119
	v_cndmask_b32_e64 v127, 1.0, 0x1f800000, s30
	v_dual_mul_f32 v24, v105, v24 :: v_dual_mul_f32 v139, v100, v139
	v_fmac_f32_e32 v116, v137, v68
	v_cndmask_b32_e64 v119, 0, 0x42800000, vcc_lo
	v_fma_f32 v138, v120, v117, v28
	s_delay_alu instid0(TRANS32_DEP_1)
	v_mul_f32_e32 v115, v31, v115
	v_mul_f32_e32 v31, v110, v122
	v_exp_f32_e32 v116, v116
	v_fmac_f32_e32 v119, v137, v69
	v_cndmask_b32_e64 v30, 0, v30, s17
	v_mul_f32_e32 v26, v101, v26
	v_cndmask_b32_e64 v31, 0, v31, s18
	v_dual_mul_f32 v25, v103, v25 :: v_dual_mul_f32 v134, v102, v134
	s_waitcnt_depctr 0xfff
	v_mul_f32_e32 v116, v116, v127
	v_exp_f32_e32 v119, v119
	v_mul_f32_e32 v126, v137, v70
	v_cndmask_b32_e64 v134, 0, v134, s26
	s_delay_alu instid0(VALU_DEP_3) | instskip(SKIP_1) | instid1(VALU_DEP_4)
	v_cndmask_b32_e64 v127, 1.0, v116, s19
	v_mul_f32_e32 v116, v108, v125
	v_cmp_gt_f32_e64 s31, 0xc2fc0000, v126
	v_cndmask_b32_e64 v126, 1.0, v115, s18
	v_cndmask_b32_e64 v115, 0, v124, s19
	v_cndmask_b32_e64 v124, 1.0, 0x1f800000, vcc_lo
	v_cmp_gt_f32_e32 vcc_lo, 0xc2fc0000, v129
	v_cndmask_b32_e64 v122, 0, 0x42800000, s31
	v_mul_f32_e32 v129, v107, v128
	v_cndmask_b32_e64 v116, 0, v116, s20
	v_mul_f32_e32 v119, v119, v124
	v_cndmask_b32_e64 v124, 1.0, 0x1f800000, s31
	v_fmac_f32_e32 v122, v137, v70
	v_cndmask_b32_e64 v125, 0, 0x42800000, vcc_lo
	v_cmp_gt_f32_e64 s31, 0xc2fc0000, v131
	v_cndmask_b32_e64 v128, 1.0, v119, s20
	v_cndmask_b32_e64 v119, 0, v129, s21
	v_exp_f32_e32 v122, v122
	v_fmac_f32_e32 v125, v137, v71
	v_mul_f32_e32 v131, v137, v74
	v_cndmask_b32_e64 v133, 1.0, 0x1f800000, vcc_lo
	s_delay_alu instid0(VALU_DEP_2)
	v_cmp_gt_f32_e32 vcc_lo, 0xc2fc0000, v131
	s_waitcnt_depctr 0xfff
	v_mul_f32_e32 v122, v122, v124
	v_mul_f32_e32 v124, v137, v72
	v_cndmask_b32_e64 v135, 0, 0x42800000, vcc_lo
	v_cndmask_b32_e64 v136, 1.0, 0x1f800000, vcc_lo
	s_delay_alu instid0(VALU_DEP_4) | instskip(NEXT) | instid1(VALU_DEP_4)
	v_cndmask_b32_e64 v129, 1.0, v122, s21
	v_cmp_gt_f32_e64 s30, 0xc2fc0000, v124
	v_exp_f32_e32 v122, v125
	v_cndmask_b32_e64 v125, 0, 0x42800000, s31
	s_delay_alu instid0(VALU_DEP_2)
	v_cndmask_b32_e64 v124, 0, 0x42800000, s30
	s_waitcnt_depctr 0xfff
	v_dual_fmac_f32 v124, v137, v72 :: v_dual_mul_f32 v131, v122, v133
	v_cndmask_b32_e64 v122, 0, v130, s22
	v_cndmask_b32_e64 v130, 1.0, 0x1f800000, s30
	v_cmp_gt_f32_e64 s30, 0xc2fc0000, v140
	s_delay_alu instid0(VALU_DEP_4)
	v_exp_f32_e32 v124, v124
	v_fmac_f32_e32 v125, v137, v73
	v_cndmask_b32_e64 v133, 1.0, 0x1f800000, s31
	v_cndmask_b32_e64 v131, 1.0, v131, s22
	;; [unrolled: 1-line block ×3, first 2 shown]
	v_fmac_f32_e32 v135, v137, v74
	s_waitcnt_depctr 0xfff
	v_mul_f32_e32 v130, v124, v130
	v_exp_f32_e32 v125, v125
	v_exp_f32_e32 v135, v135
	v_cndmask_b32_e64 v124, 0, v24, s23
	v_mul_f32_e32 v24, v104, v132
	v_cndmask_b32_e64 v132, 1.0, v130, s23
	v_mul_f32_e32 v130, v137, v75
	s_delay_alu instid0(VALU_DEP_1) | instskip(NEXT) | instid1(TRANS32_DEP_2)
	v_cmp_gt_f32_e32 vcc_lo, 0xc2fc0000, v130
	v_mul_f32_e32 v133, v125, v133
	v_cndmask_b32_e64 v125, 0, v24, s24
	s_delay_alu instid0(TRANS32_DEP_1)
	v_mul_f32_e32 v24, v135, v136
	v_cndmask_b32_e64 v130, 0, v25, s25
	v_cndmask_b32_e64 v135, 0, 0x42800000, vcc_lo
	v_mul_f32_e32 v136, v120, v118
	v_cndmask_b32_e64 v133, 1.0, v133, s24
	v_cndmask_b32_e64 v141, 1.0, v24, s25
	v_cndmask_b32_e64 v24, 1.0, 0x1f800000, vcc_lo
	v_fmac_f32_e32 v135, v137, v75
	v_mul_f32_e32 v25, v136, v121
	v_fma_f32 v136, v138, v121, v29
	v_cndmask_b32_e64 v138, 0, 0x42800000, s30
	v_cmp_gt_f32_e64 s30, 0xc2fc0000, v142
	v_exp_f32_e32 v135, v135
	v_mul_f32_e32 v25, v25, v123
	v_fma_f32 v136, v136, v123, v30
	v_fmac_f32_e32 v138, v137, v76
	s_delay_alu instid0(VALU_DEP_3) | instskip(NEXT) | instid1(VALU_DEP_3)
	v_mul_f32_e32 v25, v25, v126
	v_fma_f32 v136, v136, v126, v31
	s_delay_alu instid0(VALU_DEP_3)
	v_exp_f32_e32 v138, v138
	s_delay_alu instid0(TRANS32_DEP_2) | instid1(VALU_DEP_2)
	v_dual_mul_f32 v24, v135, v24 :: v_dual_mul_f32 v25, v25, v127
	s_delay_alu instid0(VALU_DEP_2) | instskip(NEXT) | instid1(VALU_DEP_2)
	v_fma_f32 v135, v136, v127, v115
	v_cndmask_b32_e64 v136, 1.0, v24, s26
	s_delay_alu instid0(VALU_DEP_3) | instskip(NEXT) | instid1(VALU_DEP_3)
	v_mul_f32_e32 v24, v25, v128
	v_fma_f32 v25, v135, v128, v116
	s_waitcnt_depctr 0xfff
	v_mul_f32_e32 v138, v138, v140
	v_mul_f32_e32 v24, v24, v129
	;; [unrolled: 1-line block ×3, first 2 shown]
	v_fma_f32 v25, v25, v129, v119
	s_delay_alu instid0(VALU_DEP_4) | instskip(NEXT) | instid1(VALU_DEP_4)
	v_cndmask_b32_e64 v138, 1.0, v138, s27
	v_mul_f32_e32 v24, v24, v131
	s_delay_alu instid0(VALU_DEP_4) | instskip(NEXT) | instid1(VALU_DEP_4)
	v_cmp_gt_f32_e32 vcc_lo, 0xc2fc0000, v135
	v_fma_f32 v25, v25, v131, v122
	v_cndmask_b32_e64 v135, 0, v26, s27
	v_cndmask_b32_e64 v26, 0, 0x42800000, s30
	v_mul_f32_e32 v24, v24, v132
	v_cndmask_b32_e64 v140, 0, 0x42800000, vcc_lo
	v_fma_f32 v25, v25, v132, v124
	s_delay_alu instid0(VALU_DEP_4) | instskip(NEXT) | instid1(VALU_DEP_4)
	v_fmac_f32_e32 v26, v137, v94
	v_mul_f32_e32 v24, v24, v133
	s_delay_alu instid0(VALU_DEP_4) | instskip(NEXT) | instid1(VALU_DEP_4)
	v_fmac_f32_e32 v140, v137, v77
	v_fma_f32 v25, v25, v133, v125
	v_cndmask_b32_e64 v137, 1.0, 0x1f800000, vcc_lo
	v_exp_f32_e32 v26, v26
	v_mul_f32_e32 v24, v24, v141
	v_exp_f32_e32 v140, v140
	v_fma_f32 v25, v25, v141, v130
	s_delay_alu instid0(VALU_DEP_2) | instskip(NEXT) | instid1(VALU_DEP_2)
	v_mul_f32_e32 v24, v24, v136
	v_fma_f32 v25, v25, v136, v134
	s_delay_alu instid0(VALU_DEP_2)
	v_mul_f32_e32 v24, v24, v138
	s_waitcnt_depctr 0xfff
	v_mul_f32_e32 v140, v140, v137
	v_cndmask_b32_e64 v137, 0, v139, s28
	v_cndmask_b32_e64 v139, 1.0, 0x1f800000, s30
	v_fma_f32 v25, v25, v138, v135
	s_delay_alu instid0(VALU_DEP_4) | instskip(NEXT) | instid1(VALU_DEP_3)
	v_cndmask_b32_e64 v140, 1.0, v140, s28
	v_mul_f32_e32 v26, v26, v139
	v_cndmask_b32_e64 v139, 0, v27, s29
	s_delay_alu instid0(VALU_DEP_3) | instskip(SKIP_1) | instid1(VALU_DEP_4)
	v_mul_f32_e32 v24, v24, v140
	v_fma_f32 v25, v25, v140, v137
	v_cndmask_b32_e64 v142, 1.0, v26, s29
	s_delay_alu instid0(VALU_DEP_1) | instskip(NEXT) | instid1(VALU_DEP_3)
	v_mul_f32_e32 v24, v24, v142
	v_fma_f32 v25, v25, v142, v139
	s_delay_alu instid0(VALU_DEP_2) | instskip(NEXT) | instid1(VALU_DEP_2)
	v_mov_b32_dpp v27, v24 row_shr:1 row_mask:0xf bank_mask:0xf
	v_mov_b32_dpp v26, v25 row_shr:1 row_mask:0xf bank_mask:0xf
	s_and_saveexec_b32 s30, s2
; %bb.62:                               ;   in Loop: Header=BB51_55 Depth=2
	s_delay_alu instid0(VALU_DEP_2) | instskip(NEXT) | instid1(VALU_DEP_1)
	v_mul_f32_e32 v27, v24, v27
	v_dual_fmac_f32 v25, v24, v26 :: v_dual_mov_b32 v24, v27
; %bb.63:                               ;   in Loop: Header=BB51_55 Depth=2
	s_or_b32 exec_lo, exec_lo, s30
	s_delay_alu instid0(VALU_DEP_1) | instskip(NEXT) | instid1(VALU_DEP_2)
	v_mov_b32_dpp v26, v24 row_shr:2 row_mask:0xf bank_mask:0xf
	v_mov_b32_dpp v27, v25 row_shr:2 row_mask:0xf bank_mask:0xf
	s_and_saveexec_b32 s30, s3
; %bb.64:                               ;   in Loop: Header=BB51_55 Depth=2
	s_delay_alu instid0(VALU_DEP_1) | instskip(NEXT) | instid1(VALU_DEP_3)
	v_fmac_f32_e32 v25, v24, v27
	v_mul_f32_e32 v24, v24, v26
; %bb.65:                               ;   in Loop: Header=BB51_55 Depth=2
	s_or_b32 exec_lo, exec_lo, s30
	s_delay_alu instid0(VALU_DEP_1) | instskip(NEXT) | instid1(VALU_DEP_3)
	v_mov_b32_dpp v26, v24 row_shr:4 row_mask:0xf bank_mask:0xf
	v_mov_b32_dpp v27, v25 row_shr:4 row_mask:0xf bank_mask:0xf
	s_and_saveexec_b32 s30, s4
; %bb.66:                               ;   in Loop: Header=BB51_55 Depth=2
	s_delay_alu instid0(VALU_DEP_1) | instskip(NEXT) | instid1(VALU_DEP_3)
	v_fmac_f32_e32 v25, v24, v27
	v_mul_f32_e32 v24, v24, v26
; %bb.67:                               ;   in Loop: Header=BB51_55 Depth=2
	s_or_b32 exec_lo, exec_lo, s30
	s_delay_alu instid0(VALU_DEP_1) | instskip(NEXT) | instid1(VALU_DEP_3)
	v_mov_b32_dpp v26, v24 row_shr:8 row_mask:0xf bank_mask:0xf
	v_mov_b32_dpp v27, v25 row_shr:8 row_mask:0xf bank_mask:0xf
	s_and_saveexec_b32 s30, s5
; %bb.68:                               ;   in Loop: Header=BB51_55 Depth=2
	s_delay_alu instid0(VALU_DEP_1) | instskip(NEXT) | instid1(VALU_DEP_3)
	v_fmac_f32_e32 v25, v24, v27
	v_mul_f32_e32 v24, v24, v26
; %bb.69:                               ;   in Loop: Header=BB51_55 Depth=2
	s_or_b32 exec_lo, exec_lo, s30
	ds_swizzle_b32 v27, v24 offset:swizzle(BROADCAST,32,15)
	ds_swizzle_b32 v26, v25 offset:swizzle(BROADCAST,32,15)
	s_and_saveexec_b32 s30, s6
	s_cbranch_execz .LBB51_71
; %bb.70:                               ;   in Loop: Header=BB51_55 Depth=2
	s_waitcnt lgkmcnt(1)
	v_mul_f32_e32 v27, v24, v27
	s_waitcnt lgkmcnt(0)
	s_delay_alu instid0(VALU_DEP_1)
	v_dual_fmac_f32 v25, v24, v26 :: v_dual_mov_b32 v24, v27
.LBB51_71:                              ;   in Loop: Header=BB51_55 Depth=2
	s_or_b32 exec_lo, exec_lo, s30
	s_and_saveexec_b32 s30, s7
	s_cbranch_execz .LBB51_73
; %bb.72:                               ;   in Loop: Header=BB51_55 Depth=2
	ds_store_b64 v41, v[24:25] offset:4224
.LBB51_73:                              ;   in Loop: Header=BB51_55 Depth=2
	s_or_b32 exec_lo, exec_lo, s30
	s_waitcnt vmcnt(0) lgkmcnt(0)
	s_waitcnt_vscnt null, 0x0
	s_barrier
	buffer_gl0_inv
	s_and_saveexec_b32 s30, s8
	s_cbranch_execz .LBB51_75
; %bb.74:                               ;   in Loop: Header=BB51_55 Depth=2
	ds_load_b64 v[26:27], v42 offset:4224
	s_waitcnt lgkmcnt(0)
	v_mov_b32_dpp v143, v26 row_shr:1 row_mask:0xf bank_mask:0xf
	v_mov_b32_dpp v144, v27 row_shr:1 row_mask:0xf bank_mask:0xf
	s_delay_alu instid0(VALU_DEP_2) | instskip(NEXT) | instid1(VALU_DEP_2)
	v_mul_f32_e32 v143, v26, v143
	v_fma_f32 v144, v26, v144, v27
	s_delay_alu instid0(VALU_DEP_2) | instskip(NEXT) | instid1(VALU_DEP_2)
	v_cndmask_b32_e64 v26, v143, v26, s9
	v_cndmask_b32_e64 v27, v144, v27, s9
	ds_store_b64 v42, v[26:27] offset:4224
.LBB51_75:                              ;   in Loop: Header=BB51_55 Depth=2
	s_or_b32 exec_lo, exec_lo, s30
	s_waitcnt lgkmcnt(0)
	s_barrier
	buffer_gl0_inv
                                        ; implicit-def: $vgpr27
	s_and_saveexec_b32 s30, s11
	s_cbranch_execz .LBB51_77
; %bb.76:                               ;   in Loop: Header=BB51_55 Depth=2
	ds_load_b64 v[26:27], v41 offset:4216
	s_waitcnt lgkmcnt(0)
	v_mul_f32_e32 v143, v24, v26
	s_delay_alu instid0(VALU_DEP_1)
	v_dual_fmac_f32 v25, v24, v27 :: v_dual_mov_b32 v24, v143
.LBB51_77:                              ;   in Loop: Header=BB51_55 Depth=2
	s_or_b32 exec_lo, exec_lo, s30
	ds_bpermute_b32 v143, v43, v24
	ds_bpermute_b32 v144, v43, v25
	s_and_saveexec_b32 s30, s10
	s_cbranch_execz .LBB51_81
; %bb.78:                               ;   in Loop: Header=BB51_55 Depth=2
	ds_load_b64 v[24:25], v34 offset:4232
	s_and_saveexec_b32 s31, s12
	s_cbranch_execz .LBB51_80
; %bb.79:                               ;   in Loop: Header=BB51_55 Depth=2
	ds_store_b64 v34, v[32:33] offset:4232
.LBB51_80:                              ;   in Loop: Header=BB51_55 Depth=2
	s_or_b32 exec_lo, exec_lo, s31
	s_waitcnt lgkmcnt(0)
	v_fmac_f32_e32 v25, v33, v24
	s_delay_alu instid0(VALU_DEP_1)
	v_dual_mul_f32 v32, v32, v24 :: v_dual_mov_b32 v33, v25
.LBB51_81:                              ;   in Loop: Header=BB51_55 Depth=2
	s_or_b32 exec_lo, exec_lo, s30
	s_waitcnt lgkmcnt(0)
	s_barrier
	buffer_gl0_inv
	ds_load_b32 v24, v34 offset:4236
	s_and_saveexec_b32 s30, s12
	s_cbranch_execz .LBB51_54
; %bb.82:                               ;   in Loop: Header=BB51_55 Depth=2
	v_mov_b32_e32 v25, s74
	s_and_not1_b32 vcc_lo, exec_lo, s72
	ds_store_b64 v25, v[32:33]
	s_cbranch_vccnz .LBB51_54
; %bb.83:                               ;   in Loop: Header=BB51_55 Depth=2
	s_mov_b32 s49, s53
	s_delay_alu instid0(SALU_CYCLE_1) | instskip(NEXT) | instid1(SALU_CYCLE_1)
	s_lshl_b64 s[76:77], s[48:49], 2
	s_add_u32 s76, s63, s76
	s_addc_u32 s77, s64, s77
	global_store_b32 v34, v33, s[76:77]
	s_branch .LBB51_54
.LBB51_84:
	s_nop 0
	s_sendmsg sendmsg(MSG_DEALLOC_VGPRS)
	s_endpgm
	.section	.rodata,"a",@progbits
	.p2align	6, 0x0
	.amdhsa_kernel _Z25selective_scan_fwd_kernelI32Selective_Scan_fwd_kernel_traitsILi64ELi16ELi1ELb1ELb1ELb1ELb0ELb0EN3c108BFloat16EffEEv13SSMParamsBase
		.amdhsa_group_segment_fixed_size 0
		.amdhsa_private_segment_fixed_size 0
		.amdhsa_kernarg_size 248
		.amdhsa_user_sgpr_count 14
		.amdhsa_user_sgpr_dispatch_ptr 0
		.amdhsa_user_sgpr_queue_ptr 0
		.amdhsa_user_sgpr_kernarg_segment_ptr 1
		.amdhsa_user_sgpr_dispatch_id 0
		.amdhsa_user_sgpr_private_segment_size 0
		.amdhsa_wavefront_size32 1
		.amdhsa_uses_dynamic_stack 0
		.amdhsa_enable_private_segment 0
		.amdhsa_system_sgpr_workgroup_id_x 1
		.amdhsa_system_sgpr_workgroup_id_y 1
		.amdhsa_system_sgpr_workgroup_id_z 0
		.amdhsa_system_sgpr_workgroup_info 0
		.amdhsa_system_vgpr_workitem_id 0
		.amdhsa_next_free_vgpr 145
		.amdhsa_next_free_sgpr 78
		.amdhsa_reserve_vcc 1
		.amdhsa_float_round_mode_32 0
		.amdhsa_float_round_mode_16_64 0
		.amdhsa_float_denorm_mode_32 3
		.amdhsa_float_denorm_mode_16_64 3
		.amdhsa_dx10_clamp 1
		.amdhsa_ieee_mode 1
		.amdhsa_fp16_overflow 0
		.amdhsa_workgroup_processor_mode 1
		.amdhsa_memory_ordered 1
		.amdhsa_forward_progress 0
		.amdhsa_shared_vgpr_count 0
		.amdhsa_exception_fp_ieee_invalid_op 0
		.amdhsa_exception_fp_denorm_src 0
		.amdhsa_exception_fp_ieee_div_zero 0
		.amdhsa_exception_fp_ieee_overflow 0
		.amdhsa_exception_fp_ieee_underflow 0
		.amdhsa_exception_fp_ieee_inexact 0
		.amdhsa_exception_int_div_zero 0
	.end_amdhsa_kernel
	.section	.text._Z25selective_scan_fwd_kernelI32Selective_Scan_fwd_kernel_traitsILi64ELi16ELi1ELb1ELb1ELb1ELb0ELb0EN3c108BFloat16EffEEv13SSMParamsBase,"axG",@progbits,_Z25selective_scan_fwd_kernelI32Selective_Scan_fwd_kernel_traitsILi64ELi16ELi1ELb1ELb1ELb1ELb0ELb0EN3c108BFloat16EffEEv13SSMParamsBase,comdat
.Lfunc_end51:
	.size	_Z25selective_scan_fwd_kernelI32Selective_Scan_fwd_kernel_traitsILi64ELi16ELi1ELb1ELb1ELb1ELb0ELb0EN3c108BFloat16EffEEv13SSMParamsBase, .Lfunc_end51-_Z25selective_scan_fwd_kernelI32Selective_Scan_fwd_kernel_traitsILi64ELi16ELi1ELb1ELb1ELb1ELb0ELb0EN3c108BFloat16EffEEv13SSMParamsBase
                                        ; -- End function
	.section	.AMDGPU.csdata,"",@progbits
; Kernel info:
; codeLenInByte = 18312
; NumSgprs: 80
; NumVgprs: 145
; ScratchSize: 0
; MemoryBound: 1
; FloatMode: 240
; IeeeMode: 1
; LDSByteSize: 0 bytes/workgroup (compile time only)
; SGPRBlocks: 9
; VGPRBlocks: 18
; NumSGPRsForWavesPerEU: 80
; NumVGPRsForWavesPerEU: 145
; Occupancy: 9
; WaveLimiterHint : 1
; COMPUTE_PGM_RSRC2:SCRATCH_EN: 0
; COMPUTE_PGM_RSRC2:USER_SGPR: 14
; COMPUTE_PGM_RSRC2:TRAP_HANDLER: 0
; COMPUTE_PGM_RSRC2:TGID_X_EN: 1
; COMPUTE_PGM_RSRC2:TGID_Y_EN: 1
; COMPUTE_PGM_RSRC2:TGID_Z_EN: 0
; COMPUTE_PGM_RSRC2:TIDIG_COMP_CNT: 0
	.section	.text._Z25selective_scan_fwd_kernelI32Selective_Scan_fwd_kernel_traitsILi64ELi16ELi1ELb0ELb1ELb1ELb1ELb1EN3c108BFloat16EffEEv13SSMParamsBase,"axG",@progbits,_Z25selective_scan_fwd_kernelI32Selective_Scan_fwd_kernel_traitsILi64ELi16ELi1ELb0ELb1ELb1ELb1ELb1EN3c108BFloat16EffEEv13SSMParamsBase,comdat
	.protected	_Z25selective_scan_fwd_kernelI32Selective_Scan_fwd_kernel_traitsILi64ELi16ELi1ELb0ELb1ELb1ELb1ELb1EN3c108BFloat16EffEEv13SSMParamsBase ; -- Begin function _Z25selective_scan_fwd_kernelI32Selective_Scan_fwd_kernel_traitsILi64ELi16ELi1ELb0ELb1ELb1ELb1ELb1EN3c108BFloat16EffEEv13SSMParamsBase
	.globl	_Z25selective_scan_fwd_kernelI32Selective_Scan_fwd_kernel_traitsILi64ELi16ELi1ELb0ELb1ELb1ELb1ELb1EN3c108BFloat16EffEEv13SSMParamsBase
	.p2align	8
	.type	_Z25selective_scan_fwd_kernelI32Selective_Scan_fwd_kernel_traitsILi64ELi16ELi1ELb0ELb1ELb1ELb1ELb1EN3c108BFloat16EffEEv13SSMParamsBase,@function
_Z25selective_scan_fwd_kernelI32Selective_Scan_fwd_kernel_traitsILi64ELi16ELi1ELb0ELb1ELb1ELb1ELb1EN3c108BFloat16EffEEv13SSMParamsBase: ; @_Z25selective_scan_fwd_kernelI32Selective_Scan_fwd_kernel_traitsILi64ELi16ELi1ELb0ELb1ELb1ELb1ELb1EN3c108BFloat16EffEEv13SSMParamsBase
; %bb.0:
	s_clause 0x2
	s_load_b32 s11, s[0:1], 0x18
	s_load_b256 s[36:43], s[0:1], 0xc8
	s_load_b128 s[4:7], s[0:1], 0xe8
	s_mov_b32 s12, s15
	s_ashr_i32 s15, s14, 31
	s_mov_b32 s47, 0
	s_lshl_b64 s[8:9], s[14:15], 2
	s_waitcnt lgkmcnt(0)
	s_abs_i32 s10, s11
	s_add_u32 s2, s42, s8
	v_cvt_f32_u32_e32 v1, s10
	s_addc_u32 s3, s43, s9
	s_cmp_eq_u64 s[6:7], 0
	s_delay_alu instid0(VALU_DEP_1) | instskip(SKIP_2) | instid1(VALU_DEP_1)
	v_rcp_iflag_f32_e32 v1, v1
	s_waitcnt_depctr 0xfff
	v_mul_f32_e32 v1, 0x4f7ffffe, v1
	v_cvt_u32_f32_e32 v1, v1
	s_delay_alu instid0(VALU_DEP_1)
	v_readfirstlane_b32 s33, v1
	s_cbranch_scc1 .LBB52_2
; %bb.1:
	v_mov_b32_e32 v1, 0
	s_add_u32 s6, s6, s14
	s_addc_u32 s7, s7, s15
	global_load_u8 v1, v1, s[6:7]
	s_waitcnt vmcnt(0)
	v_and_b32_e32 v1, 1, v1
	s_delay_alu instid0(VALU_DEP_1)
	v_cmp_eq_u32_e64 s47, 1, v1
.LBB52_2:
	s_load_b64 s[6:7], s[0:1], 0x20
	s_cmp_eq_u64 s[4:5], 0
	s_cbranch_scc1 .LBB52_4
; %bb.3:
	s_add_u32 s4, s4, s8
	s_addc_u32 s5, s5, s9
	s_load_b32 s14, s[4:5], 0x0
	s_waitcnt lgkmcnt(0)
	s_ashr_i32 s15, s14, 31
.LBB52_4:
	s_waitcnt lgkmcnt(0)
	s_cmp_eq_u64 s[6:7], s[14:15]
	s_cbranch_scc1 .LBB52_300
; %bb.5:
	s_load_b512 s[16:31], s[0:1], 0x88
	s_load_b64 s[34:35], s[2:3], 0x0
	s_mov_b32 s66, 0
	s_mov_b32 s67, 0
	s_waitcnt lgkmcnt(0)
	s_cmp_eq_u64 s[22:23], 0
	s_cbranch_scc1 .LBB52_7
; %bb.6:
	s_ashr_i32 s13, s12, 31
	s_delay_alu instid0(SALU_CYCLE_1) | instskip(NEXT) | instid1(SALU_CYCLE_1)
	s_lshl_b64 s[2:3], s[12:13], 2
	s_add_u32 s2, s22, s2
	s_addc_u32 s3, s23, s3
	s_load_b32 s67, s[2:3], 0x0
.LBB52_7:
	s_cmp_eq_u64 s[28:29], 0
	s_cbranch_scc1 .LBB52_9
; %bb.8:
	s_ashr_i32 s13, s12, 31
	s_delay_alu instid0(SALU_CYCLE_1) | instskip(NEXT) | instid1(SALU_CYCLE_1)
	s_lshl_b64 s[2:3], s[12:13], 2
	s_add_u32 s2, s28, s2
	s_addc_u32 s3, s29, s3
	s_load_b32 s66, s[2:3], 0x0
.LBB52_9:
	s_sub_i32 s68, s35, s34
	s_delay_alu instid0(SALU_CYCLE_1)
	s_cmp_lt_i32 s68, 1
	s_cbranch_scc1 .LBB52_300
; %bb.10:
	s_sub_i32 s2, 0, s10
	s_load_b256 s[48:55], s[0:1], 0x4c
	s_mul_i32 s2, s2, s33
	s_abs_i32 s3, s12
	s_mul_hi_u32 s2, s33, s2
	s_ashr_i32 s5, s11, 31
	s_add_i32 s33, s33, s2
	s_ashr_i32 s2, s12, 31
	s_mul_hi_u32 s4, s3, s33
	s_xor_b32 s5, s2, s5
	s_mul_i32 s6, s4, s10
	s_load_b256 s[56:63], s[0:1], 0x2c
	s_sub_i32 s2, s3, s6
	s_add_i32 s3, s4, 1
	s_sub_i32 s6, s2, s10
	s_cmp_ge_u32 s2, s10
	s_mov_b32 s65, 0
	s_cselect_b32 s3, s3, s4
	s_cselect_b32 s2, s6, s2
	s_add_i32 s4, s3, 1
	s_cmp_ge_u32 s2, s10
	s_waitcnt lgkmcnt(0)
	s_mul_i32 s64, s34, s50
	s_cselect_b32 s4, s4, s3
	s_lshl_b64 s[2:3], s[64:65], 1
	s_xor_b32 s4, s4, s5
	s_mul_i32 s64, s51, s12
	s_sub_i32 s6, s4, s5
	s_add_u32 s4, s24, s2
	s_addc_u32 s5, s25, s3
	s_lshl_b64 s[2:3], s[64:65], 1
	s_mul_i32 s64, s34, s52
	s_add_u32 s63, s4, s2
	s_addc_u32 s69, s5, s3
	s_lshl_b64 s[2:3], s[64:65], 1
	s_mul_i32 s64, s53, s12
	;; [unrolled: 4-line block ×3, first 2 shown]
	s_add_u32 s70, s4, s2
	s_addc_u32 s56, s5, s3
	s_load_b64 s[4:5], s[0:1], 0x7c
	v_dual_mov_b32 v21, 0 :: v_dual_lshlrev_b32 v18, 4, v0
	s_lshl_b64 s[2:3], s[64:65], 2
	s_mul_i32 s64, s34, s58
	s_add_u32 s71, s16, s2
	v_mbcnt_lo_u32_b32 v19, -1, 0
	v_and_b32_e32 v1, 0x200, v18
	s_addc_u32 s72, s17, s3
	s_lshl_b64 s[2:3], s[64:65], 1
	s_mul_i32 s64, s6, s61
	s_add_u32 s7, s18, s2
	s_addc_u32 s8, s19, s3
	s_clause 0x3
	s_load_b128 s[16:19], s[0:1], 0x6c
	s_load_b32 s74, s[0:1], 0x84
	s_load_b32 s77, s[0:1], 0xc
	;; [unrolled: 1-line block ×3, first 2 shown]
	v_or_b32_e32 v20, v19, v1
	s_lshl_b64 s[2:3], s[64:65], 1
	s_mul_i32 s64, s34, s62
	s_add_u32 s61, s7, s2
	s_addc_u32 s62, s8, s3
	s_lshl_b64 s[2:3], s[64:65], 1
	s_mul_i32 s64, s6, s49
	v_or_b32_e32 v24, 0x60, v20
	v_and_b32_e32 v14, 32, v0
	s_add_u32 s7, s20, s2
	s_addc_u32 s6, s21, s3
	s_lshl_b64 s[2:3], s[64:65], 1
	s_waitcnt lgkmcnt(0)
	s_mul_i32 s64, s14, s4
	s_add_u32 s49, s7, s2
	s_addc_u32 s73, s6, s3
	s_lshl_b64 s[2:3], s[64:65], 2
	v_or_b32_e32 v26, 0xa0, v20
	v_or_b32_e32 v28, 0xe0, v20
	;; [unrolled: 1-line block ×5, first 2 shown]
	v_lshrrev_b32_e32 v2, 5, v24
	v_or_b32_e32 v36, 0x1e0, v20
	v_or_b32_e32 v16, v19, v14
	s_mul_i32 s64, s5, s12
	s_add_u32 s4, s36, s2
	s_addc_u32 s5, s37, s3
	s_lshl_b64 s[2:3], s[64:65], 2
	v_or_b32_e32 v23, 64, v20
	s_add_u32 s75, s4, s2
	v_or_b32_e32 v25, 0x80, v20
	v_or_b32_e32 v27, 0xc0, v20
	;; [unrolled: 1-line block ×6, first 2 shown]
	v_and_b32_e32 v2, 18, v2
	v_lshrrev_b32_e32 v5, 5, v26
	v_lshrrev_b32_e32 v8, 5, v28
	;; [unrolled: 1-line block ×6, first 2 shown]
	v_lshrrev_b16 v50, 1, v16
	s_addc_u32 s76, s5, s3
	s_add_i32 s2, s68, 0x7ff
	v_lshrrev_b32_e32 v3, 5, v1
	s_lshr_b32 s78, s2, 11
	s_bitcmp1_b32 s0, 0
	v_lshrrev_b32_e32 v4, 5, v23
	v_lshrrev_b32_e32 v6, 5, v25
	v_add_lshl_u32 v2, v2, v20, 1
	v_and_b32_e32 v5, 20, v5
	v_lshrrev_b32_e32 v7, 5, v27
	v_and_b32_e32 v8, 22, v8
	v_lshrrev_b32_e32 v10, 5, v29
	;; [unrolled: 2-line block ×5, first 2 shown]
	v_and_b32_e32 v51, 30, v49
	v_lshlrev_b32_e32 v16, 4, v16
	v_and_b32_e32 v52, 30, v50
	s_cselect_b32 s79, -1, 0
	s_cmp_gt_i32 s77, 0
	v_add_lshl_u32 v3, v3, v20, 1
	s_cselect_b32 s80, -1, 0
	s_add_i32 s0, 0, 0x840
	v_add_lshl_u32 v4, v4, v20, 1
	v_add_lshl_u32 v6, v6, v20, 1
	v_add_nc_u32_e32 v39, 0, v2
	v_add_lshl_u32 v5, v5, v20, 1
	v_add_lshl_u32 v7, v7, v20, 1
	v_add_lshl_u32 v8, v8, v20, 1
	v_add_lshl_u32 v10, v10, v20, 1
	v_add_lshl_u32 v9, v9, v20, 1
	v_add_lshl_u32 v12, v12, v20, 1
	v_add_lshl_u32 v11, v11, v20, 1
	v_add_lshl_u32 v13, v13, v20, 1
	v_add_lshl_u32 v15, v15, v20, 1
	v_add_lshl_u32 v17, v17, v20, 1
	v_add_lshl_u32 v67, v51, v20, 1
	v_add_lshl_u32 v16, v52, v16, 1
	v_add_nc_u32_e32 v55, s0, v2
	v_and_b32_e32 v2, 15, v19
	s_and_b32 s1, s68, 0x3ff
	v_add_nc_u32_e32 v51, 0, v67
	v_add_nc_u32_e32 v53, s0, v3
	v_add_nc_u32_e32 v54, s0, v4
	v_add_nc_u32_e32 v56, s0, v6
	v_add_nc_u32_e32 v57, s0, v5
	v_add_nc_u32_e32 v58, s0, v7
	v_add_nc_u32_e32 v59, s0, v8
	v_add_nc_u32_e32 v60, s0, v10
	v_add_nc_u32_e32 v61, s0, v9
	v_add_nc_u32_e32 v62, s0, v12
	v_add_nc_u32_e32 v63, s0, v11
	v_add_nc_u32_e32 v64, s0, v13
	v_add_nc_u32_e32 v65, s0, v15
	v_add_nc_u32_e32 v66, s0, v17
	v_add_nc_u32_e32 v67, s0, v67
	s_cmp_eq_u32 s1, 0
	v_add_nc_u32_e32 v68, s0, v16
	v_cmp_ne_u32_e64 s0, 0, v2
	v_cmp_lt_u32_e64 s1, 1, v2
	v_cmp_lt_u32_e64 s2, 3, v2
	;; [unrolled: 1-line block ×3, first 2 shown]
	v_add_nc_u32_e32 v2, -1, v19
	v_add_nc_u32_e32 v37, 0, v3
	v_lshrrev_b32_e32 v3, 2, v0
	s_mul_i32 s64, s34, s16
	v_add_nc_u32_e32 v41, 0, v5
	v_or_b32_e32 v5, 31, v14
	v_cmp_gt_i32_e32 vcc_lo, 0, v2
	s_cselect_b32 s81, -1, 0
	s_lshl_b64 s[14:15], s[64:65], 1
	v_and_b32_e32 v3, 8, v3
	s_add_i32 s82, s78, -1
	v_cndmask_b32_e32 v2, v2, v19, vcc_lo
	s_mul_i32 s64, s17, s12
	s_add_u32 s13, s30, s14
	s_addc_u32 s16, s31, s15
	s_lshl_b64 s[14:15], s[64:65], 1
	v_cmp_eq_u32_e64 s5, v5, v0
	v_cmp_gt_u32_e64 s6, 2, v0
	v_lshl_add_u32 v70, v0, 3, 0
	v_cmp_gt_u32_e64 s8, 32, v0
	v_cmp_lt_u32_e64 s9, 31, v0
	v_cmp_eq_u32_e64 s10, 0, v0
	s_mul_i32 s64, s34, s54
	v_lshlrev_b32_e32 v0, 1, v19
	s_add_u32 s13, s13, s14
	v_add_nc_u32_e32 v69, 0, v3
	v_and_b32_e32 v3, 1, v19
	s_addc_u32 s16, s16, s15
	s_lshl_b64 s[14:15], s[64:65], 1
	v_add_nc_u32_e32 v38, 0, v4
	v_and_b32_e32 v4, 16, v19
	s_mul_i32 s64, s55, s12
	s_add_u32 s17, s38, s14
	v_lshlrev_b32_e32 v71, 2, v2
	s_addc_u32 s20, s39, s15
	s_lshl_b64 s[14:15], s[64:65], 1
	v_add_co_u32 v2, s13, s13, v0
	s_mul_i32 s64, s34, s18
	v_cmp_eq_u32_e64 s7, 0, v3
	v_add_co_ci_u32_e64 v3, null, s16, 0, s13
	s_add_u32 s16, s17, s14
	v_cmp_ne_u32_e64 s4, 0, v4
	s_addc_u32 s17, s20, s15
	s_lshl_b64 s[14:15], s[64:65], 1
	v_lshlrev_b32_e32 v4, 1, v1
	s_mul_i32 s64, s19, s12
	s_add_u32 s14, s40, s14
	s_addc_u32 s15, s41, s15
	s_lshl_b64 s[12:13], s[64:65], 1
	v_add_co_u32 v72, vcc_lo, v2, v4
	s_add_u32 s12, s14, s12
	v_add_co_u32 v2, s14, s16, v0
	v_add_co_ci_u32_e32 v73, vcc_lo, 0, v3, vcc_lo
	v_add_co_ci_u32_e64 v3, null, s17, 0, s14
	s_addc_u32 s13, s15, s13
	v_add_co_u32 v0, s12, s12, v0
	s_delay_alu instid0(VALU_DEP_1) | instskip(SKIP_2) | instid1(VALU_DEP_4)
	v_add_co_ci_u32_e64 v5, null, s13, 0, s12
	v_add_co_u32 v74, vcc_lo, v2, v4
	v_add_co_ci_u32_e32 v75, vcc_lo, 0, v3, vcc_lo
	v_add_co_u32 v76, vcc_lo, v0, v4
	v_or_b32_e32 v22, 32, v20
	v_add_nc_u32_e32 v40, 0, v6
	v_add_nc_u32_e32 v42, 0, v7
	;; [unrolled: 1-line block ×11, first 2 shown]
	v_cmp_eq_u32_e64 s11, 0, v19
	v_add_co_ci_u32_e32 v77, vcc_lo, 0, v5, vcc_lo
	v_or_b32_e32 v78, 1, v18
	v_or_b32_e32 v79, 2, v18
	;; [unrolled: 1-line block ×15, first 2 shown]
	v_lshlrev_b32_e32 v93, 1, v1
	s_mov_b32 s83, 0x3e9b6dac
	s_add_i32 s84, 0, 0x1090
	s_mov_b32 s85, 0
	s_branch .LBB52_12
.LBB52_11:                              ;   in Loop: Header=BB52_12 Depth=1
	s_or_b32 exec_lo, exec_lo, s12
	s_add_u32 s70, s70, 0x800
	s_addc_u32 s56, s56, 0
	s_add_u32 s63, s63, 0x800
	s_addc_u32 s69, s69, 0
	;; [unrolled: 2-line block ×4, first 2 shown]
	s_add_i32 s85, s85, 1
	s_delay_alu instid0(SALU_CYCLE_1)
	s_cmp_lg_u32 s85, s78
	s_cbranch_scc0 .LBB52_300
.LBB52_12:                              ; =>This Loop Header: Depth=1
                                        ;     Child Loop BB52_109 Depth 2
	s_waitcnt lgkmcnt(14)
	v_lshlrev_b32_e32 v16, 1, v19
	s_lshl_b32 s50, s85, 10
	s_waitcnt lgkmcnt(0)
	v_mov_b32_e32 v2, 0
	s_sub_i32 s40, s68, s50
	v_add_co_u32 v0, s12, s63, v16
	s_delay_alu instid0(VALU_DEP_1) | instskip(SKIP_1) | instid1(VALU_DEP_3)
	v_add_co_ci_u32_e64 v1, null, s69, 0, s12
	v_cmp_gt_u32_e64 s12, s40, v20
	v_add_co_u32 v0, vcc_lo, v0, v93
	s_delay_alu instid0(VALU_DEP_3)
	v_add_co_ci_u32_e32 v1, vcc_lo, 0, v1, vcc_lo
	s_waitcnt_vscnt null, 0x0
	s_barrier
	buffer_gl0_inv
	s_and_saveexec_b32 s13, s12
	s_cbranch_execz .LBB52_14
; %bb.13:                               ;   in Loop: Header=BB52_12 Depth=1
	global_load_u16 v2, v[0:1], off
.LBB52_14:                              ;   in Loop: Header=BB52_12 Depth=1
	s_or_b32 exec_lo, exec_lo, s13
	v_cmp_gt_u32_e64 s13, s40, v22
	v_dual_mov_b32 v3, 0 :: v_dual_mov_b32 v4, 0
	s_delay_alu instid0(VALU_DEP_2)
	s_and_saveexec_b32 s14, s13
	s_cbranch_execz .LBB52_16
; %bb.15:                               ;   in Loop: Header=BB52_12 Depth=1
	global_load_u16 v4, v[0:1], off offset:64
.LBB52_16:                              ;   in Loop: Header=BB52_12 Depth=1
	s_or_b32 exec_lo, exec_lo, s14
	v_cmp_gt_u32_e64 s14, s40, v23
	s_delay_alu instid0(VALU_DEP_1)
	s_and_saveexec_b32 s15, s14
	s_cbranch_execz .LBB52_18
; %bb.17:                               ;   in Loop: Header=BB52_12 Depth=1
	global_load_u16 v3, v[0:1], off offset:128
.LBB52_18:                              ;   in Loop: Header=BB52_12 Depth=1
	s_or_b32 exec_lo, exec_lo, s15
	v_cmp_gt_u32_e64 s15, s40, v24
	v_dual_mov_b32 v5, 0 :: v_dual_mov_b32 v6, 0
	s_delay_alu instid0(VALU_DEP_2)
	s_and_saveexec_b32 s16, s15
	s_cbranch_execz .LBB52_20
; %bb.19:                               ;   in Loop: Header=BB52_12 Depth=1
	global_load_u16 v6, v[0:1], off offset:192
.LBB52_20:                              ;   in Loop: Header=BB52_12 Depth=1
	s_or_b32 exec_lo, exec_lo, s16
	v_cmp_gt_u32_e64 s16, s40, v25
	s_delay_alu instid0(VALU_DEP_1)
	s_and_saveexec_b32 s17, s16
	s_cbranch_execz .LBB52_22
; %bb.21:                               ;   in Loop: Header=BB52_12 Depth=1
	global_load_u16 v5, v[0:1], off offset:256
.LBB52_22:                              ;   in Loop: Header=BB52_12 Depth=1
	;; [unrolled: 17-line block ×3, first 2 shown]
	s_or_b32 exec_lo, exec_lo, s19
	v_cmp_gt_u32_e64 s19, s40, v28
	v_mov_b32_e32 v9, 0
	v_mov_b32_e32 v11, 0
	s_delay_alu instid0(VALU_DEP_3)
	s_and_saveexec_b32 s20, s19
	s_cbranch_execz .LBB52_28
; %bb.27:                               ;   in Loop: Header=BB52_12 Depth=1
	global_load_u16 v11, v[0:1], off offset:448
.LBB52_28:                              ;   in Loop: Header=BB52_12 Depth=1
	s_or_b32 exec_lo, exec_lo, s20
	v_cmp_gt_u32_e64 s20, s40, v29
	s_delay_alu instid0(VALU_DEP_1)
	s_and_saveexec_b32 s21, s20
	s_cbranch_execz .LBB52_30
; %bb.29:                               ;   in Loop: Header=BB52_12 Depth=1
	global_load_u16 v9, v[0:1], off offset:512
.LBB52_30:                              ;   in Loop: Header=BB52_12 Depth=1
	s_or_b32 exec_lo, exec_lo, s21
	v_cmp_gt_u32_e64 s21, s40, v30
	v_dual_mov_b32 v12, 0 :: v_dual_mov_b32 v13, 0
	s_delay_alu instid0(VALU_DEP_2)
	s_and_saveexec_b32 s22, s21
	s_cbranch_execz .LBB52_32
; %bb.31:                               ;   in Loop: Header=BB52_12 Depth=1
	global_load_u16 v13, v[0:1], off offset:576
.LBB52_32:                              ;   in Loop: Header=BB52_12 Depth=1
	s_or_b32 exec_lo, exec_lo, s22
	v_cmp_gt_u32_e64 s22, s40, v31
	s_delay_alu instid0(VALU_DEP_1)
	s_and_saveexec_b32 s23, s22
	s_cbranch_execz .LBB52_34
; %bb.33:                               ;   in Loop: Header=BB52_12 Depth=1
	global_load_u16 v12, v[0:1], off offset:640
.LBB52_34:                              ;   in Loop: Header=BB52_12 Depth=1
	s_or_b32 exec_lo, exec_lo, s23
	v_cmp_gt_u32_e64 s23, s40, v32
	v_dual_mov_b32 v14, 0 :: v_dual_mov_b32 v15, 0
	s_delay_alu instid0(VALU_DEP_2)
	;; [unrolled: 17-line block ×4, first 2 shown]
	s_and_saveexec_b32 s28, s27
	s_cbranch_execz .LBB52_44
; %bb.43:                               ;   in Loop: Header=BB52_12 Depth=1
	global_load_u16 v95, v[0:1], off offset:960
.LBB52_44:                              ;   in Loop: Header=BB52_12 Depth=1
	s_or_b32 exec_lo, exec_lo, s28
	s_waitcnt vmcnt(0)
	ds_store_b16 v37, v2
	ds_store_b16 v37, v4 offset:64
	ds_store_b16 v38, v3 offset:128
	;; [unrolled: 1-line block ×15, first 2 shown]
	; wave barrier
	ds_load_b128 v[0:3], v52
	ds_load_b128 v[4:7], v52 offset:16
	v_add_co_u32 v8, s28, s70, v16
	s_delay_alu instid0(VALU_DEP_1) | instskip(SKIP_1) | instid1(VALU_DEP_2)
	v_add_co_ci_u32_e64 v9, null, s56, 0, s28
	s_waitcnt lgkmcnt(0)
	v_add_co_u32 v8, vcc_lo, v8, v93
	s_delay_alu instid0(VALU_DEP_2)
	v_add_co_ci_u32_e32 v9, vcc_lo, 0, v9, vcc_lo
	s_barrier
	buffer_gl0_inv
	s_and_saveexec_b32 s28, s12
	s_cbranch_execz .LBB52_46
; %bb.45:                               ;   in Loop: Header=BB52_12 Depth=1
	global_load_u16 v10, v[8:9], off
.LBB52_46:                              ;   in Loop: Header=BB52_12 Depth=1
	s_or_b32 exec_lo, exec_lo, s28
	v_dual_mov_b32 v11, 0 :: v_dual_mov_b32 v12, 0
	s_and_saveexec_b32 s28, s13
	s_cbranch_execz .LBB52_48
; %bb.47:                               ;   in Loop: Header=BB52_12 Depth=1
	global_load_u16 v12, v[8:9], off offset:64
.LBB52_48:                              ;   in Loop: Header=BB52_12 Depth=1
	s_or_b32 exec_lo, exec_lo, s28
	s_and_saveexec_b32 s28, s14
	s_cbranch_execz .LBB52_50
; %bb.49:                               ;   in Loop: Header=BB52_12 Depth=1
	global_load_u16 v11, v[8:9], off offset:128
.LBB52_50:                              ;   in Loop: Header=BB52_12 Depth=1
	s_or_b32 exec_lo, exec_lo, s28
	v_dual_mov_b32 v13, 0 :: v_dual_mov_b32 v14, 0
	s_and_saveexec_b32 s28, s15
	s_cbranch_execz .LBB52_52
; %bb.51:                               ;   in Loop: Header=BB52_12 Depth=1
	global_load_u16 v14, v[8:9], off offset:192
.LBB52_52:                              ;   in Loop: Header=BB52_12 Depth=1
	s_or_b32 exec_lo, exec_lo, s28
	s_and_saveexec_b32 s28, s16
	s_cbranch_execz .LBB52_54
; %bb.53:                               ;   in Loop: Header=BB52_12 Depth=1
	global_load_u16 v13, v[8:9], off offset:256
.LBB52_54:                              ;   in Loop: Header=BB52_12 Depth=1
	s_or_b32 exec_lo, exec_lo, s28
	v_mov_b32_e32 v15, 0
	v_mov_b32_e32 v17, 0
	s_and_saveexec_b32 s28, s17
	s_cbranch_execz .LBB52_56
; %bb.55:                               ;   in Loop: Header=BB52_12 Depth=1
	global_load_u16 v17, v[8:9], off offset:320
.LBB52_56:                              ;   in Loop: Header=BB52_12 Depth=1
	s_or_b32 exec_lo, exec_lo, s28
	s_and_saveexec_b32 s28, s18
	s_cbranch_execz .LBB52_58
; %bb.57:                               ;   in Loop: Header=BB52_12 Depth=1
	global_load_u16 v15, v[8:9], off offset:384
.LBB52_58:                              ;   in Loop: Header=BB52_12 Depth=1
	s_or_b32 exec_lo, exec_lo, s28
	v_dual_mov_b32 v94, 0 :: v_dual_mov_b32 v95, 0
	s_and_saveexec_b32 s28, s19
	s_cbranch_execz .LBB52_60
; %bb.59:                               ;   in Loop: Header=BB52_12 Depth=1
	global_load_u16 v95, v[8:9], off offset:448
.LBB52_60:                              ;   in Loop: Header=BB52_12 Depth=1
	s_or_b32 exec_lo, exec_lo, s28
	s_and_saveexec_b32 s28, s20
	s_cbranch_execz .LBB52_62
; %bb.61:                               ;   in Loop: Header=BB52_12 Depth=1
	global_load_u16 v94, v[8:9], off offset:512
.LBB52_62:                              ;   in Loop: Header=BB52_12 Depth=1
	s_or_b32 exec_lo, exec_lo, s28
	v_dual_mov_b32 v96, 0 :: v_dual_mov_b32 v97, 0
	;; [unrolled: 13-line block ×4, first 2 shown]
	s_and_saveexec_b32 s28, s25
	s_cbranch_execnz .LBB52_267
; %bb.71:                               ;   in Loop: Header=BB52_12 Depth=1
	s_or_b32 exec_lo, exec_lo, s28
	s_and_saveexec_b32 s28, s26
	s_cbranch_execnz .LBB52_268
.LBB52_72:                              ;   in Loop: Header=BB52_12 Depth=1
	s_or_b32 exec_lo, exec_lo, s28
	v_mov_b32_e32 v102, 0
	s_and_saveexec_b32 s28, s27
	s_cbranch_execz .LBB52_74
.LBB52_73:                              ;   in Loop: Header=BB52_12 Depth=1
	global_load_u16 v102, v[8:9], off offset:960
.LBB52_74:                              ;   in Loop: Header=BB52_12 Depth=1
	s_or_b32 exec_lo, exec_lo, s28
	s_waitcnt vmcnt(0)
	ds_store_b16 v37, v10
	ds_store_b16 v37, v12 offset:64
	ds_store_b16 v38, v11 offset:128
	;; [unrolled: 1-line block ×15, first 2 shown]
	; wave barrier
	ds_load_b128 v[12:15], v52
	ds_load_b128 v[8:11], v52 offset:16
	s_waitcnt lgkmcnt(1)
	v_lshlrev_b32_e32 v17, 16, v12
	s_delay_alu instid0(VALU_DEP_1) | instskip(NEXT) | instid1(VALU_DEP_1)
	v_add_f32_e32 v94, s66, v17
	v_cmp_ge_f32_e32 vcc_lo, 0x41a00000, v94
	s_and_b32 s28, s79, vcc_lo
	s_delay_alu instid0(SALU_CYCLE_1)
	s_and_saveexec_b32 s29, s28
	s_cbranch_execz .LBB52_76
; %bb.75:                               ;   in Loop: Header=BB52_12 Depth=1
	v_mul_f32_e32 v17, 0x3fb8aa3b, v94
	v_cmp_ngt_f32_e32 vcc_lo, 0xc2ce8ed0, v94
	s_delay_alu instid0(VALU_DEP_2) | instskip(SKIP_1) | instid1(VALU_DEP_1)
	v_rndne_f32_e32 v95, v17
	v_fma_f32 v96, 0x3fb8aa3b, v94, -v17
	v_dual_sub_f32 v17, v17, v95 :: v_dual_fmac_f32 v96, 0x32a5705f, v94
	v_cvt_i32_f32_e32 v95, v95
	s_delay_alu instid0(VALU_DEP_2) | instskip(NEXT) | instid1(VALU_DEP_1)
	v_add_f32_e32 v17, v17, v96
	v_exp_f32_e32 v17, v17
	s_waitcnt_depctr 0xfff
	v_ldexp_f32 v17, v17, v95
	s_delay_alu instid0(VALU_DEP_1) | instskip(SKIP_1) | instid1(VALU_DEP_2)
	v_cndmask_b32_e32 v17, 0, v17, vcc_lo
	v_cmp_nlt_f32_e32 vcc_lo, 0x42b17218, v94
	v_cndmask_b32_e32 v17, 0x7f800000, v17, vcc_lo
	s_delay_alu instid0(VALU_DEP_1) | instskip(NEXT) | instid1(VALU_DEP_1)
	v_add_f32_e32 v96, 1.0, v17
	v_cvt_f64_f32_e32 v[94:95], v96
	s_delay_alu instid0(VALU_DEP_1) | instskip(SKIP_1) | instid1(VALU_DEP_1)
	v_frexp_exp_i32_f64_e32 v94, v[94:95]
	v_frexp_mant_f32_e32 v95, v96
	v_cmp_gt_f32_e32 vcc_lo, 0x3f2aaaab, v95
	v_add_f32_e32 v95, -1.0, v96
	s_delay_alu instid0(VALU_DEP_1) | instskip(NEXT) | instid1(VALU_DEP_1)
	v_dual_sub_f32 v98, v95, v96 :: v_dual_sub_f32 v95, v17, v95
	v_add_f32_e32 v98, 1.0, v98
	v_subrev_co_ci_u32_e32 v94, vcc_lo, 0, v94, vcc_lo
	s_delay_alu instid0(VALU_DEP_1) | instskip(SKIP_1) | instid1(VALU_DEP_2)
	v_sub_nc_u32_e32 v97, 0, v94
	v_cvt_f32_i32_e32 v94, v94
	v_ldexp_f32 v96, v96, v97
	v_add_f32_e32 v95, v95, v98
	s_delay_alu instid0(VALU_DEP_1) | instskip(NEXT) | instid1(VALU_DEP_3)
	v_ldexp_f32 v95, v95, v97
	v_add_f32_e32 v99, 1.0, v96
	s_delay_alu instid0(VALU_DEP_1) | instskip(NEXT) | instid1(VALU_DEP_1)
	v_add_f32_e32 v98, -1.0, v99
	v_sub_f32_e32 v98, v96, v98
	v_cmp_eq_f32_e32 vcc_lo, 0x7f800000, v17
	v_cmp_gt_f32_e64 s28, 0x33800000, v17
	s_delay_alu instid0(VALU_DEP_3) | instskip(NEXT) | instid1(VALU_DEP_2)
	v_dual_add_f32 v98, v95, v98 :: v_dual_add_f32 v97, -1.0, v96
	s_or_b32 vcc_lo, s28, vcc_lo
	s_delay_alu instid0(VALU_DEP_1) | instskip(NEXT) | instid1(VALU_DEP_1)
	v_add_f32_e32 v100, 1.0, v97
	v_sub_f32_e32 v96, v96, v100
	s_delay_alu instid0(VALU_DEP_3) | instskip(NEXT) | instid1(VALU_DEP_1)
	v_add_f32_e32 v100, v99, v98
	v_sub_f32_e32 v99, v99, v100
	s_delay_alu instid0(VALU_DEP_3) | instskip(SKIP_1) | instid1(VALU_DEP_2)
	v_add_f32_e32 v95, v95, v96
	v_rcp_f32_e32 v96, v100
	v_add_f32_e32 v98, v98, v99
	s_delay_alu instid0(VALU_DEP_2) | instskip(NEXT) | instid1(VALU_DEP_1)
	v_add_f32_e32 v101, v97, v95
	v_sub_f32_e32 v97, v97, v101
	s_waitcnt_depctr 0xfff
	v_dual_mul_f32 v102, v101, v96 :: v_dual_add_f32 v95, v95, v97
	s_delay_alu instid0(VALU_DEP_1) | instskip(NEXT) | instid1(VALU_DEP_1)
	v_mul_f32_e32 v103, v100, v102
	v_fma_f32 v99, v102, v100, -v103
	s_delay_alu instid0(VALU_DEP_1) | instskip(NEXT) | instid1(VALU_DEP_1)
	v_fmac_f32_e32 v99, v102, v98
	v_add_f32_e32 v104, v103, v99
	s_delay_alu instid0(VALU_DEP_1) | instskip(NEXT) | instid1(VALU_DEP_1)
	v_sub_f32_e32 v105, v101, v104
	v_sub_f32_e32 v101, v101, v105
	;; [unrolled: 1-line block ×3, first 2 shown]
	s_delay_alu instid0(VALU_DEP_2) | instskip(NEXT) | instid1(VALU_DEP_2)
	v_sub_f32_e32 v101, v101, v104
	v_sub_f32_e32 v97, v97, v99
	s_delay_alu instid0(VALU_DEP_2) | instskip(NEXT) | instid1(VALU_DEP_1)
	v_add_f32_e32 v95, v95, v101
	v_add_f32_e32 v95, v97, v95
	s_delay_alu instid0(VALU_DEP_1) | instskip(NEXT) | instid1(VALU_DEP_1)
	v_add_f32_e32 v97, v105, v95
	v_mul_f32_e32 v99, v96, v97
	s_delay_alu instid0(VALU_DEP_1) | instskip(NEXT) | instid1(VALU_DEP_1)
	v_dual_sub_f32 v104, v105, v97 :: v_dual_mul_f32 v101, v100, v99
	v_add_f32_e32 v95, v95, v104
	s_delay_alu instid0(VALU_DEP_2) | instskip(NEXT) | instid1(VALU_DEP_1)
	v_fma_f32 v100, v99, v100, -v101
	v_fmac_f32_e32 v100, v99, v98
	s_delay_alu instid0(VALU_DEP_1) | instskip(NEXT) | instid1(VALU_DEP_1)
	v_add_f32_e32 v98, v101, v100
	v_sub_f32_e32 v103, v97, v98
	v_sub_f32_e32 v101, v98, v101
	s_delay_alu instid0(VALU_DEP_2) | instskip(NEXT) | instid1(VALU_DEP_1)
	v_sub_f32_e32 v97, v97, v103
	v_sub_f32_e32 v97, v97, v98
	s_delay_alu instid0(VALU_DEP_1) | instskip(SKIP_1) | instid1(VALU_DEP_1)
	v_dual_sub_f32 v98, v101, v100 :: v_dual_add_f32 v95, v95, v97
	v_add_f32_e32 v97, v102, v99
	v_dual_add_f32 v95, v98, v95 :: v_dual_sub_f32 v98, v97, v102
	s_delay_alu instid0(VALU_DEP_1) | instskip(NEXT) | instid1(VALU_DEP_1)
	v_add_f32_e32 v95, v103, v95
	v_dual_sub_f32 v98, v99, v98 :: v_dual_mul_f32 v95, v96, v95
	s_delay_alu instid0(VALU_DEP_1) | instskip(NEXT) | instid1(VALU_DEP_1)
	v_add_f32_e32 v95, v98, v95
	v_add_f32_e32 v96, v97, v95
	s_delay_alu instid0(VALU_DEP_1) | instskip(NEXT) | instid1(VALU_DEP_1)
	v_mul_f32_e32 v98, v96, v96
	v_fmaak_f32 v99, s83, v98, 0x3ecc95a3
	v_mul_f32_e32 v100, v96, v98
	s_delay_alu instid0(VALU_DEP_2) | instskip(SKIP_2) | instid1(VALU_DEP_3)
	v_fmaak_f32 v98, v98, v99, 0x3f2aaada
	v_ldexp_f32 v99, v96, 1
	v_sub_f32_e32 v96, v96, v97
	v_mul_f32_e32 v98, v100, v98
	s_delay_alu instid0(VALU_DEP_2) | instskip(NEXT) | instid1(VALU_DEP_2)
	v_dual_mul_f32 v100, 0x3f317218, v94 :: v_dual_sub_f32 v95, v95, v96
	v_add_f32_e32 v97, v99, v98
	s_delay_alu instid0(VALU_DEP_2) | instskip(NEXT) | instid1(VALU_DEP_2)
	v_ldexp_f32 v95, v95, 1
	v_sub_f32_e32 v96, v97, v99
	s_delay_alu instid0(VALU_DEP_4) | instskip(NEXT) | instid1(VALU_DEP_1)
	v_fma_f32 v99, 0x3f317218, v94, -v100
	v_dual_sub_f32 v96, v98, v96 :: v_dual_fmac_f32 v99, 0xb102e308, v94
	s_delay_alu instid0(VALU_DEP_1) | instskip(NEXT) | instid1(VALU_DEP_1)
	v_dual_add_f32 v94, v95, v96 :: v_dual_add_f32 v95, v100, v99
	v_add_f32_e32 v96, v97, v94
	s_delay_alu instid0(VALU_DEP_2) | instskip(NEXT) | instid1(VALU_DEP_2)
	v_sub_f32_e32 v100, v95, v100
	v_dual_add_f32 v98, v95, v96 :: v_dual_sub_f32 v97, v96, v97
	s_delay_alu instid0(VALU_DEP_2) | instskip(NEXT) | instid1(VALU_DEP_2)
	v_sub_f32_e32 v99, v99, v100
	v_sub_f32_e32 v101, v98, v95
	s_delay_alu instid0(VALU_DEP_3) | instskip(NEXT) | instid1(VALU_DEP_2)
	v_sub_f32_e32 v94, v94, v97
	v_sub_f32_e32 v102, v98, v101
	s_delay_alu instid0(VALU_DEP_2) | instskip(NEXT) | instid1(VALU_DEP_2)
	v_dual_sub_f32 v96, v96, v101 :: v_dual_add_f32 v97, v99, v94
	v_sub_f32_e32 v95, v95, v102
	s_delay_alu instid0(VALU_DEP_1) | instskip(NEXT) | instid1(VALU_DEP_3)
	v_add_f32_e32 v95, v96, v95
	v_sub_f32_e32 v96, v97, v99
	s_delay_alu instid0(VALU_DEP_2) | instskip(NEXT) | instid1(VALU_DEP_2)
	v_add_f32_e32 v95, v97, v95
	v_sub_f32_e32 v97, v97, v96
	v_sub_f32_e32 v94, v94, v96
	s_delay_alu instid0(VALU_DEP_2) | instskip(NEXT) | instid1(VALU_DEP_1)
	v_dual_add_f32 v100, v98, v95 :: v_dual_sub_f32 v97, v99, v97
	v_sub_f32_e32 v96, v100, v98
	s_delay_alu instid0(VALU_DEP_1) | instskip(NEXT) | instid1(VALU_DEP_1)
	v_dual_add_f32 v94, v94, v97 :: v_dual_sub_f32 v95, v95, v96
	v_add_f32_e32 v94, v94, v95
	s_delay_alu instid0(VALU_DEP_1) | instskip(NEXT) | instid1(VALU_DEP_1)
	v_add_f32_e32 v94, v100, v94
	v_cndmask_b32_e32 v94, v94, v17, vcc_lo
.LBB52_76:                              ;   in Loop: Header=BB52_12 Depth=1
	s_or_b32 exec_lo, exec_lo, s29
	v_and_b32_e32 v12, 0xffff0000, v12
	s_delay_alu instid0(VALU_DEP_1) | instskip(NEXT) | instid1(VALU_DEP_1)
	v_add_f32_e32 v95, s66, v12
	v_cmp_ge_f32_e32 vcc_lo, 0x41a00000, v95
	s_and_b32 s28, s79, vcc_lo
	s_delay_alu instid0(SALU_CYCLE_1)
	s_and_saveexec_b32 s29, s28
	s_cbranch_execz .LBB52_78
; %bb.77:                               ;   in Loop: Header=BB52_12 Depth=1
	v_mul_f32_e32 v12, 0x3fb8aa3b, v95
	v_cmp_ngt_f32_e32 vcc_lo, 0xc2ce8ed0, v95
	s_delay_alu instid0(VALU_DEP_2) | instskip(SKIP_1) | instid1(VALU_DEP_2)
	v_rndne_f32_e32 v17, v12
	v_fma_f32 v96, 0x3fb8aa3b, v95, -v12
	v_sub_f32_e32 v12, v12, v17
	s_delay_alu instid0(VALU_DEP_2) | instskip(SKIP_1) | instid1(VALU_DEP_2)
	v_fmac_f32_e32 v96, 0x32a5705f, v95
	v_cvt_i32_f32_e32 v17, v17
	v_add_f32_e32 v12, v12, v96
	s_delay_alu instid0(VALU_DEP_1) | instskip(SKIP_2) | instid1(VALU_DEP_1)
	v_exp_f32_e32 v12, v12
	s_waitcnt_depctr 0xfff
	v_ldexp_f32 v12, v12, v17
	v_cndmask_b32_e32 v12, 0, v12, vcc_lo
	v_cmp_nlt_f32_e32 vcc_lo, 0x42b17218, v95
	s_delay_alu instid0(VALU_DEP_2) | instskip(NEXT) | instid1(VALU_DEP_1)
	v_cndmask_b32_e32 v12, 0x7f800000, v12, vcc_lo
	v_add_f32_e32 v17, 1.0, v12
	s_delay_alu instid0(VALU_DEP_1) | instskip(NEXT) | instid1(VALU_DEP_1)
	v_cvt_f64_f32_e32 v[95:96], v17
	v_frexp_exp_i32_f64_e32 v95, v[95:96]
	v_frexp_mant_f32_e32 v96, v17
	s_delay_alu instid0(VALU_DEP_1) | instskip(SKIP_1) | instid1(VALU_DEP_1)
	v_cmp_gt_f32_e32 vcc_lo, 0x3f2aaaab, v96
	v_add_f32_e32 v96, -1.0, v17
	v_sub_f32_e32 v98, v96, v17
	v_sub_f32_e32 v96, v12, v96
	s_delay_alu instid0(VALU_DEP_2) | instskip(NEXT) | instid1(VALU_DEP_1)
	v_add_f32_e32 v98, 1.0, v98
	v_add_f32_e32 v96, v96, v98
	v_subrev_co_ci_u32_e32 v95, vcc_lo, 0, v95, vcc_lo
	s_delay_alu instid0(VALU_DEP_1) | instskip(SKIP_1) | instid1(VALU_DEP_2)
	v_sub_nc_u32_e32 v97, 0, v95
	v_cvt_f32_i32_e32 v95, v95
	v_ldexp_f32 v17, v17, v97
	v_ldexp_f32 v96, v96, v97
	s_delay_alu instid0(VALU_DEP_2) | instskip(NEXT) | instid1(VALU_DEP_1)
	v_add_f32_e32 v99, 1.0, v17
	v_dual_add_f32 v97, -1.0, v17 :: v_dual_add_f32 v98, -1.0, v99
	s_delay_alu instid0(VALU_DEP_1) | instskip(NEXT) | instid1(VALU_DEP_2)
	v_add_f32_e32 v100, 1.0, v97
	v_sub_f32_e32 v98, v17, v98
	s_delay_alu instid0(VALU_DEP_2) | instskip(NEXT) | instid1(VALU_DEP_1)
	v_sub_f32_e32 v17, v17, v100
	v_add_f32_e32 v17, v96, v17
	s_delay_alu instid0(VALU_DEP_1) | instskip(SKIP_2) | instid1(VALU_DEP_3)
	v_add_f32_e32 v101, v97, v17
	v_cmp_eq_f32_e32 vcc_lo, 0x7f800000, v12
	v_cmp_gt_f32_e64 s28, 0x33800000, v12
	v_dual_sub_f32 v97, v97, v101 :: v_dual_add_f32 v98, v96, v98
	s_delay_alu instid0(VALU_DEP_2) | instskip(NEXT) | instid1(VALU_DEP_1)
	s_or_b32 vcc_lo, s28, vcc_lo
	v_dual_add_f32 v17, v17, v97 :: v_dual_add_f32 v100, v99, v98
	s_delay_alu instid0(VALU_DEP_1) | instskip(SKIP_1) | instid1(VALU_DEP_1)
	v_rcp_f32_e32 v96, v100
	v_sub_f32_e32 v99, v99, v100
	v_add_f32_e32 v98, v98, v99
	s_waitcnt_depctr 0xfff
	v_mul_f32_e32 v102, v101, v96
	s_delay_alu instid0(VALU_DEP_1) | instskip(NEXT) | instid1(VALU_DEP_1)
	v_mul_f32_e32 v103, v100, v102
	v_fma_f32 v99, v102, v100, -v103
	s_delay_alu instid0(VALU_DEP_1) | instskip(NEXT) | instid1(VALU_DEP_1)
	v_fmac_f32_e32 v99, v102, v98
	v_add_f32_e32 v104, v103, v99
	s_delay_alu instid0(VALU_DEP_1) | instskip(SKIP_1) | instid1(VALU_DEP_2)
	v_sub_f32_e32 v105, v101, v104
	v_sub_f32_e32 v97, v104, v103
	;; [unrolled: 1-line block ×3, first 2 shown]
	s_delay_alu instid0(VALU_DEP_2) | instskip(NEXT) | instid1(VALU_DEP_2)
	v_sub_f32_e32 v97, v97, v99
	v_sub_f32_e32 v101, v101, v104
	s_delay_alu instid0(VALU_DEP_1) | instskip(NEXT) | instid1(VALU_DEP_1)
	v_add_f32_e32 v17, v17, v101
	v_add_f32_e32 v17, v97, v17
	s_delay_alu instid0(VALU_DEP_1) | instskip(NEXT) | instid1(VALU_DEP_1)
	v_add_f32_e32 v97, v105, v17
	v_mul_f32_e32 v99, v96, v97
	s_delay_alu instid0(VALU_DEP_1) | instskip(NEXT) | instid1(VALU_DEP_1)
	v_mul_f32_e32 v101, v100, v99
	v_fma_f32 v100, v99, v100, -v101
	s_delay_alu instid0(VALU_DEP_1) | instskip(SKIP_1) | instid1(VALU_DEP_2)
	v_fmac_f32_e32 v100, v99, v98
	v_sub_f32_e32 v104, v105, v97
	v_add_f32_e32 v98, v101, v100
	s_delay_alu instid0(VALU_DEP_2) | instskip(NEXT) | instid1(VALU_DEP_2)
	v_add_f32_e32 v17, v17, v104
	v_sub_f32_e32 v103, v97, v98
	s_delay_alu instid0(VALU_DEP_1) | instskip(NEXT) | instid1(VALU_DEP_1)
	v_sub_f32_e32 v97, v97, v103
	v_sub_f32_e32 v97, v97, v98
	s_delay_alu instid0(VALU_DEP_1) | instskip(SKIP_2) | instid1(VALU_DEP_1)
	v_add_f32_e32 v17, v17, v97
	v_add_f32_e32 v97, v102, v99
	v_sub_f32_e32 v101, v98, v101
	v_sub_f32_e32 v98, v101, v100
	s_delay_alu instid0(VALU_DEP_1) | instskip(NEXT) | instid1(VALU_DEP_1)
	v_dual_add_f32 v17, v98, v17 :: v_dual_sub_f32 v98, v97, v102
	v_add_f32_e32 v17, v103, v17
	s_delay_alu instid0(VALU_DEP_1) | instskip(NEXT) | instid1(VALU_DEP_1)
	v_dual_sub_f32 v98, v99, v98 :: v_dual_mul_f32 v17, v96, v17
	v_add_f32_e32 v17, v98, v17
	s_delay_alu instid0(VALU_DEP_1) | instskip(NEXT) | instid1(VALU_DEP_1)
	v_add_f32_e32 v96, v97, v17
	v_mul_f32_e32 v98, v96, v96
	s_delay_alu instid0(VALU_DEP_1) | instskip(SKIP_1) | instid1(VALU_DEP_2)
	v_fmaak_f32 v99, s83, v98, 0x3ecc95a3
	v_mul_f32_e32 v100, v96, v98
	v_fmaak_f32 v98, v98, v99, 0x3f2aaada
	v_ldexp_f32 v99, v96, 1
	s_delay_alu instid0(VALU_DEP_2) | instskip(SKIP_1) | instid1(VALU_DEP_2)
	v_mul_f32_e32 v98, v100, v98
	v_sub_f32_e32 v96, v96, v97
	v_dual_mul_f32 v100, 0x3f317218, v95 :: v_dual_add_f32 v97, v99, v98
	s_delay_alu instid0(VALU_DEP_2) | instskip(NEXT) | instid1(VALU_DEP_2)
	v_sub_f32_e32 v17, v17, v96
	v_sub_f32_e32 v96, v97, v99
	s_delay_alu instid0(VALU_DEP_3) | instskip(NEXT) | instid1(VALU_DEP_3)
	v_fma_f32 v99, 0x3f317218, v95, -v100
	v_ldexp_f32 v17, v17, 1
	s_delay_alu instid0(VALU_DEP_2) | instskip(NEXT) | instid1(VALU_DEP_1)
	v_dual_sub_f32 v96, v98, v96 :: v_dual_fmac_f32 v99, 0xb102e308, v95
	v_add_f32_e32 v17, v17, v96
	s_delay_alu instid0(VALU_DEP_1) | instskip(NEXT) | instid1(VALU_DEP_1)
	v_dual_add_f32 v95, v100, v99 :: v_dual_add_f32 v96, v97, v17
	v_sub_f32_e32 v100, v95, v100
	s_delay_alu instid0(VALU_DEP_2) | instskip(NEXT) | instid1(VALU_DEP_2)
	v_dual_add_f32 v98, v95, v96 :: v_dual_sub_f32 v97, v96, v97
	v_sub_f32_e32 v99, v99, v100
	s_delay_alu instid0(VALU_DEP_2) | instskip(NEXT) | instid1(VALU_DEP_1)
	v_sub_f32_e32 v101, v98, v95
	v_sub_f32_e32 v102, v98, v101
	;; [unrolled: 1-line block ×4, first 2 shown]
	s_delay_alu instid0(VALU_DEP_1) | instskip(NEXT) | instid1(VALU_DEP_4)
	v_add_f32_e32 v97, v99, v17
	v_sub_f32_e32 v95, v95, v102
	s_delay_alu instid0(VALU_DEP_1) | instskip(NEXT) | instid1(VALU_DEP_3)
	v_add_f32_e32 v95, v96, v95
	v_sub_f32_e32 v96, v97, v99
	s_delay_alu instid0(VALU_DEP_2) | instskip(NEXT) | instid1(VALU_DEP_2)
	v_add_f32_e32 v95, v97, v95
	v_sub_f32_e32 v97, v97, v96
	s_delay_alu instid0(VALU_DEP_2) | instskip(NEXT) | instid1(VALU_DEP_1)
	v_dual_sub_f32 v17, v17, v96 :: v_dual_add_f32 v100, v98, v95
	v_dual_sub_f32 v96, v100, v98 :: v_dual_sub_f32 v97, v99, v97
	s_delay_alu instid0(VALU_DEP_1) | instskip(NEXT) | instid1(VALU_DEP_2)
	v_sub_f32_e32 v95, v95, v96
	v_add_f32_e32 v17, v17, v97
	s_delay_alu instid0(VALU_DEP_1) | instskip(NEXT) | instid1(VALU_DEP_1)
	v_add_f32_e32 v17, v17, v95
	v_add_f32_e32 v17, v100, v17
	s_delay_alu instid0(VALU_DEP_1)
	v_cndmask_b32_e32 v95, v17, v12, vcc_lo
.LBB52_78:                              ;   in Loop: Header=BB52_12 Depth=1
	s_or_b32 exec_lo, exec_lo, s29
	v_lshlrev_b32_e32 v12, 16, v13
	s_delay_alu instid0(VALU_DEP_1) | instskip(NEXT) | instid1(VALU_DEP_1)
	v_add_f32_e32 v96, s66, v12
	v_cmp_ge_f32_e32 vcc_lo, 0x41a00000, v96
	s_and_b32 s28, s79, vcc_lo
	s_delay_alu instid0(SALU_CYCLE_1)
	s_and_saveexec_b32 s29, s28
	s_cbranch_execz .LBB52_80
; %bb.79:                               ;   in Loop: Header=BB52_12 Depth=1
	v_mul_f32_e32 v12, 0x3fb8aa3b, v96
	v_cmp_ngt_f32_e32 vcc_lo, 0xc2ce8ed0, v96
	s_delay_alu instid0(VALU_DEP_2) | instskip(SKIP_1) | instid1(VALU_DEP_1)
	v_rndne_f32_e32 v17, v12
	v_fma_f32 v97, 0x3fb8aa3b, v96, -v12
	v_dual_sub_f32 v12, v12, v17 :: v_dual_fmac_f32 v97, 0x32a5705f, v96
	v_cvt_i32_f32_e32 v17, v17
	s_delay_alu instid0(VALU_DEP_2) | instskip(NEXT) | instid1(VALU_DEP_1)
	v_add_f32_e32 v12, v12, v97
	v_exp_f32_e32 v12, v12
	s_waitcnt_depctr 0xfff
	v_ldexp_f32 v12, v12, v17
	s_delay_alu instid0(VALU_DEP_1) | instskip(SKIP_1) | instid1(VALU_DEP_2)
	v_cndmask_b32_e32 v12, 0, v12, vcc_lo
	v_cmp_nlt_f32_e32 vcc_lo, 0x42b17218, v96
	v_cndmask_b32_e32 v12, 0x7f800000, v12, vcc_lo
	s_delay_alu instid0(VALU_DEP_1) | instskip(NEXT) | instid1(VALU_DEP_1)
	v_add_f32_e32 v17, 1.0, v12
	v_cvt_f64_f32_e32 v[96:97], v17
	s_delay_alu instid0(VALU_DEP_1) | instskip(SKIP_1) | instid1(VALU_DEP_1)
	v_frexp_exp_i32_f64_e32 v96, v[96:97]
	v_frexp_mant_f32_e32 v97, v17
	v_cmp_gt_f32_e32 vcc_lo, 0x3f2aaaab, v97
	v_add_f32_e32 v97, -1.0, v17
	s_delay_alu instid0(VALU_DEP_1) | instskip(SKIP_1) | instid1(VALU_DEP_2)
	v_sub_f32_e32 v99, v97, v17
	v_sub_f32_e32 v97, v12, v97
	v_add_f32_e32 v99, 1.0, v99
	s_delay_alu instid0(VALU_DEP_1) | instskip(SKIP_3) | instid1(VALU_DEP_2)
	v_add_f32_e32 v97, v97, v99
	v_cmp_gt_f32_e64 s28, 0x33800000, v12
	v_subrev_co_ci_u32_e32 v96, vcc_lo, 0, v96, vcc_lo
	v_cmp_eq_f32_e32 vcc_lo, 0x7f800000, v12
	v_sub_nc_u32_e32 v98, 0, v96
	v_cvt_f32_i32_e32 v96, v96
	s_or_b32 vcc_lo, s28, vcc_lo
	s_delay_alu instid0(VALU_DEP_2) | instskip(SKIP_1) | instid1(VALU_DEP_2)
	v_ldexp_f32 v17, v17, v98
	v_ldexp_f32 v97, v97, v98
	v_add_f32_e32 v100, 1.0, v17
	s_delay_alu instid0(VALU_DEP_1) | instskip(NEXT) | instid1(VALU_DEP_1)
	v_dual_add_f32 v98, -1.0, v17 :: v_dual_add_f32 v99, -1.0, v100
	v_add_f32_e32 v101, 1.0, v98
	s_delay_alu instid0(VALU_DEP_2) | instskip(NEXT) | instid1(VALU_DEP_2)
	v_sub_f32_e32 v99, v17, v99
	v_sub_f32_e32 v17, v17, v101
	s_delay_alu instid0(VALU_DEP_1) | instskip(NEXT) | instid1(VALU_DEP_1)
	v_add_f32_e32 v17, v97, v17
	v_dual_add_f32 v102, v98, v17 :: v_dual_add_f32 v99, v97, v99
	s_delay_alu instid0(VALU_DEP_1) | instskip(NEXT) | instid1(VALU_DEP_1)
	v_dual_sub_f32 v98, v98, v102 :: v_dual_add_f32 v101, v100, v99
	v_rcp_f32_e32 v97, v101
	v_sub_f32_e32 v100, v100, v101
	s_delay_alu instid0(VALU_DEP_1) | instskip(SKIP_2) | instid1(VALU_DEP_1)
	v_add_f32_e32 v99, v99, v100
	s_waitcnt_depctr 0xfff
	v_mul_f32_e32 v103, v102, v97
	v_mul_f32_e32 v104, v101, v103
	s_delay_alu instid0(VALU_DEP_1) | instskip(NEXT) | instid1(VALU_DEP_1)
	v_fma_f32 v100, v103, v101, -v104
	v_fmac_f32_e32 v100, v103, v99
	s_delay_alu instid0(VALU_DEP_1) | instskip(NEXT) | instid1(VALU_DEP_1)
	v_add_f32_e32 v105, v104, v100
	v_sub_f32_e32 v106, v102, v105
	s_delay_alu instid0(VALU_DEP_1) | instskip(SKIP_2) | instid1(VALU_DEP_3)
	v_sub_f32_e32 v102, v102, v106
	v_add_f32_e32 v17, v17, v98
	v_sub_f32_e32 v98, v105, v104
	v_sub_f32_e32 v102, v102, v105
	s_delay_alu instid0(VALU_DEP_1) | instskip(NEXT) | instid1(VALU_DEP_1)
	v_dual_sub_f32 v98, v98, v100 :: v_dual_add_f32 v17, v17, v102
	v_add_f32_e32 v17, v98, v17
	s_delay_alu instid0(VALU_DEP_1) | instskip(NEXT) | instid1(VALU_DEP_1)
	v_add_f32_e32 v98, v106, v17
	v_mul_f32_e32 v100, v97, v98
	s_delay_alu instid0(VALU_DEP_1) | instskip(NEXT) | instid1(VALU_DEP_1)
	v_dual_sub_f32 v105, v106, v98 :: v_dual_mul_f32 v102, v101, v100
	v_add_f32_e32 v17, v17, v105
	s_delay_alu instid0(VALU_DEP_2) | instskip(NEXT) | instid1(VALU_DEP_1)
	v_fma_f32 v101, v100, v101, -v102
	v_fmac_f32_e32 v101, v100, v99
	s_delay_alu instid0(VALU_DEP_1) | instskip(NEXT) | instid1(VALU_DEP_1)
	v_add_f32_e32 v99, v102, v101
	v_sub_f32_e32 v104, v98, v99
	s_delay_alu instid0(VALU_DEP_1) | instskip(NEXT) | instid1(VALU_DEP_1)
	v_sub_f32_e32 v98, v98, v104
	v_sub_f32_e32 v98, v98, v99
	s_delay_alu instid0(VALU_DEP_1) | instskip(SKIP_1) | instid1(VALU_DEP_1)
	v_dual_add_f32 v17, v17, v98 :: v_dual_add_f32 v98, v103, v100
	v_sub_f32_e32 v102, v99, v102
	v_sub_f32_e32 v99, v102, v101
	s_delay_alu instid0(VALU_DEP_1) | instskip(NEXT) | instid1(VALU_DEP_4)
	v_add_f32_e32 v17, v99, v17
	v_sub_f32_e32 v99, v98, v103
	s_delay_alu instid0(VALU_DEP_2) | instskip(NEXT) | instid1(VALU_DEP_2)
	v_add_f32_e32 v17, v104, v17
	v_sub_f32_e32 v99, v100, v99
	s_delay_alu instid0(VALU_DEP_2) | instskip(NEXT) | instid1(VALU_DEP_1)
	v_mul_f32_e32 v17, v97, v17
	v_add_f32_e32 v17, v99, v17
	s_delay_alu instid0(VALU_DEP_1) | instskip(NEXT) | instid1(VALU_DEP_1)
	v_add_f32_e32 v97, v98, v17
	v_mul_f32_e32 v99, v97, v97
	s_delay_alu instid0(VALU_DEP_1) | instskip(SKIP_1) | instid1(VALU_DEP_2)
	v_fmaak_f32 v100, s83, v99, 0x3ecc95a3
	v_mul_f32_e32 v101, v97, v99
	v_fmaak_f32 v99, v99, v100, 0x3f2aaada
	v_ldexp_f32 v100, v97, 1
	v_sub_f32_e32 v97, v97, v98
	s_delay_alu instid0(VALU_DEP_3) | instskip(SKIP_1) | instid1(VALU_DEP_2)
	v_mul_f32_e32 v99, v101, v99
	v_mul_f32_e32 v101, 0x3f317218, v96
	v_dual_sub_f32 v17, v17, v97 :: v_dual_add_f32 v98, v100, v99
	s_delay_alu instid0(VALU_DEP_1) | instskip(NEXT) | instid1(VALU_DEP_2)
	v_ldexp_f32 v17, v17, 1
	v_sub_f32_e32 v97, v98, v100
	s_delay_alu instid0(VALU_DEP_4) | instskip(NEXT) | instid1(VALU_DEP_1)
	v_fma_f32 v100, 0x3f317218, v96, -v101
	v_dual_sub_f32 v97, v99, v97 :: v_dual_fmac_f32 v100, 0xb102e308, v96
	s_delay_alu instid0(VALU_DEP_1) | instskip(NEXT) | instid1(VALU_DEP_1)
	v_add_f32_e32 v17, v17, v97
	v_dual_add_f32 v96, v101, v100 :: v_dual_add_f32 v97, v98, v17
	s_delay_alu instid0(VALU_DEP_1) | instskip(NEXT) | instid1(VALU_DEP_2)
	v_sub_f32_e32 v101, v96, v101
	v_dual_add_f32 v99, v96, v97 :: v_dual_sub_f32 v98, v97, v98
	s_delay_alu instid0(VALU_DEP_2) | instskip(NEXT) | instid1(VALU_DEP_2)
	v_sub_f32_e32 v100, v100, v101
	v_dual_sub_f32 v102, v99, v96 :: v_dual_sub_f32 v17, v17, v98
	s_delay_alu instid0(VALU_DEP_1) | instskip(NEXT) | instid1(VALU_DEP_2)
	v_sub_f32_e32 v103, v99, v102
	v_dual_sub_f32 v97, v97, v102 :: v_dual_add_f32 v98, v100, v17
	s_delay_alu instid0(VALU_DEP_2) | instskip(NEXT) | instid1(VALU_DEP_1)
	v_sub_f32_e32 v96, v96, v103
	v_add_f32_e32 v96, v97, v96
	s_delay_alu instid0(VALU_DEP_3) | instskip(NEXT) | instid1(VALU_DEP_2)
	v_sub_f32_e32 v97, v98, v100
	v_add_f32_e32 v96, v98, v96
	s_delay_alu instid0(VALU_DEP_2) | instskip(SKIP_1) | instid1(VALU_DEP_2)
	v_sub_f32_e32 v98, v98, v97
	v_sub_f32_e32 v17, v17, v97
	v_dual_add_f32 v101, v99, v96 :: v_dual_sub_f32 v98, v100, v98
	s_delay_alu instid0(VALU_DEP_1) | instskip(NEXT) | instid1(VALU_DEP_1)
	v_sub_f32_e32 v97, v101, v99
	v_dual_add_f32 v17, v17, v98 :: v_dual_sub_f32 v96, v96, v97
	s_delay_alu instid0(VALU_DEP_1) | instskip(NEXT) | instid1(VALU_DEP_1)
	v_add_f32_e32 v17, v17, v96
	v_add_f32_e32 v17, v101, v17
	s_delay_alu instid0(VALU_DEP_1)
	v_cndmask_b32_e32 v96, v17, v12, vcc_lo
.LBB52_80:                              ;   in Loop: Header=BB52_12 Depth=1
	s_or_b32 exec_lo, exec_lo, s29
	v_and_b32_e32 v12, 0xffff0000, v13
	s_delay_alu instid0(VALU_DEP_1) | instskip(NEXT) | instid1(VALU_DEP_1)
	v_add_f32_e32 v97, s66, v12
	v_cmp_ge_f32_e32 vcc_lo, 0x41a00000, v97
	s_and_b32 s28, s79, vcc_lo
	s_delay_alu instid0(SALU_CYCLE_1)
	s_and_saveexec_b32 s29, s28
	s_cbranch_execz .LBB52_82
; %bb.81:                               ;   in Loop: Header=BB52_12 Depth=1
	v_mul_f32_e32 v12, 0x3fb8aa3b, v97
	v_cmp_ngt_f32_e32 vcc_lo, 0xc2ce8ed0, v97
	s_delay_alu instid0(VALU_DEP_2) | instskip(SKIP_1) | instid1(VALU_DEP_2)
	v_rndne_f32_e32 v13, v12
	v_fma_f32 v17, 0x3fb8aa3b, v97, -v12
	v_sub_f32_e32 v12, v12, v13
	s_delay_alu instid0(VALU_DEP_2) | instskip(SKIP_1) | instid1(VALU_DEP_2)
	v_fmac_f32_e32 v17, 0x32a5705f, v97
	v_cvt_i32_f32_e32 v13, v13
	v_add_f32_e32 v12, v12, v17
	s_delay_alu instid0(VALU_DEP_1) | instskip(SKIP_2) | instid1(VALU_DEP_1)
	v_exp_f32_e32 v12, v12
	s_waitcnt_depctr 0xfff
	v_ldexp_f32 v12, v12, v13
	v_cndmask_b32_e32 v12, 0, v12, vcc_lo
	v_cmp_nlt_f32_e32 vcc_lo, 0x42b17218, v97
	s_delay_alu instid0(VALU_DEP_2) | instskip(NEXT) | instid1(VALU_DEP_1)
	v_cndmask_b32_e32 v17, 0x7f800000, v12, vcc_lo
	v_add_f32_e32 v97, 1.0, v17
	s_delay_alu instid0(VALU_DEP_1) | instskip(NEXT) | instid1(VALU_DEP_1)
	v_cvt_f64_f32_e32 v[12:13], v97
	v_frexp_exp_i32_f64_e32 v12, v[12:13]
	v_frexp_mant_f32_e32 v13, v97
	s_delay_alu instid0(VALU_DEP_1) | instskip(SKIP_1) | instid1(VALU_DEP_1)
	v_cmp_gt_f32_e32 vcc_lo, 0x3f2aaaab, v13
	v_add_f32_e32 v13, -1.0, v97
	v_sub_f32_e32 v99, v13, v97
	s_delay_alu instid0(VALU_DEP_1) | instskip(SKIP_1) | instid1(VALU_DEP_1)
	v_add_f32_e32 v99, 1.0, v99
	v_subrev_co_ci_u32_e32 v12, vcc_lo, 0, v12, vcc_lo
	v_sub_nc_u32_e32 v98, 0, v12
	v_cvt_f32_i32_e32 v12, v12
	s_delay_alu instid0(VALU_DEP_2) | instskip(NEXT) | instid1(VALU_DEP_1)
	v_ldexp_f32 v97, v97, v98
	v_add_f32_e32 v100, 1.0, v97
	v_sub_f32_e32 v13, v17, v13
	v_cmp_eq_f32_e32 vcc_lo, 0x7f800000, v17
	v_cmp_gt_f32_e64 s28, 0x33800000, v17
	s_delay_alu instid0(VALU_DEP_3) | instskip(SKIP_1) | instid1(VALU_DEP_3)
	v_add_f32_e32 v13, v13, v99
	v_add_f32_e32 v99, -1.0, v100
	s_or_b32 vcc_lo, s28, vcc_lo
	s_delay_alu instid0(VALU_DEP_2) | instskip(NEXT) | instid1(VALU_DEP_2)
	v_ldexp_f32 v13, v13, v98
	v_dual_add_f32 v98, -1.0, v97 :: v_dual_sub_f32 v99, v97, v99
	s_delay_alu instid0(VALU_DEP_1) | instskip(NEXT) | instid1(VALU_DEP_2)
	v_add_f32_e32 v101, 1.0, v98
	v_add_f32_e32 v99, v13, v99
	s_delay_alu instid0(VALU_DEP_2) | instskip(NEXT) | instid1(VALU_DEP_1)
	v_sub_f32_e32 v97, v97, v101
	v_add_f32_e32 v13, v13, v97
	s_delay_alu instid0(VALU_DEP_1) | instskip(NEXT) | instid1(VALU_DEP_1)
	v_dual_add_f32 v102, v98, v13 :: v_dual_add_f32 v101, v100, v99
	v_sub_f32_e32 v98, v98, v102
	s_delay_alu instid0(VALU_DEP_2) | instskip(NEXT) | instid1(VALU_DEP_1)
	v_rcp_f32_e32 v97, v101
	v_dual_sub_f32 v100, v100, v101 :: v_dual_add_f32 v13, v13, v98
	s_delay_alu instid0(VALU_DEP_1) | instskip(SKIP_2) | instid1(VALU_DEP_1)
	v_add_f32_e32 v99, v99, v100
	s_waitcnt_depctr 0xfff
	v_mul_f32_e32 v103, v102, v97
	v_mul_f32_e32 v104, v101, v103
	s_delay_alu instid0(VALU_DEP_1) | instskip(NEXT) | instid1(VALU_DEP_1)
	v_fma_f32 v100, v103, v101, -v104
	v_fmac_f32_e32 v100, v103, v99
	s_delay_alu instid0(VALU_DEP_1) | instskip(NEXT) | instid1(VALU_DEP_1)
	v_add_f32_e32 v105, v104, v100
	v_sub_f32_e32 v106, v102, v105
	v_sub_f32_e32 v98, v105, v104
	s_delay_alu instid0(VALU_DEP_2) | instskip(NEXT) | instid1(VALU_DEP_2)
	v_sub_f32_e32 v102, v102, v106
	v_sub_f32_e32 v98, v98, v100
	s_delay_alu instid0(VALU_DEP_2) | instskip(NEXT) | instid1(VALU_DEP_1)
	v_sub_f32_e32 v102, v102, v105
	v_add_f32_e32 v13, v13, v102
	s_delay_alu instid0(VALU_DEP_1) | instskip(NEXT) | instid1(VALU_DEP_1)
	v_add_f32_e32 v13, v98, v13
	v_add_f32_e32 v98, v106, v13
	s_delay_alu instid0(VALU_DEP_1) | instskip(NEXT) | instid1(VALU_DEP_1)
	v_mul_f32_e32 v100, v97, v98
	v_dual_sub_f32 v105, v106, v98 :: v_dual_mul_f32 v102, v101, v100
	s_delay_alu instid0(VALU_DEP_1) | instskip(NEXT) | instid1(VALU_DEP_1)
	v_fma_f32 v101, v100, v101, -v102
	v_fmac_f32_e32 v101, v100, v99
	s_delay_alu instid0(VALU_DEP_1) | instskip(NEXT) | instid1(VALU_DEP_1)
	v_add_f32_e32 v99, v102, v101
	v_dual_add_f32 v13, v13, v105 :: v_dual_sub_f32 v104, v98, v99
	s_delay_alu instid0(VALU_DEP_1) | instskip(NEXT) | instid1(VALU_DEP_1)
	v_sub_f32_e32 v98, v98, v104
	v_sub_f32_e32 v98, v98, v99
	s_delay_alu instid0(VALU_DEP_1) | instskip(SKIP_1) | instid1(VALU_DEP_1)
	v_dual_add_f32 v13, v13, v98 :: v_dual_add_f32 v98, v103, v100
	v_sub_f32_e32 v102, v99, v102
	v_sub_f32_e32 v99, v102, v101
	s_delay_alu instid0(VALU_DEP_1) | instskip(NEXT) | instid1(VALU_DEP_4)
	v_add_f32_e32 v13, v99, v13
	v_sub_f32_e32 v99, v98, v103
	s_delay_alu instid0(VALU_DEP_2) | instskip(NEXT) | instid1(VALU_DEP_2)
	v_add_f32_e32 v13, v104, v13
	v_sub_f32_e32 v99, v100, v99
	s_delay_alu instid0(VALU_DEP_2) | instskip(NEXT) | instid1(VALU_DEP_1)
	v_mul_f32_e32 v13, v97, v13
	v_add_f32_e32 v13, v99, v13
	s_delay_alu instid0(VALU_DEP_1) | instskip(NEXT) | instid1(VALU_DEP_1)
	v_add_f32_e32 v97, v98, v13
	v_mul_f32_e32 v99, v97, v97
	s_delay_alu instid0(VALU_DEP_1) | instskip(SKIP_1) | instid1(VALU_DEP_2)
	v_fmaak_f32 v100, s83, v99, 0x3ecc95a3
	v_mul_f32_e32 v101, v97, v99
	v_fmaak_f32 v99, v99, v100, 0x3f2aaada
	v_ldexp_f32 v100, v97, 1
	v_sub_f32_e32 v97, v97, v98
	s_delay_alu instid0(VALU_DEP_3) | instskip(SKIP_1) | instid1(VALU_DEP_2)
	v_mul_f32_e32 v99, v101, v99
	v_mul_f32_e32 v101, 0x3f317218, v12
	v_dual_sub_f32 v13, v13, v97 :: v_dual_add_f32 v98, v100, v99
	s_delay_alu instid0(VALU_DEP_1) | instskip(NEXT) | instid1(VALU_DEP_2)
	v_ldexp_f32 v13, v13, 1
	v_sub_f32_e32 v97, v98, v100
	s_delay_alu instid0(VALU_DEP_4) | instskip(NEXT) | instid1(VALU_DEP_1)
	v_fma_f32 v100, 0x3f317218, v12, -v101
	v_dual_sub_f32 v97, v99, v97 :: v_dual_fmac_f32 v100, 0xb102e308, v12
	s_delay_alu instid0(VALU_DEP_1) | instskip(NEXT) | instid1(VALU_DEP_2)
	v_add_f32_e32 v12, v13, v97
	v_add_f32_e32 v13, v101, v100
	s_delay_alu instid0(VALU_DEP_2) | instskip(NEXT) | instid1(VALU_DEP_2)
	v_add_f32_e32 v97, v98, v12
	v_sub_f32_e32 v101, v13, v101
	s_delay_alu instid0(VALU_DEP_2) | instskip(SKIP_1) | instid1(VALU_DEP_3)
	v_add_f32_e32 v99, v13, v97
	v_sub_f32_e32 v98, v97, v98
	v_sub_f32_e32 v100, v100, v101
	s_delay_alu instid0(VALU_DEP_3) | instskip(NEXT) | instid1(VALU_DEP_3)
	v_sub_f32_e32 v102, v99, v13
	v_sub_f32_e32 v12, v12, v98
	s_delay_alu instid0(VALU_DEP_2) | instskip(NEXT) | instid1(VALU_DEP_2)
	v_sub_f32_e32 v103, v99, v102
	v_dual_sub_f32 v97, v97, v102 :: v_dual_add_f32 v98, v100, v12
	s_delay_alu instid0(VALU_DEP_2) | instskip(NEXT) | instid1(VALU_DEP_1)
	v_sub_f32_e32 v13, v13, v103
	v_add_f32_e32 v13, v97, v13
	s_delay_alu instid0(VALU_DEP_3) | instskip(NEXT) | instid1(VALU_DEP_2)
	v_sub_f32_e32 v97, v98, v100
	v_add_f32_e32 v13, v98, v13
	s_delay_alu instid0(VALU_DEP_2) | instskip(SKIP_1) | instid1(VALU_DEP_1)
	v_sub_f32_e32 v12, v12, v97
	v_sub_f32_e32 v98, v98, v97
	v_dual_add_f32 v101, v99, v13 :: v_dual_sub_f32 v98, v100, v98
	s_delay_alu instid0(VALU_DEP_1) | instskip(NEXT) | instid1(VALU_DEP_1)
	v_dual_sub_f32 v97, v101, v99 :: v_dual_add_f32 v12, v12, v98
	v_sub_f32_e32 v13, v13, v97
	s_delay_alu instid0(VALU_DEP_1) | instskip(NEXT) | instid1(VALU_DEP_1)
	v_add_f32_e32 v12, v12, v13
	v_add_f32_e32 v12, v101, v12
	s_delay_alu instid0(VALU_DEP_1)
	v_cndmask_b32_e32 v97, v12, v17, vcc_lo
.LBB52_82:                              ;   in Loop: Header=BB52_12 Depth=1
	s_or_b32 exec_lo, exec_lo, s29
	v_lshlrev_b32_e32 v12, 16, v14
	s_delay_alu instid0(VALU_DEP_1) | instskip(NEXT) | instid1(VALU_DEP_1)
	v_add_f32_e32 v98, s66, v12
	v_cmp_ge_f32_e32 vcc_lo, 0x41a00000, v98
	s_and_b32 s28, s79, vcc_lo
	s_delay_alu instid0(SALU_CYCLE_1)
	s_and_saveexec_b32 s29, s28
	s_cbranch_execz .LBB52_84
; %bb.83:                               ;   in Loop: Header=BB52_12 Depth=1
	v_mul_f32_e32 v12, 0x3fb8aa3b, v98
	v_cmp_ngt_f32_e32 vcc_lo, 0xc2ce8ed0, v98
	s_delay_alu instid0(VALU_DEP_2) | instskip(SKIP_1) | instid1(VALU_DEP_1)
	v_rndne_f32_e32 v13, v12
	v_fma_f32 v17, 0x3fb8aa3b, v98, -v12
	v_dual_sub_f32 v12, v12, v13 :: v_dual_fmac_f32 v17, 0x32a5705f, v98
	v_cvt_i32_f32_e32 v13, v13
	s_delay_alu instid0(VALU_DEP_2) | instskip(NEXT) | instid1(VALU_DEP_1)
	v_add_f32_e32 v12, v12, v17
	v_exp_f32_e32 v12, v12
	s_waitcnt_depctr 0xfff
	v_ldexp_f32 v12, v12, v13
	s_delay_alu instid0(VALU_DEP_1) | instskip(SKIP_1) | instid1(VALU_DEP_2)
	v_cndmask_b32_e32 v12, 0, v12, vcc_lo
	v_cmp_nlt_f32_e32 vcc_lo, 0x42b17218, v98
	v_cndmask_b32_e32 v17, 0x7f800000, v12, vcc_lo
	s_delay_alu instid0(VALU_DEP_1) | instskip(NEXT) | instid1(VALU_DEP_1)
	v_add_f32_e32 v98, 1.0, v17
	v_cvt_f64_f32_e32 v[12:13], v98
	s_delay_alu instid0(VALU_DEP_1) | instskip(SKIP_1) | instid1(VALU_DEP_1)
	v_frexp_exp_i32_f64_e32 v12, v[12:13]
	v_frexp_mant_f32_e32 v13, v98
	v_cmp_gt_f32_e32 vcc_lo, 0x3f2aaaab, v13
	v_add_f32_e32 v13, -1.0, v98
	s_delay_alu instid0(VALU_DEP_1) | instskip(SKIP_2) | instid1(VALU_DEP_3)
	v_sub_f32_e32 v100, v13, v98
	v_sub_f32_e32 v13, v17, v13
	v_cmp_gt_f32_e64 s28, 0x33800000, v17
	v_add_f32_e32 v100, 1.0, v100
	s_delay_alu instid0(VALU_DEP_1) | instskip(SKIP_2) | instid1(VALU_DEP_2)
	v_add_f32_e32 v13, v13, v100
	v_subrev_co_ci_u32_e32 v12, vcc_lo, 0, v12, vcc_lo
	v_cmp_eq_f32_e32 vcc_lo, 0x7f800000, v17
	v_sub_nc_u32_e32 v99, 0, v12
	v_cvt_f32_i32_e32 v12, v12
	s_or_b32 vcc_lo, s28, vcc_lo
	s_delay_alu instid0(VALU_DEP_2) | instskip(SKIP_1) | instid1(VALU_DEP_2)
	v_ldexp_f32 v98, v98, v99
	v_ldexp_f32 v13, v13, v99
	v_add_f32_e32 v99, -1.0, v98
	s_delay_alu instid0(VALU_DEP_1) | instskip(NEXT) | instid1(VALU_DEP_1)
	v_dual_add_f32 v101, 1.0, v98 :: v_dual_add_f32 v102, 1.0, v99
	v_add_f32_e32 v100, -1.0, v101
	s_delay_alu instid0(VALU_DEP_1) | instskip(NEXT) | instid1(VALU_DEP_3)
	v_sub_f32_e32 v100, v98, v100
	v_sub_f32_e32 v98, v98, v102
	s_delay_alu instid0(VALU_DEP_2) | instskip(NEXT) | instid1(VALU_DEP_2)
	v_add_f32_e32 v100, v13, v100
	v_add_f32_e32 v13, v13, v98
	s_delay_alu instid0(VALU_DEP_1) | instskip(NEXT) | instid1(VALU_DEP_1)
	v_dual_add_f32 v103, v99, v13 :: v_dual_add_f32 v102, v101, v100
	v_sub_f32_e32 v99, v99, v103
	s_delay_alu instid0(VALU_DEP_2) | instskip(SKIP_1) | instid1(VALU_DEP_1)
	v_rcp_f32_e32 v98, v102
	v_sub_f32_e32 v101, v101, v102
	v_dual_add_f32 v13, v13, v99 :: v_dual_add_f32 v100, v100, v101
	s_waitcnt_depctr 0xfff
	v_mul_f32_e32 v104, v103, v98
	s_delay_alu instid0(VALU_DEP_1) | instskip(NEXT) | instid1(VALU_DEP_1)
	v_mul_f32_e32 v105, v102, v104
	v_fma_f32 v101, v104, v102, -v105
	s_delay_alu instid0(VALU_DEP_1) | instskip(NEXT) | instid1(VALU_DEP_1)
	v_fmac_f32_e32 v101, v104, v100
	v_add_f32_e32 v106, v105, v101
	s_delay_alu instid0(VALU_DEP_1) | instskip(SKIP_1) | instid1(VALU_DEP_2)
	v_sub_f32_e32 v107, v103, v106
	v_sub_f32_e32 v99, v106, v105
	;; [unrolled: 1-line block ×3, first 2 shown]
	s_delay_alu instid0(VALU_DEP_2) | instskip(NEXT) | instid1(VALU_DEP_2)
	v_sub_f32_e32 v99, v99, v101
	v_sub_f32_e32 v103, v103, v106
	s_delay_alu instid0(VALU_DEP_1) | instskip(NEXT) | instid1(VALU_DEP_1)
	v_add_f32_e32 v13, v13, v103
	v_add_f32_e32 v13, v99, v13
	s_delay_alu instid0(VALU_DEP_1) | instskip(NEXT) | instid1(VALU_DEP_1)
	v_add_f32_e32 v99, v107, v13
	v_mul_f32_e32 v101, v98, v99
	s_delay_alu instid0(VALU_DEP_1) | instskip(NEXT) | instid1(VALU_DEP_1)
	v_dual_sub_f32 v106, v107, v99 :: v_dual_mul_f32 v103, v102, v101
	v_add_f32_e32 v13, v13, v106
	s_delay_alu instid0(VALU_DEP_2) | instskip(NEXT) | instid1(VALU_DEP_1)
	v_fma_f32 v102, v101, v102, -v103
	v_fmac_f32_e32 v102, v101, v100
	s_delay_alu instid0(VALU_DEP_1) | instskip(NEXT) | instid1(VALU_DEP_1)
	v_add_f32_e32 v100, v103, v102
	v_sub_f32_e32 v105, v99, v100
	s_delay_alu instid0(VALU_DEP_1) | instskip(NEXT) | instid1(VALU_DEP_1)
	v_sub_f32_e32 v99, v99, v105
	v_sub_f32_e32 v99, v99, v100
	s_delay_alu instid0(VALU_DEP_1) | instskip(SKIP_2) | instid1(VALU_DEP_1)
	v_add_f32_e32 v13, v13, v99
	v_add_f32_e32 v99, v104, v101
	v_sub_f32_e32 v103, v100, v103
	v_sub_f32_e32 v100, v103, v102
	s_delay_alu instid0(VALU_DEP_1) | instskip(NEXT) | instid1(VALU_DEP_1)
	v_dual_add_f32 v13, v100, v13 :: v_dual_sub_f32 v100, v99, v104
	v_add_f32_e32 v13, v105, v13
	s_delay_alu instid0(VALU_DEP_1) | instskip(NEXT) | instid1(VALU_DEP_1)
	v_dual_sub_f32 v100, v101, v100 :: v_dual_mul_f32 v13, v98, v13
	v_add_f32_e32 v13, v100, v13
	s_delay_alu instid0(VALU_DEP_1) | instskip(NEXT) | instid1(VALU_DEP_1)
	v_add_f32_e32 v98, v99, v13
	v_mul_f32_e32 v100, v98, v98
	s_delay_alu instid0(VALU_DEP_1) | instskip(SKIP_1) | instid1(VALU_DEP_2)
	v_fmaak_f32 v101, s83, v100, 0x3ecc95a3
	v_mul_f32_e32 v102, v98, v100
	v_fmaak_f32 v100, v100, v101, 0x3f2aaada
	v_ldexp_f32 v101, v98, 1
	v_sub_f32_e32 v98, v98, v99
	s_delay_alu instid0(VALU_DEP_3) | instskip(NEXT) | instid1(VALU_DEP_2)
	v_mul_f32_e32 v100, v102, v100
	v_dual_mul_f32 v102, 0x3f317218, v12 :: v_dual_sub_f32 v13, v13, v98
	s_delay_alu instid0(VALU_DEP_2) | instskip(NEXT) | instid1(VALU_DEP_2)
	v_add_f32_e32 v99, v101, v100
	v_ldexp_f32 v13, v13, 1
	s_delay_alu instid0(VALU_DEP_2) | instskip(NEXT) | instid1(VALU_DEP_4)
	v_sub_f32_e32 v98, v99, v101
	v_fma_f32 v101, 0x3f317218, v12, -v102
	s_delay_alu instid0(VALU_DEP_1) | instskip(NEXT) | instid1(VALU_DEP_1)
	v_dual_sub_f32 v98, v100, v98 :: v_dual_fmac_f32 v101, 0xb102e308, v12
	v_add_f32_e32 v12, v13, v98
	s_delay_alu instid0(VALU_DEP_1) | instskip(NEXT) | instid1(VALU_DEP_1)
	v_add_f32_e32 v98, v99, v12
	v_sub_f32_e32 v99, v98, v99
	s_delay_alu instid0(VALU_DEP_1) | instskip(NEXT) | instid1(VALU_DEP_1)
	v_dual_sub_f32 v12, v12, v99 :: v_dual_add_f32 v13, v102, v101
	v_add_f32_e32 v100, v13, v98
	s_delay_alu instid0(VALU_DEP_1) | instskip(NEXT) | instid1(VALU_DEP_1)
	v_dual_sub_f32 v102, v13, v102 :: v_dual_sub_f32 v103, v100, v13
	v_dual_sub_f32 v101, v101, v102 :: v_dual_sub_f32 v104, v100, v103
	s_delay_alu instid0(VALU_DEP_1) | instskip(NEXT) | instid1(VALU_DEP_2)
	v_dual_sub_f32 v98, v98, v103 :: v_dual_add_f32 v99, v101, v12
	v_sub_f32_e32 v13, v13, v104
	s_delay_alu instid0(VALU_DEP_1) | instskip(NEXT) | instid1(VALU_DEP_3)
	v_add_f32_e32 v13, v98, v13
	v_sub_f32_e32 v98, v99, v101
	s_delay_alu instid0(VALU_DEP_2) | instskip(NEXT) | instid1(VALU_DEP_2)
	v_add_f32_e32 v13, v99, v13
	v_sub_f32_e32 v99, v99, v98
	v_sub_f32_e32 v12, v12, v98
	s_delay_alu instid0(VALU_DEP_2) | instskip(NEXT) | instid1(VALU_DEP_1)
	v_dual_add_f32 v102, v100, v13 :: v_dual_sub_f32 v99, v101, v99
	v_sub_f32_e32 v98, v102, v100
	s_delay_alu instid0(VALU_DEP_1) | instskip(NEXT) | instid1(VALU_DEP_1)
	v_dual_add_f32 v12, v12, v99 :: v_dual_sub_f32 v13, v13, v98
	v_add_f32_e32 v12, v12, v13
	s_delay_alu instid0(VALU_DEP_1) | instskip(NEXT) | instid1(VALU_DEP_1)
	v_add_f32_e32 v12, v102, v12
	v_cndmask_b32_e32 v98, v12, v17, vcc_lo
.LBB52_84:                              ;   in Loop: Header=BB52_12 Depth=1
	s_or_b32 exec_lo, exec_lo, s29
	v_and_b32_e32 v12, 0xffff0000, v14
	s_delay_alu instid0(VALU_DEP_1) | instskip(NEXT) | instid1(VALU_DEP_1)
	v_add_f32_e32 v99, s66, v12
	v_cmp_ge_f32_e32 vcc_lo, 0x41a00000, v99
	s_and_b32 s28, s79, vcc_lo
	s_delay_alu instid0(SALU_CYCLE_1)
	s_and_saveexec_b32 s29, s28
	s_cbranch_execz .LBB52_86
; %bb.85:                               ;   in Loop: Header=BB52_12 Depth=1
	v_mul_f32_e32 v12, 0x3fb8aa3b, v99
	v_cmp_ngt_f32_e32 vcc_lo, 0xc2ce8ed0, v99
	s_delay_alu instid0(VALU_DEP_2) | instskip(SKIP_1) | instid1(VALU_DEP_2)
	v_rndne_f32_e32 v13, v12
	v_fma_f32 v14, 0x3fb8aa3b, v99, -v12
	v_sub_f32_e32 v12, v12, v13
	s_delay_alu instid0(VALU_DEP_2) | instskip(SKIP_1) | instid1(VALU_DEP_2)
	v_fmac_f32_e32 v14, 0x32a5705f, v99
	v_cvt_i32_f32_e32 v13, v13
	v_add_f32_e32 v12, v12, v14
	s_delay_alu instid0(VALU_DEP_1) | instskip(SKIP_2) | instid1(VALU_DEP_1)
	v_exp_f32_e32 v12, v12
	s_waitcnt_depctr 0xfff
	v_ldexp_f32 v12, v12, v13
	v_cndmask_b32_e32 v12, 0, v12, vcc_lo
	v_cmp_nlt_f32_e32 vcc_lo, 0x42b17218, v99
	s_delay_alu instid0(VALU_DEP_2) | instskip(NEXT) | instid1(VALU_DEP_1)
	v_cndmask_b32_e32 v14, 0x7f800000, v12, vcc_lo
	v_add_f32_e32 v17, 1.0, v14
	s_delay_alu instid0(VALU_DEP_1) | instskip(NEXT) | instid1(VALU_DEP_1)
	v_cvt_f64_f32_e32 v[12:13], v17
	v_frexp_exp_i32_f64_e32 v12, v[12:13]
	v_frexp_mant_f32_e32 v13, v17
	s_delay_alu instid0(VALU_DEP_1) | instskip(SKIP_1) | instid1(VALU_DEP_1)
	v_cmp_gt_f32_e32 vcc_lo, 0x3f2aaaab, v13
	v_add_f32_e32 v13, -1.0, v17
	v_sub_f32_e32 v100, v13, v17
	v_sub_f32_e32 v13, v14, v13
	v_subrev_co_ci_u32_e32 v12, vcc_lo, 0, v12, vcc_lo
	s_delay_alu instid0(VALU_DEP_1) | instskip(SKIP_1) | instid1(VALU_DEP_2)
	v_sub_nc_u32_e32 v99, 0, v12
	v_cvt_f32_i32_e32 v12, v12
	v_ldexp_f32 v17, v17, v99
	s_delay_alu instid0(VALU_DEP_1) | instskip(NEXT) | instid1(VALU_DEP_1)
	v_dual_add_f32 v100, 1.0, v100 :: v_dual_add_f32 v101, 1.0, v17
	v_dual_add_f32 v13, v13, v100 :: v_dual_add_f32 v100, -1.0, v101
	s_delay_alu instid0(VALU_DEP_1) | instskip(SKIP_4) | instid1(VALU_DEP_4)
	v_ldexp_f32 v13, v13, v99
	v_add_f32_e32 v99, -1.0, v17
	v_cmp_eq_f32_e32 vcc_lo, 0x7f800000, v14
	v_cmp_gt_f32_e64 s28, 0x33800000, v14
	v_sub_f32_e32 v100, v17, v100
	v_add_f32_e32 v102, 1.0, v99
	s_delay_alu instid0(VALU_DEP_3) | instskip(NEXT) | instid1(VALU_DEP_2)
	s_or_b32 vcc_lo, s28, vcc_lo
	v_add_f32_e32 v100, v13, v100
	s_delay_alu instid0(VALU_DEP_2) | instskip(NEXT) | instid1(VALU_DEP_1)
	v_sub_f32_e32 v17, v17, v102
	v_add_f32_e32 v13, v13, v17
	s_delay_alu instid0(VALU_DEP_1) | instskip(NEXT) | instid1(VALU_DEP_1)
	v_dual_add_f32 v103, v99, v13 :: v_dual_add_f32 v102, v101, v100
	v_sub_f32_e32 v99, v99, v103
	s_delay_alu instid0(VALU_DEP_2) | instskip(SKIP_1) | instid1(VALU_DEP_1)
	v_rcp_f32_e32 v17, v102
	v_sub_f32_e32 v101, v101, v102
	v_dual_add_f32 v13, v13, v99 :: v_dual_add_f32 v100, v100, v101
	s_waitcnt_depctr 0xfff
	v_mul_f32_e32 v104, v103, v17
	s_delay_alu instid0(VALU_DEP_1) | instskip(NEXT) | instid1(VALU_DEP_1)
	v_mul_f32_e32 v105, v102, v104
	v_fma_f32 v101, v104, v102, -v105
	s_delay_alu instid0(VALU_DEP_1) | instskip(NEXT) | instid1(VALU_DEP_1)
	v_fmac_f32_e32 v101, v104, v100
	v_add_f32_e32 v106, v105, v101
	s_delay_alu instid0(VALU_DEP_1) | instskip(NEXT) | instid1(VALU_DEP_1)
	v_sub_f32_e32 v107, v103, v106
	v_sub_f32_e32 v103, v103, v107
	;; [unrolled: 1-line block ×3, first 2 shown]
	s_delay_alu instid0(VALU_DEP_2) | instskip(NEXT) | instid1(VALU_DEP_2)
	v_sub_f32_e32 v103, v103, v106
	v_sub_f32_e32 v99, v99, v101
	s_delay_alu instid0(VALU_DEP_2) | instskip(NEXT) | instid1(VALU_DEP_1)
	v_add_f32_e32 v13, v13, v103
	v_add_f32_e32 v13, v99, v13
	s_delay_alu instid0(VALU_DEP_1) | instskip(NEXT) | instid1(VALU_DEP_1)
	v_add_f32_e32 v99, v107, v13
	v_mul_f32_e32 v101, v17, v99
	s_delay_alu instid0(VALU_DEP_1) | instskip(NEXT) | instid1(VALU_DEP_1)
	v_dual_sub_f32 v106, v107, v99 :: v_dual_mul_f32 v103, v102, v101
	v_add_f32_e32 v13, v13, v106
	s_delay_alu instid0(VALU_DEP_2) | instskip(NEXT) | instid1(VALU_DEP_1)
	v_fma_f32 v102, v101, v102, -v103
	v_fmac_f32_e32 v102, v101, v100
	s_delay_alu instid0(VALU_DEP_1) | instskip(NEXT) | instid1(VALU_DEP_1)
	v_add_f32_e32 v100, v103, v102
	v_sub_f32_e32 v105, v99, v100
	v_sub_f32_e32 v103, v100, v103
	s_delay_alu instid0(VALU_DEP_2) | instskip(NEXT) | instid1(VALU_DEP_1)
	v_sub_f32_e32 v99, v99, v105
	v_sub_f32_e32 v99, v99, v100
	s_delay_alu instid0(VALU_DEP_1) | instskip(SKIP_1) | instid1(VALU_DEP_1)
	v_dual_sub_f32 v100, v103, v102 :: v_dual_add_f32 v13, v13, v99
	v_add_f32_e32 v99, v104, v101
	v_dual_add_f32 v13, v100, v13 :: v_dual_sub_f32 v100, v99, v104
	s_delay_alu instid0(VALU_DEP_1) | instskip(NEXT) | instid1(VALU_DEP_2)
	v_add_f32_e32 v13, v105, v13
	v_sub_f32_e32 v100, v101, v100
	s_delay_alu instid0(VALU_DEP_2) | instskip(NEXT) | instid1(VALU_DEP_1)
	v_mul_f32_e32 v13, v17, v13
	v_add_f32_e32 v13, v100, v13
	s_delay_alu instid0(VALU_DEP_1) | instskip(NEXT) | instid1(VALU_DEP_1)
	v_add_f32_e32 v17, v99, v13
	v_mul_f32_e32 v100, v17, v17
	s_delay_alu instid0(VALU_DEP_1) | instskip(SKIP_1) | instid1(VALU_DEP_2)
	v_fmaak_f32 v101, s83, v100, 0x3ecc95a3
	v_mul_f32_e32 v102, v17, v100
	v_fmaak_f32 v100, v100, v101, 0x3f2aaada
	v_ldexp_f32 v101, v17, 1
	s_delay_alu instid0(VALU_DEP_2) | instskip(NEXT) | instid1(VALU_DEP_1)
	v_dual_sub_f32 v17, v17, v99 :: v_dual_mul_f32 v100, v102, v100
	v_dual_mul_f32 v102, 0x3f317218, v12 :: v_dual_sub_f32 v13, v13, v17
	s_delay_alu instid0(VALU_DEP_2) | instskip(NEXT) | instid1(VALU_DEP_2)
	v_add_f32_e32 v99, v101, v100
	v_ldexp_f32 v13, v13, 1
	s_delay_alu instid0(VALU_DEP_2) | instskip(NEXT) | instid1(VALU_DEP_4)
	v_sub_f32_e32 v17, v99, v101
	v_fma_f32 v101, 0x3f317218, v12, -v102
	s_delay_alu instid0(VALU_DEP_2) | instskip(NEXT) | instid1(VALU_DEP_1)
	v_sub_f32_e32 v17, v100, v17
	v_dual_fmac_f32 v101, 0xb102e308, v12 :: v_dual_add_f32 v12, v13, v17
	s_delay_alu instid0(VALU_DEP_1) | instskip(NEXT) | instid1(VALU_DEP_1)
	v_add_f32_e32 v13, v102, v101
	v_dual_add_f32 v17, v99, v12 :: v_dual_sub_f32 v102, v13, v102
	s_delay_alu instid0(VALU_DEP_1) | instskip(SKIP_1) | instid1(VALU_DEP_3)
	v_add_f32_e32 v100, v13, v17
	v_sub_f32_e32 v99, v17, v99
	v_sub_f32_e32 v101, v101, v102
	s_delay_alu instid0(VALU_DEP_3) | instskip(NEXT) | instid1(VALU_DEP_3)
	v_sub_f32_e32 v103, v100, v13
	v_sub_f32_e32 v12, v12, v99
	s_delay_alu instid0(VALU_DEP_2) | instskip(SKIP_1) | instid1(VALU_DEP_3)
	v_sub_f32_e32 v104, v100, v103
	v_sub_f32_e32 v17, v17, v103
	v_add_f32_e32 v99, v101, v12
	s_delay_alu instid0(VALU_DEP_3) | instskip(NEXT) | instid1(VALU_DEP_1)
	v_sub_f32_e32 v13, v13, v104
	v_add_f32_e32 v13, v17, v13
	s_delay_alu instid0(VALU_DEP_3) | instskip(NEXT) | instid1(VALU_DEP_2)
	v_sub_f32_e32 v17, v99, v101
	v_add_f32_e32 v13, v99, v13
	s_delay_alu instid0(VALU_DEP_2) | instskip(SKIP_1) | instid1(VALU_DEP_2)
	v_sub_f32_e32 v99, v99, v17
	v_sub_f32_e32 v12, v12, v17
	v_dual_add_f32 v102, v100, v13 :: v_dual_sub_f32 v99, v101, v99
	s_delay_alu instid0(VALU_DEP_1) | instskip(NEXT) | instid1(VALU_DEP_1)
	v_dual_sub_f32 v17, v102, v100 :: v_dual_add_f32 v12, v12, v99
	v_sub_f32_e32 v13, v13, v17
	s_delay_alu instid0(VALU_DEP_1) | instskip(NEXT) | instid1(VALU_DEP_1)
	v_add_f32_e32 v12, v12, v13
	v_add_f32_e32 v12, v102, v12
	s_delay_alu instid0(VALU_DEP_1)
	v_cndmask_b32_e32 v99, v12, v14, vcc_lo
.LBB52_86:                              ;   in Loop: Header=BB52_12 Depth=1
	s_or_b32 exec_lo, exec_lo, s29
	v_lshlrev_b32_e32 v12, 16, v15
	s_delay_alu instid0(VALU_DEP_1) | instskip(NEXT) | instid1(VALU_DEP_1)
	v_add_f32_e32 v100, s66, v12
	v_cmp_ge_f32_e32 vcc_lo, 0x41a00000, v100
	s_and_b32 s28, s79, vcc_lo
	s_delay_alu instid0(SALU_CYCLE_1)
	s_and_saveexec_b32 s29, s28
	s_cbranch_execz .LBB52_88
; %bb.87:                               ;   in Loop: Header=BB52_12 Depth=1
	v_mul_f32_e32 v12, 0x3fb8aa3b, v100
	v_cmp_ngt_f32_e32 vcc_lo, 0xc2ce8ed0, v100
	s_delay_alu instid0(VALU_DEP_2) | instskip(SKIP_1) | instid1(VALU_DEP_2)
	v_rndne_f32_e32 v13, v12
	v_fma_f32 v14, 0x3fb8aa3b, v100, -v12
	v_sub_f32_e32 v12, v12, v13
	s_delay_alu instid0(VALU_DEP_2) | instskip(SKIP_1) | instid1(VALU_DEP_2)
	v_fmac_f32_e32 v14, 0x32a5705f, v100
	v_cvt_i32_f32_e32 v13, v13
	v_add_f32_e32 v12, v12, v14
	s_delay_alu instid0(VALU_DEP_1) | instskip(SKIP_2) | instid1(VALU_DEP_1)
	v_exp_f32_e32 v12, v12
	s_waitcnt_depctr 0xfff
	v_ldexp_f32 v12, v12, v13
	v_cndmask_b32_e32 v12, 0, v12, vcc_lo
	v_cmp_nlt_f32_e32 vcc_lo, 0x42b17218, v100
	s_delay_alu instid0(VALU_DEP_2) | instskip(NEXT) | instid1(VALU_DEP_1)
	v_cndmask_b32_e32 v14, 0x7f800000, v12, vcc_lo
	v_add_f32_e32 v17, 1.0, v14
	s_delay_alu instid0(VALU_DEP_1) | instskip(NEXT) | instid1(VALU_DEP_1)
	v_cvt_f64_f32_e32 v[12:13], v17
	v_frexp_exp_i32_f64_e32 v12, v[12:13]
	v_frexp_mant_f32_e32 v13, v17
	s_delay_alu instid0(VALU_DEP_1) | instskip(SKIP_1) | instid1(VALU_DEP_1)
	v_cmp_gt_f32_e32 vcc_lo, 0x3f2aaaab, v13
	v_add_f32_e32 v13, -1.0, v17
	v_sub_f32_e32 v101, v13, v17
	s_delay_alu instid0(VALU_DEP_1) | instskip(SKIP_2) | instid1(VALU_DEP_2)
	v_add_f32_e32 v101, 1.0, v101
	v_sub_f32_e32 v13, v14, v13
	v_cmp_gt_f32_e64 s28, 0x33800000, v14
	v_add_f32_e32 v13, v13, v101
	v_subrev_co_ci_u32_e32 v12, vcc_lo, 0, v12, vcc_lo
	v_cmp_eq_f32_e32 vcc_lo, 0x7f800000, v14
	s_delay_alu instid0(VALU_DEP_2) | instskip(SKIP_2) | instid1(VALU_DEP_2)
	v_sub_nc_u32_e32 v100, 0, v12
	v_cvt_f32_i32_e32 v12, v12
	s_or_b32 vcc_lo, s28, vcc_lo
	v_ldexp_f32 v17, v17, v100
	v_ldexp_f32 v13, v13, v100
	s_delay_alu instid0(VALU_DEP_2) | instskip(NEXT) | instid1(VALU_DEP_1)
	v_add_f32_e32 v100, -1.0, v17
	v_dual_add_f32 v102, 1.0, v17 :: v_dual_add_f32 v103, 1.0, v100
	s_delay_alu instid0(VALU_DEP_1) | instskip(NEXT) | instid1(VALU_DEP_1)
	v_add_f32_e32 v101, -1.0, v102
	v_sub_f32_e32 v101, v17, v101
	s_delay_alu instid0(VALU_DEP_3) | instskip(NEXT) | instid1(VALU_DEP_2)
	v_sub_f32_e32 v17, v17, v103
	v_add_f32_e32 v101, v13, v101
	s_delay_alu instid0(VALU_DEP_2) | instskip(NEXT) | instid1(VALU_DEP_1)
	v_add_f32_e32 v13, v13, v17
	v_add_f32_e32 v104, v100, v13
	s_delay_alu instid0(VALU_DEP_1) | instskip(NEXT) | instid1(VALU_DEP_1)
	v_dual_sub_f32 v100, v100, v104 :: v_dual_add_f32 v103, v102, v101
	v_add_f32_e32 v13, v13, v100
	s_delay_alu instid0(VALU_DEP_2) | instskip(SKIP_1) | instid1(VALU_DEP_1)
	v_rcp_f32_e32 v17, v103
	v_sub_f32_e32 v102, v102, v103
	v_add_f32_e32 v101, v101, v102
	s_waitcnt_depctr 0xfff
	v_mul_f32_e32 v105, v104, v17
	s_delay_alu instid0(VALU_DEP_1) | instskip(NEXT) | instid1(VALU_DEP_1)
	v_mul_f32_e32 v106, v103, v105
	v_fma_f32 v102, v105, v103, -v106
	s_delay_alu instid0(VALU_DEP_1) | instskip(NEXT) | instid1(VALU_DEP_1)
	v_fmac_f32_e32 v102, v105, v101
	v_add_f32_e32 v107, v106, v102
	s_delay_alu instid0(VALU_DEP_1) | instskip(SKIP_1) | instid1(VALU_DEP_2)
	v_sub_f32_e32 v108, v104, v107
	v_sub_f32_e32 v100, v107, v106
	;; [unrolled: 1-line block ×3, first 2 shown]
	s_delay_alu instid0(VALU_DEP_1) | instskip(NEXT) | instid1(VALU_DEP_1)
	v_sub_f32_e32 v104, v104, v107
	v_dual_sub_f32 v100, v100, v102 :: v_dual_add_f32 v13, v13, v104
	s_delay_alu instid0(VALU_DEP_1) | instskip(NEXT) | instid1(VALU_DEP_1)
	v_add_f32_e32 v13, v100, v13
	v_add_f32_e32 v100, v108, v13
	s_delay_alu instid0(VALU_DEP_1) | instskip(NEXT) | instid1(VALU_DEP_1)
	v_mul_f32_e32 v102, v17, v100
	v_dual_sub_f32 v107, v108, v100 :: v_dual_mul_f32 v104, v103, v102
	s_delay_alu instid0(VALU_DEP_1) | instskip(NEXT) | instid1(VALU_DEP_2)
	v_add_f32_e32 v13, v13, v107
	v_fma_f32 v103, v102, v103, -v104
	s_delay_alu instid0(VALU_DEP_1) | instskip(NEXT) | instid1(VALU_DEP_1)
	v_fmac_f32_e32 v103, v102, v101
	v_add_f32_e32 v101, v104, v103
	s_delay_alu instid0(VALU_DEP_1) | instskip(NEXT) | instid1(VALU_DEP_1)
	v_sub_f32_e32 v106, v100, v101
	v_sub_f32_e32 v100, v100, v106
	s_delay_alu instid0(VALU_DEP_1) | instskip(NEXT) | instid1(VALU_DEP_1)
	v_sub_f32_e32 v100, v100, v101
	v_add_f32_e32 v13, v13, v100
	v_add_f32_e32 v100, v105, v102
	v_sub_f32_e32 v104, v101, v104
	s_delay_alu instid0(VALU_DEP_1) | instskip(NEXT) | instid1(VALU_DEP_1)
	v_sub_f32_e32 v101, v104, v103
	v_add_f32_e32 v13, v101, v13
	s_delay_alu instid0(VALU_DEP_4) | instskip(NEXT) | instid1(VALU_DEP_2)
	v_sub_f32_e32 v101, v100, v105
	v_add_f32_e32 v13, v106, v13
	s_delay_alu instid0(VALU_DEP_2) | instskip(NEXT) | instid1(VALU_DEP_2)
	v_sub_f32_e32 v101, v102, v101
	v_mul_f32_e32 v13, v17, v13
	s_delay_alu instid0(VALU_DEP_1) | instskip(NEXT) | instid1(VALU_DEP_1)
	v_add_f32_e32 v13, v101, v13
	v_add_f32_e32 v17, v100, v13
	s_delay_alu instid0(VALU_DEP_1) | instskip(NEXT) | instid1(VALU_DEP_1)
	v_mul_f32_e32 v101, v17, v17
	v_fmaak_f32 v102, s83, v101, 0x3ecc95a3
	v_mul_f32_e32 v103, v17, v101
	s_delay_alu instid0(VALU_DEP_2) | instskip(SKIP_1) | instid1(VALU_DEP_2)
	v_fmaak_f32 v101, v101, v102, 0x3f2aaada
	v_ldexp_f32 v102, v17, 1
	v_mul_f32_e32 v101, v103, v101
	s_delay_alu instid0(VALU_DEP_1) | instskip(NEXT) | instid1(VALU_DEP_1)
	v_dual_sub_f32 v17, v17, v100 :: v_dual_add_f32 v100, v102, v101
	v_sub_f32_e32 v13, v13, v17
	s_delay_alu instid0(VALU_DEP_2) | instskip(NEXT) | instid1(VALU_DEP_2)
	v_sub_f32_e32 v17, v100, v102
	v_ldexp_f32 v13, v13, 1
	s_delay_alu instid0(VALU_DEP_2) | instskip(SKIP_1) | instid1(VALU_DEP_1)
	v_sub_f32_e32 v17, v101, v17
	v_mul_f32_e32 v103, 0x3f317218, v12
	v_fma_f32 v102, 0x3f317218, v12, -v103
	s_delay_alu instid0(VALU_DEP_1) | instskip(NEXT) | instid1(VALU_DEP_1)
	v_fmac_f32_e32 v102, 0xb102e308, v12
	v_dual_add_f32 v12, v13, v17 :: v_dual_add_f32 v13, v103, v102
	s_delay_alu instid0(VALU_DEP_1) | instskip(NEXT) | instid1(VALU_DEP_1)
	v_add_f32_e32 v17, v100, v12
	v_add_f32_e32 v101, v13, v17
	v_sub_f32_e32 v100, v17, v100
	s_delay_alu instid0(VALU_DEP_2) | instskip(NEXT) | instid1(VALU_DEP_2)
	v_sub_f32_e32 v104, v101, v13
	v_dual_sub_f32 v12, v12, v100 :: v_dual_sub_f32 v103, v13, v103
	s_delay_alu instid0(VALU_DEP_2) | instskip(NEXT) | instid1(VALU_DEP_2)
	v_sub_f32_e32 v105, v101, v104
	v_dual_sub_f32 v17, v17, v104 :: v_dual_sub_f32 v102, v102, v103
	s_delay_alu instid0(VALU_DEP_1) | instskip(NEXT) | instid1(VALU_DEP_1)
	v_dual_sub_f32 v13, v13, v105 :: v_dual_add_f32 v100, v102, v12
	v_add_f32_e32 v13, v17, v13
	s_delay_alu instid0(VALU_DEP_2) | instskip(NEXT) | instid1(VALU_DEP_2)
	v_sub_f32_e32 v17, v100, v102
	v_add_f32_e32 v13, v100, v13
	s_delay_alu instid0(VALU_DEP_2) | instskip(SKIP_1) | instid1(VALU_DEP_2)
	v_sub_f32_e32 v100, v100, v17
	v_sub_f32_e32 v12, v12, v17
	v_dual_add_f32 v103, v101, v13 :: v_dual_sub_f32 v100, v102, v100
	s_delay_alu instid0(VALU_DEP_1) | instskip(NEXT) | instid1(VALU_DEP_1)
	v_dual_sub_f32 v17, v103, v101 :: v_dual_add_f32 v12, v12, v100
	v_sub_f32_e32 v13, v13, v17
	s_delay_alu instid0(VALU_DEP_1) | instskip(NEXT) | instid1(VALU_DEP_1)
	v_add_f32_e32 v12, v12, v13
	v_add_f32_e32 v12, v103, v12
	s_delay_alu instid0(VALU_DEP_1)
	v_cndmask_b32_e32 v100, v12, v14, vcc_lo
.LBB52_88:                              ;   in Loop: Header=BB52_12 Depth=1
	s_or_b32 exec_lo, exec_lo, s29
	v_and_b32_e32 v12, 0xffff0000, v15
	s_delay_alu instid0(VALU_DEP_1) | instskip(NEXT) | instid1(VALU_DEP_1)
	v_add_f32_e32 v105, s66, v12
	v_cmp_ge_f32_e32 vcc_lo, 0x41a00000, v105
	s_and_b32 s28, s79, vcc_lo
	s_delay_alu instid0(SALU_CYCLE_1)
	s_and_saveexec_b32 s29, s28
	s_cbranch_execz .LBB52_90
; %bb.89:                               ;   in Loop: Header=BB52_12 Depth=1
	v_mul_f32_e32 v12, 0x3fb8aa3b, v105
	v_cmp_ngt_f32_e32 vcc_lo, 0xc2ce8ed0, v105
	s_delay_alu instid0(VALU_DEP_2) | instskip(SKIP_1) | instid1(VALU_DEP_2)
	v_rndne_f32_e32 v13, v12
	v_fma_f32 v14, 0x3fb8aa3b, v105, -v12
	v_sub_f32_e32 v12, v12, v13
	s_delay_alu instid0(VALU_DEP_2) | instskip(SKIP_1) | instid1(VALU_DEP_2)
	v_fmac_f32_e32 v14, 0x32a5705f, v105
	v_cvt_i32_f32_e32 v13, v13
	v_add_f32_e32 v12, v12, v14
	s_delay_alu instid0(VALU_DEP_1) | instskip(SKIP_2) | instid1(VALU_DEP_1)
	v_exp_f32_e32 v12, v12
	s_waitcnt_depctr 0xfff
	v_ldexp_f32 v12, v12, v13
	v_cndmask_b32_e32 v12, 0, v12, vcc_lo
	v_cmp_nlt_f32_e32 vcc_lo, 0x42b17218, v105
	s_delay_alu instid0(VALU_DEP_2) | instskip(NEXT) | instid1(VALU_DEP_1)
	v_cndmask_b32_e32 v14, 0x7f800000, v12, vcc_lo
	v_add_f32_e32 v15, 1.0, v14
	s_delay_alu instid0(VALU_DEP_1) | instskip(NEXT) | instid1(VALU_DEP_1)
	v_cvt_f64_f32_e32 v[12:13], v15
	v_frexp_exp_i32_f64_e32 v12, v[12:13]
	v_frexp_mant_f32_e32 v13, v15
	s_delay_alu instid0(VALU_DEP_1) | instskip(SKIP_1) | instid1(VALU_DEP_1)
	v_cmp_gt_f32_e32 vcc_lo, 0x3f2aaaab, v13
	v_add_f32_e32 v13, -1.0, v15
	v_sub_f32_e32 v101, v13, v15
	v_sub_f32_e32 v13, v14, v13
	s_delay_alu instid0(VALU_DEP_2) | instskip(NEXT) | instid1(VALU_DEP_1)
	v_add_f32_e32 v101, 1.0, v101
	v_add_f32_e32 v13, v13, v101
	v_cmp_gt_f32_e64 s28, 0x33800000, v14
	v_subrev_co_ci_u32_e32 v12, vcc_lo, 0, v12, vcc_lo
	v_cmp_eq_f32_e32 vcc_lo, 0x7f800000, v14
	s_delay_alu instid0(VALU_DEP_2) | instskip(SKIP_2) | instid1(VALU_DEP_2)
	v_sub_nc_u32_e32 v17, 0, v12
	v_cvt_f32_i32_e32 v12, v12
	s_or_b32 vcc_lo, s28, vcc_lo
	v_ldexp_f32 v15, v15, v17
	v_ldexp_f32 v13, v13, v17
	s_delay_alu instid0(VALU_DEP_2) | instskip(SKIP_1) | instid1(VALU_DEP_2)
	v_add_f32_e32 v102, 1.0, v15
	v_add_f32_e32 v17, -1.0, v15
	v_add_f32_e32 v101, -1.0, v102
	s_delay_alu instid0(VALU_DEP_2) | instskip(NEXT) | instid1(VALU_DEP_2)
	v_add_f32_e32 v103, 1.0, v17
	v_sub_f32_e32 v101, v15, v101
	s_delay_alu instid0(VALU_DEP_2) | instskip(NEXT) | instid1(VALU_DEP_2)
	v_sub_f32_e32 v15, v15, v103
	v_add_f32_e32 v101, v13, v101
	s_delay_alu instid0(VALU_DEP_2) | instskip(NEXT) | instid1(VALU_DEP_1)
	v_add_f32_e32 v13, v13, v15
	v_add_f32_e32 v104, v17, v13
	s_delay_alu instid0(VALU_DEP_3) | instskip(NEXT) | instid1(VALU_DEP_1)
	v_add_f32_e32 v103, v102, v101
	v_rcp_f32_e32 v15, v103
	v_sub_f32_e32 v102, v102, v103
	s_delay_alu instid0(VALU_DEP_1) | instskip(SKIP_2) | instid1(VALU_DEP_1)
	v_add_f32_e32 v101, v101, v102
	s_waitcnt_depctr 0xfff
	v_mul_f32_e32 v105, v104, v15
	v_dual_mul_f32 v106, v103, v105 :: v_dual_sub_f32 v17, v17, v104
	s_delay_alu instid0(VALU_DEP_1) | instskip(NEXT) | instid1(VALU_DEP_2)
	v_fma_f32 v102, v105, v103, -v106
	v_add_f32_e32 v13, v13, v17
	s_delay_alu instid0(VALU_DEP_2) | instskip(NEXT) | instid1(VALU_DEP_1)
	v_fmac_f32_e32 v102, v105, v101
	v_add_f32_e32 v107, v106, v102
	s_delay_alu instid0(VALU_DEP_1) | instskip(NEXT) | instid1(VALU_DEP_1)
	v_dual_sub_f32 v108, v104, v107 :: v_dual_sub_f32 v17, v107, v106
	v_dual_sub_f32 v104, v104, v108 :: v_dual_sub_f32 v17, v17, v102
	s_delay_alu instid0(VALU_DEP_1) | instskip(NEXT) | instid1(VALU_DEP_1)
	v_sub_f32_e32 v104, v104, v107
	v_add_f32_e32 v13, v13, v104
	s_delay_alu instid0(VALU_DEP_1) | instskip(NEXT) | instid1(VALU_DEP_1)
	v_add_f32_e32 v13, v17, v13
	v_add_f32_e32 v17, v108, v13
	s_delay_alu instid0(VALU_DEP_1) | instskip(NEXT) | instid1(VALU_DEP_1)
	v_mul_f32_e32 v102, v15, v17
	v_dual_sub_f32 v107, v108, v17 :: v_dual_mul_f32 v104, v103, v102
	s_delay_alu instid0(VALU_DEP_1) | instskip(NEXT) | instid1(VALU_DEP_2)
	v_add_f32_e32 v13, v13, v107
	v_fma_f32 v103, v102, v103, -v104
	s_delay_alu instid0(VALU_DEP_1) | instskip(NEXT) | instid1(VALU_DEP_1)
	v_fmac_f32_e32 v103, v102, v101
	v_add_f32_e32 v101, v104, v103
	s_delay_alu instid0(VALU_DEP_1) | instskip(SKIP_1) | instid1(VALU_DEP_2)
	v_sub_f32_e32 v106, v17, v101
	v_sub_f32_e32 v104, v101, v104
	;; [unrolled: 1-line block ×3, first 2 shown]
	s_delay_alu instid0(VALU_DEP_1) | instskip(NEXT) | instid1(VALU_DEP_3)
	v_sub_f32_e32 v17, v17, v101
	v_sub_f32_e32 v101, v104, v103
	s_delay_alu instid0(VALU_DEP_2) | instskip(SKIP_1) | instid1(VALU_DEP_2)
	v_add_f32_e32 v13, v13, v17
	v_add_f32_e32 v17, v105, v102
	;; [unrolled: 1-line block ×3, first 2 shown]
	s_delay_alu instid0(VALU_DEP_2) | instskip(NEXT) | instid1(VALU_DEP_2)
	v_sub_f32_e32 v101, v17, v105
	v_add_f32_e32 v13, v106, v13
	s_delay_alu instid0(VALU_DEP_2) | instskip(NEXT) | instid1(VALU_DEP_2)
	v_sub_f32_e32 v101, v102, v101
	v_mul_f32_e32 v13, v15, v13
	s_delay_alu instid0(VALU_DEP_1) | instskip(NEXT) | instid1(VALU_DEP_1)
	v_add_f32_e32 v13, v101, v13
	v_add_f32_e32 v15, v17, v13
	s_delay_alu instid0(VALU_DEP_1) | instskip(NEXT) | instid1(VALU_DEP_1)
	v_mul_f32_e32 v101, v15, v15
	v_fmaak_f32 v102, s83, v101, 0x3ecc95a3
	v_mul_f32_e32 v103, v15, v101
	s_delay_alu instid0(VALU_DEP_2) | instskip(SKIP_2) | instid1(VALU_DEP_3)
	v_fmaak_f32 v101, v101, v102, 0x3f2aaada
	v_ldexp_f32 v102, v15, 1
	v_sub_f32_e32 v15, v15, v17
	v_mul_f32_e32 v101, v103, v101
	v_mul_f32_e32 v103, 0x3f317218, v12
	s_delay_alu instid0(VALU_DEP_3) | instskip(NEXT) | instid1(VALU_DEP_3)
	v_sub_f32_e32 v13, v13, v15
	v_add_f32_e32 v17, v102, v101
	s_delay_alu instid0(VALU_DEP_2) | instskip(NEXT) | instid1(VALU_DEP_2)
	v_ldexp_f32 v13, v13, 1
	v_sub_f32_e32 v15, v17, v102
	v_fma_f32 v102, 0x3f317218, v12, -v103
	s_delay_alu instid0(VALU_DEP_1) | instskip(NEXT) | instid1(VALU_DEP_1)
	v_dual_sub_f32 v15, v101, v15 :: v_dual_fmac_f32 v102, 0xb102e308, v12
	v_dual_add_f32 v12, v13, v15 :: v_dual_add_f32 v13, v103, v102
	s_delay_alu instid0(VALU_DEP_1) | instskip(NEXT) | instid1(VALU_DEP_1)
	v_add_f32_e32 v15, v17, v12
	v_add_f32_e32 v101, v13, v15
	v_sub_f32_e32 v17, v15, v17
	s_delay_alu instid0(VALU_DEP_2) | instskip(NEXT) | instid1(VALU_DEP_2)
	v_sub_f32_e32 v104, v101, v13
	v_dual_sub_f32 v103, v13, v103 :: v_dual_sub_f32 v12, v12, v17
	s_delay_alu instid0(VALU_DEP_1) | instskip(SKIP_1) | instid1(VALU_DEP_2)
	v_dual_sub_f32 v105, v101, v104 :: v_dual_sub_f32 v102, v102, v103
	v_sub_f32_e32 v15, v15, v104
	v_sub_f32_e32 v13, v13, v105
	s_delay_alu instid0(VALU_DEP_3) | instskip(NEXT) | instid1(VALU_DEP_2)
	v_add_f32_e32 v17, v102, v12
	v_add_f32_e32 v13, v15, v13
	s_delay_alu instid0(VALU_DEP_2) | instskip(NEXT) | instid1(VALU_DEP_2)
	v_sub_f32_e32 v15, v17, v102
	v_add_f32_e32 v13, v17, v13
	s_delay_alu instid0(VALU_DEP_2) | instskip(NEXT) | instid1(VALU_DEP_2)
	v_sub_f32_e32 v17, v17, v15
	v_dual_sub_f32 v12, v12, v15 :: v_dual_add_f32 v103, v101, v13
	s_delay_alu instid0(VALU_DEP_2) | instskip(NEXT) | instid1(VALU_DEP_2)
	v_sub_f32_e32 v17, v102, v17
	v_sub_f32_e32 v15, v103, v101
	s_delay_alu instid0(VALU_DEP_1) | instskip(NEXT) | instid1(VALU_DEP_1)
	v_dual_add_f32 v12, v12, v17 :: v_dual_sub_f32 v13, v13, v15
	v_add_f32_e32 v12, v12, v13
	s_delay_alu instid0(VALU_DEP_1) | instskip(NEXT) | instid1(VALU_DEP_1)
	v_add_f32_e32 v12, v103, v12
	v_cndmask_b32_e32 v105, v12, v14, vcc_lo
.LBB52_90:                              ;   in Loop: Header=BB52_12 Depth=1
	s_or_b32 exec_lo, exec_lo, s29
	s_waitcnt lgkmcnt(0)
	v_lshlrev_b32_e32 v12, 16, v8
	s_delay_alu instid0(VALU_DEP_1) | instskip(NEXT) | instid1(VALU_DEP_1)
	v_add_f32_e32 v108, s66, v12
	v_cmp_ge_f32_e32 vcc_lo, 0x41a00000, v108
	s_and_b32 s28, s79, vcc_lo
	s_delay_alu instid0(SALU_CYCLE_1)
	s_and_saveexec_b32 s29, s28
	s_cbranch_execz .LBB52_92
; %bb.91:                               ;   in Loop: Header=BB52_12 Depth=1
	v_mul_f32_e32 v12, 0x3fb8aa3b, v108
	v_cmp_ngt_f32_e32 vcc_lo, 0xc2ce8ed0, v108
	s_delay_alu instid0(VALU_DEP_2) | instskip(SKIP_1) | instid1(VALU_DEP_2)
	v_rndne_f32_e32 v13, v12
	v_fma_f32 v14, 0x3fb8aa3b, v108, -v12
	v_sub_f32_e32 v12, v12, v13
	s_delay_alu instid0(VALU_DEP_2) | instskip(SKIP_1) | instid1(VALU_DEP_2)
	v_fmac_f32_e32 v14, 0x32a5705f, v108
	v_cvt_i32_f32_e32 v13, v13
	v_add_f32_e32 v12, v12, v14
	s_delay_alu instid0(VALU_DEP_1) | instskip(SKIP_2) | instid1(VALU_DEP_1)
	v_exp_f32_e32 v12, v12
	s_waitcnt_depctr 0xfff
	v_ldexp_f32 v12, v12, v13
	v_cndmask_b32_e32 v12, 0, v12, vcc_lo
	v_cmp_nlt_f32_e32 vcc_lo, 0x42b17218, v108
	s_delay_alu instid0(VALU_DEP_2) | instskip(NEXT) | instid1(VALU_DEP_1)
	v_cndmask_b32_e32 v14, 0x7f800000, v12, vcc_lo
	v_add_f32_e32 v15, 1.0, v14
	s_delay_alu instid0(VALU_DEP_1) | instskip(NEXT) | instid1(VALU_DEP_1)
	v_cvt_f64_f32_e32 v[12:13], v15
	v_frexp_exp_i32_f64_e32 v12, v[12:13]
	v_frexp_mant_f32_e32 v13, v15
	s_delay_alu instid0(VALU_DEP_1) | instskip(SKIP_1) | instid1(VALU_DEP_1)
	v_cmp_gt_f32_e32 vcc_lo, 0x3f2aaaab, v13
	v_add_f32_e32 v13, -1.0, v15
	v_sub_f32_e32 v101, v13, v15
	v_sub_f32_e32 v13, v14, v13
	s_delay_alu instid0(VALU_DEP_2) | instskip(NEXT) | instid1(VALU_DEP_1)
	v_add_f32_e32 v101, 1.0, v101
	v_add_f32_e32 v13, v13, v101
	v_cmp_gt_f32_e64 s28, 0x33800000, v14
	v_subrev_co_ci_u32_e32 v12, vcc_lo, 0, v12, vcc_lo
	v_cmp_eq_f32_e32 vcc_lo, 0x7f800000, v14
	s_delay_alu instid0(VALU_DEP_2) | instskip(SKIP_2) | instid1(VALU_DEP_2)
	v_sub_nc_u32_e32 v17, 0, v12
	v_cvt_f32_i32_e32 v12, v12
	s_or_b32 vcc_lo, s28, vcc_lo
	v_ldexp_f32 v15, v15, v17
	v_ldexp_f32 v13, v13, v17
	s_delay_alu instid0(VALU_DEP_2) | instskip(SKIP_1) | instid1(VALU_DEP_2)
	v_add_f32_e32 v102, 1.0, v15
	v_add_f32_e32 v17, -1.0, v15
	v_add_f32_e32 v101, -1.0, v102
	s_delay_alu instid0(VALU_DEP_2) | instskip(NEXT) | instid1(VALU_DEP_2)
	v_add_f32_e32 v103, 1.0, v17
	v_sub_f32_e32 v101, v15, v101
	s_delay_alu instid0(VALU_DEP_2) | instskip(NEXT) | instid1(VALU_DEP_2)
	v_sub_f32_e32 v15, v15, v103
	v_add_f32_e32 v101, v13, v101
	s_delay_alu instid0(VALU_DEP_2) | instskip(NEXT) | instid1(VALU_DEP_2)
	v_add_f32_e32 v13, v13, v15
	v_add_f32_e32 v103, v102, v101
	s_delay_alu instid0(VALU_DEP_2) | instskip(NEXT) | instid1(VALU_DEP_2)
	v_add_f32_e32 v104, v17, v13
	v_rcp_f32_e32 v15, v103
	v_sub_f32_e32 v102, v102, v103
	s_waitcnt_depctr 0xfff
	v_dual_add_f32 v101, v101, v102 :: v_dual_mul_f32 v106, v104, v15
	s_delay_alu instid0(VALU_DEP_1) | instskip(NEXT) | instid1(VALU_DEP_1)
	v_mul_f32_e32 v107, v103, v106
	v_fma_f32 v102, v106, v103, -v107
	s_delay_alu instid0(VALU_DEP_1) | instskip(NEXT) | instid1(VALU_DEP_1)
	v_dual_fmac_f32 v102, v106, v101 :: v_dual_sub_f32 v17, v17, v104
	v_add_f32_e32 v108, v107, v102
	s_delay_alu instid0(VALU_DEP_1) | instskip(NEXT) | instid1(VALU_DEP_1)
	v_sub_f32_e32 v109, v104, v108
	v_sub_f32_e32 v104, v104, v109
	s_delay_alu instid0(VALU_DEP_1) | instskip(SKIP_1) | instid1(VALU_DEP_2)
	v_dual_sub_f32 v104, v104, v108 :: v_dual_add_f32 v13, v13, v17
	v_sub_f32_e32 v17, v108, v107
	v_add_f32_e32 v13, v13, v104
	s_delay_alu instid0(VALU_DEP_2) | instskip(NEXT) | instid1(VALU_DEP_1)
	v_sub_f32_e32 v17, v17, v102
	v_add_f32_e32 v13, v17, v13
	s_delay_alu instid0(VALU_DEP_1) | instskip(NEXT) | instid1(VALU_DEP_1)
	v_add_f32_e32 v17, v109, v13
	v_mul_f32_e32 v102, v15, v17
	s_delay_alu instid0(VALU_DEP_1) | instskip(SKIP_1) | instid1(VALU_DEP_2)
	v_mul_f32_e32 v104, v103, v102
	v_sub_f32_e32 v108, v109, v17
	v_fma_f32 v103, v102, v103, -v104
	s_delay_alu instid0(VALU_DEP_2) | instskip(NEXT) | instid1(VALU_DEP_2)
	v_add_f32_e32 v13, v13, v108
	v_fmac_f32_e32 v103, v102, v101
	s_delay_alu instid0(VALU_DEP_1) | instskip(NEXT) | instid1(VALU_DEP_1)
	v_add_f32_e32 v101, v104, v103
	v_sub_f32_e32 v107, v17, v101
	v_sub_f32_e32 v104, v101, v104
	s_delay_alu instid0(VALU_DEP_2) | instskip(NEXT) | instid1(VALU_DEP_1)
	v_sub_f32_e32 v17, v17, v107
	v_sub_f32_e32 v17, v17, v101
	s_delay_alu instid0(VALU_DEP_3) | instskip(NEXT) | instid1(VALU_DEP_2)
	v_sub_f32_e32 v101, v104, v103
	v_add_f32_e32 v13, v13, v17
	v_add_f32_e32 v17, v106, v102
	s_delay_alu instid0(VALU_DEP_2) | instskip(NEXT) | instid1(VALU_DEP_2)
	v_add_f32_e32 v13, v101, v13
	v_sub_f32_e32 v101, v17, v106
	s_delay_alu instid0(VALU_DEP_2) | instskip(NEXT) | instid1(VALU_DEP_2)
	v_add_f32_e32 v13, v107, v13
	v_sub_f32_e32 v101, v102, v101
	s_delay_alu instid0(VALU_DEP_2) | instskip(NEXT) | instid1(VALU_DEP_1)
	v_mul_f32_e32 v13, v15, v13
	v_add_f32_e32 v13, v101, v13
	s_delay_alu instid0(VALU_DEP_1) | instskip(NEXT) | instid1(VALU_DEP_1)
	v_add_f32_e32 v15, v17, v13
	v_mul_f32_e32 v101, v15, v15
	s_delay_alu instid0(VALU_DEP_1) | instskip(SKIP_1) | instid1(VALU_DEP_2)
	v_fmaak_f32 v102, s83, v101, 0x3ecc95a3
	v_mul_f32_e32 v103, v15, v101
	v_fmaak_f32 v101, v101, v102, 0x3f2aaada
	v_ldexp_f32 v102, v15, 1
	v_sub_f32_e32 v15, v15, v17
	s_delay_alu instid0(VALU_DEP_3) | instskip(SKIP_1) | instid1(VALU_DEP_3)
	v_mul_f32_e32 v101, v103, v101
	v_mul_f32_e32 v103, 0x3f317218, v12
	v_sub_f32_e32 v13, v13, v15
	s_delay_alu instid0(VALU_DEP_3) | instskip(NEXT) | instid1(VALU_DEP_2)
	v_add_f32_e32 v17, v102, v101
	v_ldexp_f32 v13, v13, 1
	s_delay_alu instid0(VALU_DEP_2) | instskip(SKIP_1) | instid1(VALU_DEP_1)
	v_sub_f32_e32 v15, v17, v102
	v_fma_f32 v102, 0x3f317218, v12, -v103
	v_dual_sub_f32 v15, v101, v15 :: v_dual_fmac_f32 v102, 0xb102e308, v12
	s_delay_alu instid0(VALU_DEP_1) | instskip(NEXT) | instid1(VALU_DEP_1)
	v_dual_add_f32 v12, v13, v15 :: v_dual_add_f32 v13, v103, v102
	v_add_f32_e32 v15, v17, v12
	s_delay_alu instid0(VALU_DEP_2) | instskip(NEXT) | instid1(VALU_DEP_2)
	v_sub_f32_e32 v103, v13, v103
	v_add_f32_e32 v101, v13, v15
	s_delay_alu instid0(VALU_DEP_2) | instskip(NEXT) | instid1(VALU_DEP_2)
	v_dual_sub_f32 v17, v15, v17 :: v_dual_sub_f32 v102, v102, v103
	v_sub_f32_e32 v104, v101, v13
	s_delay_alu instid0(VALU_DEP_2) | instskip(NEXT) | instid1(VALU_DEP_2)
	v_sub_f32_e32 v12, v12, v17
	v_sub_f32_e32 v106, v101, v104
	;; [unrolled: 1-line block ×3, first 2 shown]
	s_delay_alu instid0(VALU_DEP_3) | instskip(NEXT) | instid1(VALU_DEP_3)
	v_add_f32_e32 v17, v102, v12
	v_sub_f32_e32 v13, v13, v106
	s_delay_alu instid0(VALU_DEP_1) | instskip(NEXT) | instid1(VALU_DEP_3)
	v_add_f32_e32 v13, v15, v13
	v_sub_f32_e32 v15, v17, v102
	s_delay_alu instid0(VALU_DEP_2) | instskip(NEXT) | instid1(VALU_DEP_2)
	v_add_f32_e32 v13, v17, v13
	v_sub_f32_e32 v17, v17, v15
	s_delay_alu instid0(VALU_DEP_2) | instskip(NEXT) | instid1(VALU_DEP_2)
	v_dual_sub_f32 v12, v12, v15 :: v_dual_add_f32 v103, v101, v13
	v_sub_f32_e32 v17, v102, v17
	s_delay_alu instid0(VALU_DEP_2) | instskip(NEXT) | instid1(VALU_DEP_1)
	v_sub_f32_e32 v15, v103, v101
	v_dual_add_f32 v12, v12, v17 :: v_dual_sub_f32 v13, v13, v15
	s_delay_alu instid0(VALU_DEP_1) | instskip(NEXT) | instid1(VALU_DEP_1)
	v_add_f32_e32 v12, v12, v13
	v_add_f32_e32 v12, v103, v12
	s_delay_alu instid0(VALU_DEP_1)
	v_cndmask_b32_e32 v108, v12, v14, vcc_lo
.LBB52_92:                              ;   in Loop: Header=BB52_12 Depth=1
	s_or_b32 exec_lo, exec_lo, s29
	v_and_b32_e32 v8, 0xffff0000, v8
	s_delay_alu instid0(VALU_DEP_1) | instskip(NEXT) | instid1(VALU_DEP_1)
	v_add_f32_e32 v113, s66, v8
	v_cmp_ge_f32_e32 vcc_lo, 0x41a00000, v113
	s_and_b32 s28, s79, vcc_lo
	s_delay_alu instid0(SALU_CYCLE_1)
	s_and_saveexec_b32 s29, s28
	s_cbranch_execz .LBB52_94
; %bb.93:                               ;   in Loop: Header=BB52_12 Depth=1
	v_mul_f32_e32 v8, 0x3fb8aa3b, v113
	v_cmp_ngt_f32_e32 vcc_lo, 0xc2ce8ed0, v113
	s_delay_alu instid0(VALU_DEP_2) | instskip(SKIP_1) | instid1(VALU_DEP_1)
	v_rndne_f32_e32 v12, v8
	v_fma_f32 v13, 0x3fb8aa3b, v113, -v8
	v_dual_sub_f32 v8, v8, v12 :: v_dual_fmac_f32 v13, 0x32a5705f, v113
	v_cvt_i32_f32_e32 v12, v12
	s_delay_alu instid0(VALU_DEP_2) | instskip(NEXT) | instid1(VALU_DEP_1)
	v_add_f32_e32 v8, v8, v13
	v_exp_f32_e32 v8, v8
	s_waitcnt_depctr 0xfff
	v_ldexp_f32 v8, v8, v12
	s_delay_alu instid0(VALU_DEP_1) | instskip(SKIP_1) | instid1(VALU_DEP_2)
	v_cndmask_b32_e32 v8, 0, v8, vcc_lo
	v_cmp_nlt_f32_e32 vcc_lo, 0x42b17218, v113
	v_cndmask_b32_e32 v8, 0x7f800000, v8, vcc_lo
	s_delay_alu instid0(VALU_DEP_1) | instskip(NEXT) | instid1(VALU_DEP_1)
	v_add_f32_e32 v14, 1.0, v8
	v_cvt_f64_f32_e32 v[12:13], v14
	s_delay_alu instid0(VALU_DEP_1) | instskip(SKIP_1) | instid1(VALU_DEP_1)
	v_frexp_exp_i32_f64_e32 v12, v[12:13]
	v_frexp_mant_f32_e32 v13, v14
	v_cmp_gt_f32_e32 vcc_lo, 0x3f2aaaab, v13
	v_add_f32_e32 v13, -1.0, v14
	s_delay_alu instid0(VALU_DEP_1) | instskip(NEXT) | instid1(VALU_DEP_1)
	v_sub_f32_e32 v17, v13, v14
	v_add_f32_e32 v17, 1.0, v17
	v_subrev_co_ci_u32_e32 v12, vcc_lo, 0, v12, vcc_lo
	s_delay_alu instid0(VALU_DEP_1) | instskip(SKIP_1) | instid1(VALU_DEP_2)
	v_sub_nc_u32_e32 v15, 0, v12
	v_cvt_f32_i32_e32 v12, v12
	v_ldexp_f32 v14, v14, v15
	s_delay_alu instid0(VALU_DEP_1) | instskip(SKIP_3) | instid1(VALU_DEP_3)
	v_add_f32_e32 v101, 1.0, v14
	v_sub_f32_e32 v13, v8, v13
	v_cmp_eq_f32_e32 vcc_lo, 0x7f800000, v8
	v_cmp_gt_f32_e64 s28, 0x33800000, v8
	v_add_f32_e32 v13, v13, v17
	s_delay_alu instid0(VALU_DEP_2) | instskip(NEXT) | instid1(VALU_DEP_1)
	s_or_b32 vcc_lo, s28, vcc_lo
	v_ldexp_f32 v13, v13, v15
	v_add_f32_e32 v15, -1.0, v14
	s_delay_alu instid0(VALU_DEP_1) | instskip(NEXT) | instid1(VALU_DEP_1)
	v_dual_add_f32 v102, 1.0, v15 :: v_dual_add_f32 v17, -1.0, v101
	v_sub_f32_e32 v17, v14, v17
	s_delay_alu instid0(VALU_DEP_1) | instskip(NEXT) | instid1(VALU_DEP_1)
	v_dual_sub_f32 v14, v14, v102 :: v_dual_add_f32 v17, v13, v17
	v_add_f32_e32 v13, v13, v14
	s_delay_alu instid0(VALU_DEP_2) | instskip(NEXT) | instid1(VALU_DEP_2)
	v_add_f32_e32 v102, v101, v17
	v_add_f32_e32 v103, v15, v13
	s_delay_alu instid0(VALU_DEP_2) | instskip(SKIP_1) | instid1(VALU_DEP_2)
	v_rcp_f32_e32 v14, v102
	v_sub_f32_e32 v101, v101, v102
	v_sub_f32_e32 v15, v15, v103
	s_waitcnt_depctr 0xfff
	v_dual_add_f32 v13, v13, v15 :: v_dual_mul_f32 v104, v103, v14
	s_delay_alu instid0(VALU_DEP_1) | instskip(NEXT) | instid1(VALU_DEP_1)
	v_dual_mul_f32 v106, v102, v104 :: v_dual_add_f32 v17, v17, v101
	v_fma_f32 v101, v104, v102, -v106
	s_delay_alu instid0(VALU_DEP_1) | instskip(NEXT) | instid1(VALU_DEP_1)
	v_fmac_f32_e32 v101, v104, v17
	v_add_f32_e32 v107, v106, v101
	s_delay_alu instid0(VALU_DEP_1) | instskip(SKIP_1) | instid1(VALU_DEP_2)
	v_sub_f32_e32 v109, v103, v107
	v_sub_f32_e32 v15, v107, v106
	;; [unrolled: 1-line block ×3, first 2 shown]
	s_delay_alu instid0(VALU_DEP_2) | instskip(NEXT) | instid1(VALU_DEP_2)
	v_sub_f32_e32 v15, v15, v101
	v_sub_f32_e32 v103, v103, v107
	s_delay_alu instid0(VALU_DEP_1) | instskip(NEXT) | instid1(VALU_DEP_1)
	v_add_f32_e32 v13, v13, v103
	v_add_f32_e32 v13, v15, v13
	s_delay_alu instid0(VALU_DEP_1) | instskip(NEXT) | instid1(VALU_DEP_1)
	v_add_f32_e32 v15, v109, v13
	v_mul_f32_e32 v101, v14, v15
	s_delay_alu instid0(VALU_DEP_1) | instskip(NEXT) | instid1(VALU_DEP_1)
	v_mul_f32_e32 v103, v102, v101
	v_fma_f32 v102, v101, v102, -v103
	s_delay_alu instid0(VALU_DEP_1) | instskip(SKIP_1) | instid1(VALU_DEP_2)
	v_fmac_f32_e32 v102, v101, v17
	v_sub_f32_e32 v107, v109, v15
	v_add_f32_e32 v17, v103, v102
	s_delay_alu instid0(VALU_DEP_1) | instskip(SKIP_1) | instid1(VALU_DEP_2)
	v_dual_add_f32 v13, v13, v107 :: v_dual_sub_f32 v106, v15, v17
	v_sub_f32_e32 v103, v17, v103
	v_sub_f32_e32 v15, v15, v106
	s_delay_alu instid0(VALU_DEP_1) | instskip(NEXT) | instid1(VALU_DEP_3)
	v_sub_f32_e32 v15, v15, v17
	v_sub_f32_e32 v17, v103, v102
	s_delay_alu instid0(VALU_DEP_2) | instskip(SKIP_1) | instid1(VALU_DEP_2)
	v_add_f32_e32 v13, v13, v15
	v_add_f32_e32 v15, v104, v101
	;; [unrolled: 1-line block ×3, first 2 shown]
	s_delay_alu instid0(VALU_DEP_2) | instskip(NEXT) | instid1(VALU_DEP_2)
	v_sub_f32_e32 v17, v15, v104
	v_add_f32_e32 v13, v106, v13
	s_delay_alu instid0(VALU_DEP_2) | instskip(NEXT) | instid1(VALU_DEP_2)
	v_sub_f32_e32 v17, v101, v17
	v_mul_f32_e32 v13, v14, v13
	s_delay_alu instid0(VALU_DEP_1) | instskip(NEXT) | instid1(VALU_DEP_1)
	v_add_f32_e32 v13, v17, v13
	v_add_f32_e32 v14, v15, v13
	s_delay_alu instid0(VALU_DEP_1) | instskip(NEXT) | instid1(VALU_DEP_1)
	v_mul_f32_e32 v17, v14, v14
	v_fmaak_f32 v101, s83, v17, 0x3ecc95a3
	v_mul_f32_e32 v102, v14, v17
	s_delay_alu instid0(VALU_DEP_2) | instskip(SKIP_2) | instid1(VALU_DEP_3)
	v_fmaak_f32 v17, v17, v101, 0x3f2aaada
	v_ldexp_f32 v101, v14, 1
	v_sub_f32_e32 v14, v14, v15
	v_dual_mul_f32 v17, v102, v17 :: v_dual_mul_f32 v102, 0x3f317218, v12
	s_delay_alu instid0(VALU_DEP_2) | instskip(NEXT) | instid1(VALU_DEP_2)
	v_sub_f32_e32 v13, v13, v14
	v_add_f32_e32 v15, v101, v17
	s_delay_alu instid0(VALU_DEP_2) | instskip(NEXT) | instid1(VALU_DEP_2)
	v_ldexp_f32 v13, v13, 1
	v_sub_f32_e32 v14, v15, v101
	v_fma_f32 v101, 0x3f317218, v12, -v102
	s_delay_alu instid0(VALU_DEP_1) | instskip(NEXT) | instid1(VALU_DEP_1)
	v_dual_sub_f32 v14, v17, v14 :: v_dual_fmac_f32 v101, 0xb102e308, v12
	v_dual_add_f32 v12, v13, v14 :: v_dual_add_f32 v13, v102, v101
	s_delay_alu instid0(VALU_DEP_1) | instskip(NEXT) | instid1(VALU_DEP_2)
	v_add_f32_e32 v14, v15, v12
	v_sub_f32_e32 v102, v13, v102
	s_delay_alu instid0(VALU_DEP_2) | instskip(SKIP_1) | instid1(VALU_DEP_3)
	v_add_f32_e32 v17, v13, v14
	v_sub_f32_e32 v15, v14, v15
	v_sub_f32_e32 v101, v101, v102
	s_delay_alu instid0(VALU_DEP_2) | instskip(NEXT) | instid1(VALU_DEP_1)
	v_dual_sub_f32 v103, v17, v13 :: v_dual_sub_f32 v12, v12, v15
	v_sub_f32_e32 v104, v17, v103
	s_delay_alu instid0(VALU_DEP_2) | instskip(NEXT) | instid1(VALU_DEP_2)
	v_dual_sub_f32 v14, v14, v103 :: v_dual_add_f32 v15, v101, v12
	v_sub_f32_e32 v13, v13, v104
	s_delay_alu instid0(VALU_DEP_1) | instskip(NEXT) | instid1(VALU_DEP_3)
	v_add_f32_e32 v13, v14, v13
	v_sub_f32_e32 v14, v15, v101
	s_delay_alu instid0(VALU_DEP_2) | instskip(NEXT) | instid1(VALU_DEP_2)
	v_add_f32_e32 v13, v15, v13
	v_sub_f32_e32 v15, v15, v14
	v_sub_f32_e32 v12, v12, v14
	s_delay_alu instid0(VALU_DEP_3) | instskip(NEXT) | instid1(VALU_DEP_1)
	v_add_f32_e32 v102, v17, v13
	v_dual_sub_f32 v15, v101, v15 :: v_dual_sub_f32 v14, v102, v17
	s_delay_alu instid0(VALU_DEP_1) | instskip(NEXT) | instid1(VALU_DEP_1)
	v_dual_add_f32 v12, v12, v15 :: v_dual_sub_f32 v13, v13, v14
	v_add_f32_e32 v12, v12, v13
	s_delay_alu instid0(VALU_DEP_1) | instskip(NEXT) | instid1(VALU_DEP_1)
	v_add_f32_e32 v12, v102, v12
	v_cndmask_b32_e32 v113, v12, v8, vcc_lo
.LBB52_94:                              ;   in Loop: Header=BB52_12 Depth=1
	s_or_b32 exec_lo, exec_lo, s29
	v_lshlrev_b32_e32 v8, 16, v9
	s_delay_alu instid0(VALU_DEP_1) | instskip(NEXT) | instid1(VALU_DEP_1)
	v_add_f32_e32 v116, s66, v8
	v_cmp_ge_f32_e32 vcc_lo, 0x41a00000, v116
	s_and_b32 s28, s79, vcc_lo
	s_delay_alu instid0(SALU_CYCLE_1)
	s_and_saveexec_b32 s29, s28
	s_cbranch_execz .LBB52_96
; %bb.95:                               ;   in Loop: Header=BB52_12 Depth=1
	v_mul_f32_e32 v8, 0x3fb8aa3b, v116
	v_cmp_ngt_f32_e32 vcc_lo, 0xc2ce8ed0, v116
	s_delay_alu instid0(VALU_DEP_2) | instskip(SKIP_1) | instid1(VALU_DEP_2)
	v_rndne_f32_e32 v12, v8
	v_fma_f32 v13, 0x3fb8aa3b, v116, -v8
	v_sub_f32_e32 v8, v8, v12
	s_delay_alu instid0(VALU_DEP_2) | instskip(SKIP_1) | instid1(VALU_DEP_2)
	v_fmac_f32_e32 v13, 0x32a5705f, v116
	v_cvt_i32_f32_e32 v12, v12
	v_add_f32_e32 v8, v8, v13
	s_delay_alu instid0(VALU_DEP_1) | instskip(SKIP_2) | instid1(VALU_DEP_1)
	v_exp_f32_e32 v8, v8
	s_waitcnt_depctr 0xfff
	v_ldexp_f32 v8, v8, v12
	v_cndmask_b32_e32 v8, 0, v8, vcc_lo
	v_cmp_nlt_f32_e32 vcc_lo, 0x42b17218, v116
	s_delay_alu instid0(VALU_DEP_2) | instskip(NEXT) | instid1(VALU_DEP_1)
	v_cndmask_b32_e32 v8, 0x7f800000, v8, vcc_lo
	v_add_f32_e32 v14, 1.0, v8
	s_delay_alu instid0(VALU_DEP_1) | instskip(NEXT) | instid1(VALU_DEP_1)
	v_cvt_f64_f32_e32 v[12:13], v14
	v_frexp_exp_i32_f64_e32 v12, v[12:13]
	v_frexp_mant_f32_e32 v13, v14
	s_delay_alu instid0(VALU_DEP_1) | instskip(SKIP_1) | instid1(VALU_DEP_1)
	v_cmp_gt_f32_e32 vcc_lo, 0x3f2aaaab, v13
	v_add_f32_e32 v13, -1.0, v14
	v_sub_f32_e32 v17, v13, v14
	v_sub_f32_e32 v13, v8, v13
	s_delay_alu instid0(VALU_DEP_2) | instskip(NEXT) | instid1(VALU_DEP_1)
	v_add_f32_e32 v17, 1.0, v17
	v_add_f32_e32 v13, v13, v17
	v_cmp_gt_f32_e64 s28, 0x33800000, v8
	v_subrev_co_ci_u32_e32 v12, vcc_lo, 0, v12, vcc_lo
	v_cmp_eq_f32_e32 vcc_lo, 0x7f800000, v8
	s_delay_alu instid0(VALU_DEP_2) | instskip(SKIP_2) | instid1(VALU_DEP_2)
	v_sub_nc_u32_e32 v15, 0, v12
	v_cvt_f32_i32_e32 v12, v12
	s_or_b32 vcc_lo, s28, vcc_lo
	v_ldexp_f32 v14, v14, v15
	v_ldexp_f32 v13, v13, v15
	s_delay_alu instid0(VALU_DEP_2) | instskip(SKIP_1) | instid1(VALU_DEP_1)
	v_add_f32_e32 v101, 1.0, v14
	v_add_f32_e32 v15, -1.0, v14
	v_dual_add_f32 v102, 1.0, v15 :: v_dual_add_f32 v17, -1.0, v101
	s_delay_alu instid0(VALU_DEP_1) | instskip(NEXT) | instid1(VALU_DEP_1)
	v_sub_f32_e32 v17, v14, v17
	v_dual_sub_f32 v14, v14, v102 :: v_dual_add_f32 v17, v13, v17
	s_delay_alu instid0(VALU_DEP_1) | instskip(NEXT) | instid1(VALU_DEP_2)
	v_add_f32_e32 v13, v13, v14
	v_add_f32_e32 v102, v101, v17
	s_delay_alu instid0(VALU_DEP_2) | instskip(NEXT) | instid1(VALU_DEP_2)
	v_add_f32_e32 v103, v15, v13
	v_rcp_f32_e32 v14, v102
	v_sub_f32_e32 v101, v101, v102
	s_delay_alu instid0(VALU_DEP_2) | instskip(SKIP_2) | instid1(VALU_DEP_1)
	v_sub_f32_e32 v15, v15, v103
	s_waitcnt_depctr 0xfff
	v_dual_add_f32 v13, v13, v15 :: v_dual_mul_f32 v104, v103, v14
	v_dual_mul_f32 v106, v102, v104 :: v_dual_add_f32 v17, v17, v101
	s_delay_alu instid0(VALU_DEP_1) | instskip(NEXT) | instid1(VALU_DEP_1)
	v_fma_f32 v101, v104, v102, -v106
	v_fmac_f32_e32 v101, v104, v17
	s_delay_alu instid0(VALU_DEP_1) | instskip(NEXT) | instid1(VALU_DEP_1)
	v_add_f32_e32 v107, v106, v101
	v_sub_f32_e32 v109, v103, v107
	v_sub_f32_e32 v15, v107, v106
	s_delay_alu instid0(VALU_DEP_2) | instskip(NEXT) | instid1(VALU_DEP_2)
	v_sub_f32_e32 v103, v103, v109
	v_sub_f32_e32 v15, v15, v101
	s_delay_alu instid0(VALU_DEP_2) | instskip(NEXT) | instid1(VALU_DEP_1)
	v_sub_f32_e32 v103, v103, v107
	v_add_f32_e32 v13, v13, v103
	s_delay_alu instid0(VALU_DEP_1) | instskip(NEXT) | instid1(VALU_DEP_1)
	v_add_f32_e32 v13, v15, v13
	v_add_f32_e32 v15, v109, v13
	s_delay_alu instid0(VALU_DEP_1) | instskip(NEXT) | instid1(VALU_DEP_1)
	v_mul_f32_e32 v101, v14, v15
	v_mul_f32_e32 v103, v102, v101
	s_delay_alu instid0(VALU_DEP_1) | instskip(NEXT) | instid1(VALU_DEP_1)
	v_fma_f32 v102, v101, v102, -v103
	v_fmac_f32_e32 v102, v101, v17
	v_sub_f32_e32 v107, v109, v15
	s_delay_alu instid0(VALU_DEP_2) | instskip(NEXT) | instid1(VALU_DEP_1)
	v_add_f32_e32 v17, v103, v102
	v_dual_add_f32 v13, v13, v107 :: v_dual_sub_f32 v106, v15, v17
	v_sub_f32_e32 v103, v17, v103
	s_delay_alu instid0(VALU_DEP_2) | instskip(NEXT) | instid1(VALU_DEP_1)
	v_sub_f32_e32 v15, v15, v106
	v_sub_f32_e32 v15, v15, v17
	s_delay_alu instid0(VALU_DEP_3) | instskip(NEXT) | instid1(VALU_DEP_2)
	v_sub_f32_e32 v17, v103, v102
	v_add_f32_e32 v13, v13, v15
	v_add_f32_e32 v15, v104, v101
	s_delay_alu instid0(VALU_DEP_2) | instskip(NEXT) | instid1(VALU_DEP_2)
	v_add_f32_e32 v13, v17, v13
	v_sub_f32_e32 v17, v15, v104
	s_delay_alu instid0(VALU_DEP_2) | instskip(NEXT) | instid1(VALU_DEP_2)
	v_add_f32_e32 v13, v106, v13
	v_sub_f32_e32 v17, v101, v17
	s_delay_alu instid0(VALU_DEP_2) | instskip(NEXT) | instid1(VALU_DEP_1)
	v_mul_f32_e32 v13, v14, v13
	v_add_f32_e32 v13, v17, v13
	s_delay_alu instid0(VALU_DEP_1) | instskip(NEXT) | instid1(VALU_DEP_1)
	v_add_f32_e32 v14, v15, v13
	v_mul_f32_e32 v17, v14, v14
	s_delay_alu instid0(VALU_DEP_1) | instskip(SKIP_1) | instid1(VALU_DEP_2)
	v_fmaak_f32 v101, s83, v17, 0x3ecc95a3
	v_mul_f32_e32 v102, v14, v17
	v_fmaak_f32 v17, v17, v101, 0x3f2aaada
	v_ldexp_f32 v101, v14, 1
	v_sub_f32_e32 v14, v14, v15
	s_delay_alu instid0(VALU_DEP_3) | instskip(NEXT) | instid1(VALU_DEP_2)
	v_dual_mul_f32 v17, v102, v17 :: v_dual_mul_f32 v102, 0x3f317218, v12
	v_sub_f32_e32 v13, v13, v14
	s_delay_alu instid0(VALU_DEP_2) | instskip(NEXT) | instid1(VALU_DEP_2)
	v_add_f32_e32 v15, v101, v17
	v_ldexp_f32 v13, v13, 1
	s_delay_alu instid0(VALU_DEP_2) | instskip(SKIP_1) | instid1(VALU_DEP_1)
	v_sub_f32_e32 v14, v15, v101
	v_fma_f32 v101, 0x3f317218, v12, -v102
	v_dual_sub_f32 v14, v17, v14 :: v_dual_fmac_f32 v101, 0xb102e308, v12
	s_delay_alu instid0(VALU_DEP_1) | instskip(NEXT) | instid1(VALU_DEP_1)
	v_dual_add_f32 v12, v13, v14 :: v_dual_add_f32 v13, v102, v101
	v_add_f32_e32 v14, v15, v12
	s_delay_alu instid0(VALU_DEP_2) | instskip(NEXT) | instid1(VALU_DEP_2)
	v_sub_f32_e32 v102, v13, v102
	v_add_f32_e32 v17, v13, v14
	v_sub_f32_e32 v15, v14, v15
	s_delay_alu instid0(VALU_DEP_3) | instskip(NEXT) | instid1(VALU_DEP_2)
	v_sub_f32_e32 v101, v101, v102
	v_dual_sub_f32 v103, v17, v13 :: v_dual_sub_f32 v12, v12, v15
	s_delay_alu instid0(VALU_DEP_1) | instskip(NEXT) | instid1(VALU_DEP_2)
	v_sub_f32_e32 v104, v17, v103
	v_dual_sub_f32 v14, v14, v103 :: v_dual_add_f32 v15, v101, v12
	s_delay_alu instid0(VALU_DEP_2) | instskip(NEXT) | instid1(VALU_DEP_1)
	v_sub_f32_e32 v13, v13, v104
	v_add_f32_e32 v13, v14, v13
	s_delay_alu instid0(VALU_DEP_3) | instskip(NEXT) | instid1(VALU_DEP_2)
	v_sub_f32_e32 v14, v15, v101
	v_add_f32_e32 v13, v15, v13
	s_delay_alu instid0(VALU_DEP_2) | instskip(SKIP_1) | instid1(VALU_DEP_3)
	v_sub_f32_e32 v15, v15, v14
	v_sub_f32_e32 v12, v12, v14
	v_add_f32_e32 v102, v17, v13
	s_delay_alu instid0(VALU_DEP_1) | instskip(NEXT) | instid1(VALU_DEP_1)
	v_dual_sub_f32 v15, v101, v15 :: v_dual_sub_f32 v14, v102, v17
	v_dual_add_f32 v12, v12, v15 :: v_dual_sub_f32 v13, v13, v14
	s_delay_alu instid0(VALU_DEP_1) | instskip(NEXT) | instid1(VALU_DEP_1)
	v_add_f32_e32 v12, v12, v13
	v_add_f32_e32 v12, v102, v12
	s_delay_alu instid0(VALU_DEP_1)
	v_cndmask_b32_e32 v116, v12, v8, vcc_lo
.LBB52_96:                              ;   in Loop: Header=BB52_12 Depth=1
	s_or_b32 exec_lo, exec_lo, s29
	v_and_b32_e32 v8, 0xffff0000, v9
	s_delay_alu instid0(VALU_DEP_1) | instskip(NEXT) | instid1(VALU_DEP_1)
	v_add_f32_e32 v121, s66, v8
	v_cmp_ge_f32_e32 vcc_lo, 0x41a00000, v121
	s_and_b32 s28, s79, vcc_lo
	s_delay_alu instid0(SALU_CYCLE_1)
	s_and_saveexec_b32 s29, s28
	s_cbranch_execz .LBB52_98
; %bb.97:                               ;   in Loop: Header=BB52_12 Depth=1
	v_mul_f32_e32 v8, 0x3fb8aa3b, v121
	v_cmp_ngt_f32_e32 vcc_lo, 0xc2ce8ed0, v121
	s_delay_alu instid0(VALU_DEP_2) | instskip(SKIP_1) | instid1(VALU_DEP_2)
	v_rndne_f32_e32 v9, v8
	v_fma_f32 v12, 0x3fb8aa3b, v121, -v8
	v_sub_f32_e32 v8, v8, v9
	s_delay_alu instid0(VALU_DEP_2) | instskip(SKIP_1) | instid1(VALU_DEP_2)
	v_fmac_f32_e32 v12, 0x32a5705f, v121
	v_cvt_i32_f32_e32 v9, v9
	v_add_f32_e32 v8, v8, v12
	s_delay_alu instid0(VALU_DEP_1) | instskip(SKIP_2) | instid1(VALU_DEP_1)
	v_exp_f32_e32 v8, v8
	s_waitcnt_depctr 0xfff
	v_ldexp_f32 v8, v8, v9
	v_cndmask_b32_e32 v8, 0, v8, vcc_lo
	v_cmp_nlt_f32_e32 vcc_lo, 0x42b17218, v121
	s_delay_alu instid0(VALU_DEP_2) | instskip(NEXT) | instid1(VALU_DEP_1)
	v_cndmask_b32_e32 v12, 0x7f800000, v8, vcc_lo
	v_add_f32_e32 v13, 1.0, v12
	s_delay_alu instid0(VALU_DEP_1) | instskip(NEXT) | instid1(VALU_DEP_1)
	v_cvt_f64_f32_e32 v[8:9], v13
	v_frexp_exp_i32_f64_e32 v8, v[8:9]
	v_frexp_mant_f32_e32 v9, v13
	s_delay_alu instid0(VALU_DEP_1) | instskip(SKIP_1) | instid1(VALU_DEP_1)
	v_cmp_gt_f32_e32 vcc_lo, 0x3f2aaaab, v9
	v_add_f32_e32 v9, -1.0, v13
	v_sub_f32_e32 v15, v9, v13
	s_delay_alu instid0(VALU_DEP_1) | instskip(SKIP_1) | instid1(VALU_DEP_1)
	v_add_f32_e32 v15, 1.0, v15
	v_subrev_co_ci_u32_e32 v8, vcc_lo, 0, v8, vcc_lo
	v_sub_nc_u32_e32 v14, 0, v8
	v_cvt_f32_i32_e32 v8, v8
	s_delay_alu instid0(VALU_DEP_2) | instskip(NEXT) | instid1(VALU_DEP_1)
	v_ldexp_f32 v13, v13, v14
	v_add_f32_e32 v17, 1.0, v13
	v_sub_f32_e32 v9, v12, v9
	v_cmp_eq_f32_e32 vcc_lo, 0x7f800000, v12
	v_cmp_gt_f32_e64 s28, 0x33800000, v12
	s_delay_alu instid0(VALU_DEP_3) | instskip(NEXT) | instid1(VALU_DEP_2)
	v_add_f32_e32 v9, v9, v15
	s_or_b32 vcc_lo, s28, vcc_lo
	s_delay_alu instid0(VALU_DEP_1) | instskip(SKIP_2) | instid1(VALU_DEP_1)
	v_ldexp_f32 v9, v9, v14
	v_add_f32_e32 v14, -1.0, v13
	v_add_f32_e32 v15, -1.0, v17
	v_sub_f32_e32 v15, v13, v15
	s_delay_alu instid0(VALU_DEP_3) | instskip(NEXT) | instid1(VALU_DEP_2)
	v_add_f32_e32 v101, 1.0, v14
	v_add_f32_e32 v15, v9, v15
	s_delay_alu instid0(VALU_DEP_2) | instskip(NEXT) | instid1(VALU_DEP_2)
	v_sub_f32_e32 v13, v13, v101
	v_add_f32_e32 v101, v17, v15
	s_delay_alu instid0(VALU_DEP_2) | instskip(NEXT) | instid1(VALU_DEP_2)
	v_add_f32_e32 v9, v9, v13
	v_rcp_f32_e32 v13, v101
	s_delay_alu instid0(VALU_DEP_1) | instskip(NEXT) | instid1(VALU_DEP_1)
	v_add_f32_e32 v102, v14, v9
	v_dual_sub_f32 v17, v17, v101 :: v_dual_sub_f32 v14, v14, v102
	s_delay_alu instid0(VALU_DEP_1) | instskip(SKIP_2) | instid1(VALU_DEP_1)
	v_add_f32_e32 v15, v15, v17
	s_waitcnt_depctr 0xfff
	v_mul_f32_e32 v103, v102, v13
	v_mul_f32_e32 v104, v101, v103
	s_delay_alu instid0(VALU_DEP_1) | instskip(NEXT) | instid1(VALU_DEP_1)
	v_fma_f32 v17, v103, v101, -v104
	v_fmac_f32_e32 v17, v103, v15
	s_delay_alu instid0(VALU_DEP_1) | instskip(NEXT) | instid1(VALU_DEP_1)
	v_add_f32_e32 v106, v104, v17
	v_sub_f32_e32 v107, v102, v106
	s_delay_alu instid0(VALU_DEP_1) | instskip(NEXT) | instid1(VALU_DEP_1)
	v_sub_f32_e32 v102, v102, v107
	v_sub_f32_e32 v102, v102, v106
	v_dual_add_f32 v9, v9, v14 :: v_dual_sub_f32 v14, v106, v104
	s_delay_alu instid0(VALU_DEP_1) | instskip(NEXT) | instid1(VALU_DEP_1)
	v_dual_sub_f32 v14, v14, v17 :: v_dual_add_f32 v9, v9, v102
	v_add_f32_e32 v9, v14, v9
	s_delay_alu instid0(VALU_DEP_1) | instskip(NEXT) | instid1(VALU_DEP_1)
	v_add_f32_e32 v14, v107, v9
	v_mul_f32_e32 v17, v13, v14
	s_delay_alu instid0(VALU_DEP_1) | instskip(NEXT) | instid1(VALU_DEP_1)
	v_mul_f32_e32 v102, v101, v17
	v_fma_f32 v101, v17, v101, -v102
	s_delay_alu instid0(VALU_DEP_1) | instskip(NEXT) | instid1(VALU_DEP_1)
	v_dual_fmac_f32 v101, v17, v15 :: v_dual_sub_f32 v106, v107, v14
	v_add_f32_e32 v15, v102, v101
	s_delay_alu instid0(VALU_DEP_1) | instskip(SKIP_1) | instid1(VALU_DEP_2)
	v_sub_f32_e32 v104, v14, v15
	v_sub_f32_e32 v102, v15, v102
	v_dual_add_f32 v9, v9, v106 :: v_dual_sub_f32 v14, v14, v104
	s_delay_alu instid0(VALU_DEP_1) | instskip(NEXT) | instid1(VALU_DEP_3)
	v_sub_f32_e32 v14, v14, v15
	v_sub_f32_e32 v15, v102, v101
	s_delay_alu instid0(VALU_DEP_2) | instskip(NEXT) | instid1(VALU_DEP_1)
	v_dual_add_f32 v9, v9, v14 :: v_dual_add_f32 v14, v103, v17
	v_add_f32_e32 v9, v15, v9
	s_delay_alu instid0(VALU_DEP_2) | instskip(NEXT) | instid1(VALU_DEP_2)
	v_sub_f32_e32 v15, v14, v103
	v_add_f32_e32 v9, v104, v9
	s_delay_alu instid0(VALU_DEP_2) | instskip(NEXT) | instid1(VALU_DEP_2)
	v_sub_f32_e32 v15, v17, v15
	v_mul_f32_e32 v9, v13, v9
	s_delay_alu instid0(VALU_DEP_1) | instskip(NEXT) | instid1(VALU_DEP_1)
	v_add_f32_e32 v9, v15, v9
	v_add_f32_e32 v13, v14, v9
	s_delay_alu instid0(VALU_DEP_1) | instskip(NEXT) | instid1(VALU_DEP_1)
	v_mul_f32_e32 v15, v13, v13
	v_fmaak_f32 v17, s83, v15, 0x3ecc95a3
	v_mul_f32_e32 v101, v13, v15
	s_delay_alu instid0(VALU_DEP_2) | instskip(SKIP_2) | instid1(VALU_DEP_3)
	v_fmaak_f32 v15, v15, v17, 0x3f2aaada
	v_ldexp_f32 v17, v13, 1
	v_sub_f32_e32 v13, v13, v14
	v_mul_f32_e32 v15, v101, v15
	v_mul_f32_e32 v101, 0x3f317218, v8
	s_delay_alu instid0(VALU_DEP_3) | instskip(NEXT) | instid1(VALU_DEP_3)
	v_sub_f32_e32 v9, v9, v13
	v_add_f32_e32 v14, v17, v15
	s_delay_alu instid0(VALU_DEP_2) | instskip(NEXT) | instid1(VALU_DEP_2)
	v_ldexp_f32 v9, v9, 1
	v_sub_f32_e32 v13, v14, v17
	v_fma_f32 v17, 0x3f317218, v8, -v101
	s_delay_alu instid0(VALU_DEP_2) | instskip(NEXT) | instid1(VALU_DEP_1)
	v_sub_f32_e32 v13, v15, v13
	v_dual_fmac_f32 v17, 0xb102e308, v8 :: v_dual_add_f32 v8, v9, v13
	s_delay_alu instid0(VALU_DEP_1) | instskip(NEXT) | instid1(VALU_DEP_2)
	v_add_f32_e32 v9, v101, v17
	v_add_f32_e32 v13, v14, v8
	s_delay_alu instid0(VALU_DEP_2) | instskip(NEXT) | instid1(VALU_DEP_2)
	v_sub_f32_e32 v101, v9, v101
	v_add_f32_e32 v15, v9, v13
	v_sub_f32_e32 v14, v13, v14
	s_delay_alu instid0(VALU_DEP_3) | instskip(NEXT) | instid1(VALU_DEP_3)
	v_sub_f32_e32 v17, v17, v101
	v_sub_f32_e32 v102, v15, v9
	s_delay_alu instid0(VALU_DEP_3) | instskip(NEXT) | instid1(VALU_DEP_2)
	v_sub_f32_e32 v8, v8, v14
	v_sub_f32_e32 v103, v15, v102
	;; [unrolled: 1-line block ×3, first 2 shown]
	s_delay_alu instid0(VALU_DEP_3) | instskip(NEXT) | instid1(VALU_DEP_3)
	v_add_f32_e32 v14, v17, v8
	v_sub_f32_e32 v9, v9, v103
	s_delay_alu instid0(VALU_DEP_1) | instskip(NEXT) | instid1(VALU_DEP_3)
	v_add_f32_e32 v9, v13, v9
	v_sub_f32_e32 v13, v14, v17
	s_delay_alu instid0(VALU_DEP_2) | instskip(NEXT) | instid1(VALU_DEP_2)
	v_add_f32_e32 v9, v14, v9
	v_sub_f32_e32 v14, v14, v13
	v_sub_f32_e32 v8, v8, v13
	s_delay_alu instid0(VALU_DEP_2) | instskip(NEXT) | instid1(VALU_DEP_1)
	v_dual_add_f32 v101, v15, v9 :: v_dual_sub_f32 v14, v17, v14
	v_dual_sub_f32 v13, v101, v15 :: v_dual_add_f32 v8, v8, v14
	s_delay_alu instid0(VALU_DEP_1) | instskip(NEXT) | instid1(VALU_DEP_1)
	v_sub_f32_e32 v9, v9, v13
	v_add_f32_e32 v8, v8, v9
	s_delay_alu instid0(VALU_DEP_1) | instskip(NEXT) | instid1(VALU_DEP_1)
	v_add_f32_e32 v8, v101, v8
	v_cndmask_b32_e32 v121, v8, v12, vcc_lo
.LBB52_98:                              ;   in Loop: Header=BB52_12 Depth=1
	s_or_b32 exec_lo, exec_lo, s29
	v_lshlrev_b32_e32 v8, 16, v10
	s_delay_alu instid0(VALU_DEP_1) | instskip(NEXT) | instid1(VALU_DEP_1)
	v_add_f32_e32 v122, s66, v8
	v_cmp_ge_f32_e32 vcc_lo, 0x41a00000, v122
	s_and_b32 s28, s79, vcc_lo
	s_delay_alu instid0(SALU_CYCLE_1)
	s_and_saveexec_b32 s29, s28
	s_cbranch_execz .LBB52_100
; %bb.99:                               ;   in Loop: Header=BB52_12 Depth=1
	v_mul_f32_e32 v8, 0x3fb8aa3b, v122
	v_cmp_ngt_f32_e32 vcc_lo, 0xc2ce8ed0, v122
	s_delay_alu instid0(VALU_DEP_2) | instskip(SKIP_1) | instid1(VALU_DEP_2)
	v_rndne_f32_e32 v9, v8
	v_fma_f32 v12, 0x3fb8aa3b, v122, -v8
	v_sub_f32_e32 v8, v8, v9
	s_delay_alu instid0(VALU_DEP_2) | instskip(SKIP_1) | instid1(VALU_DEP_2)
	v_fmac_f32_e32 v12, 0x32a5705f, v122
	v_cvt_i32_f32_e32 v9, v9
	v_add_f32_e32 v8, v8, v12
	s_delay_alu instid0(VALU_DEP_1) | instskip(SKIP_2) | instid1(VALU_DEP_1)
	v_exp_f32_e32 v8, v8
	s_waitcnt_depctr 0xfff
	v_ldexp_f32 v8, v8, v9
	v_cndmask_b32_e32 v8, 0, v8, vcc_lo
	v_cmp_nlt_f32_e32 vcc_lo, 0x42b17218, v122
	s_delay_alu instid0(VALU_DEP_2) | instskip(NEXT) | instid1(VALU_DEP_1)
	v_cndmask_b32_e32 v12, 0x7f800000, v8, vcc_lo
	v_add_f32_e32 v13, 1.0, v12
	s_delay_alu instid0(VALU_DEP_1) | instskip(NEXT) | instid1(VALU_DEP_1)
	v_cvt_f64_f32_e32 v[8:9], v13
	v_frexp_exp_i32_f64_e32 v8, v[8:9]
	v_frexp_mant_f32_e32 v9, v13
	s_delay_alu instid0(VALU_DEP_1) | instskip(SKIP_1) | instid1(VALU_DEP_1)
	v_cmp_gt_f32_e32 vcc_lo, 0x3f2aaaab, v9
	v_add_f32_e32 v9, -1.0, v13
	v_sub_f32_e32 v15, v9, v13
	s_delay_alu instid0(VALU_DEP_1) | instskip(SKIP_1) | instid1(VALU_DEP_1)
	v_add_f32_e32 v15, 1.0, v15
	v_subrev_co_ci_u32_e32 v8, vcc_lo, 0, v8, vcc_lo
	v_sub_nc_u32_e32 v14, 0, v8
	v_cvt_f32_i32_e32 v8, v8
	s_delay_alu instid0(VALU_DEP_2) | instskip(NEXT) | instid1(VALU_DEP_1)
	v_ldexp_f32 v13, v13, v14
	v_add_f32_e32 v17, 1.0, v13
	v_sub_f32_e32 v9, v12, v9
	v_cmp_eq_f32_e32 vcc_lo, 0x7f800000, v12
	v_cmp_gt_f32_e64 s28, 0x33800000, v12
	s_delay_alu instid0(VALU_DEP_3) | instskip(SKIP_1) | instid1(VALU_DEP_3)
	v_add_f32_e32 v9, v9, v15
	v_add_f32_e32 v15, -1.0, v17
	s_or_b32 vcc_lo, s28, vcc_lo
	s_delay_alu instid0(VALU_DEP_2) | instskip(NEXT) | instid1(VALU_DEP_2)
	v_ldexp_f32 v9, v9, v14
	v_dual_add_f32 v14, -1.0, v13 :: v_dual_sub_f32 v15, v13, v15
	s_delay_alu instid0(VALU_DEP_1) | instskip(NEXT) | instid1(VALU_DEP_2)
	v_add_f32_e32 v101, 1.0, v14
	v_add_f32_e32 v15, v9, v15
	s_delay_alu instid0(VALU_DEP_2) | instskip(NEXT) | instid1(VALU_DEP_1)
	v_sub_f32_e32 v13, v13, v101
	v_add_f32_e32 v9, v9, v13
	s_delay_alu instid0(VALU_DEP_1) | instskip(NEXT) | instid1(VALU_DEP_1)
	v_add_f32_e32 v102, v14, v9
	v_dual_sub_f32 v14, v14, v102 :: v_dual_add_f32 v101, v17, v15
	s_delay_alu instid0(VALU_DEP_1) | instskip(SKIP_1) | instid1(VALU_DEP_1)
	v_rcp_f32_e32 v13, v101
	v_sub_f32_e32 v17, v17, v101
	v_add_f32_e32 v15, v15, v17
	s_waitcnt_depctr 0xfff
	v_mul_f32_e32 v103, v102, v13
	s_delay_alu instid0(VALU_DEP_1) | instskip(NEXT) | instid1(VALU_DEP_1)
	v_mul_f32_e32 v104, v101, v103
	v_fma_f32 v17, v103, v101, -v104
	s_delay_alu instid0(VALU_DEP_1) | instskip(NEXT) | instid1(VALU_DEP_1)
	v_fmac_f32_e32 v17, v103, v15
	v_add_f32_e32 v106, v104, v17
	s_delay_alu instid0(VALU_DEP_1) | instskip(NEXT) | instid1(VALU_DEP_1)
	v_sub_f32_e32 v107, v102, v106
	v_sub_f32_e32 v102, v102, v107
	s_delay_alu instid0(VALU_DEP_1) | instskip(SKIP_1) | instid1(VALU_DEP_1)
	v_sub_f32_e32 v102, v102, v106
	v_dual_add_f32 v9, v9, v14 :: v_dual_sub_f32 v14, v106, v104
	v_dual_sub_f32 v14, v14, v17 :: v_dual_add_f32 v9, v9, v102
	s_delay_alu instid0(VALU_DEP_1) | instskip(NEXT) | instid1(VALU_DEP_1)
	v_add_f32_e32 v9, v14, v9
	v_add_f32_e32 v14, v107, v9
	s_delay_alu instid0(VALU_DEP_1) | instskip(NEXT) | instid1(VALU_DEP_1)
	v_mul_f32_e32 v17, v13, v14
	v_mul_f32_e32 v102, v101, v17
	s_delay_alu instid0(VALU_DEP_1) | instskip(NEXT) | instid1(VALU_DEP_1)
	v_fma_f32 v101, v17, v101, -v102
	v_dual_fmac_f32 v101, v17, v15 :: v_dual_sub_f32 v106, v107, v14
	s_delay_alu instid0(VALU_DEP_1) | instskip(NEXT) | instid1(VALU_DEP_1)
	v_add_f32_e32 v15, v102, v101
	v_sub_f32_e32 v104, v14, v15
	v_sub_f32_e32 v102, v15, v102
	s_delay_alu instid0(VALU_DEP_2) | instskip(NEXT) | instid1(VALU_DEP_1)
	v_dual_add_f32 v9, v9, v106 :: v_dual_sub_f32 v14, v14, v104
	v_sub_f32_e32 v14, v14, v15
	s_delay_alu instid0(VALU_DEP_3) | instskip(NEXT) | instid1(VALU_DEP_2)
	v_sub_f32_e32 v15, v102, v101
	v_dual_add_f32 v9, v9, v14 :: v_dual_add_f32 v14, v103, v17
	s_delay_alu instid0(VALU_DEP_1) | instskip(NEXT) | instid1(VALU_DEP_2)
	v_add_f32_e32 v9, v15, v9
	v_sub_f32_e32 v15, v14, v103
	s_delay_alu instid0(VALU_DEP_2) | instskip(NEXT) | instid1(VALU_DEP_2)
	v_add_f32_e32 v9, v104, v9
	v_sub_f32_e32 v15, v17, v15
	s_delay_alu instid0(VALU_DEP_2) | instskip(NEXT) | instid1(VALU_DEP_1)
	v_mul_f32_e32 v9, v13, v9
	v_add_f32_e32 v9, v15, v9
	s_delay_alu instid0(VALU_DEP_1) | instskip(NEXT) | instid1(VALU_DEP_1)
	v_add_f32_e32 v13, v14, v9
	v_mul_f32_e32 v15, v13, v13
	s_delay_alu instid0(VALU_DEP_1) | instskip(SKIP_1) | instid1(VALU_DEP_2)
	v_fmaak_f32 v17, s83, v15, 0x3ecc95a3
	v_mul_f32_e32 v101, v13, v15
	v_fmaak_f32 v15, v15, v17, 0x3f2aaada
	v_ldexp_f32 v17, v13, 1
	v_sub_f32_e32 v13, v13, v14
	s_delay_alu instid0(VALU_DEP_3) | instskip(SKIP_1) | instid1(VALU_DEP_3)
	v_mul_f32_e32 v15, v101, v15
	v_mul_f32_e32 v101, 0x3f317218, v8
	v_sub_f32_e32 v9, v9, v13
	s_delay_alu instid0(VALU_DEP_3) | instskip(NEXT) | instid1(VALU_DEP_2)
	v_add_f32_e32 v14, v17, v15
	v_ldexp_f32 v9, v9, 1
	s_delay_alu instid0(VALU_DEP_2) | instskip(SKIP_1) | instid1(VALU_DEP_2)
	v_sub_f32_e32 v13, v14, v17
	v_fma_f32 v17, 0x3f317218, v8, -v101
	v_sub_f32_e32 v13, v15, v13
	s_delay_alu instid0(VALU_DEP_1) | instskip(NEXT) | instid1(VALU_DEP_1)
	v_dual_fmac_f32 v17, 0xb102e308, v8 :: v_dual_add_f32 v8, v9, v13
	v_add_f32_e32 v9, v101, v17
	s_delay_alu instid0(VALU_DEP_2) | instskip(NEXT) | instid1(VALU_DEP_2)
	v_add_f32_e32 v13, v14, v8
	v_sub_f32_e32 v101, v9, v101
	s_delay_alu instid0(VALU_DEP_2) | instskip(SKIP_1) | instid1(VALU_DEP_3)
	v_add_f32_e32 v15, v9, v13
	v_sub_f32_e32 v14, v13, v14
	v_sub_f32_e32 v17, v17, v101
	s_delay_alu instid0(VALU_DEP_3) | instskip(NEXT) | instid1(VALU_DEP_3)
	v_sub_f32_e32 v102, v15, v9
	v_sub_f32_e32 v8, v8, v14
	s_delay_alu instid0(VALU_DEP_2) | instskip(SKIP_1) | instid1(VALU_DEP_3)
	v_sub_f32_e32 v103, v15, v102
	v_sub_f32_e32 v13, v13, v102
	v_add_f32_e32 v14, v17, v8
	s_delay_alu instid0(VALU_DEP_3) | instskip(NEXT) | instid1(VALU_DEP_1)
	v_sub_f32_e32 v9, v9, v103
	v_add_f32_e32 v9, v13, v9
	s_delay_alu instid0(VALU_DEP_3) | instskip(NEXT) | instid1(VALU_DEP_2)
	v_sub_f32_e32 v13, v14, v17
	v_add_f32_e32 v9, v14, v9
	s_delay_alu instid0(VALU_DEP_2) | instskip(SKIP_1) | instid1(VALU_DEP_2)
	v_sub_f32_e32 v14, v14, v13
	v_sub_f32_e32 v8, v8, v13
	v_dual_add_f32 v101, v15, v9 :: v_dual_sub_f32 v14, v17, v14
	s_delay_alu instid0(VALU_DEP_1) | instskip(NEXT) | instid1(VALU_DEP_1)
	v_dual_sub_f32 v13, v101, v15 :: v_dual_add_f32 v8, v8, v14
	v_sub_f32_e32 v9, v9, v13
	s_delay_alu instid0(VALU_DEP_1) | instskip(NEXT) | instid1(VALU_DEP_1)
	v_add_f32_e32 v8, v8, v9
	v_add_f32_e32 v8, v101, v8
	s_delay_alu instid0(VALU_DEP_1)
	v_cndmask_b32_e32 v122, v8, v12, vcc_lo
.LBB52_100:                             ;   in Loop: Header=BB52_12 Depth=1
	s_or_b32 exec_lo, exec_lo, s29
	v_and_b32_e32 v8, 0xffff0000, v10
	s_delay_alu instid0(VALU_DEP_1) | instskip(NEXT) | instid1(VALU_DEP_1)
	v_add_f32_e32 v123, s66, v8
	v_cmp_ge_f32_e32 vcc_lo, 0x41a00000, v123
	s_and_b32 s28, s79, vcc_lo
	s_delay_alu instid0(SALU_CYCLE_1)
	s_and_saveexec_b32 s29, s28
	s_cbranch_execz .LBB52_102
; %bb.101:                              ;   in Loop: Header=BB52_12 Depth=1
	v_mul_f32_e32 v8, 0x3fb8aa3b, v123
	v_cmp_ngt_f32_e32 vcc_lo, 0xc2ce8ed0, v123
	s_delay_alu instid0(VALU_DEP_2) | instskip(SKIP_1) | instid1(VALU_DEP_2)
	v_rndne_f32_e32 v9, v8
	v_fma_f32 v10, 0x3fb8aa3b, v123, -v8
	v_sub_f32_e32 v8, v8, v9
	s_delay_alu instid0(VALU_DEP_2) | instskip(SKIP_1) | instid1(VALU_DEP_2)
	v_fmac_f32_e32 v10, 0x32a5705f, v123
	v_cvt_i32_f32_e32 v9, v9
	v_add_f32_e32 v8, v8, v10
	s_delay_alu instid0(VALU_DEP_1) | instskip(SKIP_2) | instid1(VALU_DEP_1)
	v_exp_f32_e32 v8, v8
	s_waitcnt_depctr 0xfff
	v_ldexp_f32 v8, v8, v9
	v_cndmask_b32_e32 v8, 0, v8, vcc_lo
	v_cmp_nlt_f32_e32 vcc_lo, 0x42b17218, v123
	s_delay_alu instid0(VALU_DEP_2) | instskip(NEXT) | instid1(VALU_DEP_1)
	v_cndmask_b32_e32 v10, 0x7f800000, v8, vcc_lo
	v_add_f32_e32 v12, 1.0, v10
	s_delay_alu instid0(VALU_DEP_1) | instskip(NEXT) | instid1(VALU_DEP_1)
	v_cvt_f64_f32_e32 v[8:9], v12
	v_frexp_exp_i32_f64_e32 v8, v[8:9]
	v_frexp_mant_f32_e32 v9, v12
	s_delay_alu instid0(VALU_DEP_1) | instskip(SKIP_1) | instid1(VALU_DEP_1)
	v_cmp_gt_f32_e32 vcc_lo, 0x3f2aaaab, v9
	v_add_f32_e32 v9, -1.0, v12
	v_dual_sub_f32 v14, v9, v12 :: v_dual_sub_f32 v9, v10, v9
	v_subrev_co_ci_u32_e32 v8, vcc_lo, 0, v8, vcc_lo
	s_delay_alu instid0(VALU_DEP_1) | instskip(SKIP_1) | instid1(VALU_DEP_2)
	v_sub_nc_u32_e32 v13, 0, v8
	v_cvt_f32_i32_e32 v8, v8
	v_ldexp_f32 v12, v12, v13
	s_delay_alu instid0(VALU_DEP_1) | instskip(NEXT) | instid1(VALU_DEP_1)
	v_dual_add_f32 v14, 1.0, v14 :: v_dual_add_f32 v15, 1.0, v12
	v_add_f32_e32 v9, v9, v14
	s_delay_alu instid0(VALU_DEP_1) | instskip(NEXT) | instid1(VALU_DEP_3)
	v_ldexp_f32 v9, v9, v13
	v_dual_add_f32 v13, -1.0, v12 :: v_dual_add_f32 v14, -1.0, v15
	s_delay_alu instid0(VALU_DEP_1) | instskip(NEXT) | instid1(VALU_DEP_1)
	v_dual_add_f32 v17, 1.0, v13 :: v_dual_sub_f32 v14, v12, v14
	v_sub_f32_e32 v12, v12, v17
	s_delay_alu instid0(VALU_DEP_2) | instskip(NEXT) | instid1(VALU_DEP_2)
	v_add_f32_e32 v14, v9, v14
	v_add_f32_e32 v9, v9, v12
	s_delay_alu instid0(VALU_DEP_2) | instskip(SKIP_2) | instid1(VALU_DEP_4)
	v_add_f32_e32 v17, v15, v14
	v_cmp_eq_f32_e32 vcc_lo, 0x7f800000, v10
	v_cmp_gt_f32_e64 s28, 0x33800000, v10
	v_add_f32_e32 v101, v13, v9
	s_delay_alu instid0(VALU_DEP_4) | instskip(SKIP_1) | instid1(VALU_DEP_3)
	v_rcp_f32_e32 v12, v17
	v_sub_f32_e32 v15, v15, v17
	s_or_b32 vcc_lo, s28, vcc_lo
	s_delay_alu instid0(VALU_DEP_1) | instskip(NEXT) | instid1(VALU_DEP_1)
	v_dual_sub_f32 v13, v13, v101 :: v_dual_add_f32 v14, v14, v15
	v_add_f32_e32 v9, v9, v13
	s_waitcnt_depctr 0xfff
	v_mul_f32_e32 v102, v101, v12
	s_delay_alu instid0(VALU_DEP_1) | instskip(NEXT) | instid1(VALU_DEP_1)
	v_mul_f32_e32 v103, v17, v102
	v_fma_f32 v15, v102, v17, -v103
	s_delay_alu instid0(VALU_DEP_1) | instskip(NEXT) | instid1(VALU_DEP_1)
	v_fmac_f32_e32 v15, v102, v14
	v_add_f32_e32 v104, v103, v15
	s_delay_alu instid0(VALU_DEP_1) | instskip(NEXT) | instid1(VALU_DEP_1)
	v_dual_sub_f32 v106, v101, v104 :: v_dual_sub_f32 v13, v104, v103
	v_sub_f32_e32 v101, v101, v106
	s_delay_alu instid0(VALU_DEP_2) | instskip(NEXT) | instid1(VALU_DEP_2)
	v_sub_f32_e32 v13, v13, v15
	v_sub_f32_e32 v101, v101, v104
	s_delay_alu instid0(VALU_DEP_1) | instskip(NEXT) | instid1(VALU_DEP_1)
	v_add_f32_e32 v9, v9, v101
	v_add_f32_e32 v9, v13, v9
	s_delay_alu instid0(VALU_DEP_1) | instskip(NEXT) | instid1(VALU_DEP_1)
	v_add_f32_e32 v13, v106, v9
	v_mul_f32_e32 v15, v12, v13
	s_delay_alu instid0(VALU_DEP_1) | instskip(NEXT) | instid1(VALU_DEP_1)
	v_dual_sub_f32 v104, v106, v13 :: v_dual_mul_f32 v101, v17, v15
	v_add_f32_e32 v9, v9, v104
	s_delay_alu instid0(VALU_DEP_2) | instskip(NEXT) | instid1(VALU_DEP_1)
	v_fma_f32 v17, v15, v17, -v101
	v_fmac_f32_e32 v17, v15, v14
	s_delay_alu instid0(VALU_DEP_1) | instskip(NEXT) | instid1(VALU_DEP_1)
	v_add_f32_e32 v14, v101, v17
	v_sub_f32_e32 v103, v13, v14
	s_delay_alu instid0(VALU_DEP_1) | instskip(NEXT) | instid1(VALU_DEP_1)
	v_sub_f32_e32 v13, v13, v103
	v_sub_f32_e32 v13, v13, v14
	s_delay_alu instid0(VALU_DEP_1) | instskip(SKIP_2) | instid1(VALU_DEP_1)
	v_add_f32_e32 v9, v9, v13
	v_add_f32_e32 v13, v102, v15
	v_sub_f32_e32 v101, v14, v101
	v_sub_f32_e32 v14, v101, v17
	s_delay_alu instid0(VALU_DEP_1) | instskip(NEXT) | instid1(VALU_DEP_1)
	v_dual_add_f32 v9, v14, v9 :: v_dual_sub_f32 v14, v13, v102
	v_add_f32_e32 v9, v103, v9
	s_delay_alu instid0(VALU_DEP_1) | instskip(NEXT) | instid1(VALU_DEP_1)
	v_dual_sub_f32 v14, v15, v14 :: v_dual_mul_f32 v9, v12, v9
	v_add_f32_e32 v9, v14, v9
	s_delay_alu instid0(VALU_DEP_1) | instskip(NEXT) | instid1(VALU_DEP_1)
	v_add_f32_e32 v12, v13, v9
	v_mul_f32_e32 v14, v12, v12
	s_delay_alu instid0(VALU_DEP_1) | instskip(NEXT) | instid1(VALU_DEP_1)
	v_fmaak_f32 v15, s83, v14, 0x3ecc95a3
	v_dual_mul_f32 v17, v12, v14 :: v_dual_fmaak_f32 v14, v14, v15, 0x3f2aaada
	v_ldexp_f32 v15, v12, 1
	v_sub_f32_e32 v12, v12, v13
	s_delay_alu instid0(VALU_DEP_3) | instskip(NEXT) | instid1(VALU_DEP_2)
	v_dual_mul_f32 v14, v17, v14 :: v_dual_mul_f32 v17, 0x3f317218, v8
	v_sub_f32_e32 v9, v9, v12
	s_delay_alu instid0(VALU_DEP_2) | instskip(NEXT) | instid1(VALU_DEP_2)
	v_add_f32_e32 v13, v15, v14
	v_ldexp_f32 v9, v9, 1
	s_delay_alu instid0(VALU_DEP_2) | instskip(SKIP_1) | instid1(VALU_DEP_2)
	v_sub_f32_e32 v12, v13, v15
	v_fma_f32 v15, 0x3f317218, v8, -v17
	v_sub_f32_e32 v12, v14, v12
	s_delay_alu instid0(VALU_DEP_2) | instskip(NEXT) | instid1(VALU_DEP_2)
	v_fmac_f32_e32 v15, 0xb102e308, v8
	v_add_f32_e32 v8, v9, v12
	s_delay_alu instid0(VALU_DEP_2) | instskip(NEXT) | instid1(VALU_DEP_2)
	v_add_f32_e32 v9, v17, v15
	v_add_f32_e32 v12, v13, v8
	s_delay_alu instid0(VALU_DEP_2) | instskip(NEXT) | instid1(VALU_DEP_2)
	v_sub_f32_e32 v17, v9, v17
	v_dual_add_f32 v14, v9, v12 :: v_dual_sub_f32 v13, v12, v13
	s_delay_alu instid0(VALU_DEP_2) | instskip(NEXT) | instid1(VALU_DEP_2)
	v_sub_f32_e32 v15, v15, v17
	v_sub_f32_e32 v101, v14, v9
	s_delay_alu instid0(VALU_DEP_3) | instskip(NEXT) | instid1(VALU_DEP_2)
	v_sub_f32_e32 v8, v8, v13
	v_sub_f32_e32 v102, v14, v101
	s_delay_alu instid0(VALU_DEP_2) | instskip(NEXT) | instid1(VALU_DEP_2)
	v_dual_sub_f32 v12, v12, v101 :: v_dual_add_f32 v13, v15, v8
	v_sub_f32_e32 v9, v9, v102
	s_delay_alu instid0(VALU_DEP_1) | instskip(NEXT) | instid1(VALU_DEP_1)
	v_dual_add_f32 v9, v12, v9 :: v_dual_sub_f32 v12, v13, v15
	v_add_f32_e32 v9, v13, v9
	s_delay_alu instid0(VALU_DEP_2) | instskip(NEXT) | instid1(VALU_DEP_2)
	v_sub_f32_e32 v13, v13, v12
	v_dual_sub_f32 v8, v8, v12 :: v_dual_add_f32 v17, v14, v9
	s_delay_alu instid0(VALU_DEP_1) | instskip(NEXT) | instid1(VALU_DEP_1)
	v_dual_sub_f32 v13, v15, v13 :: v_dual_sub_f32 v12, v17, v14
	v_dual_add_f32 v8, v8, v13 :: v_dual_sub_f32 v9, v9, v12
	s_delay_alu instid0(VALU_DEP_1) | instskip(NEXT) | instid1(VALU_DEP_1)
	v_add_f32_e32 v8, v8, v9
	v_add_f32_e32 v8, v17, v8
	s_delay_alu instid0(VALU_DEP_1)
	v_cndmask_b32_e32 v123, v8, v10, vcc_lo
.LBB52_102:                             ;   in Loop: Header=BB52_12 Depth=1
	s_or_b32 exec_lo, exec_lo, s29
	v_lshlrev_b32_e32 v8, 16, v11
	s_delay_alu instid0(VALU_DEP_1) | instskip(NEXT) | instid1(VALU_DEP_1)
	v_add_f32_e32 v124, s66, v8
	v_cmp_ge_f32_e32 vcc_lo, 0x41a00000, v124
	s_and_b32 s28, s79, vcc_lo
	s_delay_alu instid0(SALU_CYCLE_1)
	s_and_saveexec_b32 s29, s28
	s_cbranch_execz .LBB52_104
; %bb.103:                              ;   in Loop: Header=BB52_12 Depth=1
	v_mul_f32_e32 v8, 0x3fb8aa3b, v124
	v_cmp_ngt_f32_e32 vcc_lo, 0xc2ce8ed0, v124
	s_delay_alu instid0(VALU_DEP_2) | instskip(SKIP_1) | instid1(VALU_DEP_2)
	v_rndne_f32_e32 v9, v8
	v_fma_f32 v10, 0x3fb8aa3b, v124, -v8
	v_sub_f32_e32 v8, v8, v9
	s_delay_alu instid0(VALU_DEP_2) | instskip(SKIP_1) | instid1(VALU_DEP_2)
	v_fmac_f32_e32 v10, 0x32a5705f, v124
	v_cvt_i32_f32_e32 v9, v9
	v_add_f32_e32 v8, v8, v10
	s_delay_alu instid0(VALU_DEP_1) | instskip(SKIP_2) | instid1(VALU_DEP_1)
	v_exp_f32_e32 v8, v8
	s_waitcnt_depctr 0xfff
	v_ldexp_f32 v8, v8, v9
	v_cndmask_b32_e32 v8, 0, v8, vcc_lo
	v_cmp_nlt_f32_e32 vcc_lo, 0x42b17218, v124
	s_delay_alu instid0(VALU_DEP_2) | instskip(NEXT) | instid1(VALU_DEP_1)
	v_cndmask_b32_e32 v10, 0x7f800000, v8, vcc_lo
	v_add_f32_e32 v12, 1.0, v10
	s_delay_alu instid0(VALU_DEP_1) | instskip(NEXT) | instid1(VALU_DEP_1)
	v_cvt_f64_f32_e32 v[8:9], v12
	v_frexp_exp_i32_f64_e32 v8, v[8:9]
	v_frexp_mant_f32_e32 v9, v12
	s_delay_alu instid0(VALU_DEP_1) | instskip(SKIP_1) | instid1(VALU_DEP_1)
	v_cmp_gt_f32_e32 vcc_lo, 0x3f2aaaab, v9
	v_add_f32_e32 v9, -1.0, v12
	v_dual_sub_f32 v14, v9, v12 :: v_dual_sub_f32 v9, v10, v9
	v_subrev_co_ci_u32_e32 v8, vcc_lo, 0, v8, vcc_lo
	s_delay_alu instid0(VALU_DEP_1) | instskip(SKIP_1) | instid1(VALU_DEP_2)
	v_sub_nc_u32_e32 v13, 0, v8
	v_cvt_f32_i32_e32 v8, v8
	v_ldexp_f32 v12, v12, v13
	s_delay_alu instid0(VALU_DEP_1) | instskip(NEXT) | instid1(VALU_DEP_1)
	v_dual_add_f32 v14, 1.0, v14 :: v_dual_add_f32 v15, 1.0, v12
	v_add_f32_e32 v9, v9, v14
	s_delay_alu instid0(VALU_DEP_1) | instskip(NEXT) | instid1(VALU_DEP_3)
	v_ldexp_f32 v9, v9, v13
	v_dual_add_f32 v13, -1.0, v12 :: v_dual_add_f32 v14, -1.0, v15
	s_delay_alu instid0(VALU_DEP_1) | instskip(NEXT) | instid1(VALU_DEP_1)
	v_dual_add_f32 v17, 1.0, v13 :: v_dual_sub_f32 v14, v12, v14
	v_sub_f32_e32 v12, v12, v17
	s_delay_alu instid0(VALU_DEP_2) | instskip(NEXT) | instid1(VALU_DEP_2)
	v_add_f32_e32 v14, v9, v14
	v_add_f32_e32 v9, v9, v12
	s_delay_alu instid0(VALU_DEP_2) | instskip(SKIP_2) | instid1(VALU_DEP_4)
	v_add_f32_e32 v17, v15, v14
	v_cmp_eq_f32_e32 vcc_lo, 0x7f800000, v10
	v_cmp_gt_f32_e64 s28, 0x33800000, v10
	v_add_f32_e32 v101, v13, v9
	s_delay_alu instid0(VALU_DEP_4) | instskip(SKIP_1) | instid1(VALU_DEP_3)
	v_rcp_f32_e32 v12, v17
	v_sub_f32_e32 v15, v15, v17
	s_or_b32 vcc_lo, s28, vcc_lo
	s_delay_alu instid0(VALU_DEP_1) | instskip(NEXT) | instid1(VALU_DEP_1)
	v_dual_sub_f32 v13, v13, v101 :: v_dual_add_f32 v14, v14, v15
	v_add_f32_e32 v9, v9, v13
	s_waitcnt_depctr 0xfff
	v_mul_f32_e32 v102, v101, v12
	s_delay_alu instid0(VALU_DEP_1) | instskip(NEXT) | instid1(VALU_DEP_1)
	v_mul_f32_e32 v103, v17, v102
	v_fma_f32 v15, v102, v17, -v103
	s_delay_alu instid0(VALU_DEP_1) | instskip(NEXT) | instid1(VALU_DEP_1)
	v_fmac_f32_e32 v15, v102, v14
	v_add_f32_e32 v104, v103, v15
	s_delay_alu instid0(VALU_DEP_1) | instskip(NEXT) | instid1(VALU_DEP_1)
	v_dual_sub_f32 v106, v101, v104 :: v_dual_sub_f32 v13, v104, v103
	v_sub_f32_e32 v101, v101, v106
	s_delay_alu instid0(VALU_DEP_2) | instskip(NEXT) | instid1(VALU_DEP_2)
	v_sub_f32_e32 v13, v13, v15
	v_sub_f32_e32 v101, v101, v104
	s_delay_alu instid0(VALU_DEP_1) | instskip(NEXT) | instid1(VALU_DEP_1)
	v_add_f32_e32 v9, v9, v101
	v_add_f32_e32 v9, v13, v9
	s_delay_alu instid0(VALU_DEP_1) | instskip(NEXT) | instid1(VALU_DEP_1)
	v_add_f32_e32 v13, v106, v9
	v_mul_f32_e32 v15, v12, v13
	s_delay_alu instid0(VALU_DEP_1) | instskip(NEXT) | instid1(VALU_DEP_1)
	v_dual_sub_f32 v104, v106, v13 :: v_dual_mul_f32 v101, v17, v15
	v_add_f32_e32 v9, v9, v104
	s_delay_alu instid0(VALU_DEP_2) | instskip(NEXT) | instid1(VALU_DEP_1)
	v_fma_f32 v17, v15, v17, -v101
	v_fmac_f32_e32 v17, v15, v14
	s_delay_alu instid0(VALU_DEP_1) | instskip(NEXT) | instid1(VALU_DEP_1)
	v_add_f32_e32 v14, v101, v17
	v_sub_f32_e32 v103, v13, v14
	s_delay_alu instid0(VALU_DEP_1) | instskip(NEXT) | instid1(VALU_DEP_1)
	v_sub_f32_e32 v13, v13, v103
	v_sub_f32_e32 v13, v13, v14
	s_delay_alu instid0(VALU_DEP_1) | instskip(SKIP_2) | instid1(VALU_DEP_1)
	v_add_f32_e32 v9, v9, v13
	v_add_f32_e32 v13, v102, v15
	v_sub_f32_e32 v101, v14, v101
	v_sub_f32_e32 v14, v101, v17
	s_delay_alu instid0(VALU_DEP_1) | instskip(NEXT) | instid1(VALU_DEP_1)
	v_dual_add_f32 v9, v14, v9 :: v_dual_sub_f32 v14, v13, v102
	v_add_f32_e32 v9, v103, v9
	s_delay_alu instid0(VALU_DEP_1) | instskip(NEXT) | instid1(VALU_DEP_1)
	v_dual_sub_f32 v14, v15, v14 :: v_dual_mul_f32 v9, v12, v9
	v_add_f32_e32 v9, v14, v9
	s_delay_alu instid0(VALU_DEP_1) | instskip(NEXT) | instid1(VALU_DEP_1)
	v_add_f32_e32 v12, v13, v9
	v_mul_f32_e32 v14, v12, v12
	s_delay_alu instid0(VALU_DEP_1) | instskip(NEXT) | instid1(VALU_DEP_1)
	v_fmaak_f32 v15, s83, v14, 0x3ecc95a3
	v_dual_mul_f32 v17, v12, v14 :: v_dual_fmaak_f32 v14, v14, v15, 0x3f2aaada
	v_ldexp_f32 v15, v12, 1
	v_sub_f32_e32 v12, v12, v13
	s_delay_alu instid0(VALU_DEP_3) | instskip(NEXT) | instid1(VALU_DEP_2)
	v_dual_mul_f32 v14, v17, v14 :: v_dual_mul_f32 v17, 0x3f317218, v8
	v_sub_f32_e32 v9, v9, v12
	s_delay_alu instid0(VALU_DEP_2) | instskip(NEXT) | instid1(VALU_DEP_2)
	v_add_f32_e32 v13, v15, v14
	v_ldexp_f32 v9, v9, 1
	s_delay_alu instid0(VALU_DEP_2) | instskip(SKIP_1) | instid1(VALU_DEP_2)
	v_sub_f32_e32 v12, v13, v15
	v_fma_f32 v15, 0x3f317218, v8, -v17
	v_sub_f32_e32 v12, v14, v12
	s_delay_alu instid0(VALU_DEP_2) | instskip(NEXT) | instid1(VALU_DEP_2)
	v_fmac_f32_e32 v15, 0xb102e308, v8
	v_add_f32_e32 v8, v9, v12
	s_delay_alu instid0(VALU_DEP_2) | instskip(NEXT) | instid1(VALU_DEP_2)
	v_add_f32_e32 v9, v17, v15
	v_add_f32_e32 v12, v13, v8
	s_delay_alu instid0(VALU_DEP_2) | instskip(NEXT) | instid1(VALU_DEP_2)
	v_sub_f32_e32 v17, v9, v17
	v_dual_add_f32 v14, v9, v12 :: v_dual_sub_f32 v13, v12, v13
	s_delay_alu instid0(VALU_DEP_2) | instskip(NEXT) | instid1(VALU_DEP_2)
	v_sub_f32_e32 v15, v15, v17
	v_sub_f32_e32 v101, v14, v9
	s_delay_alu instid0(VALU_DEP_3) | instskip(NEXT) | instid1(VALU_DEP_2)
	v_sub_f32_e32 v8, v8, v13
	v_sub_f32_e32 v102, v14, v101
	s_delay_alu instid0(VALU_DEP_2) | instskip(NEXT) | instid1(VALU_DEP_2)
	v_dual_sub_f32 v12, v12, v101 :: v_dual_add_f32 v13, v15, v8
	v_sub_f32_e32 v9, v9, v102
	s_delay_alu instid0(VALU_DEP_1) | instskip(NEXT) | instid1(VALU_DEP_1)
	v_dual_add_f32 v9, v12, v9 :: v_dual_sub_f32 v12, v13, v15
	v_add_f32_e32 v9, v13, v9
	s_delay_alu instid0(VALU_DEP_2) | instskip(NEXT) | instid1(VALU_DEP_2)
	v_sub_f32_e32 v13, v13, v12
	v_dual_sub_f32 v8, v8, v12 :: v_dual_add_f32 v17, v14, v9
	s_delay_alu instid0(VALU_DEP_1) | instskip(NEXT) | instid1(VALU_DEP_1)
	v_dual_sub_f32 v13, v15, v13 :: v_dual_sub_f32 v12, v17, v14
	v_dual_add_f32 v8, v8, v13 :: v_dual_sub_f32 v9, v9, v12
	s_delay_alu instid0(VALU_DEP_1) | instskip(NEXT) | instid1(VALU_DEP_1)
	v_add_f32_e32 v8, v8, v9
	v_add_f32_e32 v8, v17, v8
	s_delay_alu instid0(VALU_DEP_1)
	v_cndmask_b32_e32 v124, v8, v10, vcc_lo
.LBB52_104:                             ;   in Loop: Header=BB52_12 Depth=1
	s_or_b32 exec_lo, exec_lo, s29
	v_and_b32_e32 v8, 0xffff0000, v11
	s_delay_alu instid0(VALU_DEP_1) | instskip(NEXT) | instid1(VALU_DEP_1)
	v_add_f32_e32 v125, s66, v8
	v_cmp_ge_f32_e32 vcc_lo, 0x41a00000, v125
	s_and_b32 s28, s79, vcc_lo
	s_delay_alu instid0(SALU_CYCLE_1)
	s_and_saveexec_b32 s29, s28
	s_cbranch_execz .LBB52_106
; %bb.105:                              ;   in Loop: Header=BB52_12 Depth=1
	v_mul_f32_e32 v8, 0x3fb8aa3b, v125
	v_cmp_ngt_f32_e32 vcc_lo, 0xc2ce8ed0, v125
	s_delay_alu instid0(VALU_DEP_2) | instskip(SKIP_1) | instid1(VALU_DEP_2)
	v_rndne_f32_e32 v9, v8
	v_fma_f32 v10, 0x3fb8aa3b, v125, -v8
	v_sub_f32_e32 v8, v8, v9
	s_delay_alu instid0(VALU_DEP_2) | instskip(SKIP_1) | instid1(VALU_DEP_2)
	v_fmac_f32_e32 v10, 0x32a5705f, v125
	v_cvt_i32_f32_e32 v9, v9
	v_add_f32_e32 v8, v8, v10
	s_delay_alu instid0(VALU_DEP_1) | instskip(SKIP_2) | instid1(VALU_DEP_1)
	v_exp_f32_e32 v8, v8
	s_waitcnt_depctr 0xfff
	v_ldexp_f32 v8, v8, v9
	v_cndmask_b32_e32 v8, 0, v8, vcc_lo
	v_cmp_nlt_f32_e32 vcc_lo, 0x42b17218, v125
	s_delay_alu instid0(VALU_DEP_2) | instskip(NEXT) | instid1(VALU_DEP_1)
	v_cndmask_b32_e32 v10, 0x7f800000, v8, vcc_lo
	v_add_f32_e32 v11, 1.0, v10
	s_delay_alu instid0(VALU_DEP_1) | instskip(NEXT) | instid1(VALU_DEP_1)
	v_cvt_f64_f32_e32 v[8:9], v11
	v_frexp_exp_i32_f64_e32 v8, v[8:9]
	v_frexp_mant_f32_e32 v9, v11
	s_delay_alu instid0(VALU_DEP_1) | instskip(SKIP_1) | instid1(VALU_DEP_1)
	v_cmp_gt_f32_e32 vcc_lo, 0x3f2aaaab, v9
	v_add_f32_e32 v9, -1.0, v11
	v_sub_f32_e32 v13, v9, v11
	v_sub_f32_e32 v9, v10, v9
	s_delay_alu instid0(VALU_DEP_2) | instskip(NEXT) | instid1(VALU_DEP_1)
	v_add_f32_e32 v13, 1.0, v13
	v_add_f32_e32 v9, v9, v13
	v_cmp_gt_f32_e64 s28, 0x33800000, v10
	v_subrev_co_ci_u32_e32 v8, vcc_lo, 0, v8, vcc_lo
	v_cmp_eq_f32_e32 vcc_lo, 0x7f800000, v10
	s_delay_alu instid0(VALU_DEP_2) | instskip(SKIP_2) | instid1(VALU_DEP_2)
	v_sub_nc_u32_e32 v12, 0, v8
	v_cvt_f32_i32_e32 v8, v8
	s_or_b32 vcc_lo, s28, vcc_lo
	v_ldexp_f32 v11, v11, v12
	v_ldexp_f32 v9, v9, v12
	s_delay_alu instid0(VALU_DEP_2) | instskip(NEXT) | instid1(VALU_DEP_1)
	v_add_f32_e32 v14, 1.0, v11
	v_dual_add_f32 v12, -1.0, v11 :: v_dual_add_f32 v13, -1.0, v14
	s_delay_alu instid0(VALU_DEP_1) | instskip(NEXT) | instid1(VALU_DEP_2)
	v_add_f32_e32 v15, 1.0, v12
	v_sub_f32_e32 v13, v11, v13
	s_delay_alu instid0(VALU_DEP_2) | instskip(NEXT) | instid1(VALU_DEP_2)
	v_sub_f32_e32 v11, v11, v15
	v_add_f32_e32 v13, v9, v13
	s_delay_alu instid0(VALU_DEP_2) | instskip(NEXT) | instid1(VALU_DEP_1)
	v_add_f32_e32 v9, v9, v11
	v_add_f32_e32 v17, v12, v9
	s_delay_alu instid0(VALU_DEP_3) | instskip(NEXT) | instid1(VALU_DEP_2)
	v_add_f32_e32 v15, v14, v13
	v_sub_f32_e32 v12, v12, v17
	s_delay_alu instid0(VALU_DEP_2) | instskip(SKIP_1) | instid1(VALU_DEP_1)
	v_rcp_f32_e32 v11, v15
	v_sub_f32_e32 v14, v14, v15
	v_add_f32_e32 v13, v13, v14
	s_waitcnt_depctr 0xfff
	v_mul_f32_e32 v101, v17, v11
	s_delay_alu instid0(VALU_DEP_1) | instskip(NEXT) | instid1(VALU_DEP_1)
	v_dual_mul_f32 v102, v15, v101 :: v_dual_add_f32 v9, v9, v12
	v_fma_f32 v14, v101, v15, -v102
	s_delay_alu instid0(VALU_DEP_1) | instskip(NEXT) | instid1(VALU_DEP_1)
	v_fmac_f32_e32 v14, v101, v13
	v_add_f32_e32 v103, v102, v14
	s_delay_alu instid0(VALU_DEP_1) | instskip(SKIP_1) | instid1(VALU_DEP_1)
	v_sub_f32_e32 v12, v103, v102
	v_sub_f32_e32 v104, v17, v103
	v_dual_sub_f32 v12, v12, v14 :: v_dual_sub_f32 v17, v17, v104
	s_delay_alu instid0(VALU_DEP_1) | instskip(NEXT) | instid1(VALU_DEP_1)
	v_sub_f32_e32 v17, v17, v103
	v_add_f32_e32 v9, v9, v17
	s_delay_alu instid0(VALU_DEP_1) | instskip(NEXT) | instid1(VALU_DEP_1)
	v_add_f32_e32 v9, v12, v9
	v_add_f32_e32 v12, v104, v9
	s_delay_alu instid0(VALU_DEP_1) | instskip(SKIP_1) | instid1(VALU_DEP_2)
	v_mul_f32_e32 v14, v11, v12
	v_sub_f32_e32 v103, v104, v12
	v_mul_f32_e32 v17, v15, v14
	s_delay_alu instid0(VALU_DEP_2) | instskip(NEXT) | instid1(VALU_DEP_2)
	v_add_f32_e32 v9, v9, v103
	v_fma_f32 v15, v14, v15, -v17
	s_delay_alu instid0(VALU_DEP_1) | instskip(NEXT) | instid1(VALU_DEP_1)
	v_fmac_f32_e32 v15, v14, v13
	v_add_f32_e32 v13, v17, v15
	s_delay_alu instid0(VALU_DEP_1) | instskip(NEXT) | instid1(VALU_DEP_1)
	v_sub_f32_e32 v102, v12, v13
	v_dual_sub_f32 v17, v13, v17 :: v_dual_sub_f32 v12, v12, v102
	s_delay_alu instid0(VALU_DEP_1) | instskip(NEXT) | instid1(VALU_DEP_1)
	v_dual_sub_f32 v12, v12, v13 :: v_dual_sub_f32 v13, v17, v15
	v_add_f32_e32 v9, v9, v12
	v_add_f32_e32 v12, v101, v14
	s_delay_alu instid0(VALU_DEP_2) | instskip(NEXT) | instid1(VALU_DEP_2)
	v_add_f32_e32 v9, v13, v9
	v_sub_f32_e32 v13, v12, v101
	s_delay_alu instid0(VALU_DEP_2) | instskip(NEXT) | instid1(VALU_DEP_2)
	v_add_f32_e32 v9, v102, v9
	v_sub_f32_e32 v13, v14, v13
	s_delay_alu instid0(VALU_DEP_2) | instskip(NEXT) | instid1(VALU_DEP_1)
	v_mul_f32_e32 v9, v11, v9
	v_add_f32_e32 v9, v13, v9
	s_delay_alu instid0(VALU_DEP_1) | instskip(NEXT) | instid1(VALU_DEP_1)
	v_add_f32_e32 v11, v12, v9
	v_mul_f32_e32 v13, v11, v11
	s_delay_alu instid0(VALU_DEP_1) | instskip(SKIP_1) | instid1(VALU_DEP_2)
	v_fmaak_f32 v14, s83, v13, 0x3ecc95a3
	v_mul_f32_e32 v15, v11, v13
	v_fmaak_f32 v13, v13, v14, 0x3f2aaada
	v_ldexp_f32 v14, v11, 1
	v_sub_f32_e32 v11, v11, v12
	s_delay_alu instid0(VALU_DEP_3) | instskip(SKIP_1) | instid1(VALU_DEP_2)
	v_mul_f32_e32 v13, v15, v13
	v_mul_f32_e32 v15, 0x3f317218, v8
	v_dual_sub_f32 v9, v9, v11 :: v_dual_add_f32 v12, v14, v13
	s_delay_alu instid0(VALU_DEP_1) | instskip(NEXT) | instid1(VALU_DEP_2)
	v_ldexp_f32 v9, v9, 1
	v_sub_f32_e32 v11, v12, v14
	s_delay_alu instid0(VALU_DEP_4) | instskip(NEXT) | instid1(VALU_DEP_1)
	v_fma_f32 v14, 0x3f317218, v8, -v15
	v_dual_sub_f32 v11, v13, v11 :: v_dual_fmac_f32 v14, 0xb102e308, v8
	s_delay_alu instid0(VALU_DEP_1) | instskip(NEXT) | instid1(VALU_DEP_1)
	v_dual_add_f32 v8, v9, v11 :: v_dual_add_f32 v9, v15, v14
	v_add_f32_e32 v11, v12, v8
	s_delay_alu instid0(VALU_DEP_2) | instskip(NEXT) | instid1(VALU_DEP_2)
	v_sub_f32_e32 v15, v9, v15
	v_dual_add_f32 v13, v9, v11 :: v_dual_sub_f32 v12, v11, v12
	s_delay_alu instid0(VALU_DEP_1) | instskip(NEXT) | instid1(VALU_DEP_1)
	v_dual_sub_f32 v14, v14, v15 :: v_dual_sub_f32 v17, v13, v9
	v_dual_sub_f32 v8, v8, v12 :: v_dual_sub_f32 v101, v13, v17
	s_delay_alu instid0(VALU_DEP_1) | instskip(NEXT) | instid1(VALU_DEP_2)
	v_dual_sub_f32 v11, v11, v17 :: v_dual_add_f32 v12, v14, v8
	v_sub_f32_e32 v9, v9, v101
	s_delay_alu instid0(VALU_DEP_1) | instskip(NEXT) | instid1(VALU_DEP_3)
	v_add_f32_e32 v9, v11, v9
	v_sub_f32_e32 v11, v12, v14
	s_delay_alu instid0(VALU_DEP_2) | instskip(NEXT) | instid1(VALU_DEP_2)
	v_add_f32_e32 v9, v12, v9
	v_sub_f32_e32 v12, v12, v11
	s_delay_alu instid0(VALU_DEP_2) | instskip(NEXT) | instid1(VALU_DEP_1)
	v_dual_sub_f32 v8, v8, v11 :: v_dual_add_f32 v15, v13, v9
	v_dual_sub_f32 v12, v14, v12 :: v_dual_sub_f32 v11, v15, v13
	s_delay_alu instid0(VALU_DEP_1) | instskip(NEXT) | instid1(VALU_DEP_1)
	v_dual_add_f32 v8, v8, v12 :: v_dual_sub_f32 v9, v9, v11
	v_add_f32_e32 v8, v8, v9
	s_delay_alu instid0(VALU_DEP_1) | instskip(NEXT) | instid1(VALU_DEP_1)
	v_add_f32_e32 v8, v15, v8
	v_cndmask_b32_e32 v125, v8, v10, vcc_lo
.LBB52_106:                             ;   in Loop: Header=BB52_12 Depth=1
	s_or_b32 exec_lo, exec_lo, s29
	v_and_b32_e32 v10, 0xffff0000, v5
	v_lshlrev_b32_e32 v5, 16, v5
	v_and_b32_e32 v9, 0xffff0000, v6
	v_and_b32_e32 v14, 0xffff0000, v7
	;; [unrolled: 1-line block ×4, first 2 shown]
	v_lshlrev_b32_e32 v1, 16, v1
	v_and_b32_e32 v12, 0xffff0000, v2
	v_lshlrev_b32_e32 v0, 16, v0
	v_lshlrev_b32_e32 v2, 16, v2
	v_mul_f32_e32 v106, s67, v5
	v_dual_mul_f32 v103, s67, v9 :: v_dual_lshlrev_b32 v8, 16, v7
	v_lshlrev_b32_e32 v6, 16, v6
	v_mul_f32_e32 v120, s67, v15
	s_delay_alu instid0(VALU_DEP_3)
	v_dual_mul_f32 v118, s67, v13 :: v_dual_mul_f32 v101, s67, v8
	v_mul_f32_e32 v119, s67, v0
	v_dual_mul_f32 v114, s67, v2 :: v_dual_and_b32 v11, 0xffff0000, v3
	v_and_b32_e32 v7, 0xffff0000, v4
	v_lshlrev_b32_e32 v3, 16, v3
	v_lshlrev_b32_e32 v4, 16, v4
	v_mul_f32_e32 v102, s67, v6
	v_mul_f32_e32 v112, s67, v11
	s_and_b32 vcc_lo, exec_lo, s80
	v_mul_f32_e32 v111, s67, v3
	v_mul_f32_e32 v109, s67, v4
	;; [unrolled: 1-line block ×3, first 2 shown]
	v_dual_mul_f32 v104, s67, v14 :: v_dual_mul_f32 v117, s67, v1
	v_dual_mul_f32 v110, s67, v7 :: v_dual_mul_f32 v115, s67, v12
	s_barrier
	buffer_gl0_inv
	s_cbranch_vccz .LBB52_202
; %bb.107:                              ;   in Loop: Header=BB52_12 Depth=1
	v_dual_mul_f32 v126, v125, v14 :: v_dual_mul_f32 v131, v124, v8
	v_add_co_u32 v14, s28, s61, v16
	s_delay_alu instid0(VALU_DEP_1) | instskip(SKIP_1) | instid1(VALU_DEP_1)
	v_add_co_ci_u32_e64 v17, null, s62, 0, s28
	v_add_co_u32 v16, s28, s49, v16
	v_add_co_ci_u32_e64 v130, null, s73, 0, s28
	s_delay_alu instid0(VALU_DEP_4) | instskip(NEXT) | instid1(VALU_DEP_4)
	v_add_co_u32 v127, vcc_lo, v14, v93
	v_add_co_ci_u32_e32 v128, vcc_lo, 0, v17, vcc_lo
	s_delay_alu instid0(VALU_DEP_4) | instskip(NEXT) | instid1(VALU_DEP_4)
	v_add_co_u32 v129, vcc_lo, v16, v93
	v_add_co_ci_u32_e32 v130, vcc_lo, 0, v130, vcc_lo
	v_cmp_gt_u32_e32 vcc_lo, s40, v18
	s_cmp_lg_u32 s85, 0
	v_cmp_gt_u32_e64 s30, s40, v79
	s_cselect_b32 s51, -1, 0
	s_cmp_eq_u32 s85, s82
	v_cmp_gt_u32_e64 s31, s40, v80
	s_cselect_b32 s86, -1, 0
	s_or_b32 s28, s81, vcc_lo
	v_cmp_gt_u32_e32 vcc_lo, s40, v78
	v_cmp_gt_u32_e64 s33, s40, v81
	v_cmp_gt_u32_e64 s34, s40, v82
	;; [unrolled: 1-line block ×4, first 2 shown]
	s_or_b32 s29, s81, vcc_lo
	v_cmp_gt_u32_e32 vcc_lo, s40, v83
	v_cmp_gt_u32_e64 s38, s40, v86
	v_cmp_gt_u32_e64 s39, s40, v87
	;; [unrolled: 1-line block ×4, first 2 shown]
	s_or_b32 s35, s81, vcc_lo
	v_cmp_gt_u32_e32 vcc_lo, s40, v88
	v_cmp_gt_u32_e64 s43, s40, v91
	v_cmp_gt_u32_e64 s44, s40, v92
	v_dual_mul_f32 v132, v123, v9 :: v_dual_mul_f32 v133, v122, v6
	v_dual_mul_f32 v134, v121, v10 :: v_dual_mul_f32 v135, v116, v5
	;; [unrolled: 1-line block ×7, first 2 shown]
	s_mov_b32 s64, 0
	s_or_b32 s30, s81, s30
	s_or_b32 s31, s81, s31
	;; [unrolled: 1-line block ×8, first 2 shown]
	s_or_b32 s40, s81, vcc_lo
	s_or_b32 s41, s81, s41
	s_or_b32 s42, s81, s42
	;; [unrolled: 1-line block ×4, first 2 shown]
	s_mov_b32 s52, s64
	s_mov_b32 s54, s64
	;; [unrolled: 1-line block ×5, first 2 shown]
	s_branch .LBB52_109
.LBB52_108:                             ;   in Loop: Header=BB52_109 Depth=2
	s_or_b32 exec_lo, exec_lo, s45
	v_cndmask_b32_e64 v9, v175, v11, s11
	v_cndmask_b32_e64 v10, v174, v10, s11
	s_add_i32 s87, s87, -1
	s_add_i32 s88, s88, 8
	s_add_i32 s58, s58, s74
	v_fma_f32 v9, v9, v149, v148
	v_mul_f32_e32 v10, v10, v149
	s_add_i32 s54, s54, s48
	s_add_i32 s52, s52, s60
	;; [unrolled: 1-line block ×3, first 2 shown]
	v_cndmask_b32_e64 v9, v9, v148, s10
	v_cndmask_b32_e64 v10, v10, v149, s10
	s_cmp_eq_u32 s87, 0
	s_waitcnt lgkmcnt(0)
	s_delay_alu instid0(VALU_DEP_1) | instskip(NEXT) | instid1(VALU_DEP_1)
	v_dual_fmac_f32 v9, v8, v10 :: v_dual_and_b32 v10, 0xffff0000, v5
	v_dual_fmac_f32 v12, v9, v151 :: v_dual_lshlrev_b32 v5, 16, v5
	s_delay_alu instid0(VALU_DEP_1) | instskip(NEXT) | instid1(VALU_DEP_1)
	v_fmac_f32_e32 v13, v12, v152
	v_fmac_f32_e32 v14, v13, v154
	s_delay_alu instid0(VALU_DEP_3) | instskip(NEXT) | instid1(VALU_DEP_2)
	v_fmac_f32_e32 v117, v13, v5
	v_fmac_f32_e32 v15, v14, v157
	s_delay_alu instid0(VALU_DEP_1) | instskip(NEXT) | instid1(VALU_DEP_1)
	v_fmac_f32_e32 v146, v15, v158
	v_fmac_f32_e32 v147, v146, v159
	s_delay_alu instid0(VALU_DEP_1) | instskip(NEXT) | instid1(VALU_DEP_1)
	v_fmac_f32_e32 v150, v147, v160
	v_dual_fmac_f32 v153, v150, v162 :: v_dual_and_b32 v8, 0xffff0000, v4
	v_lshlrev_b32_e32 v4, 16, v4
	s_delay_alu instid0(VALU_DEP_2) | instskip(SKIP_1) | instid1(VALU_DEP_3)
	v_dual_fmac_f32 v120, v12, v8 :: v_dual_fmac_f32 v155, v153, v163
	v_and_b32_e32 v11, 0xffff0000, v6
	v_dual_fmac_f32 v119, v9, v4 :: v_dual_and_b32 v16, 0xffff0000, v7
	s_delay_alu instid0(VALU_DEP_3) | instskip(NEXT) | instid1(VALU_DEP_3)
	v_dual_fmac_f32 v156, v155, v164 :: v_dual_lshlrev_b32 v7, 16, v7
	v_dual_fmac_f32 v115, v146, v11 :: v_dual_and_b32 v148, 0xffff0000, v1
	s_delay_alu instid0(VALU_DEP_2) | instskip(NEXT) | instid1(VALU_DEP_3)
	v_dual_fmac_f32 v112, v150, v16 :: v_dual_fmac_f32 v111, v147, v7
	v_dual_fmac_f32 v161, v156, v172 :: v_dual_lshlrev_b32 v6, 16, v6
	v_dual_fmac_f32 v118, v14, v10 :: v_dual_lshlrev_b32 v1, 16, v1
	s_delay_alu instid0(VALU_DEP_2) | instskip(SKIP_3) | instid1(VALU_DEP_4)
	v_fmac_f32_e32 v165, v161, v167
	v_and_b32_e32 v17, 0xffff0000, v0
	v_lshlrev_b32_e32 v0, 16, v0
	v_dual_fmac_f32 v114, v15, v6 :: v_dual_and_b32 v151, 0xffff0000, v3
	v_dual_fmac_f32 v166, v165, v169 :: v_dual_and_b32 v149, 0xffff0000, v2
	v_lshlrev_b32_e32 v2, 16, v2
	v_lshlrev_b32_e32 v3, 16, v3
	v_dual_fmac_f32 v109, v153, v0 :: v_dual_fmac_f32 v110, v155, v17
	s_delay_alu instid0(VALU_DEP_4) | instskip(SKIP_2) | instid1(VALU_DEP_3)
	v_fmac_f32_e32 v168, v166, v171
	v_dual_fmac_f32 v106, v156, v1 :: v_dual_fmac_f32 v107, v161, v148
	v_dual_fmac_f32 v102, v165, v2 :: v_dual_fmac_f32 v103, v166, v149
	v_fmac_f32_e32 v170, v168, v173
	v_fmac_f32_e32 v101, v168, v3
	s_delay_alu instid0(VALU_DEP_2)
	v_fmac_f32_e32 v104, v170, v151
	s_cbranch_scc1 .LBB52_202
.LBB52_109:                             ;   Parent Loop BB52_12 Depth=1
                                        ; =>  This Inner Loop Header: Depth=2
	s_lshl_b64 s[90:91], s[64:65], 2
	s_mov_b32 s53, s65
	s_add_u32 s90, s71, s90
	s_addc_u32 s91, s72, s91
	v_dual_mov_b32 v2, 0 :: v_dual_mov_b32 v3, 0
	global_load_b32 v146, v21, s[90:91]
	s_lshl_b64 s[90:91], s[52:53], 1
	s_delay_alu instid0(SALU_CYCLE_1)
	v_add_co_u32 v0, vcc_lo, v127, s90
	v_add_co_ci_u32_e32 v1, vcc_lo, s91, v128, vcc_lo
	s_and_saveexec_b32 s45, s12
	s_cbranch_execz .LBB52_111
; %bb.110:                              ;   in Loop: Header=BB52_109 Depth=2
	global_load_u16 v3, v[0:1], off
.LBB52_111:                             ;   in Loop: Header=BB52_109 Depth=2
	s_or_b32 exec_lo, exec_lo, s45
	s_and_saveexec_b32 s45, s13
	s_cbranch_execz .LBB52_113
; %bb.112:                              ;   in Loop: Header=BB52_109 Depth=2
	global_load_u16 v2, v[0:1], off offset:64
.LBB52_113:                             ;   in Loop: Header=BB52_109 Depth=2
	s_or_b32 exec_lo, exec_lo, s45
	v_dual_mov_b32 v4, 0 :: v_dual_mov_b32 v5, 0
	s_and_saveexec_b32 s45, s14
	s_cbranch_execz .LBB52_115
; %bb.114:                              ;   in Loop: Header=BB52_109 Depth=2
	global_load_u16 v5, v[0:1], off offset:128
.LBB52_115:                             ;   in Loop: Header=BB52_109 Depth=2
	s_or_b32 exec_lo, exec_lo, s45
	s_and_saveexec_b32 s45, s15
	s_cbranch_execz .LBB52_117
; %bb.116:                              ;   in Loop: Header=BB52_109 Depth=2
	global_load_u16 v4, v[0:1], off offset:192
.LBB52_117:                             ;   in Loop: Header=BB52_109 Depth=2
	s_or_b32 exec_lo, exec_lo, s45
	v_dual_mov_b32 v6, 0 :: v_dual_mov_b32 v7, 0
	s_and_saveexec_b32 s45, s16
	s_cbranch_execz .LBB52_119
; %bb.118:                              ;   in Loop: Header=BB52_109 Depth=2
	global_load_u16 v7, v[0:1], off offset:256
.LBB52_119:                             ;   in Loop: Header=BB52_109 Depth=2
	;; [unrolled: 13-line block ×7, first 2 shown]
	s_or_b32 exec_lo, exec_lo, s45
	s_and_saveexec_b32 s45, s27
	s_cbranch_execz .LBB52_141
; %bb.140:                              ;   in Loop: Header=BB52_109 Depth=2
	global_load_u16 v16, v[0:1], off offset:960
.LBB52_141:                             ;   in Loop: Header=BB52_109 Depth=2
	s_or_b32 exec_lo, exec_lo, s45
	s_waitcnt vmcnt(0)
	ds_store_b16 v37, v3
	ds_store_b16 v37, v2 offset:64
	ds_store_b16 v38, v5 offset:128
	;; [unrolled: 1-line block ×15, first 2 shown]
	; wave barrier
	ds_load_b128 v[12:15], v52
	ds_load_b128 v[8:11], v52 offset:16
	s_mov_b32 s55, s65
	v_dual_mov_b32 v2, 0 :: v_dual_mov_b32 v3, 0
	s_lshl_b64 s[90:91], s[54:55], 1
	s_delay_alu instid0(SALU_CYCLE_1)
	v_add_co_u32 v0, vcc_lo, v129, s90
	v_add_co_ci_u32_e32 v1, vcc_lo, s91, v130, vcc_lo
	s_and_saveexec_b32 s45, s12
	s_cbranch_execz .LBB52_143
; %bb.142:                              ;   in Loop: Header=BB52_109 Depth=2
	global_load_u16 v3, v[0:1], off
.LBB52_143:                             ;   in Loop: Header=BB52_109 Depth=2
	s_or_b32 exec_lo, exec_lo, s45
	s_and_saveexec_b32 s45, s13
	s_cbranch_execz .LBB52_145
; %bb.144:                              ;   in Loop: Header=BB52_109 Depth=2
	global_load_u16 v2, v[0:1], off offset:64
.LBB52_145:                             ;   in Loop: Header=BB52_109 Depth=2
	s_or_b32 exec_lo, exec_lo, s45
	v_dual_mov_b32 v4, 0 :: v_dual_mov_b32 v5, 0
	s_and_saveexec_b32 s45, s14
	s_cbranch_execz .LBB52_147
; %bb.146:                              ;   in Loop: Header=BB52_109 Depth=2
	global_load_u16 v5, v[0:1], off offset:128
.LBB52_147:                             ;   in Loop: Header=BB52_109 Depth=2
	s_or_b32 exec_lo, exec_lo, s45
	s_and_saveexec_b32 s45, s15
	s_cbranch_execz .LBB52_149
; %bb.148:                              ;   in Loop: Header=BB52_109 Depth=2
	global_load_u16 v4, v[0:1], off offset:192
.LBB52_149:                             ;   in Loop: Header=BB52_109 Depth=2
	s_or_b32 exec_lo, exec_lo, s45
	v_dual_mov_b32 v6, 0 :: v_dual_mov_b32 v7, 0
	s_and_saveexec_b32 s45, s16
	s_cbranch_execz .LBB52_151
; %bb.150:                              ;   in Loop: Header=BB52_109 Depth=2
	global_load_u16 v7, v[0:1], off offset:256
.LBB52_151:                             ;   in Loop: Header=BB52_109 Depth=2
	s_or_b32 exec_lo, exec_lo, s45
	s_and_saveexec_b32 s45, s17
	s_cbranch_execz .LBB52_153
; %bb.152:                              ;   in Loop: Header=BB52_109 Depth=2
	global_load_u16 v6, v[0:1], off offset:320
.LBB52_153:                             ;   in Loop: Header=BB52_109 Depth=2
	s_or_b32 exec_lo, exec_lo, s45
	v_dual_mov_b32 v16, 0 :: v_dual_mov_b32 v17, 0
	s_and_saveexec_b32 s45, s18
	s_cbranch_execz .LBB52_155
; %bb.154:                              ;   in Loop: Header=BB52_109 Depth=2
	global_load_u16 v17, v[0:1], off offset:384
.LBB52_155:                             ;   in Loop: Header=BB52_109 Depth=2
	s_or_b32 exec_lo, exec_lo, s45
	s_and_saveexec_b32 s45, s19
	s_cbranch_execz .LBB52_157
; %bb.156:                              ;   in Loop: Header=BB52_109 Depth=2
	global_load_u16 v16, v[0:1], off offset:448
.LBB52_157:                             ;   in Loop: Header=BB52_109 Depth=2
	s_or_b32 exec_lo, exec_lo, s45
	v_dual_mov_b32 v147, 0 :: v_dual_mov_b32 v148, 0
	s_and_saveexec_b32 s45, s20
	s_cbranch_execz .LBB52_159
; %bb.158:                              ;   in Loop: Header=BB52_109 Depth=2
	global_load_u16 v148, v[0:1], off offset:512
.LBB52_159:                             ;   in Loop: Header=BB52_109 Depth=2
	s_or_b32 exec_lo, exec_lo, s45
	s_and_saveexec_b32 s45, s21
	s_cbranch_execz .LBB52_161
; %bb.160:                              ;   in Loop: Header=BB52_109 Depth=2
	global_load_u16 v147, v[0:1], off offset:576
.LBB52_161:                             ;   in Loop: Header=BB52_109 Depth=2
	s_or_b32 exec_lo, exec_lo, s45
	v_dual_mov_b32 v149, 0 :: v_dual_mov_b32 v150, 0
	s_and_saveexec_b32 s45, s22
	s_cbranch_execz .LBB52_163
; %bb.162:                              ;   in Loop: Header=BB52_109 Depth=2
	global_load_u16 v150, v[0:1], off offset:640
.LBB52_163:                             ;   in Loop: Header=BB52_109 Depth=2
	s_or_b32 exec_lo, exec_lo, s45
	s_and_saveexec_b32 s45, s23
	s_cbranch_execz .LBB52_165
; %bb.164:                              ;   in Loop: Header=BB52_109 Depth=2
	global_load_u16 v149, v[0:1], off offset:704
.LBB52_165:                             ;   in Loop: Header=BB52_109 Depth=2
	s_or_b32 exec_lo, exec_lo, s45
	v_dual_mov_b32 v151, 0 :: v_dual_mov_b32 v152, 0
	s_and_saveexec_b32 s45, s24
	s_cbranch_execz .LBB52_167
; %bb.166:                              ;   in Loop: Header=BB52_109 Depth=2
	global_load_u16 v152, v[0:1], off offset:768
.LBB52_167:                             ;   in Loop: Header=BB52_109 Depth=2
	s_or_b32 exec_lo, exec_lo, s45
	s_and_saveexec_b32 s45, s25
	s_cbranch_execz .LBB52_169
; %bb.168:                              ;   in Loop: Header=BB52_109 Depth=2
	global_load_u16 v151, v[0:1], off offset:832
.LBB52_169:                             ;   in Loop: Header=BB52_109 Depth=2
	s_or_b32 exec_lo, exec_lo, s45
	v_dual_mov_b32 v153, 0 :: v_dual_mov_b32 v154, 0
	s_and_saveexec_b32 s45, s26
	s_cbranch_execz .LBB52_171
; %bb.170:                              ;   in Loop: Header=BB52_109 Depth=2
	global_load_u16 v154, v[0:1], off offset:896
.LBB52_171:                             ;   in Loop: Header=BB52_109 Depth=2
	s_or_b32 exec_lo, exec_lo, s45
	s_and_saveexec_b32 s45, s27
	s_cbranch_execz .LBB52_173
; %bb.172:                              ;   in Loop: Header=BB52_109 Depth=2
	global_load_u16 v153, v[0:1], off offset:960
.LBB52_173:                             ;   in Loop: Header=BB52_109 Depth=2
	s_or_b32 exec_lo, exec_lo, s45
	s_waitcnt vmcnt(0)
	ds_store_b16 v37, v3 offset:2112
	ds_store_b16 v53, v2 offset:64
	;; [unrolled: 1-line block ×16, first 2 shown]
	; wave barrier
	ds_load_b128 v[4:7], v52 offset:2112
	ds_load_b128 v[0:3], v68 offset:16
	s_and_not1_b32 vcc_lo, exec_lo, s51
	s_cbranch_vccnz .LBB52_175
; %bb.174:                              ;   in Loop: Header=BB52_109 Depth=2
	v_mov_b32_e32 v16, s88
	ds_load_b64 v[16:17], v16
	s_cbranch_execz .LBB52_176
	s_branch .LBB52_179
.LBB52_175:                             ;   in Loop: Header=BB52_109 Depth=2
                                        ; implicit-def: $vgpr16
.LBB52_176:                             ;   in Loop: Header=BB52_109 Depth=2
	s_waitcnt lgkmcnt(0)
	v_mov_b32_e32 v17, 0
	s_and_not1_b32 vcc_lo, exec_lo, s47
	s_cbranch_vccnz .LBB52_178
; %bb.177:                              ;   in Loop: Header=BB52_109 Depth=2
	s_mov_b32 s59, s65
	s_delay_alu instid0(SALU_CYCLE_1) | instskip(NEXT) | instid1(SALU_CYCLE_1)
	s_lshl_b64 s[90:91], s[58:59], 2
	s_add_u32 s90, s75, s90
	s_addc_u32 s91, s76, s91
	global_load_b32 v17, v21, s[90:91]
.LBB52_178:                             ;   in Loop: Header=BB52_109 Depth=2
	v_mov_b32_e32 v16, 1.0
.LBB52_179:                             ;   in Loop: Header=BB52_109 Depth=2
	s_waitcnt lgkmcnt(19)
	v_dual_mul_f32 v168, 0x3fb8aa3b, v146 :: v_dual_lshlrev_b32 v147, 16, v12
	v_and_b32_e32 v12, 0xffff0000, v12
	v_lshlrev_b32_e32 v146, 16, v13
	v_and_b32_e32 v150, 0xffff0000, v13
	v_lshlrev_b32_e32 v153, 16, v14
	v_mul_f32_e32 v13, v168, v94
	v_dual_mul_f32 v14, v168, v95 :: v_dual_and_b32 v155, 0xffff0000, v14
	v_dual_mul_f32 v149, v168, v97 :: v_dual_lshlrev_b32 v156, 16, v15
	s_delay_alu instid0(VALU_DEP_3) | instskip(SKIP_1) | instid1(VALU_DEP_4)
	v_cmp_gt_f32_e32 vcc_lo, 0xc2fc0000, v13
	v_dual_mul_f32 v12, v144, v12 :: v_dual_and_b32 v159, 0xffff0000, v15
	v_cmp_gt_f32_e64 s45, 0xc2fc0000, v14
	v_mul_f32_e32 v15, v168, v96
	v_cndmask_b32_e64 v13, 0, 0x42800000, vcc_lo
	v_cndmask_b32_e64 v148, 1.0, 0x1f800000, vcc_lo
	s_waitcnt lgkmcnt(18)
	v_lshlrev_b32_e32 v165, 16, v10
	v_cndmask_b32_e64 v14, 0, 0x42800000, s45
	v_mul_f32_e32 v147, v145, v147
	v_fmac_f32_e32 v13, v168, v94
	v_dual_mul_f32 v146, v143, v146 :: v_dual_lshlrev_b32 v161, 16, v8
	v_and_b32_e32 v8, 0xffff0000, v8
	v_fmac_f32_e32 v14, v168, v95
	s_delay_alu instid0(VALU_DEP_4) | instskip(SKIP_2) | instid1(VALU_DEP_3)
	v_exp_f32_e32 v13, v13
	v_cmp_gt_f32_e32 vcc_lo, 0xc2fc0000, v15
	v_dual_mul_f32 v155, v140, v155 :: v_dual_and_b32 v10, 0xffff0000, v10
	v_exp_f32_e32 v14, v14
	v_dual_mul_f32 v161, v137, v161 :: v_dual_mul_f32 v8, v136, v8
	v_cndmask_b32_e64 v15, 0, 0x42800000, vcc_lo
	v_lshlrev_b32_e32 v170, 16, v11
	v_and_b32_e32 v11, 0xffff0000, v11
	s_delay_alu instid0(TRANS32_DEP_2)
	v_mul_f32_e32 v13, v13, v148
	v_cndmask_b32_e64 v148, 0, v147, s28
	v_cndmask_b32_e64 v147, 1.0, 0x1f800000, s45
	v_cmp_gt_f32_e64 s45, 0xc2fc0000, v149
	v_fmac_f32_e32 v15, v168, v96
	v_cndmask_b32_e64 v149, 1.0, v13, s28
	v_cndmask_b32_e64 v12, 0, v12, s29
	v_mul_f32_e32 v13, v14, v147
	v_cndmask_b32_e64 v151, 0, 0x42800000, s45
	v_exp_f32_e32 v14, v15
	v_cndmask_b32_e64 v147, 1.0, 0x1f800000, vcc_lo
	v_lshlrev_b32_e32 v163, 16, v9
	v_mul_f32_e32 v15, v168, v98
	v_fmac_f32_e32 v151, v168, v97
	v_and_b32_e32 v9, 0xffff0000, v9
	v_mul_f32_e32 v171, v168, v123
	v_mul_f32_e32 v173, v168, v125
	v_cmp_gt_f32_e32 vcc_lo, 0xc2fc0000, v15
	v_exp_f32_e32 v154, v151
	v_mul_f32_e32 v14, v14, v147
	v_cndmask_b32_e64 v147, 1.0, 0x1f800000, s45
	v_mul_f32_e32 v157, v168, v105
	v_cndmask_b32_e64 v15, 0, 0x42800000, vcc_lo
	v_mul_f32_e32 v160, v168, v108
	v_cndmask_b32_e64 v152, 1.0, v14, s30
	v_mul_f32_e32 v14, v142, v150
	v_mul_f32_e32 v150, v168, v100
	v_fmac_f32_e32 v15, v168, v98
	v_mul_f32_e32 v147, v154, v147
	v_cmp_gt_f32_e64 s46, 0xc2fc0000, v157
	v_cndmask_b32_e64 v14, 0, v14, s31
	v_mul_f32_e32 v162, v168, v116
	v_exp_f32_e32 v15, v15
	v_cndmask_b32_e64 v154, 1.0, v147, s31
	v_cndmask_b32_e64 v147, 1.0, 0x1f800000, vcc_lo
	v_cmp_gt_f32_e32 vcc_lo, 0xc2fc0000, v150
	v_mul_f32_e32 v170, v131, v170
	v_dual_mul_f32 v10, v132, v10 :: v_dual_mul_f32 v11, v126, v11
	v_cndmask_b32_e64 v150, 0, 0x42800000, vcc_lo
	s_delay_alu instid0(TRANS32_DEP_1) | instskip(SKIP_2) | instid1(VALU_DEP_4)
	v_mul_f32_e32 v147, v15, v147
	v_mul_f32_e32 v15, v141, v153
	v_cndmask_b32_e64 v153, 0, 0x42800000, s46
	v_fmac_f32_e32 v150, v168, v100
	v_cndmask_b32_e64 v151, 1.0, v13, s29
	v_cndmask_b32_e64 v13, 0, v146, s30
	v_mul_f32_e32 v146, v168, v99
	v_cndmask_b32_e64 v157, 1.0, v147, s33
	v_exp_f32_e32 v150, v150
	v_fma_f32 v169, v151, v148, v12
	v_cndmask_b32_e64 v15, 0, v15, s33
	v_cmp_gt_f32_e64 s45, 0xc2fc0000, v146
	s_delay_alu instid0(VALU_DEP_1) | instskip(SKIP_1) | instid1(VALU_DEP_2)
	v_cndmask_b32_e64 v146, 0, 0x42800000, s45
	v_cndmask_b32_e64 v158, 1.0, 0x1f800000, s45
	v_fmac_f32_e32 v146, v168, v99
	s_delay_alu instid0(VALU_DEP_1)
	v_exp_f32_e32 v146, v146
	s_waitcnt_depctr 0xfff
	v_mul_f32_e32 v147, v146, v158
	v_cndmask_b32_e64 v146, 0, v155, s34
	v_cndmask_b32_e64 v155, 1.0, 0x1f800000, vcc_lo
	v_cmp_gt_f32_e32 vcc_lo, 0xc2fc0000, v160
	v_mul_f32_e32 v160, v138, v159
	v_cndmask_b32_e64 v158, 1.0, v147, s34
	s_delay_alu instid0(VALU_DEP_4)
	v_dual_mul_f32 v147, v139, v156 :: v_dual_mul_f32 v150, v150, v155
	v_cndmask_b32_e64 v155, 1.0, 0x1f800000, s46
	v_cmp_gt_f32_e64 s46, 0xc2fc0000, v162
	v_mul_f32_e32 v162, v168, v121
	v_cndmask_b32_e64 v156, 0, 0x42800000, vcc_lo
	v_cndmask_b32_e64 v164, 1.0, 0x1f800000, vcc_lo
	v_cndmask_b32_e64 v159, 1.0, v150, s35
	v_cndmask_b32_e64 v150, 0, v160, s36
	v_cmp_gt_f32_e32 vcc_lo, 0xc2fc0000, v162
	v_fmac_f32_e32 v156, v168, v108
	v_cndmask_b32_e64 v147, 0, v147, s35
	v_cndmask_b32_e64 v166, 0, 0x42800000, vcc_lo
	v_cndmask_b32_e64 v167, 1.0, 0x1f800000, vcc_lo
	s_delay_alu instid0(VALU_DEP_2) | instskip(NEXT) | instid1(VALU_DEP_1)
	v_fmac_f32_e32 v166, v168, v121
	v_exp_f32_e32 v166, v166
	v_fmac_f32_e32 v153, v168, v105
	s_delay_alu instid0(VALU_DEP_1) | instskip(SKIP_3) | instid1(VALU_DEP_2)
	v_exp_f32_e32 v153, v153
	s_waitcnt_depctr 0xfff
	v_mul_f32_e32 v153, v153, v155
	v_mul_f32_e32 v155, v168, v113
	v_cndmask_b32_e64 v160, 1.0, v153, s36
	s_delay_alu instid0(VALU_DEP_2) | instskip(SKIP_2) | instid1(VALU_DEP_2)
	v_cmp_gt_f32_e64 s45, 0xc2fc0000, v155
	v_exp_f32_e32 v153, v156
	v_cndmask_b32_e64 v156, 0, 0x42800000, s46
	v_cndmask_b32_e64 v155, 0, 0x42800000, s45
	s_delay_alu instid0(VALU_DEP_2)
	v_fmac_f32_e32 v156, v168, v116
	s_waitcnt_depctr 0xfff
	v_dual_fmac_f32 v155, v168, v113 :: v_dual_mul_f32 v162, v153, v164
	v_cndmask_b32_e64 v153, 0, v161, s37
	v_exp_f32_e32 v156, v156
	v_cndmask_b32_e64 v161, 1.0, 0x1f800000, s45
	s_delay_alu instid0(VALU_DEP_3) | instskip(SKIP_3) | instid1(VALU_DEP_2)
	v_exp_f32_e32 v155, v155
	v_cndmask_b32_e64 v164, 1.0, 0x1f800000, s46
	v_cmp_gt_f32_e64 s45, 0xc2fc0000, v171
	v_cndmask_b32_e64 v162, 1.0, v162, s37
	v_cndmask_b32_e64 v171, 1.0, 0x1f800000, s45
	s_waitcnt_depctr 0xfff
	v_dual_mul_f32 v164, v156, v164 :: v_dual_mul_f32 v161, v155, v161
	v_cndmask_b32_e64 v155, 0, v8, s38
	v_mul_f32_e32 v8, v135, v163
	s_delay_alu instid0(VALU_DEP_3) | instskip(NEXT) | instid1(VALU_DEP_4)
	v_cndmask_b32_e64 v164, 1.0, v164, s39
	v_cndmask_b32_e64 v163, 1.0, v161, s38
	v_mul_f32_e32 v161, v168, v122
	s_delay_alu instid0(VALU_DEP_4) | instskip(SKIP_1) | instid1(VALU_DEP_3)
	v_cndmask_b32_e64 v156, 0, v8, s39
	v_dual_mul_f32 v8, v166, v167 :: v_dual_mul_f32 v167, v151, v149
	v_cmp_gt_f32_e32 vcc_lo, 0xc2fc0000, v161
	s_delay_alu instid0(VALU_DEP_2) | instskip(SKIP_3) | instid1(VALU_DEP_3)
	v_cndmask_b32_e64 v172, 1.0, v8, s40
	v_cndmask_b32_e64 v166, 0, 0x42800000, vcc_lo
	v_mul_f32_e32 v9, v134, v9
	v_cndmask_b32_e64 v8, 1.0, 0x1f800000, vcc_lo
	v_fmac_f32_e32 v166, v168, v122
	s_delay_alu instid0(VALU_DEP_3)
	v_cndmask_b32_e64 v161, 0, v9, s40
	v_mul_f32_e32 v9, v167, v152
	v_fma_f32 v167, v169, v152, v13
	v_cndmask_b32_e64 v169, 0, 0x42800000, s45
	v_exp_f32_e32 v166, v166
	v_cmp_gt_f32_e64 s45, 0xc2fc0000, v173
	v_mul_f32_e32 v9, v9, v154
	v_fma_f32 v167, v167, v154, v14
	v_fmac_f32_e32 v169, v168, v123
	s_delay_alu instid0(VALU_DEP_3) | instskip(NEXT) | instid1(VALU_DEP_3)
	v_mul_f32_e32 v9, v9, v157
	v_fma_f32 v167, v167, v157, v15
	s_delay_alu instid0(VALU_DEP_3)
	v_exp_f32_e32 v169, v169
	s_delay_alu instid0(TRANS32_DEP_2) | instid1(VALU_DEP_2)
	v_dual_mul_f32 v8, v166, v8 :: v_dual_mul_f32 v9, v9, v158
	s_delay_alu instid0(VALU_DEP_2) | instskip(NEXT) | instid1(VALU_DEP_2)
	v_fma_f32 v166, v167, v158, v146
	v_cndmask_b32_e64 v167, 1.0, v8, s41
	s_delay_alu instid0(VALU_DEP_3) | instskip(NEXT) | instid1(VALU_DEP_3)
	v_mul_f32_e32 v8, v9, v159
	v_fma_f32 v9, v166, v159, v147
	v_mul_f32_e32 v166, v168, v124
	s_delay_alu instid0(VALU_DEP_3) | instskip(NEXT) | instid1(VALU_DEP_3)
	v_mul_f32_e32 v8, v8, v160
	v_fma_f32 v9, v9, v160, v150
	s_delay_alu instid0(VALU_DEP_3)
	v_cmp_gt_f32_e32 vcc_lo, 0xc2fc0000, v166
	v_mul_f32_e32 v165, v133, v165
	v_cndmask_b32_e64 v166, 0, v10, s42
	v_mul_f32_e32 v8, v8, v162
	v_fma_f32 v9, v9, v162, v153
	v_cndmask_b32_e64 v10, 0, 0x42800000, s45
	v_mul_f32_e32 v169, v169, v171
	v_cndmask_b32_e64 v171, 0, 0x42800000, vcc_lo
	v_mul_f32_e32 v8, v8, v163
	v_fma_f32 v9, v9, v163, v155
	v_fmac_f32_e32 v10, v168, v125
	v_cndmask_b32_e64 v165, 0, v165, s41
	v_fmac_f32_e32 v171, v168, v124
	v_mul_f32_e32 v8, v8, v164
	v_fma_f32 v9, v9, v164, v156
	v_cndmask_b32_e64 v168, 1.0, 0x1f800000, vcc_lo
	v_exp_f32_e32 v10, v10
	v_exp_f32_e32 v171, v171
	v_mul_f32_e32 v8, v8, v172
	v_fma_f32 v9, v9, v172, v161
	v_cndmask_b32_e64 v169, 1.0, v169, s42
	s_delay_alu instid0(VALU_DEP_3) | instskip(NEXT) | instid1(VALU_DEP_3)
	v_mul_f32_e32 v8, v8, v167
	v_fma_f32 v9, v9, v167, v165
	s_waitcnt_depctr 0xfff
	v_mul_f32_e32 v171, v171, v168
	v_cndmask_b32_e64 v168, 0, v170, s43
	v_cndmask_b32_e64 v170, 1.0, 0x1f800000, s45
	v_mul_f32_e32 v8, v8, v169
	v_fma_f32 v9, v9, v169, v166
	v_cndmask_b32_e64 v171, 1.0, v171, s43
	s_delay_alu instid0(VALU_DEP_4) | instskip(SKIP_1) | instid1(VALU_DEP_3)
	v_mul_f32_e32 v10, v10, v170
	v_cndmask_b32_e64 v170, 0, v11, s44
	v_mul_f32_e32 v8, v8, v171
	v_fma_f32 v9, v9, v171, v168
	s_delay_alu instid0(VALU_DEP_4) | instskip(NEXT) | instid1(VALU_DEP_1)
	v_cndmask_b32_e64 v173, 1.0, v10, s44
	v_mul_f32_e32 v8, v8, v173
	s_delay_alu instid0(VALU_DEP_3) | instskip(NEXT) | instid1(VALU_DEP_2)
	v_fma_f32 v9, v9, v173, v170
	v_mov_b32_dpp v11, v8 row_shr:1 row_mask:0xf bank_mask:0xf
	s_delay_alu instid0(VALU_DEP_2)
	v_mov_b32_dpp v10, v9 row_shr:1 row_mask:0xf bank_mask:0xf
	s_and_saveexec_b32 s45, s0
; %bb.180:                              ;   in Loop: Header=BB52_109 Depth=2
	s_delay_alu instid0(VALU_DEP_2) | instskip(NEXT) | instid1(VALU_DEP_1)
	v_mul_f32_e32 v11, v8, v11
	v_dual_fmac_f32 v9, v8, v10 :: v_dual_mov_b32 v8, v11
; %bb.181:                              ;   in Loop: Header=BB52_109 Depth=2
	s_or_b32 exec_lo, exec_lo, s45
	s_delay_alu instid0(VALU_DEP_1) | instskip(NEXT) | instid1(VALU_DEP_2)
	v_mov_b32_dpp v10, v8 row_shr:2 row_mask:0xf bank_mask:0xf
	v_mov_b32_dpp v11, v9 row_shr:2 row_mask:0xf bank_mask:0xf
	s_and_saveexec_b32 s45, s1
; %bb.182:                              ;   in Loop: Header=BB52_109 Depth=2
	s_delay_alu instid0(VALU_DEP_1) | instskip(NEXT) | instid1(VALU_DEP_3)
	v_fmac_f32_e32 v9, v8, v11
	v_mul_f32_e32 v8, v8, v10
; %bb.183:                              ;   in Loop: Header=BB52_109 Depth=2
	s_or_b32 exec_lo, exec_lo, s45
	s_delay_alu instid0(VALU_DEP_1) | instskip(NEXT) | instid1(VALU_DEP_3)
	v_mov_b32_dpp v10, v8 row_shr:4 row_mask:0xf bank_mask:0xf
	v_mov_b32_dpp v11, v9 row_shr:4 row_mask:0xf bank_mask:0xf
	s_and_saveexec_b32 s45, s2
; %bb.184:                              ;   in Loop: Header=BB52_109 Depth=2
	s_delay_alu instid0(VALU_DEP_1) | instskip(NEXT) | instid1(VALU_DEP_3)
	v_fmac_f32_e32 v9, v8, v11
	v_mul_f32_e32 v8, v8, v10
; %bb.185:                              ;   in Loop: Header=BB52_109 Depth=2
	s_or_b32 exec_lo, exec_lo, s45
	s_delay_alu instid0(VALU_DEP_1) | instskip(NEXT) | instid1(VALU_DEP_3)
	v_mov_b32_dpp v10, v8 row_shr:8 row_mask:0xf bank_mask:0xf
	v_mov_b32_dpp v11, v9 row_shr:8 row_mask:0xf bank_mask:0xf
	s_and_saveexec_b32 s45, s3
; %bb.186:                              ;   in Loop: Header=BB52_109 Depth=2
	s_delay_alu instid0(VALU_DEP_1) | instskip(NEXT) | instid1(VALU_DEP_3)
	v_fmac_f32_e32 v9, v8, v11
	v_mul_f32_e32 v8, v8, v10
; %bb.187:                              ;   in Loop: Header=BB52_109 Depth=2
	s_or_b32 exec_lo, exec_lo, s45
	ds_swizzle_b32 v11, v8 offset:swizzle(BROADCAST,32,15)
	ds_swizzle_b32 v10, v9 offset:swizzle(BROADCAST,32,15)
	s_and_saveexec_b32 s45, s4
	s_cbranch_execz .LBB52_189
; %bb.188:                              ;   in Loop: Header=BB52_109 Depth=2
	s_waitcnt lgkmcnt(1)
	v_mul_f32_e32 v11, v8, v11
	s_waitcnt lgkmcnt(0)
	s_delay_alu instid0(VALU_DEP_1)
	v_dual_fmac_f32 v9, v8, v10 :: v_dual_mov_b32 v8, v11
.LBB52_189:                             ;   in Loop: Header=BB52_109 Depth=2
	s_or_b32 exec_lo, exec_lo, s45
	s_and_saveexec_b32 s45, s5
	s_cbranch_execz .LBB52_191
; %bb.190:                              ;   in Loop: Header=BB52_109 Depth=2
	ds_store_b64 v69, v[8:9] offset:4224
.LBB52_191:                             ;   in Loop: Header=BB52_109 Depth=2
	s_or_b32 exec_lo, exec_lo, s45
	s_waitcnt vmcnt(0) lgkmcnt(0)
	s_waitcnt_vscnt null, 0x0
	s_barrier
	buffer_gl0_inv
	s_and_saveexec_b32 s45, s6
	s_cbranch_execz .LBB52_193
; %bb.192:                              ;   in Loop: Header=BB52_109 Depth=2
	ds_load_b64 v[10:11], v70 offset:4224
	s_waitcnt lgkmcnt(0)
	v_mov_b32_dpp v174, v10 row_shr:1 row_mask:0xf bank_mask:0xf
	v_mov_b32_dpp v175, v11 row_shr:1 row_mask:0xf bank_mask:0xf
	s_delay_alu instid0(VALU_DEP_2) | instskip(NEXT) | instid1(VALU_DEP_2)
	v_mul_f32_e32 v174, v10, v174
	v_fma_f32 v175, v10, v175, v11
	s_delay_alu instid0(VALU_DEP_2) | instskip(NEXT) | instid1(VALU_DEP_2)
	v_cndmask_b32_e64 v10, v174, v10, s7
	v_cndmask_b32_e64 v11, v175, v11, s7
	ds_store_b64 v70, v[10:11] offset:4224
.LBB52_193:                             ;   in Loop: Header=BB52_109 Depth=2
	s_or_b32 exec_lo, exec_lo, s45
	s_waitcnt lgkmcnt(0)
	s_barrier
	buffer_gl0_inv
                                        ; implicit-def: $vgpr11
	s_and_saveexec_b32 s45, s9
	s_cbranch_execz .LBB52_195
; %bb.194:                              ;   in Loop: Header=BB52_109 Depth=2
	ds_load_b64 v[10:11], v69 offset:4216
	s_waitcnt lgkmcnt(0)
	v_mul_f32_e32 v174, v8, v10
	s_delay_alu instid0(VALU_DEP_1)
	v_dual_fmac_f32 v9, v8, v11 :: v_dual_mov_b32 v8, v174
.LBB52_195:                             ;   in Loop: Header=BB52_109 Depth=2
	s_or_b32 exec_lo, exec_lo, s45
	ds_bpermute_b32 v174, v71, v8
	ds_bpermute_b32 v175, v71, v9
	s_and_saveexec_b32 s45, s8
	s_cbranch_execz .LBB52_199
; %bb.196:                              ;   in Loop: Header=BB52_109 Depth=2
	ds_load_b64 v[8:9], v21 offset:4232
	s_and_saveexec_b32 s46, s10
	s_cbranch_execz .LBB52_198
; %bb.197:                              ;   in Loop: Header=BB52_109 Depth=2
	ds_store_b64 v21, v[16:17] offset:4232
.LBB52_198:                             ;   in Loop: Header=BB52_109 Depth=2
	s_or_b32 exec_lo, exec_lo, s46
	s_waitcnt lgkmcnt(0)
	v_fmac_f32_e32 v9, v17, v8
	s_delay_alu instid0(VALU_DEP_1)
	v_dual_mul_f32 v16, v16, v8 :: v_dual_mov_b32 v17, v9
.LBB52_199:                             ;   in Loop: Header=BB52_109 Depth=2
	s_or_b32 exec_lo, exec_lo, s45
	s_waitcnt lgkmcnt(0)
	s_barrier
	buffer_gl0_inv
	ds_load_b32 v8, v21 offset:4236
	s_and_saveexec_b32 s45, s10
	s_cbranch_execz .LBB52_108
; %bb.200:                              ;   in Loop: Header=BB52_109 Depth=2
	v_mov_b32_e32 v9, s88
	s_and_not1_b32 vcc_lo, exec_lo, s86
	ds_store_b64 v9, v[16:17]
	s_cbranch_vccnz .LBB52_108
; %bb.201:                              ;   in Loop: Header=BB52_109 Depth=2
	s_mov_b32 s59, s65
	s_delay_alu instid0(SALU_CYCLE_1) | instskip(NEXT) | instid1(SALU_CYCLE_1)
	s_lshl_b64 s[90:91], s[58:59], 2
	s_add_u32 s90, s75, s90
	s_addc_u32 s91, s76, s91
	global_store_b32 v21, v17, s[90:91]
	s_branch .LBB52_108
.LBB52_202:                             ;   in Loop: Header=BB52_12 Depth=1
	v_bfe_u32 v0, v119, 16, 1
	v_bfe_u32 v1, v120, 16, 1
	v_cmp_o_f32_e32 vcc_lo, v119, v119
	v_bfe_u32 v2, v117, 16, 1
	v_bfe_u32 v4, v115, 16, 1
	v_add3_u32 v0, v119, v0, 0x7fff
	v_add3_u32 v1, v120, v1, 0x7fff
	v_bfe_u32 v7, v111, 16, 1
	v_add3_u32 v2, v117, v2, 0x7fff
	v_bfe_u32 v6, v112, 16, 1
	v_lshrrev_b32_e32 v0, 16, v0
	v_lshrrev_b32_e32 v1, 16, v1
	v_add3_u32 v4, v115, v4, 0x7fff
	v_lshrrev_b32_e32 v2, 16, v2
	v_add3_u32 v7, v111, v7, 0x7fff
	v_cndmask_b32_e32 v0, 0x7fc0, v0, vcc_lo
	v_cmp_o_f32_e32 vcc_lo, v120, v120
	v_add3_u32 v6, v112, v6, 0x7fff
	v_bfe_u32 v3, v118, 16, 1
	v_bfe_u32 v10, v107, 16, 1
	;; [unrolled: 1-line block ×3, first 2 shown]
	v_cndmask_b32_e32 v5, 0x7fc0, v1, vcc_lo
	v_bfe_u32 v1, v114, 16, 1
	v_cmp_o_f32_e32 vcc_lo, v117, v117
	v_lshrrev_b32_e32 v6, 16, v6
	v_add3_u32 v3, v118, v3, 0x7fff
	v_bfe_u32 v12, v104, 16, 1
	v_add3_u32 v1, v114, v1, 0x7fff
	v_cndmask_b32_e32 v8, 0x7fc0, v2, vcc_lo
	v_cmp_o_f32_e32 vcc_lo, v114, v114
	v_lshrrev_b32_e32 v2, 16, v4
	v_lshrrev_b32_e32 v4, 16, v7
	;; [unrolled: 1-line block ×4, first 2 shown]
	v_bfe_u32 v7, v109, 16, 1
	v_add3_u32 v11, v101, v11, 0x7fff
	v_perm_b32 v0, v5, v0, 0x5040100
	v_cndmask_b32_e32 v1, 0x7fc0, v1, vcc_lo
	v_cmp_o_f32_e32 vcc_lo, v111, v111
	s_waitcnt_vscnt null, 0x0
	s_barrier
	buffer_gl0_inv
	s_mov_b32 s51, s65
	v_cndmask_b32_e32 v4, 0x7fc0, v4, vcc_lo
	v_cmp_o_f32_e32 vcc_lo, v112, v112
	s_lshl_b64 s[34:35], s[50:51], 1
	v_cndmask_b32_e32 v6, 0x7fc0, v6, vcc_lo
	v_cmp_o_f32_e32 vcc_lo, v115, v115
	v_cndmask_b32_e32 v2, 0x7fc0, v2, vcc_lo
	v_cmp_o_f32_e32 vcc_lo, v118, v118
	s_delay_alu instid0(VALU_DEP_2)
	v_perm_b32 v2, v2, v1, 0x5040100
	v_cndmask_b32_e32 v9, 0x7fc0, v3, vcc_lo
	v_perm_b32 v3, v6, v4, 0x5040100
	v_add3_u32 v6, v109, v7, 0x7fff
	v_bfe_u32 v7, v106, 16, 1
	v_cmp_o_f32_e32 vcc_lo, v109, v109
	v_perm_b32 v1, v9, v8, 0x5040100
	v_add3_u32 v8, v107, v10, 0x7fff
	v_lshrrev_b32_e32 v6, 16, v6
	v_add3_u32 v7, v106, v7, 0x7fff
	v_bfe_u32 v10, v103, 16, 1
	v_bfe_u32 v4, v110, 16, 1
	s_delay_alu instid0(VALU_DEP_4) | instskip(NEXT) | instid1(VALU_DEP_4)
	v_cndmask_b32_e32 v9, 0x7fc0, v6, vcc_lo
	v_lshrrev_b32_e32 v6, 16, v7
	v_lshrrev_b32_e32 v7, 16, v8
	v_bfe_u32 v8, v102, 16, 1
	v_cmp_o_f32_e32 vcc_lo, v106, v106
	v_add3_u32 v4, v110, v4, 0x7fff
	s_delay_alu instid0(VALU_DEP_3)
	v_add3_u32 v8, v102, v8, 0x7fff
	v_cndmask_b32_e32 v13, 0x7fc0, v6, vcc_lo
	v_cmp_o_f32_e32 vcc_lo, v107, v107
	v_add3_u32 v6, v103, v10, 0x7fff
	v_add3_u32 v10, v104, v12, 0x7fff
	v_lshrrev_b32_e32 v4, 16, v4
	v_cndmask_b32_e32 v12, 0x7fc0, v7, vcc_lo
	v_lshrrev_b32_e32 v7, 16, v8
	v_cmp_o_f32_e32 vcc_lo, v102, v102
	v_lshrrev_b32_e32 v8, 16, v11
	v_lshrrev_b32_e32 v10, 16, v10
	;; [unrolled: 1-line block ×3, first 2 shown]
	v_perm_b32 v5, v12, v13, 0x5040100
	v_cndmask_b32_e32 v11, 0x7fc0, v7, vcc_lo
	v_cmp_o_f32_e32 vcc_lo, v101, v101
	v_cndmask_b32_e32 v7, 0x7fc0, v8, vcc_lo
	v_cmp_o_f32_e32 vcc_lo, v104, v104
	;; [unrolled: 2-line block ×3, first 2 shown]
	s_delay_alu instid0(VALU_DEP_2) | instskip(SKIP_2) | instid1(VALU_DEP_2)
	v_perm_b32 v7, v8, v7, 0x5040100
	v_cndmask_b32_e32 v6, 0x7fc0, v6, vcc_lo
	v_cmp_o_f32_e32 vcc_lo, v110, v110
	v_perm_b32 v6, v6, v11, 0x5040100
	v_cndmask_b32_e32 v4, 0x7fc0, v4, vcc_lo
	s_delay_alu instid0(VALU_DEP_1)
	v_perm_b32 v4, v4, v9, 0x5040100
	ds_store_b128 v52, v[0:3]
	ds_store_b128 v52, v[4:7] offset:16
	; wave barrier
	ds_load_u16 v16, v37 offset:64
	ds_load_u16 v15, v38 offset:128
	ds_load_u16 v14, v39 offset:192
	ds_load_u16 v13, v40 offset:256
	ds_load_u16 v12, v41 offset:320
	ds_load_u16 v11, v42 offset:384
	ds_load_u16 v10, v43 offset:448
	ds_load_u16 v9, v44 offset:512
	ds_load_u16 v8, v45 offset:576
	ds_load_u16 v7, v46 offset:640
	ds_load_u16 v6, v47 offset:704
	ds_load_u16 v5, v48 offset:768
	ds_load_u16 v4, v49 offset:832
	ds_load_u16 v3, v50 offset:896
	ds_load_u16 v2, v51 offset:960
	v_add_co_u32 v0, vcc_lo, v72, s34
	v_add_co_ci_u32_e32 v1, vcc_lo, s35, v73, vcc_lo
	s_and_saveexec_b32 s28, s12
	s_cbranch_execnz .LBB52_269
; %bb.203:                              ;   in Loop: Header=BB52_12 Depth=1
	s_or_b32 exec_lo, exec_lo, s28
	s_and_saveexec_b32 s28, s13
	s_cbranch_execnz .LBB52_270
.LBB52_204:                             ;   in Loop: Header=BB52_12 Depth=1
	s_or_b32 exec_lo, exec_lo, s28
	s_and_saveexec_b32 s28, s14
	s_cbranch_execnz .LBB52_271
.LBB52_205:                             ;   in Loop: Header=BB52_12 Depth=1
	s_or_b32 exec_lo, exec_lo, s28
	s_and_saveexec_b32 s28, s15
	s_cbranch_execnz .LBB52_272
.LBB52_206:                             ;   in Loop: Header=BB52_12 Depth=1
	s_or_b32 exec_lo, exec_lo, s28
	s_and_saveexec_b32 s28, s16
	s_cbranch_execnz .LBB52_273
.LBB52_207:                             ;   in Loop: Header=BB52_12 Depth=1
	s_or_b32 exec_lo, exec_lo, s28
	s_and_saveexec_b32 s28, s17
	s_cbranch_execnz .LBB52_274
.LBB52_208:                             ;   in Loop: Header=BB52_12 Depth=1
	s_or_b32 exec_lo, exec_lo, s28
	s_and_saveexec_b32 s28, s18
	s_cbranch_execnz .LBB52_275
.LBB52_209:                             ;   in Loop: Header=BB52_12 Depth=1
	s_or_b32 exec_lo, exec_lo, s28
	s_and_saveexec_b32 s28, s19
	s_cbranch_execnz .LBB52_276
.LBB52_210:                             ;   in Loop: Header=BB52_12 Depth=1
	s_or_b32 exec_lo, exec_lo, s28
	s_and_saveexec_b32 s28, s20
	s_cbranch_execnz .LBB52_277
.LBB52_211:                             ;   in Loop: Header=BB52_12 Depth=1
	s_or_b32 exec_lo, exec_lo, s28
	s_and_saveexec_b32 s28, s21
	s_cbranch_execnz .LBB52_278
.LBB52_212:                             ;   in Loop: Header=BB52_12 Depth=1
	s_or_b32 exec_lo, exec_lo, s28
	s_and_saveexec_b32 s28, s22
	s_cbranch_execnz .LBB52_279
.LBB52_213:                             ;   in Loop: Header=BB52_12 Depth=1
	s_or_b32 exec_lo, exec_lo, s28
	s_and_saveexec_b32 s28, s23
	s_cbranch_execnz .LBB52_280
.LBB52_214:                             ;   in Loop: Header=BB52_12 Depth=1
	s_or_b32 exec_lo, exec_lo, s28
	s_and_saveexec_b32 s28, s24
	s_cbranch_execnz .LBB52_281
.LBB52_215:                             ;   in Loop: Header=BB52_12 Depth=1
	s_or_b32 exec_lo, exec_lo, s28
	s_and_saveexec_b32 s28, s25
	s_cbranch_execnz .LBB52_282
.LBB52_216:                             ;   in Loop: Header=BB52_12 Depth=1
	s_or_b32 exec_lo, exec_lo, s28
	s_and_saveexec_b32 s28, s26
	s_cbranch_execnz .LBB52_283
.LBB52_217:                             ;   in Loop: Header=BB52_12 Depth=1
	s_or_b32 exec_lo, exec_lo, s28
	s_and_saveexec_b32 s28, s27
	s_cbranch_execz .LBB52_219
.LBB52_218:                             ;   in Loop: Header=BB52_12 Depth=1
	s_waitcnt lgkmcnt(0)
	global_store_b16 v[0:1], v2, off offset:960
.LBB52_219:                             ;   in Loop: Header=BB52_12 Depth=1
	s_or_b32 exec_lo, exec_lo, s28
	v_add_co_u32 v0, vcc_lo, v74, s34
	v_add_co_ci_u32_e32 v1, vcc_lo, s35, v75, vcc_lo
	s_waitcnt lgkmcnt(0)
	v_dual_mov_b32 v2, 0 :: v_dual_mov_b32 v3, 0
	s_waitcnt_vscnt null, 0x0
	s_barrier
	buffer_gl0_inv
	s_and_saveexec_b32 s28, s12
	s_cbranch_execz .LBB52_221
; %bb.220:                              ;   in Loop: Header=BB52_12 Depth=1
	global_load_u16 v3, v[0:1], off
.LBB52_221:                             ;   in Loop: Header=BB52_12 Depth=1
	s_or_b32 exec_lo, exec_lo, s28
	s_and_saveexec_b32 s28, s13
	s_cbranch_execz .LBB52_223
; %bb.222:                              ;   in Loop: Header=BB52_12 Depth=1
	global_load_u16 v2, v[0:1], off offset:64
.LBB52_223:                             ;   in Loop: Header=BB52_12 Depth=1
	s_or_b32 exec_lo, exec_lo, s28
	v_dual_mov_b32 v4, 0 :: v_dual_mov_b32 v5, 0
	s_and_saveexec_b32 s28, s14
	s_cbranch_execz .LBB52_225
; %bb.224:                              ;   in Loop: Header=BB52_12 Depth=1
	global_load_u16 v5, v[0:1], off offset:128
.LBB52_225:                             ;   in Loop: Header=BB52_12 Depth=1
	s_or_b32 exec_lo, exec_lo, s28
	s_and_saveexec_b32 s28, s15
	s_cbranch_execz .LBB52_227
; %bb.226:                              ;   in Loop: Header=BB52_12 Depth=1
	global_load_u16 v4, v[0:1], off offset:192
.LBB52_227:                             ;   in Loop: Header=BB52_12 Depth=1
	s_or_b32 exec_lo, exec_lo, s28
	v_dual_mov_b32 v6, 0 :: v_dual_mov_b32 v7, 0
	s_and_saveexec_b32 s28, s16
	s_cbranch_execz .LBB52_229
; %bb.228:                              ;   in Loop: Header=BB52_12 Depth=1
	global_load_u16 v7, v[0:1], off offset:256
.LBB52_229:                             ;   in Loop: Header=BB52_12 Depth=1
	;; [unrolled: 13-line block ×7, first 2 shown]
	s_or_b32 exec_lo, exec_lo, s28
	s_and_saveexec_b32 s28, s27
	s_cbranch_execz .LBB52_251
; %bb.250:                              ;   in Loop: Header=BB52_12 Depth=1
	global_load_u16 v16, v[0:1], off offset:960
.LBB52_251:                             ;   in Loop: Header=BB52_12 Depth=1
	s_or_b32 exec_lo, exec_lo, s28
	s_waitcnt vmcnt(0)
	ds_store_b16 v37, v3
	ds_store_b16 v37, v2 offset:64
	ds_store_b16 v38, v5 offset:128
	;; [unrolled: 1-line block ×15, first 2 shown]
	; wave barrier
	ds_load_b128 v[4:7], v52
	ds_load_b128 v[0:3], v52 offset:16
	s_waitcnt lgkmcnt(0)
	s_barrier
	buffer_gl0_inv
	v_and_b32_e32 v8, 0xffff0000, v4
	v_and_b32_e32 v15, 0xffff0000, v5
	;; [unrolled: 1-line block ×3, first 2 shown]
	v_lshlrev_b32_e32 v5, 16, v5
	s_delay_alu instid0(VALU_DEP_4) | instskip(NEXT) | instid1(VALU_DEP_3)
	v_mul_f32_e32 v9, 0xbfb8aa3b, v8
	v_mul_f32_e32 v17, 0xbfb8aa3b, v16
	s_delay_alu instid0(VALU_DEP_3) | instskip(NEXT) | instid1(VALU_DEP_3)
	v_cmp_nlt_f32_e64 s29, 0x42ce8ed0, v5
	v_fma_f32 v11, 0xbfb8aa3b, v8, -v9
	v_rndne_f32_e32 v12, v9
	s_delay_alu instid0(VALU_DEP_4) | instskip(NEXT) | instid1(VALU_DEP_3)
	v_rndne_f32_e32 v100, v17
	v_fmac_f32_e32 v11, 0xb2a5705f, v8
	s_delay_alu instid0(VALU_DEP_3) | instskip(SKIP_1) | instid1(VALU_DEP_2)
	v_sub_f32_e32 v9, v9, v12
	v_cvt_i32_f32_e32 v12, v12
	v_add_f32_e32 v9, v9, v11
	v_cmp_nlt_f32_e32 vcc_lo, 0x42ce8ed0, v8
	v_lshlrev_b32_e32 v11, 16, v6
	s_delay_alu instid0(VALU_DEP_3) | instskip(SKIP_2) | instid1(VALU_DEP_1)
	v_exp_f32_e32 v9, v9
	s_waitcnt_depctr 0xfff
	v_ldexp_f32 v9, v9, v12
	v_dual_cndmask_b32 v9, 0, v9 :: v_dual_lshlrev_b32 v4, 16, v4
	s_delay_alu instid0(VALU_DEP_1) | instskip(SKIP_1) | instid1(VALU_DEP_2)
	v_mul_f32_e32 v10, 0xbfb8aa3b, v4
	v_cmp_nlt_f32_e32 vcc_lo, 0x42ce8ed0, v4
	v_rndne_f32_e32 v13, v10
	v_fma_f32 v14, 0xbfb8aa3b, v4, -v10
	s_delay_alu instid0(VALU_DEP_2) | instskip(NEXT) | instid1(VALU_DEP_2)
	v_sub_f32_e32 v10, v10, v13
	v_fmac_f32_e32 v14, 0xb2a5705f, v4
	v_cvt_i32_f32_e32 v13, v13
	s_delay_alu instid0(VALU_DEP_2) | instskip(SKIP_2) | instid1(VALU_DEP_3)
	v_add_f32_e32 v6, v10, v14
	v_mul_f32_e32 v14, 0xbfb8aa3b, v5
	v_mul_f32_e32 v10, 0xbfb8aa3b, v15
	v_exp_f32_e32 v6, v6
	s_delay_alu instid0(VALU_DEP_1) | instskip(SKIP_1) | instid1(VALU_DEP_2)
	v_fma_f32 v94, 0xbfb8aa3b, v15, -v10
	v_rndne_f32_e32 v95, v10
	v_fmac_f32_e32 v94, 0xb2a5705f, v15
	s_waitcnt_depctr 0xfff
	v_ldexp_f32 v6, v6, v13
	v_mul_f32_e32 v13, 0xbfb8aa3b, v11
	v_rndne_f32_e32 v96, v14
	v_fma_f32 v97, 0xbfb8aa3b, v5, -v14
	v_sub_f32_e32 v10, v10, v95
	v_cndmask_b32_e32 v6, 0, v6, vcc_lo
	v_cmp_ngt_f32_e32 vcc_lo, 0xc2b17218, v8
	s_delay_alu instid0(VALU_DEP_4) | instskip(SKIP_4) | instid1(VALU_DEP_2)
	v_dual_sub_f32 v12, v14, v96 :: v_dual_fmac_f32 v97, 0xb2a5705f, v5
	v_cvt_i32_f32_e32 v95, v95
	v_cvt_i32_f32_e32 v96, v96
	v_cndmask_b32_e32 v9, 0x7f800000, v9, vcc_lo
	v_cmp_ngt_f32_e32 vcc_lo, 0xc2b17218, v4
	v_dual_add_f32 v9, 1.0, v9 :: v_dual_cndmask_b32 v6, 0x7f800000, v6
	v_cmp_nlt_f32_e32 vcc_lo, 0x42ce8ed0, v15
	s_delay_alu instid0(VALU_DEP_2) | instskip(NEXT) | instid1(VALU_DEP_3)
	v_div_scale_f32 v14, null, v9, v9, v8
	v_add_f32_e32 v6, 1.0, v6
	s_delay_alu instid0(VALU_DEP_2) | instskip(NEXT) | instid1(VALU_DEP_1)
	v_rcp_f32_e32 v98, v14
	v_div_scale_f32 v113, s28, v4, v6, v4
	v_add_f32_e32 v12, v12, v97
	v_fma_f32 v97, 0xbfb8aa3b, v16, -v17
	v_dual_add_f32 v10, v10, v94 :: v_dual_sub_f32 v17, v17, v100
	v_div_scale_f32 v94, null, v6, v6, v4
	s_delay_alu instid0(VALU_DEP_3) | instskip(NEXT) | instid1(VALU_DEP_3)
	v_fmac_f32_e32 v97, 0xb2a5705f, v16
	v_exp_f32_e32 v10, v10
	v_cvt_i32_f32_e32 v100, v100
	s_delay_alu instid0(VALU_DEP_3) | instskip(NEXT) | instid1(VALU_DEP_2)
	v_rcp_f32_e32 v99, v94
	v_add_f32_e32 v17, v17, v97
	s_waitcnt_depctr 0xfff
	v_ldexp_f32 v10, v10, v95
	v_rndne_f32_e32 v95, v13
	v_fma_f32 v105, -v94, v99, 1.0
	s_delay_alu instid0(VALU_DEP_1) | instskip(NEXT) | instid1(VALU_DEP_1)
	v_fmac_f32_e32 v99, v105, v99
	v_mul_f32_e32 v105, v113, v99
	v_exp_f32_e32 v12, v12
	s_delay_alu instid0(VALU_DEP_1) | instskip(SKIP_2) | instid1(VALU_DEP_3)
	v_fma_f32 v121, -v94, v105, v113
	v_cndmask_b32_e32 v10, 0, v10, vcc_lo
	v_div_scale_f32 v108, vcc_lo, v8, v9, v8
	v_fmac_f32_e32 v105, v121, v99
	s_waitcnt_depctr 0xfff
	v_ldexp_f32 v12, v12, v96
	v_fma_f32 v96, -v14, v98, 1.0
	v_fma_f32 v94, -v94, v105, v113
	s_delay_alu instid0(VALU_DEP_3) | instskip(SKIP_1) | instid1(VALU_DEP_4)
	v_cndmask_b32_e64 v12, 0, v12, s29
	v_cmp_ngt_f32_e64 s29, 0xc2b17218, v15
	v_fmac_f32_e32 v98, v96, v98
	s_delay_alu instid0(VALU_DEP_2) | instskip(SKIP_1) | instid1(VALU_DEP_2)
	v_cndmask_b32_e64 v10, 0x7f800000, v10, s29
	v_cmp_ngt_f32_e64 s29, 0xc2b17218, v5
	v_add_f32_e32 v10, 1.0, v10
	s_delay_alu instid0(VALU_DEP_2) | instskip(SKIP_1) | instid1(VALU_DEP_3)
	v_cndmask_b32_e64 v12, 0x7f800000, v12, s29
	v_cmp_nlt_f32_e64 s29, 0x42ce8ed0, v16
	v_div_scale_f32 v122, null, v10, v10, v15
	s_delay_alu instid0(VALU_DEP_1) | instskip(SKIP_1) | instid1(VALU_DEP_1)
	v_rcp_f32_e32 v121, v122
	v_mul_f32_e32 v96, v108, v98
	v_fma_f32 v116, -v14, v96, v108
	s_delay_alu instid0(VALU_DEP_1) | instskip(NEXT) | instid1(VALU_DEP_1)
	v_fmac_f32_e32 v96, v116, v98
	v_fma_f32 v14, -v14, v96, v108
	v_sub_f32_e32 v108, v13, v95
	v_fma_f32 v13, 0xbfb8aa3b, v11, -v13
	v_add_f32_e32 v12, 1.0, v12
	v_cvt_i32_f32_e32 v95, v95
	v_div_fmas_f32 v14, v14, v98, v96
	s_mov_b32 vcc_lo, s28
	v_fmac_f32_e32 v13, 0xb2a5705f, v11
	v_div_scale_f32 v116, null, v12, v12, v5
	v_div_fmas_f32 v94, v94, v99, v105
	v_div_fixup_f32 v8, v14, v9, v8
	v_fma_f32 v9, -v122, v121, 1.0
	s_delay_alu instid0(VALU_DEP_4) | instskip(SKIP_2) | instid1(VALU_DEP_3)
	v_rcp_f32_e32 v96, v116
	v_div_scale_f32 v98, s28, v5, v12, v5
	v_div_fixup_f32 v4, v94, v6, v4
	v_fmac_f32_e32 v121, v9, v121
	s_delay_alu instid0(VALU_DEP_2)
	v_mul_f32_e32 v9, v119, v4
	v_div_scale_f32 v6, vcc_lo, v15, v10, v15
	s_waitcnt_depctr 0xfff
	v_fma_f32 v14, -v116, v96, 1.0
	v_exp_f32_e32 v4, v17
	v_bfe_u32 v97, v9, 16, 1
	s_delay_alu instid0(VALU_DEP_2) | instskip(NEXT) | instid1(VALU_DEP_2)
	v_fmac_f32_e32 v96, v14, v96
	v_add3_u32 v14, v9, v97, 0x7fff
	s_delay_alu instid0(VALU_DEP_2) | instskip(SKIP_2) | instid1(VALU_DEP_4)
	v_mul_f32_e32 v97, v98, v96
	v_add_f32_e32 v13, v108, v13
	v_mul_f32_e32 v94, v6, v121
	v_lshrrev_b32_e32 v14, 16, v14
	s_delay_alu instid0(TRANS32_DEP_1) | instskip(NEXT) | instid1(VALU_DEP_4)
	v_ldexp_f32 v4, v4, v100
	v_exp_f32_e32 v13, v13
	s_delay_alu instid0(VALU_DEP_3) | instskip(NEXT) | instid1(VALU_DEP_2)
	v_fma_f32 v99, -v122, v94, v6
	v_cndmask_b32_e64 v4, 0, v4, s29
	s_delay_alu instid0(VALU_DEP_2) | instskip(SKIP_1) | instid1(VALU_DEP_2)
	v_fmac_f32_e32 v94, v99, v121
	v_fma_f32 v99, -v116, v97, v98
	v_fma_f32 v6, -v122, v94, v6
	s_delay_alu instid0(VALU_DEP_2) | instskip(SKIP_1) | instid1(VALU_DEP_3)
	v_fmac_f32_e32 v97, v99, v96
	v_lshlrev_b32_e32 v99, 16, v7
	v_div_fmas_f32 v6, v6, v121, v94
	v_cmp_ngt_f32_e32 vcc_lo, 0xc2b17218, v16
	s_delay_alu instid0(VALU_DEP_3) | instskip(NEXT) | instid1(VALU_DEP_3)
	v_mul_f32_e32 v100, 0xbfb8aa3b, v99
	v_div_fixup_f32 v6, v6, v10, v15
	v_cndmask_b32_e32 v94, 0x7f800000, v4, vcc_lo
	v_mul_f32_e32 v8, v120, v8
	v_ldexp_f32 v10, v13, v95
	v_fma_f32 v113, 0xbfb8aa3b, v99, -v100
	s_delay_alu instid0(VALU_DEP_4) | instskip(NEXT) | instid1(VALU_DEP_4)
	v_add_f32_e32 v13, 1.0, v94
	v_bfe_u32 v17, v8, 16, 1
	v_cmp_o_f32_e32 vcc_lo, v8, v8
	s_delay_alu instid0(VALU_DEP_4) | instskip(NEXT) | instid1(VALU_DEP_4)
	v_fmac_f32_e32 v113, 0xb2a5705f, v99
	v_div_scale_f32 v15, null, v13, v13, v16
	s_delay_alu instid0(VALU_DEP_4) | instskip(SKIP_1) | instid1(VALU_DEP_2)
	v_add3_u32 v17, v8, v17, 0x7fff
	v_fma_f32 v8, -v116, v97, v98
	v_lshrrev_b32_e32 v17, 16, v17
	s_delay_alu instid0(VALU_DEP_1) | instskip(SKIP_1) | instid1(VALU_DEP_3)
	v_cndmask_b32_e32 v4, 0x7fc0, v17, vcc_lo
	s_mov_b32 vcc_lo, s28
	v_div_fmas_f32 v8, v8, v96, v97
	v_cmp_nlt_f32_e32 vcc_lo, 0x42ce8ed0, v11
	s_delay_alu instid0(VALU_DEP_2) | instskip(SKIP_3) | instid1(VALU_DEP_3)
	v_div_fixup_f32 v5, v8, v12, v5
	v_cndmask_b32_e32 v10, 0, v10, vcc_lo
	v_cmp_ngt_f32_e32 vcc_lo, 0xc2b17218, v11
	v_rcp_f32_e32 v8, v15
	v_mul_f32_e32 v12, v117, v5
	s_delay_alu instid0(VALU_DEP_3)
	v_cndmask_b32_e32 v10, 0x7f800000, v10, vcc_lo
	v_cmp_o_f32_e32 vcc_lo, v9, v9
	v_cndmask_b32_e32 v5, 0x7fc0, v14, vcc_lo
	v_and_b32_e32 v14, 0xffff0000, v7
	s_waitcnt_depctr 0xfff
	v_fma_f32 v94, -v15, v8, 1.0
	v_div_scale_f32 v7, vcc_lo, v16, v13, v16
	v_mul_f32_e32 v96, 0xbfb8aa3b, v14
	s_delay_alu instid0(VALU_DEP_3) | instskip(NEXT) | instid1(VALU_DEP_2)
	v_fmac_f32_e32 v8, v94, v8
	v_fma_f32 v97, 0xbfb8aa3b, v14, -v96
	v_rndne_f32_e32 v98, v96
	s_delay_alu instid0(VALU_DEP_3) | instskip(NEXT) | instid1(VALU_DEP_3)
	v_mul_f32_e32 v105, v7, v8
	v_fmac_f32_e32 v97, 0xb2a5705f, v14
	v_bfe_u32 v17, v12, 16, 1
	s_delay_alu instid0(VALU_DEP_3) | instskip(SKIP_1) | instid1(VALU_DEP_3)
	v_fma_f32 v116, -v15, v105, v7
	v_mul_f32_e32 v6, v118, v6
	v_add3_u32 v17, v12, v17, 0x7fff
	s_delay_alu instid0(VALU_DEP_3) | instskip(NEXT) | instid1(VALU_DEP_3)
	v_fmac_f32_e32 v105, v116, v8
	v_bfe_u32 v9, v6, 16, 1
	v_cmp_o_f32_e64 s29, v6, v6
	s_delay_alu instid0(VALU_DEP_4) | instskip(SKIP_1) | instid1(VALU_DEP_4)
	v_lshrrev_b32_e32 v17, 16, v17
	v_sub_f32_e32 v96, v96, v98
	v_add3_u32 v9, v6, v9, 0x7fff
	v_cvt_i32_f32_e32 v98, v98
	v_fma_f32 v7, -v15, v105, v7
	s_delay_alu instid0(VALU_DEP_4) | instskip(NEXT) | instid1(VALU_DEP_4)
	v_add_f32_e32 v96, v96, v97
	v_lshrrev_b32_e32 v9, 16, v9
	v_rndne_f32_e32 v97, v100
	s_delay_alu instid0(VALU_DEP_4)
	v_div_fmas_f32 v7, v7, v8, v105
	v_cmp_ngt_f32_e32 vcc_lo, 0xc2b17218, v14
	v_exp_f32_e32 v96, v96
	v_cndmask_b32_e64 v6, 0x7fc0, v9, s29
	v_cmp_nlt_f32_e64 s29, 0x42ce8ed0, v14
	v_sub_f32_e32 v100, v100, v97
	v_cvt_i32_f32_e32 v97, v97
	v_div_fixup_f32 v13, v7, v13, v16
	s_delay_alu instid0(VALU_DEP_3) | instskip(NEXT) | instid1(TRANS32_DEP_1)
	v_add_f32_e32 v100, v100, v113
	v_ldexp_f32 v9, v96, v98
	s_delay_alu instid0(VALU_DEP_2) | instskip(NEXT) | instid1(VALU_DEP_1)
	v_exp_f32_e32 v96, v100
	v_cndmask_b32_e64 v9, 0, v9, s29
	s_delay_alu instid0(VALU_DEP_1) | instskip(NEXT) | instid1(VALU_DEP_1)
	v_dual_add_f32 v10, 1.0, v10 :: v_dual_cndmask_b32 v9, 0x7f800000, v9
	v_div_scale_f32 v95, null, v10, v10, v11
	s_waitcnt_depctr 0xfff
	v_ldexp_f32 v8, v96, v97
	v_cmp_nlt_f32_e32 vcc_lo, 0x42ce8ed0, v99
	v_add_f32_e32 v9, 1.0, v9
	v_rcp_f32_e32 v94, v95
	s_delay_alu instid0(VALU_DEP_3) | instskip(SKIP_2) | instid1(VALU_DEP_1)
	v_cndmask_b32_e32 v8, 0, v8, vcc_lo
	s_waitcnt_depctr 0xfff
	v_fma_f32 v108, -v95, v94, 1.0
	v_fmac_f32_e32 v94, v108, v94
	v_div_scale_f32 v108, s28, v11, v10, v11
	s_delay_alu instid0(VALU_DEP_1) | instskip(NEXT) | instid1(VALU_DEP_1)
	s_mov_b32 vcc_lo, s28
	v_mul_f32_e32 v113, v108, v94
	v_div_scale_f32 v16, null, v9, v9, v14
	s_delay_alu instid0(VALU_DEP_2) | instskip(NEXT) | instid1(VALU_DEP_1)
	v_fma_f32 v15, -v95, v113, v108
	v_fmac_f32_e32 v113, v15, v94
	s_delay_alu instid0(VALU_DEP_1) | instskip(NEXT) | instid1(VALU_DEP_1)
	v_fma_f32 v7, -v95, v113, v108
	v_div_fmas_f32 v15, v7, v94, v113
	v_cmp_ngt_f32_e32 vcc_lo, 0xc2b17218, v99
	s_delay_alu instid0(VALU_DEP_2)
	v_div_fixup_f32 v10, v15, v10, v11
	v_cndmask_b32_e32 v8, 0x7f800000, v8, vcc_lo
	v_cmp_o_f32_e32 vcc_lo, v12, v12
	v_mul_f32_e32 v11, v115, v13
	v_rcp_f32_e32 v12, v16
	v_and_b32_e32 v13, 0xffff0000, v0
	v_dual_cndmask_b32 v7, 0x7fc0, v17 :: v_dual_lshlrev_b32 v0, 16, v0
	v_div_scale_f32 v105, vcc_lo, v14, v9, v14
	s_delay_alu instid0(VALU_DEP_3) | instskip(SKIP_3) | instid1(TRANS32_DEP_1)
	v_mul_f32_e32 v94, 0xbfb8aa3b, v13
	v_mul_f32_e32 v10, v114, v10
	v_cmp_nlt_f32_e64 s29, 0x42ce8ed0, v13
	v_bfe_u32 v15, v11, 16, 1
	v_fma_f32 v96, -v16, v12, 1.0
	v_fma_f32 v98, 0xbfb8aa3b, v13, -v94
	v_rndne_f32_e32 v100, v94
	s_delay_alu instid0(VALU_DEP_4) | instskip(NEXT) | instid1(VALU_DEP_4)
	v_add3_u32 v15, v11, v15, 0x7fff
	v_fmac_f32_e32 v12, v96, v12
	s_delay_alu instid0(VALU_DEP_4) | instskip(NEXT) | instid1(VALU_DEP_4)
	v_fmac_f32_e32 v98, 0xb2a5705f, v13
	v_sub_f32_e32 v94, v94, v100
	v_mul_f32_e32 v96, 0xbfb8aa3b, v0
	v_cvt_i32_f32_e32 v100, v100
	v_lshrrev_b32_e32 v15, 16, v15
	s_delay_alu instid0(VALU_DEP_4) | instskip(NEXT) | instid1(VALU_DEP_4)
	v_add_f32_e32 v94, v94, v98
	v_rndne_f32_e32 v98, v96
	v_fma_f32 v113, 0xbfb8aa3b, v0, -v96
	s_delay_alu instid0(VALU_DEP_1) | instskip(SKIP_1) | instid1(VALU_DEP_2)
	v_dual_sub_f32 v96, v96, v98 :: v_dual_fmac_f32 v113, 0xb2a5705f, v0
	v_cvt_i32_f32_e32 v98, v98
	v_add_f32_e32 v96, v96, v113
	s_delay_alu instid0(VALU_DEP_1) | instskip(SKIP_4) | instid1(VALU_DEP_1)
	v_exp_f32_e32 v96, v96
	s_waitcnt_depctr 0xfff
	v_ldexp_f32 v96, v96, v98
	v_and_b32_e32 v98, 0xffff0000, v1
	v_dual_mul_f32 v114, v105, v12 :: v_dual_lshlrev_b32 v1, 16, v1
	v_fma_f32 v113, -v16, v114, v105
	s_delay_alu instid0(VALU_DEP_1) | instskip(NEXT) | instid1(VALU_DEP_1)
	v_fmac_f32_e32 v114, v113, v12
	v_fma_f32 v16, -v16, v114, v105
	s_delay_alu instid0(VALU_DEP_1) | instskip(SKIP_1) | instid1(VALU_DEP_2)
	v_div_fmas_f32 v12, v16, v12, v114
	v_cmp_nlt_f32_e32 vcc_lo, 0x42ce8ed0, v0
	v_div_fixup_f32 v9, v12, v9, v14
	s_delay_alu instid0(VALU_DEP_1) | instskip(NEXT) | instid1(VALU_DEP_1)
	v_dual_add_f32 v8, 1.0, v8 :: v_dual_mul_f32 v9, v112, v9
	v_div_scale_f32 v17, null, v8, v8, v99
	v_mul_f32_e32 v112, 0xbfb8aa3b, v1
	s_delay_alu instid0(VALU_DEP_2) | instskip(NEXT) | instid1(VALU_DEP_1)
	v_rcp_f32_e32 v97, v17
	v_fma_f32 v113, 0xbfb8aa3b, v1, -v112
	s_delay_alu instid0(VALU_DEP_1) | instskip(SKIP_3) | instid1(VALU_DEP_1)
	v_fmac_f32_e32 v113, 0xb2a5705f, v1
	v_exp_f32_e32 v94, v94
	s_waitcnt_depctr 0xfff
	v_fma_f32 v108, -v17, v97, 1.0
	v_fmac_f32_e32 v97, v108, v97
	v_div_scale_f32 v108, s28, v99, v8, v99
	v_ldexp_f32 v94, v94, v100
	s_delay_alu instid0(VALU_DEP_2) | instskip(NEXT) | instid1(VALU_DEP_2)
	v_mul_f32_e32 v115, v108, v97
	v_cndmask_b32_e64 v94, 0, v94, s29
	v_cmp_ngt_f32_e64 s29, 0xc2b17218, v13
	s_delay_alu instid0(VALU_DEP_3) | instskip(NEXT) | instid1(VALU_DEP_2)
	v_fma_f32 v100, -v17, v115, v108
	v_cndmask_b32_e64 v94, 0x7f800000, v94, s29
	v_cmp_nlt_f32_e64 s29, 0x42ce8ed0, v98
	s_delay_alu instid0(VALU_DEP_3) | instskip(NEXT) | instid1(VALU_DEP_3)
	v_dual_fmac_f32 v115, v100, v97 :: v_dual_mul_f32 v100, 0xbfb8aa3b, v98
	v_add_f32_e32 v16, 1.0, v94
	v_cndmask_b32_e32 v94, 0, v96, vcc_lo
	s_delay_alu instid0(VALU_DEP_3) | instskip(SKIP_3) | instid1(VALU_DEP_3)
	v_fma_f32 v17, -v17, v115, v108
	s_mov_b32 vcc_lo, s28
	v_fma_f32 v14, 0xbfb8aa3b, v98, -v100
	v_div_scale_f32 v96, null, v16, v16, v13
	v_div_fmas_f32 v17, v17, v97, v115
	v_cmp_ngt_f32_e32 vcc_lo, 0xc2b17218, v0
	s_delay_alu instid0(VALU_DEP_4) | instskip(NEXT) | instid1(VALU_DEP_4)
	v_fmac_f32_e32 v14, 0xb2a5705f, v98
	v_rcp_f32_e32 v97, v96
	s_delay_alu instid0(VALU_DEP_3) | instskip(SKIP_2) | instid1(VALU_DEP_3)
	v_div_fixup_f32 v8, v17, v8, v99
	v_cndmask_b32_e32 v94, 0x7f800000, v94, vcc_lo
	v_cmp_o_f32_e32 vcc_lo, v11, v11
	v_mul_f32_e32 v8, v111, v8
	s_delay_alu instid0(VALU_DEP_3) | instskip(SKIP_1) | instid1(TRANS32_DEP_1)
	v_dual_add_f32 v12, 1.0, v94 :: v_dual_cndmask_b32 v11, 0x7fc0, v15
	v_rndne_f32_e32 v15, v100
	v_fma_f32 v17, -v96, v97, 1.0
	s_delay_alu instid0(VALU_DEP_2) | instskip(NEXT) | instid1(VALU_DEP_2)
	v_sub_f32_e32 v99, v100, v15
	v_fmac_f32_e32 v97, v17, v97
	v_bfe_u32 v95, v10, 16, 1
	v_cmp_o_f32_e64 s28, v10, v10
	v_cvt_i32_f32_e32 v15, v15
	v_add_f32_e32 v14, v99, v14
	v_div_scale_f32 v99, vcc_lo, v13, v16, v13
	v_add3_u32 v95, v10, v95, 0x7fff
	v_bfe_u32 v100, v8, 16, 1
	s_delay_alu instid0(VALU_DEP_4) | instskip(NEXT) | instid1(VALU_DEP_3)
	v_exp_f32_e32 v14, v14
	v_mul_f32_e32 v105, v99, v97
	v_div_scale_f32 v94, null, v12, v12, v0
	v_lshrrev_b32_e32 v95, 16, v95
	v_add3_u32 v100, v8, v100, 0x7fff
	s_delay_alu instid0(VALU_DEP_4) | instskip(NEXT) | instid1(VALU_DEP_4)
	v_fma_f32 v111, -v96, v105, v99
	v_rcp_f32_e32 v17, v94
	s_delay_alu instid0(VALU_DEP_3) | instskip(NEXT) | instid1(TRANS32_DEP_2)
	v_cndmask_b32_e64 v10, 0x7fc0, v95, s28
	v_ldexp_f32 v14, v14, v15
	v_div_scale_f32 v15, s28, v0, v12, v0
	v_fmac_f32_e32 v105, v111, v97
	v_bfe_u32 v95, v9, 16, 1
	s_delay_alu instid0(VALU_DEP_4) | instskip(SKIP_1) | instid1(TRANS32_DEP_1)
	v_cndmask_b32_e64 v14, 0, v14, s29
	v_cmp_ngt_f32_e64 s29, 0xc2b17218, v98
	v_fma_f32 v108, -v94, v17, 1.0
	v_fma_f32 v96, -v96, v105, v99
	v_add3_u32 v95, v9, v95, 0x7fff
	s_delay_alu instid0(VALU_DEP_4) | instskip(NEXT) | instid1(VALU_DEP_4)
	v_cndmask_b32_e64 v14, 0x7f800000, v14, s29
	v_fmac_f32_e32 v17, v108, v17
	v_rndne_f32_e32 v108, v112
	v_div_fmas_f32 v96, v96, v97, v105
	s_mov_b32 vcc_lo, s28
	v_add_f32_e32 v14, 1.0, v14
	v_mul_f32_e32 v114, v15, v17
	v_sub_f32_e32 v112, v112, v108
	v_div_fixup_f32 v13, v96, v16, v13
	v_lshrrev_b32_e32 v16, 16, v95
	v_cmp_o_f32_e64 s28, v9, v9
	v_fma_f32 v111, -v94, v114, v15
	v_add_f32_e32 v112, v112, v113
	s_delay_alu instid0(VALU_DEP_3) | instskip(NEXT) | instid1(VALU_DEP_3)
	v_cndmask_b32_e64 v9, 0x7fc0, v16, s28
	v_fmac_f32_e32 v114, v111, v17
	s_delay_alu instid0(VALU_DEP_3) | instskip(SKIP_2) | instid1(VALU_DEP_3)
	v_exp_f32_e32 v99, v112
	v_div_scale_f32 v111, null, v14, v14, v98
	v_cmp_o_f32_e64 s28, v8, v8
	v_fma_f32 v15, -v94, v114, v15
	v_cvt_i32_f32_e32 v94, v108
	s_delay_alu instid0(VALU_DEP_4) | instskip(NEXT) | instid1(VALU_DEP_2)
	v_rcp_f32_e32 v97, v111
	v_div_fmas_f32 v15, v15, v17, v114
	s_delay_alu instid0(TRANS32_DEP_2) | instid1(VALU_DEP_2)
	v_ldexp_f32 v17, v99, v94
	v_cmp_nlt_f32_e32 vcc_lo, 0x42ce8ed0, v1
	v_lshrrev_b32_e32 v94, 16, v100
	v_and_b32_e32 v100, 0xffff0000, v2
	v_div_fixup_f32 v0, v15, v12, v0
	v_mul_f32_e32 v12, v110, v13
	v_cndmask_b32_e32 v13, 0, v17, vcc_lo
	v_cmp_ngt_f32_e32 vcc_lo, 0xc2b17218, v1
	v_fma_f32 v15, -v111, v97, 1.0
	v_mul_f32_e32 v0, v109, v0
	v_bfe_u32 v17, v12, 16, 1
	v_cndmask_b32_e64 v8, 0x7fc0, v94, s28
	v_cndmask_b32_e32 v13, 0x7f800000, v13, vcc_lo
	v_fmac_f32_e32 v97, v15, v97
	v_div_scale_f32 v15, vcc_lo, v98, v14, v98
	v_add3_u32 v17, v12, v17, 0x7fff
	s_delay_alu instid0(VALU_DEP_4) | instskip(SKIP_1) | instid1(VALU_DEP_4)
	v_add_f32_e32 v13, 1.0, v13
	v_bfe_u32 v16, v0, 16, 1
	v_mul_f32_e32 v95, v15, v97
	v_cmp_o_f32_e64 s28, v12, v12
	v_lshrrev_b32_e32 v17, 16, v17
	v_div_scale_f32 v96, null, v13, v13, v1
	s_delay_alu instid0(VALU_DEP_4) | instskip(SKIP_1) | instid1(VALU_DEP_4)
	v_fma_f32 v94, -v111, v95, v15
	v_add3_u32 v16, v0, v16, 0x7fff
	v_cndmask_b32_e64 v12, 0x7fc0, v17, s28
	s_delay_alu instid0(VALU_DEP_4) | instskip(SKIP_4) | instid1(VALU_DEP_3)
	v_rcp_f32_e32 v99, v96
	v_cmp_o_f32_e64 s28, v0, v0
	v_fmac_f32_e32 v95, v94, v97
	v_mul_f32_e32 v17, 0xbfb8aa3b, v100
	v_lshrrev_b32_e32 v16, 16, v16
	v_fma_f32 v0, -v111, v95, v15
	s_delay_alu instid0(VALU_DEP_3) | instskip(SKIP_1) | instid1(TRANS32_DEP_1)
	v_fma_f32 v94, 0xbfb8aa3b, v100, -v17
	v_rndne_f32_e32 v105, v17
	v_fma_f32 v15, -v96, v99, 1.0
	v_cndmask_b32_e64 v16, 0x7fc0, v16, s28
	v_div_fmas_f32 v0, v0, v97, v95
	v_div_scale_f32 v95, vcc_lo, v1, v13, v1
	s_delay_alu instid0(VALU_DEP_4) | instskip(SKIP_3) | instid1(VALU_DEP_4)
	v_dual_fmac_f32 v99, v15, v99 :: v_dual_fmac_f32 v94, 0xb2a5705f, v100
	v_sub_f32_e32 v17, v17, v105
	v_cvt_i32_f32_e32 v105, v105
	v_cmp_nlt_f32_e64 s28, 0x42ce8ed0, v100
	v_mul_f32_e32 v97, v95, v99
	v_div_fixup_f32 v0, v0, v14, v98
	v_dual_add_f32 v17, v17, v94 :: v_dual_and_b32 v98, 0xffff0000, v3
	v_lshlrev_b32_e32 v3, 16, v3
	s_delay_alu instid0(VALU_DEP_4) | instskip(NEXT) | instid1(VALU_DEP_4)
	v_fma_f32 v108, -v96, v97, v95
	v_mul_f32_e32 v0, v107, v0
	s_delay_alu instid0(VALU_DEP_4) | instskip(SKIP_1) | instid1(VALU_DEP_3)
	v_exp_f32_e32 v17, v17
	v_mul_f32_e32 v109, 0xbfb8aa3b, v98
	v_fmac_f32_e32 v97, v108, v99
	s_delay_alu instid0(VALU_DEP_2) | instskip(NEXT) | instid1(VALU_DEP_2)
	v_rndne_f32_e32 v108, v109
	v_fma_f32 v95, -v96, v97, v95
	s_waitcnt_depctr 0xfff
	v_ldexp_f32 v17, v17, v105
	v_mul_f32_e32 v105, 0xbfb8aa3b, v3
	v_div_fmas_f32 v95, v95, v99, v97
	s_delay_alu instid0(VALU_DEP_3) | instskip(SKIP_1) | instid1(VALU_DEP_4)
	v_cndmask_b32_e64 v17, 0, v17, s28
	v_cmp_ngt_f32_e64 s28, 0xc2b17218, v100
	v_rndne_f32_e32 v110, v105
	s_delay_alu instid0(VALU_DEP_4)
	v_div_fixup_f32 v1, v95, v13, v1
	v_lshlrev_b32_e32 v2, 16, v2
	v_fma_f32 v111, 0xbfb8aa3b, v3, -v105
	v_cndmask_b32_e64 v17, 0x7f800000, v17, s28
	v_sub_f32_e32 v105, v105, v110
	v_mul_f32_e32 v1, v106, v1
	v_mul_f32_e32 v15, 0xbfb8aa3b, v2
	v_fmac_f32_e32 v111, 0xb2a5705f, v3
	v_add_f32_e32 v17, 1.0, v17
	v_cmp_nlt_f32_e64 s28, 0x42ce8ed0, v2
	v_bfe_u32 v116, v1, 16, 1
	v_rndne_f32_e32 v14, v15
	v_fma_f32 v94, 0xbfb8aa3b, v2, -v15
	v_div_scale_f32 v99, vcc_lo, v100, v17, v100
	s_delay_alu instid0(VALU_DEP_3) | instskip(NEXT) | instid1(VALU_DEP_3)
	v_sub_f32_e32 v15, v15, v14
	v_fmac_f32_e32 v94, 0xb2a5705f, v2
	v_cvt_i32_f32_e32 v14, v14
	s_delay_alu instid0(VALU_DEP_2) | instskip(SKIP_2) | instid1(VALU_DEP_3)
	v_add_f32_e32 v15, v15, v94
	v_fma_f32 v94, 0xbfb8aa3b, v98, -v109
	v_sub_f32_e32 v109, v109, v108
	v_exp_f32_e32 v15, v15
	s_delay_alu instid0(VALU_DEP_2)
	v_fmac_f32_e32 v94, 0xb2a5705f, v98
	s_waitcnt_depctr 0xfff
	v_ldexp_f32 v14, v15, v14
	v_add_f32_e32 v15, v109, v94
	v_add_f32_e32 v94, v105, v111
	v_cvt_i32_f32_e32 v105, v108
	v_div_scale_f32 v108, null, v17, v17, v100
	v_cvt_i32_f32_e32 v109, v110
	s_delay_alu instid0(VALU_DEP_4) | instskip(SKIP_1) | instid1(VALU_DEP_2)
	v_exp_f32_e32 v94, v94
	v_exp_f32_e32 v15, v15
	v_rcp_f32_e32 v96, v108
	v_cndmask_b32_e64 v14, 0, v14, s28
	v_cmp_ngt_f32_e64 s28, 0xc2b17218, v2
	s_delay_alu instid0(VALU_DEP_1) | instskip(NEXT) | instid1(TRANS32_DEP_3)
	v_cndmask_b32_e64 v14, 0x7f800000, v14, s28
	v_ldexp_f32 v94, v94, v109
	s_waitcnt_depctr 0xfff
	v_ldexp_f32 v15, v15, v105
	v_fma_f32 v109, -v108, v96, 1.0
	s_delay_alu instid0(VALU_DEP_1) | instskip(NEXT) | instid1(VALU_DEP_1)
	v_fmac_f32_e32 v96, v109, v96
	v_mul_f32_e32 v13, v99, v96
	s_delay_alu instid0(VALU_DEP_1) | instskip(NEXT) | instid1(VALU_DEP_1)
	v_fma_f32 v113, -v108, v13, v99
	v_fmac_f32_e32 v13, v113, v96
	v_cmp_nlt_f32_e64 s28, 0x42ce8ed0, v98
	s_delay_alu instid0(VALU_DEP_2) | instskip(NEXT) | instid1(VALU_DEP_2)
	v_fma_f32 v99, -v108, v13, v99
	v_cndmask_b32_e64 v15, 0, v15, s28
	v_cmp_nlt_f32_e64 s28, 0x42ce8ed0, v3
	s_delay_alu instid0(VALU_DEP_1) | instskip(SKIP_1) | instid1(VALU_DEP_1)
	v_cndmask_b32_e64 v94, 0, v94, s28
	v_cmp_ngt_f32_e64 s28, 0xc2b17218, v98
	v_cndmask_b32_e64 v15, 0x7f800000, v15, s28
	v_cmp_ngt_f32_e64 s28, 0xc2b17218, v3
	s_delay_alu instid0(VALU_DEP_2) | instskip(NEXT) | instid1(VALU_DEP_2)
	v_add_f32_e32 v15, 1.0, v15
	v_cndmask_b32_e64 v94, 0x7f800000, v94, s28
	s_delay_alu instid0(VALU_DEP_2) | instskip(NEXT) | instid1(VALU_DEP_2)
	v_div_scale_f32 v97, null, v15, v15, v98
	v_add_f32_e32 v94, 1.0, v94
	s_delay_alu instid0(VALU_DEP_2) | instskip(NEXT) | instid1(VALU_DEP_1)
	v_rcp_f32_e32 v111, v97
	v_div_scale_f32 v112, null, v94, v94, v3
	s_delay_alu instid0(VALU_DEP_1) | instskip(SKIP_2) | instid1(VALU_DEP_1)
	v_rcp_f32_e32 v95, v112
	s_waitcnt_depctr 0xfff
	v_fma_f32 v115, -v112, v95, 1.0
	v_fmac_f32_e32 v95, v115, v95
	v_div_scale_f32 v115, s30, v3, v94, v3
	v_add_f32_e32 v14, 1.0, v14
	s_delay_alu instid0(VALU_DEP_1) | instskip(SKIP_1) | instid1(VALU_DEP_2)
	v_div_scale_f32 v105, null, v14, v14, v2
	v_div_scale_f32 v107, s28, v2, v14, v2
	v_rcp_f32_e32 v110, v105
	s_waitcnt_depctr 0xfff
	v_fma_f32 v109, -v105, v110, 1.0
	s_delay_alu instid0(VALU_DEP_1) | instskip(SKIP_1) | instid1(VALU_DEP_1)
	v_fmac_f32_e32 v110, v109, v110
	v_fma_f32 v109, -v97, v111, 1.0
	v_dual_mul_f32 v114, v107, v110 :: v_dual_fmac_f32 v111, v109, v111
	v_div_scale_f32 v109, s29, v98, v15, v98
	s_delay_alu instid0(VALU_DEP_2) | instskip(NEXT) | instid1(VALU_DEP_2)
	v_fma_f32 v113, -v105, v114, v107
	v_mul_f32_e32 v117, v109, v111
	s_delay_alu instid0(VALU_DEP_2) | instskip(NEXT) | instid1(VALU_DEP_2)
	v_dual_fmac_f32 v114, v113, v110 :: v_dual_mul_f32 v113, v115, v95
	v_fma_f32 v108, -v97, v117, v109
	s_delay_alu instid0(VALU_DEP_1) | instskip(SKIP_1) | instid1(VALU_DEP_4)
	v_fmac_f32_e32 v117, v108, v111
	v_div_fmas_f32 v13, v99, v96, v13
	v_fma_f32 v96, -v105, v114, v107
	s_mov_b32 vcc_lo, s28
	v_fma_f32 v99, -v112, v113, v115
	s_delay_alu instid0(VALU_DEP_3)
	v_div_fixup_f32 v13, v13, v17, v100
	v_fma_f32 v17, -v97, v117, v109
	v_div_fmas_f32 v96, v96, v110, v114
	s_mov_b32 vcc_lo, s29
	v_fmac_f32_e32 v113, v99, v95
	v_mul_f32_e32 v13, v103, v13
	v_div_fmas_f32 v17, v17, v111, v117
	v_div_fixup_f32 v2, v96, v14, v2
	s_mov_b32 vcc_lo, s30
	v_fma_f32 v14, -v112, v113, v115
	v_add3_u32 v99, v1, v116, 0x7fff
	v_div_fixup_f32 v15, v17, v15, v98
	v_mul_f32_e32 v2, v102, v2
	v_bfe_u32 v17, v13, 16, 1
	v_div_fmas_f32 v14, v14, v95, v113
	s_delay_alu instid0(VALU_DEP_4) | instskip(SKIP_2) | instid1(VALU_DEP_4)
	v_mul_f32_e32 v15, v104, v15
	v_bfe_u32 v106, v0, 16, 1
	v_cmp_o_f32_e32 vcc_lo, v0, v0
	v_div_fixup_f32 v3, v14, v94, v3
	v_lshrrev_b32_e32 v14, 16, v99
	v_bfe_u32 v94, v2, 16, 1
	v_add3_u32 v106, v0, v106, 0x7fff
	v_add3_u32 v0, v13, v17, 0x7fff
	v_mul_f32_e32 v3, v101, v3
	s_delay_alu instid0(VALU_DEP_4) | instskip(NEXT) | instid1(VALU_DEP_4)
	v_add3_u32 v17, v2, v94, 0x7fff
	v_lshrrev_b32_e32 v95, 16, v106
	v_bfe_u32 v94, v15, 16, 1
	v_lshrrev_b32_e32 v0, 16, v0
	v_bfe_u32 v96, v3, 16, 1
	v_lshrrev_b32_e32 v17, 16, v17
	v_cndmask_b32_e32 v95, 0x7fc0, v95, vcc_lo
	v_cmp_o_f32_e32 vcc_lo, v1, v1
	v_add3_u32 v1, v15, v94, 0x7fff
	v_add3_u32 v94, v3, v96, 0x7fff
	v_cndmask_b32_e32 v14, 0x7fc0, v14, vcc_lo
	v_cmp_o_f32_e32 vcc_lo, v13, v13
	v_cndmask_b32_e32 v13, 0x7fc0, v0, vcc_lo
	v_cmp_o_f32_e32 vcc_lo, v2, v2
	v_lshrrev_b32_e32 v0, 16, v1
	v_lshrrev_b32_e32 v1, 16, v94
	v_perm_b32 v2, v11, v10, 0x5040100
	v_cndmask_b32_e32 v17, 0x7fc0, v17, vcc_lo
	v_cmp_o_f32_e32 vcc_lo, v15, v15
	v_cndmask_b32_e32 v15, 0x7fc0, v0, vcc_lo
	v_cmp_o_f32_e32 vcc_lo, v3, v3
	v_perm_b32 v3, v9, v8, 0x5040100
	v_perm_b32 v0, v4, v5, 0x5040100
	;; [unrolled: 1-line block ×4, first 2 shown]
	v_cndmask_b32_e32 v94, 0x7fc0, v1, vcc_lo
	v_perm_b32 v1, v6, v7, 0x5040100
	v_perm_b32 v6, v13, v17, 0x5040100
	s_delay_alu instid0(VALU_DEP_3)
	v_perm_b32 v7, v15, v94, 0x5040100
	ds_store_b128 v52, v[0:3]
	ds_store_b128 v52, v[4:7] offset:16
	; wave barrier
	ds_load_u16 v16, v37 offset:64
	ds_load_u16 v15, v38 offset:128
	;; [unrolled: 1-line block ×15, first 2 shown]
	v_add_co_u32 v0, vcc_lo, v76, s34
	v_add_co_ci_u32_e32 v1, vcc_lo, s35, v77, vcc_lo
	s_and_saveexec_b32 s28, s12
	s_cbranch_execnz .LBB52_284
; %bb.252:                              ;   in Loop: Header=BB52_12 Depth=1
	s_or_b32 exec_lo, exec_lo, s28
	s_and_saveexec_b32 s12, s13
	s_cbranch_execnz .LBB52_285
.LBB52_253:                             ;   in Loop: Header=BB52_12 Depth=1
	s_or_b32 exec_lo, exec_lo, s12
	s_and_saveexec_b32 s12, s14
	s_cbranch_execnz .LBB52_286
.LBB52_254:                             ;   in Loop: Header=BB52_12 Depth=1
	s_or_b32 exec_lo, exec_lo, s12
	s_and_saveexec_b32 s12, s15
	s_cbranch_execnz .LBB52_287
.LBB52_255:                             ;   in Loop: Header=BB52_12 Depth=1
	s_or_b32 exec_lo, exec_lo, s12
	s_and_saveexec_b32 s12, s16
	s_cbranch_execnz .LBB52_288
.LBB52_256:                             ;   in Loop: Header=BB52_12 Depth=1
	s_or_b32 exec_lo, exec_lo, s12
	s_and_saveexec_b32 s12, s17
	s_cbranch_execnz .LBB52_289
.LBB52_257:                             ;   in Loop: Header=BB52_12 Depth=1
	s_or_b32 exec_lo, exec_lo, s12
	s_and_saveexec_b32 s12, s18
	s_cbranch_execnz .LBB52_290
.LBB52_258:                             ;   in Loop: Header=BB52_12 Depth=1
	s_or_b32 exec_lo, exec_lo, s12
	s_and_saveexec_b32 s12, s19
	s_cbranch_execnz .LBB52_291
.LBB52_259:                             ;   in Loop: Header=BB52_12 Depth=1
	s_or_b32 exec_lo, exec_lo, s12
	s_and_saveexec_b32 s12, s20
	s_cbranch_execnz .LBB52_292
.LBB52_260:                             ;   in Loop: Header=BB52_12 Depth=1
	s_or_b32 exec_lo, exec_lo, s12
	s_and_saveexec_b32 s12, s21
	s_cbranch_execnz .LBB52_293
.LBB52_261:                             ;   in Loop: Header=BB52_12 Depth=1
	s_or_b32 exec_lo, exec_lo, s12
	s_and_saveexec_b32 s12, s22
	s_cbranch_execnz .LBB52_294
.LBB52_262:                             ;   in Loop: Header=BB52_12 Depth=1
	s_or_b32 exec_lo, exec_lo, s12
	s_and_saveexec_b32 s12, s23
	s_cbranch_execnz .LBB52_295
.LBB52_263:                             ;   in Loop: Header=BB52_12 Depth=1
	s_or_b32 exec_lo, exec_lo, s12
	s_and_saveexec_b32 s12, s24
	s_cbranch_execnz .LBB52_296
.LBB52_264:                             ;   in Loop: Header=BB52_12 Depth=1
	s_or_b32 exec_lo, exec_lo, s12
	s_and_saveexec_b32 s12, s25
	s_cbranch_execnz .LBB52_297
.LBB52_265:                             ;   in Loop: Header=BB52_12 Depth=1
	s_or_b32 exec_lo, exec_lo, s12
	s_and_saveexec_b32 s12, s26
	s_cbranch_execnz .LBB52_298
.LBB52_266:                             ;   in Loop: Header=BB52_12 Depth=1
	s_or_b32 exec_lo, exec_lo, s12
	s_and_saveexec_b32 s12, s27
	s_cbranch_execz .LBB52_11
	s_branch .LBB52_299
.LBB52_267:                             ;   in Loop: Header=BB52_12 Depth=1
	global_load_u16 v101, v[8:9], off offset:832
	s_or_b32 exec_lo, exec_lo, s28
	s_and_saveexec_b32 s28, s26
	s_cbranch_execz .LBB52_72
.LBB52_268:                             ;   in Loop: Header=BB52_12 Depth=1
	global_load_u16 v100, v[8:9], off offset:896
	s_or_b32 exec_lo, exec_lo, s28
	v_mov_b32_e32 v102, 0
	s_and_saveexec_b32 s28, s27
	s_cbranch_execnz .LBB52_73
	s_branch .LBB52_74
.LBB52_269:                             ;   in Loop: Header=BB52_12 Depth=1
	ds_load_u16 v17, v37
	s_waitcnt lgkmcnt(0)
	global_store_b16 v[0:1], v17, off
	s_or_b32 exec_lo, exec_lo, s28
	s_and_saveexec_b32 s28, s13
	s_cbranch_execz .LBB52_204
.LBB52_270:                             ;   in Loop: Header=BB52_12 Depth=1
	s_waitcnt lgkmcnt(14)
	global_store_b16 v[0:1], v16, off offset:64
	s_or_b32 exec_lo, exec_lo, s28
	s_and_saveexec_b32 s28, s14
	s_cbranch_execz .LBB52_205
.LBB52_271:                             ;   in Loop: Header=BB52_12 Depth=1
	s_waitcnt lgkmcnt(13)
	global_store_b16 v[0:1], v15, off offset:128
	s_or_b32 exec_lo, exec_lo, s28
	s_and_saveexec_b32 s28, s15
	s_cbranch_execz .LBB52_206
.LBB52_272:                             ;   in Loop: Header=BB52_12 Depth=1
	s_waitcnt lgkmcnt(12)
	global_store_b16 v[0:1], v14, off offset:192
	s_or_b32 exec_lo, exec_lo, s28
	s_and_saveexec_b32 s28, s16
	s_cbranch_execz .LBB52_207
.LBB52_273:                             ;   in Loop: Header=BB52_12 Depth=1
	s_waitcnt lgkmcnt(11)
	global_store_b16 v[0:1], v13, off offset:256
	s_or_b32 exec_lo, exec_lo, s28
	s_and_saveexec_b32 s28, s17
	s_cbranch_execz .LBB52_208
.LBB52_274:                             ;   in Loop: Header=BB52_12 Depth=1
	s_waitcnt lgkmcnt(10)
	global_store_b16 v[0:1], v12, off offset:320
	s_or_b32 exec_lo, exec_lo, s28
	s_and_saveexec_b32 s28, s18
	s_cbranch_execz .LBB52_209
.LBB52_275:                             ;   in Loop: Header=BB52_12 Depth=1
	s_waitcnt lgkmcnt(9)
	global_store_b16 v[0:1], v11, off offset:384
	s_or_b32 exec_lo, exec_lo, s28
	s_and_saveexec_b32 s28, s19
	s_cbranch_execz .LBB52_210
.LBB52_276:                             ;   in Loop: Header=BB52_12 Depth=1
	s_waitcnt lgkmcnt(8)
	global_store_b16 v[0:1], v10, off offset:448
	s_or_b32 exec_lo, exec_lo, s28
	s_and_saveexec_b32 s28, s20
	s_cbranch_execz .LBB52_211
.LBB52_277:                             ;   in Loop: Header=BB52_12 Depth=1
	s_waitcnt lgkmcnt(7)
	global_store_b16 v[0:1], v9, off offset:512
	s_or_b32 exec_lo, exec_lo, s28
	s_and_saveexec_b32 s28, s21
	s_cbranch_execz .LBB52_212
.LBB52_278:                             ;   in Loop: Header=BB52_12 Depth=1
	s_waitcnt lgkmcnt(6)
	global_store_b16 v[0:1], v8, off offset:576
	s_or_b32 exec_lo, exec_lo, s28
	s_and_saveexec_b32 s28, s22
	s_cbranch_execz .LBB52_213
.LBB52_279:                             ;   in Loop: Header=BB52_12 Depth=1
	s_waitcnt lgkmcnt(5)
	global_store_b16 v[0:1], v7, off offset:640
	s_or_b32 exec_lo, exec_lo, s28
	s_and_saveexec_b32 s28, s23
	s_cbranch_execz .LBB52_214
.LBB52_280:                             ;   in Loop: Header=BB52_12 Depth=1
	s_waitcnt lgkmcnt(4)
	global_store_b16 v[0:1], v6, off offset:704
	s_or_b32 exec_lo, exec_lo, s28
	s_and_saveexec_b32 s28, s24
	s_cbranch_execz .LBB52_215
.LBB52_281:                             ;   in Loop: Header=BB52_12 Depth=1
	s_waitcnt lgkmcnt(3)
	global_store_b16 v[0:1], v5, off offset:768
	s_or_b32 exec_lo, exec_lo, s28
	s_and_saveexec_b32 s28, s25
	s_cbranch_execz .LBB52_216
.LBB52_282:                             ;   in Loop: Header=BB52_12 Depth=1
	s_waitcnt lgkmcnt(2)
	global_store_b16 v[0:1], v4, off offset:832
	s_or_b32 exec_lo, exec_lo, s28
	s_and_saveexec_b32 s28, s26
	s_cbranch_execz .LBB52_217
.LBB52_283:                             ;   in Loop: Header=BB52_12 Depth=1
	s_waitcnt lgkmcnt(1)
	global_store_b16 v[0:1], v3, off offset:896
	s_or_b32 exec_lo, exec_lo, s28
	s_and_saveexec_b32 s28, s27
	s_cbranch_execnz .LBB52_218
	s_branch .LBB52_219
.LBB52_284:                             ;   in Loop: Header=BB52_12 Depth=1
	ds_load_u16 v17, v37
	s_waitcnt lgkmcnt(0)
	global_store_b16 v[0:1], v17, off
	s_or_b32 exec_lo, exec_lo, s28
	s_and_saveexec_b32 s12, s13
	s_cbranch_execz .LBB52_253
.LBB52_285:                             ;   in Loop: Header=BB52_12 Depth=1
	s_waitcnt lgkmcnt(14)
	global_store_b16 v[0:1], v16, off offset:64
	s_or_b32 exec_lo, exec_lo, s12
	s_and_saveexec_b32 s12, s14
	s_cbranch_execz .LBB52_254
.LBB52_286:                             ;   in Loop: Header=BB52_12 Depth=1
	s_waitcnt lgkmcnt(13)
	global_store_b16 v[0:1], v15, off offset:128
	s_or_b32 exec_lo, exec_lo, s12
	s_and_saveexec_b32 s12, s15
	s_cbranch_execz .LBB52_255
.LBB52_287:                             ;   in Loop: Header=BB52_12 Depth=1
	s_waitcnt lgkmcnt(12)
	global_store_b16 v[0:1], v14, off offset:192
	s_or_b32 exec_lo, exec_lo, s12
	s_and_saveexec_b32 s12, s16
	s_cbranch_execz .LBB52_256
.LBB52_288:                             ;   in Loop: Header=BB52_12 Depth=1
	s_waitcnt lgkmcnt(11)
	global_store_b16 v[0:1], v13, off offset:256
	s_or_b32 exec_lo, exec_lo, s12
	s_and_saveexec_b32 s12, s17
	s_cbranch_execz .LBB52_257
.LBB52_289:                             ;   in Loop: Header=BB52_12 Depth=1
	s_waitcnt lgkmcnt(10)
	global_store_b16 v[0:1], v12, off offset:320
	s_or_b32 exec_lo, exec_lo, s12
	s_and_saveexec_b32 s12, s18
	s_cbranch_execz .LBB52_258
.LBB52_290:                             ;   in Loop: Header=BB52_12 Depth=1
	s_waitcnt lgkmcnt(9)
	global_store_b16 v[0:1], v11, off offset:384
	s_or_b32 exec_lo, exec_lo, s12
	s_and_saveexec_b32 s12, s19
	s_cbranch_execz .LBB52_259
.LBB52_291:                             ;   in Loop: Header=BB52_12 Depth=1
	s_waitcnt lgkmcnt(8)
	global_store_b16 v[0:1], v10, off offset:448
	s_or_b32 exec_lo, exec_lo, s12
	s_and_saveexec_b32 s12, s20
	s_cbranch_execz .LBB52_260
.LBB52_292:                             ;   in Loop: Header=BB52_12 Depth=1
	s_waitcnt lgkmcnt(7)
	global_store_b16 v[0:1], v9, off offset:512
	s_or_b32 exec_lo, exec_lo, s12
	s_and_saveexec_b32 s12, s21
	s_cbranch_execz .LBB52_261
.LBB52_293:                             ;   in Loop: Header=BB52_12 Depth=1
	s_waitcnt lgkmcnt(6)
	global_store_b16 v[0:1], v8, off offset:576
	s_or_b32 exec_lo, exec_lo, s12
	s_and_saveexec_b32 s12, s22
	s_cbranch_execz .LBB52_262
.LBB52_294:                             ;   in Loop: Header=BB52_12 Depth=1
	s_waitcnt lgkmcnt(5)
	global_store_b16 v[0:1], v7, off offset:640
	s_or_b32 exec_lo, exec_lo, s12
	s_and_saveexec_b32 s12, s23
	s_cbranch_execz .LBB52_263
.LBB52_295:                             ;   in Loop: Header=BB52_12 Depth=1
	s_waitcnt lgkmcnt(4)
	global_store_b16 v[0:1], v6, off offset:704
	s_or_b32 exec_lo, exec_lo, s12
	s_and_saveexec_b32 s12, s24
	s_cbranch_execz .LBB52_264
.LBB52_296:                             ;   in Loop: Header=BB52_12 Depth=1
	s_waitcnt lgkmcnt(3)
	global_store_b16 v[0:1], v5, off offset:768
	s_or_b32 exec_lo, exec_lo, s12
	s_and_saveexec_b32 s12, s25
	s_cbranch_execz .LBB52_265
.LBB52_297:                             ;   in Loop: Header=BB52_12 Depth=1
	s_waitcnt lgkmcnt(2)
	global_store_b16 v[0:1], v4, off offset:832
	s_or_b32 exec_lo, exec_lo, s12
	s_and_saveexec_b32 s12, s26
	s_cbranch_execz .LBB52_266
.LBB52_298:                             ;   in Loop: Header=BB52_12 Depth=1
	s_waitcnt lgkmcnt(1)
	global_store_b16 v[0:1], v3, off offset:896
	s_or_b32 exec_lo, exec_lo, s12
	s_and_saveexec_b32 s12, s27
	s_cbranch_execz .LBB52_11
.LBB52_299:                             ;   in Loop: Header=BB52_12 Depth=1
	s_waitcnt lgkmcnt(0)
	global_store_b16 v[0:1], v2, off offset:960
	s_branch .LBB52_11
.LBB52_300:
	s_nop 0
	s_sendmsg sendmsg(MSG_DEALLOC_VGPRS)
	s_endpgm
	.section	.rodata,"a",@progbits
	.p2align	6, 0x0
	.amdhsa_kernel _Z25selective_scan_fwd_kernelI32Selective_Scan_fwd_kernel_traitsILi64ELi16ELi1ELb0ELb1ELb1ELb1ELb1EN3c108BFloat16EffEEv13SSMParamsBase
		.amdhsa_group_segment_fixed_size 0
		.amdhsa_private_segment_fixed_size 0
		.amdhsa_kernarg_size 248
		.amdhsa_user_sgpr_count 14
		.amdhsa_user_sgpr_dispatch_ptr 0
		.amdhsa_user_sgpr_queue_ptr 0
		.amdhsa_user_sgpr_kernarg_segment_ptr 1
		.amdhsa_user_sgpr_dispatch_id 0
		.amdhsa_user_sgpr_private_segment_size 0
		.amdhsa_wavefront_size32 1
		.amdhsa_uses_dynamic_stack 0
		.amdhsa_enable_private_segment 0
		.amdhsa_system_sgpr_workgroup_id_x 1
		.amdhsa_system_sgpr_workgroup_id_y 1
		.amdhsa_system_sgpr_workgroup_id_z 0
		.amdhsa_system_sgpr_workgroup_info 0
		.amdhsa_system_vgpr_workitem_id 0
		.amdhsa_next_free_vgpr 176
		.amdhsa_next_free_sgpr 92
		.amdhsa_reserve_vcc 1
		.amdhsa_float_round_mode_32 0
		.amdhsa_float_round_mode_16_64 0
		.amdhsa_float_denorm_mode_32 3
		.amdhsa_float_denorm_mode_16_64 3
		.amdhsa_dx10_clamp 1
		.amdhsa_ieee_mode 1
		.amdhsa_fp16_overflow 0
		.amdhsa_workgroup_processor_mode 1
		.amdhsa_memory_ordered 1
		.amdhsa_forward_progress 0
		.amdhsa_shared_vgpr_count 0
		.amdhsa_exception_fp_ieee_invalid_op 0
		.amdhsa_exception_fp_denorm_src 0
		.amdhsa_exception_fp_ieee_div_zero 0
		.amdhsa_exception_fp_ieee_overflow 0
		.amdhsa_exception_fp_ieee_underflow 0
		.amdhsa_exception_fp_ieee_inexact 0
		.amdhsa_exception_int_div_zero 0
	.end_amdhsa_kernel
	.section	.text._Z25selective_scan_fwd_kernelI32Selective_Scan_fwd_kernel_traitsILi64ELi16ELi1ELb0ELb1ELb1ELb1ELb1EN3c108BFloat16EffEEv13SSMParamsBase,"axG",@progbits,_Z25selective_scan_fwd_kernelI32Selective_Scan_fwd_kernel_traitsILi64ELi16ELi1ELb0ELb1ELb1ELb1ELb1EN3c108BFloat16EffEEv13SSMParamsBase,comdat
.Lfunc_end52:
	.size	_Z25selective_scan_fwd_kernelI32Selective_Scan_fwd_kernel_traitsILi64ELi16ELi1ELb0ELb1ELb1ELb1ELb1EN3c108BFloat16EffEEv13SSMParamsBase, .Lfunc_end52-_Z25selective_scan_fwd_kernelI32Selective_Scan_fwd_kernel_traitsILi64ELi16ELi1ELb0ELb1ELb1ELb1ELb1EN3c108BFloat16EffEEv13SSMParamsBase
                                        ; -- End function
	.section	.AMDGPU.csdata,"",@progbits
; Kernel info:
; codeLenInByte = 26964
; NumSgprs: 94
; NumVgprs: 176
; ScratchSize: 0
; MemoryBound: 0
; FloatMode: 240
; IeeeMode: 1
; LDSByteSize: 0 bytes/workgroup (compile time only)
; SGPRBlocks: 11
; VGPRBlocks: 21
; NumSGPRsForWavesPerEU: 94
; NumVGPRsForWavesPerEU: 176
; Occupancy: 8
; WaveLimiterHint : 1
; COMPUTE_PGM_RSRC2:SCRATCH_EN: 0
; COMPUTE_PGM_RSRC2:USER_SGPR: 14
; COMPUTE_PGM_RSRC2:TRAP_HANDLER: 0
; COMPUTE_PGM_RSRC2:TGID_X_EN: 1
; COMPUTE_PGM_RSRC2:TGID_Y_EN: 1
; COMPUTE_PGM_RSRC2:TGID_Z_EN: 0
; COMPUTE_PGM_RSRC2:TIDIG_COMP_CNT: 0
	.section	.text._Z25selective_scan_fwd_kernelI32Selective_Scan_fwd_kernel_traitsILi64ELi16ELi1ELb0ELb1ELb1ELb1ELb0EN3c108BFloat16EffEEv13SSMParamsBase,"axG",@progbits,_Z25selective_scan_fwd_kernelI32Selective_Scan_fwd_kernel_traitsILi64ELi16ELi1ELb0ELb1ELb1ELb1ELb0EN3c108BFloat16EffEEv13SSMParamsBase,comdat
	.protected	_Z25selective_scan_fwd_kernelI32Selective_Scan_fwd_kernel_traitsILi64ELi16ELi1ELb0ELb1ELb1ELb1ELb0EN3c108BFloat16EffEEv13SSMParamsBase ; -- Begin function _Z25selective_scan_fwd_kernelI32Selective_Scan_fwd_kernel_traitsILi64ELi16ELi1ELb0ELb1ELb1ELb1ELb0EN3c108BFloat16EffEEv13SSMParamsBase
	.globl	_Z25selective_scan_fwd_kernelI32Selective_Scan_fwd_kernel_traitsILi64ELi16ELi1ELb0ELb1ELb1ELb1ELb0EN3c108BFloat16EffEEv13SSMParamsBase
	.p2align	8
	.type	_Z25selective_scan_fwd_kernelI32Selective_Scan_fwd_kernel_traitsILi64ELi16ELi1ELb0ELb1ELb1ELb1ELb0EN3c108BFloat16EffEEv13SSMParamsBase,@function
_Z25selective_scan_fwd_kernelI32Selective_Scan_fwd_kernel_traitsILi64ELi16ELi1ELb0ELb1ELb1ELb1ELb0EN3c108BFloat16EffEEv13SSMParamsBase: ; @_Z25selective_scan_fwd_kernelI32Selective_Scan_fwd_kernel_traitsILi64ELi16ELi1ELb0ELb1ELb1ELb1ELb0EN3c108BFloat16EffEEv13SSMParamsBase
; %bb.0:
	s_clause 0x1
	s_load_b32 s9, s[0:1], 0x18
	s_load_b128 s[4:7], s[0:1], 0xe8
	s_mov_b32 s12, s15
	s_mov_b32 s47, 0
	s_waitcnt lgkmcnt(0)
	s_abs_i32 s8, s9
	s_cmp_eq_u64 s[6:7], 0
	v_cvt_f32_u32_e32 v1, s8
	s_delay_alu instid0(VALU_DEP_1) | instskip(SKIP_2) | instid1(VALU_DEP_1)
	v_rcp_iflag_f32_e32 v1, v1
	s_waitcnt_depctr 0xfff
	v_mul_f32_e32 v1, 0x4f7ffffe, v1
	v_cvt_u32_f32_e32 v1, v1
	s_delay_alu instid0(VALU_DEP_1)
	v_readfirstlane_b32 s10, v1
	s_cbranch_scc1 .LBB53_2
; %bb.1:
	v_mov_b32_e32 v1, 0
	s_ashr_i32 s3, s14, 31
	s_add_u32 s2, s6, s14
	s_addc_u32 s3, s7, s3
	global_load_u8 v1, v1, s[2:3]
	s_waitcnt vmcnt(0)
	v_and_b32_e32 v1, 1, v1
	s_delay_alu instid0(VALU_DEP_1)
	v_cmp_eq_u32_e64 s47, 1, v1
.LBB53_2:
	s_load_b64 s[6:7], s[0:1], 0x20
	s_cmp_eq_u64 s[4:5], 0
	s_cbranch_scc1 .LBB53_4
; %bb.3:
	s_ashr_i32 s15, s14, 31
	s_delay_alu instid0(SALU_CYCLE_1) | instskip(NEXT) | instid1(SALU_CYCLE_1)
	s_lshl_b64 s[2:3], s[14:15], 2
	s_add_u32 s2, s4, s2
	s_addc_u32 s3, s5, s3
	s_load_b32 s2, s[2:3], 0x0
	s_waitcnt lgkmcnt(0)
	s_ashr_i32 s3, s2, 31
	s_delay_alu instid0(SALU_CYCLE_1)
	s_cmp_eq_u64 s[6:7], s[2:3]
	s_cbranch_scc0 .LBB53_5
	s_branch .LBB53_300
.LBB53_4:
	s_mov_b32 s2, s14
	s_delay_alu instid0(SALU_CYCLE_1)
	s_ashr_i32 s3, s2, 31
	s_waitcnt lgkmcnt(0)
	s_cmp_eq_u64 s[6:7], s[2:3]
	s_cbranch_scc1 .LBB53_300
.LBB53_5:
	s_clause 0x1
	s_load_b512 s[16:31], s[0:1], 0x88
	s_load_b64 s[64:65], s[0:1], 0x8
	s_mov_b32 s68, 0
	s_mov_b32 s69, 0
	s_waitcnt lgkmcnt(0)
	s_cmp_eq_u64 s[22:23], 0
	s_cbranch_scc1 .LBB53_7
; %bb.6:
	s_ashr_i32 s13, s12, 31
	s_delay_alu instid0(SALU_CYCLE_1) | instskip(NEXT) | instid1(SALU_CYCLE_1)
	s_lshl_b64 s[4:5], s[12:13], 2
	s_add_u32 s4, s22, s4
	s_addc_u32 s5, s23, s5
	s_load_b32 s69, s[4:5], 0x0
.LBB53_7:
	s_cmp_eq_u64 s[28:29], 0
	s_cbranch_scc1 .LBB53_9
; %bb.8:
	s_ashr_i32 s13, s12, 31
	s_delay_alu instid0(SALU_CYCLE_1) | instskip(NEXT) | instid1(SALU_CYCLE_1)
	s_lshl_b64 s[4:5], s[12:13], 2
	s_add_u32 s4, s28, s4
	s_addc_u32 s5, s29, s5
	s_load_b32 s68, s[4:5], 0x0
.LBB53_9:
	s_cmp_lt_i32 s64, 1
	s_cbranch_scc1 .LBB53_300
; %bb.10:
	s_sub_i32 s3, 0, s8
	s_load_b256 s[48:55], s[0:1], 0x4c
	s_mul_i32 s3, s3, s10
	s_abs_i32 s4, s12
	s_mul_hi_u32 s3, s10, s3
	s_ashr_i32 s6, s9, 31
	s_add_i32 s10, s10, s3
	s_ashr_i32 s3, s12, 31
	s_mul_hi_u32 s5, s4, s10
	s_xor_b32 s3, s3, s6
	s_mul_i32 s7, s5, s8
	s_add_i32 s6, s5, 1
	s_sub_i32 s4, s4, s7
	s_load_b256 s[56:63], s[0:1], 0x2c
	s_sub_i32 s7, s4, s8
	s_cmp_ge_u32 s4, s8
	s_mov_b32 s67, 0
	s_cselect_b32 s5, s6, s5
	s_cselect_b32 s4, s7, s4
	s_add_i32 s6, s5, 1
	s_cmp_ge_u32 s4, s8
	s_waitcnt lgkmcnt(0)
	s_mul_i32 s66, s50, s14
	s_cselect_b32 s6, s6, s5
	s_lshl_b64 s[4:5], s[66:67], 1
	s_xor_b32 s6, s6, s3
	s_mul_i32 s66, s51, s12
	s_sub_i32 s3, s6, s3
	s_add_u32 s6, s24, s4
	s_addc_u32 s7, s25, s5
	s_lshl_b64 s[4:5], s[66:67], 1
	s_mul_i32 s66, s52, s14
	s_add_u32 s63, s6, s4
	s_addc_u32 s70, s7, s5
	s_lshl_b64 s[4:5], s[66:67], 1
	s_mul_i32 s66, s53, s12
	;; [unrolled: 4-line block ×4, first 2 shown]
	s_load_b64 s[6:7], s[0:1], 0x7c
	s_add_u32 s72, s16, s4
	s_addc_u32 s73, s17, s5
	s_lshl_b64 s[4:5], s[66:67], 1
	v_dual_mov_b32 v21, 0 :: v_dual_lshlrev_b32 v18, 4, v0
	s_mul_i32 s66, s3, s61
	s_load_b128 s[24:27], s[0:1], 0xc8
	s_add_u32 s8, s18, s4
	s_addc_u32 s9, s19, s5
	s_lshl_b64 s[4:5], s[66:67], 1
	s_mul_i32 s66, s62, s14
	s_add_u32 s61, s8, s4
	v_mbcnt_lo_u32_b32 v19, -1, 0
	v_and_b32_e32 v1, 0x200, v18
	s_addc_u32 s62, s9, s5
	s_lshl_b64 s[4:5], s[66:67], 1
	s_load_b128 s[16:19], s[0:1], 0x6c
	s_add_u32 s8, s20, s4
	s_mul_i32 s66, s3, s49
	s_addc_u32 s3, s21, s5
	s_clause 0x2
	s_load_b32 s49, s[0:1], 0x84
	s_load_b64 s[20:21], s[0:1], 0xd8
	s_load_b32 s0, s[0:1], 0x28
	v_or_b32_e32 v20, v19, v1
	v_and_b32_e32 v14, 32, v0
	s_lshl_b64 s[4:5], s[66:67], 1
	s_waitcnt lgkmcnt(0)
	s_mul_i32 s66, s2, s6
	s_add_u32 s74, s8, s4
	v_or_b32_e32 v24, 0x60, v20
	s_addc_u32 s75, s3, s5
	s_lshl_b64 s[2:3], s[66:67], 2
	v_or_b32_e32 v26, 0xa0, v20
	v_or_b32_e32 v28, 0xe0, v20
	;; [unrolled: 1-line block ×5, first 2 shown]
	v_lshrrev_b32_e32 v2, 5, v24
	v_or_b32_e32 v36, 0x1e0, v20
	v_or_b32_e32 v16, v19, v14
	s_mul_i32 s66, s7, s12
	s_add_u32 s4, s24, s2
	s_addc_u32 s5, s25, s3
	s_lshl_b64 s[2:3], s[66:67], 2
	v_or_b32_e32 v23, 64, v20
	s_add_u32 s76, s4, s2
	v_or_b32_e32 v25, 0x80, v20
	v_or_b32_e32 v27, 0xc0, v20
	;; [unrolled: 1-line block ×6, first 2 shown]
	v_and_b32_e32 v2, 18, v2
	v_lshrrev_b32_e32 v5, 5, v26
	v_lshrrev_b32_e32 v8, 5, v28
	;; [unrolled: 1-line block ×6, first 2 shown]
	v_lshrrev_b16 v50, 1, v16
	s_addc_u32 s77, s5, s3
	s_add_i32 s2, s64, 0x7ff
	v_lshrrev_b32_e32 v3, 5, v1
	s_lshr_b32 s78, s2, 11
	s_bitcmp1_b32 s0, 0
	v_lshrrev_b32_e32 v4, 5, v23
	v_lshrrev_b32_e32 v6, 5, v25
	v_add_lshl_u32 v2, v2, v20, 1
	v_and_b32_e32 v5, 20, v5
	v_lshrrev_b32_e32 v7, 5, v27
	v_and_b32_e32 v8, 22, v8
	v_lshrrev_b32_e32 v10, 5, v29
	;; [unrolled: 2-line block ×5, first 2 shown]
	v_and_b32_e32 v51, 30, v49
	v_lshlrev_b32_e32 v16, 4, v16
	v_and_b32_e32 v52, 30, v50
	s_cselect_b32 s79, -1, 0
	s_cmp_gt_i32 s65, 0
	v_add_lshl_u32 v3, v3, v20, 1
	s_cselect_b32 s80, -1, 0
	s_add_i32 s0, 0, 0x840
	v_add_lshl_u32 v4, v4, v20, 1
	v_add_lshl_u32 v6, v6, v20, 1
	v_add_nc_u32_e32 v39, 0, v2
	v_add_lshl_u32 v5, v5, v20, 1
	v_add_lshl_u32 v7, v7, v20, 1
	;; [unrolled: 1-line block ×12, first 2 shown]
	v_add_nc_u32_e32 v55, s0, v2
	v_and_b32_e32 v2, 15, v19
	s_and_b32 s1, s64, 0x3ff
	v_add_nc_u32_e32 v51, 0, v67
	v_add_nc_u32_e32 v53, s0, v3
	;; [unrolled: 1-line block ×15, first 2 shown]
	s_cmp_eq_u32 s1, 0
	v_add_nc_u32_e32 v68, s0, v16
	v_cmp_ne_u32_e64 s0, 0, v2
	v_cmp_lt_u32_e64 s1, 1, v2
	v_cmp_lt_u32_e64 s2, 3, v2
	;; [unrolled: 1-line block ×3, first 2 shown]
	v_add_nc_u32_e32 v2, -1, v19
	v_add_nc_u32_e32 v37, 0, v3
	v_lshrrev_b32_e32 v3, 2, v0
	s_mul_i32 s66, s16, s14
	v_add_nc_u32_e32 v41, 0, v5
	s_cselect_b32 s81, -1, 0
	v_or_b32_e32 v5, 31, v14
	v_cmp_gt_i32_e32 vcc_lo, 0, v2
	s_lshl_b64 s[22:23], s[66:67], 1
	s_add_i32 s82, s78, -1
	s_mul_i32 s66, s17, s12
	v_and_b32_e32 v3, 8, v3
	v_cndmask_b32_e32 v2, v2, v19, vcc_lo
	s_add_u32 s13, s30, s22
	s_addc_u32 s15, s31, s23
	s_lshl_b64 s[16:17], s[66:67], 1
	s_mul_i32 s66, s54, s14
	v_cmp_eq_u32_e64 s5, v5, v0
	v_cmp_gt_u32_e64 s6, 2, v0
	v_lshl_add_u32 v70, v0, 3, 0
	v_cmp_gt_u32_e64 s8, 32, v0
	v_cmp_lt_u32_e64 s9, 31, v0
	v_cmp_eq_u32_e64 s10, 0, v0
	s_add_u32 s13, s13, s16
	v_lshlrev_b32_e32 v0, 1, v19
	s_addc_u32 s15, s15, s17
	s_lshl_b64 s[16:17], s[66:67], 1
	v_add_nc_u32_e32 v38, 0, v4
	v_and_b32_e32 v4, 16, v19
	v_add_nc_u32_e32 v69, 0, v3
	v_and_b32_e32 v3, 1, v19
	s_mul_i32 s66, s55, s12
	s_add_u32 s22, s26, s16
	s_addc_u32 s23, s27, s17
	s_lshl_b64 s[16:17], s[66:67], 1
	v_lshlrev_b32_e32 v71, 2, v2
	v_add_co_u32 v2, s13, s13, v0
	s_mul_i32 s66, s18, s14
	s_add_u32 s16, s22, s16
	v_cmp_ne_u32_e64 s4, 0, v4
	v_cmp_eq_u32_e64 s7, 0, v3
	v_add_co_ci_u32_e64 v3, null, s15, 0, s13
	s_addc_u32 s17, s23, s17
	s_lshl_b64 s[14:15], s[66:67], 1
	v_lshlrev_b32_e32 v4, 1, v1
	s_mul_i32 s66, s19, s12
	s_add_u32 s14, s20, s14
	s_addc_u32 s15, s21, s15
	s_lshl_b64 s[12:13], s[66:67], 1
	v_add_co_u32 v72, vcc_lo, v2, v4
	s_add_u32 s12, s14, s12
	v_add_co_u32 v2, s14, s16, v0
	v_add_co_ci_u32_e32 v73, vcc_lo, 0, v3, vcc_lo
	v_add_co_ci_u32_e64 v3, null, s17, 0, s14
	s_addc_u32 s13, s15, s13
	v_add_co_u32 v0, s12, s12, v0
	s_delay_alu instid0(VALU_DEP_1) | instskip(SKIP_2) | instid1(VALU_DEP_4)
	v_add_co_ci_u32_e64 v5, null, s13, 0, s12
	v_add_co_u32 v74, vcc_lo, v2, v4
	v_add_co_ci_u32_e32 v75, vcc_lo, 0, v3, vcc_lo
	v_add_co_u32 v76, vcc_lo, v0, v4
	v_or_b32_e32 v22, 32, v20
	v_add_nc_u32_e32 v40, 0, v6
	v_add_nc_u32_e32 v42, 0, v7
	;; [unrolled: 1-line block ×11, first 2 shown]
	v_cmp_eq_u32_e64 s11, 0, v19
	v_add_co_ci_u32_e32 v77, vcc_lo, 0, v5, vcc_lo
	v_or_b32_e32 v78, 1, v18
	v_or_b32_e32 v79, 2, v18
	;; [unrolled: 1-line block ×15, first 2 shown]
	v_lshlrev_b32_e32 v93, 1, v1
	s_mov_b32 s83, 0x3e9b6dac
	s_add_i32 s84, 0, 0x1090
	s_mov_b32 s85, 0
	s_branch .LBB53_12
.LBB53_11:                              ;   in Loop: Header=BB53_12 Depth=1
	s_or_b32 exec_lo, exec_lo, s12
	s_add_u32 s71, s71, 0x800
	s_addc_u32 s56, s56, 0
	s_add_u32 s63, s63, 0x800
	s_addc_u32 s70, s70, 0
	;; [unrolled: 2-line block ×4, first 2 shown]
	s_add_i32 s85, s85, 1
	s_delay_alu instid0(SALU_CYCLE_1)
	s_cmp_lg_u32 s85, s78
	s_cbranch_scc0 .LBB53_300
.LBB53_12:                              ; =>This Loop Header: Depth=1
                                        ;     Child Loop BB53_109 Depth 2
	s_waitcnt lgkmcnt(14)
	v_lshlrev_b32_e32 v16, 1, v19
	s_lshl_b32 s50, s85, 10
	s_waitcnt lgkmcnt(0)
	v_mov_b32_e32 v2, 0
	s_sub_i32 s40, s64, s50
	v_add_co_u32 v0, s12, s63, v16
	s_delay_alu instid0(VALU_DEP_1) | instskip(SKIP_1) | instid1(VALU_DEP_3)
	v_add_co_ci_u32_e64 v1, null, s70, 0, s12
	v_cmp_gt_u32_e64 s12, s40, v20
	v_add_co_u32 v0, vcc_lo, v0, v93
	s_delay_alu instid0(VALU_DEP_3)
	v_add_co_ci_u32_e32 v1, vcc_lo, 0, v1, vcc_lo
	s_waitcnt_vscnt null, 0x0
	s_barrier
	buffer_gl0_inv
	s_and_saveexec_b32 s13, s12
	s_cbranch_execz .LBB53_14
; %bb.13:                               ;   in Loop: Header=BB53_12 Depth=1
	global_load_u16 v2, v[0:1], off
.LBB53_14:                              ;   in Loop: Header=BB53_12 Depth=1
	s_or_b32 exec_lo, exec_lo, s13
	v_cmp_gt_u32_e64 s13, s40, v22
	v_dual_mov_b32 v3, 0 :: v_dual_mov_b32 v4, 0
	s_delay_alu instid0(VALU_DEP_2)
	s_and_saveexec_b32 s14, s13
	s_cbranch_execz .LBB53_16
; %bb.15:                               ;   in Loop: Header=BB53_12 Depth=1
	global_load_u16 v4, v[0:1], off offset:64
.LBB53_16:                              ;   in Loop: Header=BB53_12 Depth=1
	s_or_b32 exec_lo, exec_lo, s14
	v_cmp_gt_u32_e64 s14, s40, v23
	s_delay_alu instid0(VALU_DEP_1)
	s_and_saveexec_b32 s15, s14
	s_cbranch_execz .LBB53_18
; %bb.17:                               ;   in Loop: Header=BB53_12 Depth=1
	global_load_u16 v3, v[0:1], off offset:128
.LBB53_18:                              ;   in Loop: Header=BB53_12 Depth=1
	s_or_b32 exec_lo, exec_lo, s15
	v_cmp_gt_u32_e64 s15, s40, v24
	v_dual_mov_b32 v5, 0 :: v_dual_mov_b32 v6, 0
	s_delay_alu instid0(VALU_DEP_2)
	s_and_saveexec_b32 s16, s15
	s_cbranch_execz .LBB53_20
; %bb.19:                               ;   in Loop: Header=BB53_12 Depth=1
	global_load_u16 v6, v[0:1], off offset:192
.LBB53_20:                              ;   in Loop: Header=BB53_12 Depth=1
	s_or_b32 exec_lo, exec_lo, s16
	v_cmp_gt_u32_e64 s16, s40, v25
	s_delay_alu instid0(VALU_DEP_1)
	s_and_saveexec_b32 s17, s16
	s_cbranch_execz .LBB53_22
; %bb.21:                               ;   in Loop: Header=BB53_12 Depth=1
	global_load_u16 v5, v[0:1], off offset:256
.LBB53_22:                              ;   in Loop: Header=BB53_12 Depth=1
	;; [unrolled: 17-line block ×3, first 2 shown]
	s_or_b32 exec_lo, exec_lo, s19
	v_cmp_gt_u32_e64 s19, s40, v28
	v_mov_b32_e32 v9, 0
	v_mov_b32_e32 v11, 0
	s_delay_alu instid0(VALU_DEP_3)
	s_and_saveexec_b32 s20, s19
	s_cbranch_execz .LBB53_28
; %bb.27:                               ;   in Loop: Header=BB53_12 Depth=1
	global_load_u16 v11, v[0:1], off offset:448
.LBB53_28:                              ;   in Loop: Header=BB53_12 Depth=1
	s_or_b32 exec_lo, exec_lo, s20
	v_cmp_gt_u32_e64 s20, s40, v29
	s_delay_alu instid0(VALU_DEP_1)
	s_and_saveexec_b32 s21, s20
	s_cbranch_execz .LBB53_30
; %bb.29:                               ;   in Loop: Header=BB53_12 Depth=1
	global_load_u16 v9, v[0:1], off offset:512
.LBB53_30:                              ;   in Loop: Header=BB53_12 Depth=1
	s_or_b32 exec_lo, exec_lo, s21
	v_cmp_gt_u32_e64 s21, s40, v30
	v_dual_mov_b32 v12, 0 :: v_dual_mov_b32 v13, 0
	s_delay_alu instid0(VALU_DEP_2)
	s_and_saveexec_b32 s22, s21
	s_cbranch_execz .LBB53_32
; %bb.31:                               ;   in Loop: Header=BB53_12 Depth=1
	global_load_u16 v13, v[0:1], off offset:576
.LBB53_32:                              ;   in Loop: Header=BB53_12 Depth=1
	s_or_b32 exec_lo, exec_lo, s22
	v_cmp_gt_u32_e64 s22, s40, v31
	s_delay_alu instid0(VALU_DEP_1)
	s_and_saveexec_b32 s23, s22
	s_cbranch_execz .LBB53_34
; %bb.33:                               ;   in Loop: Header=BB53_12 Depth=1
	global_load_u16 v12, v[0:1], off offset:640
.LBB53_34:                              ;   in Loop: Header=BB53_12 Depth=1
	s_or_b32 exec_lo, exec_lo, s23
	v_cmp_gt_u32_e64 s23, s40, v32
	v_dual_mov_b32 v14, 0 :: v_dual_mov_b32 v15, 0
	s_delay_alu instid0(VALU_DEP_2)
	;; [unrolled: 17-line block ×4, first 2 shown]
	s_and_saveexec_b32 s28, s27
	s_cbranch_execz .LBB53_44
; %bb.43:                               ;   in Loop: Header=BB53_12 Depth=1
	global_load_u16 v95, v[0:1], off offset:960
.LBB53_44:                              ;   in Loop: Header=BB53_12 Depth=1
	s_or_b32 exec_lo, exec_lo, s28
	s_waitcnt vmcnt(0)
	ds_store_b16 v37, v2
	ds_store_b16 v37, v4 offset:64
	ds_store_b16 v38, v3 offset:128
	;; [unrolled: 1-line block ×15, first 2 shown]
	; wave barrier
	ds_load_b128 v[0:3], v52
	ds_load_b128 v[4:7], v52 offset:16
	v_add_co_u32 v8, s28, s71, v16
	s_delay_alu instid0(VALU_DEP_1) | instskip(SKIP_1) | instid1(VALU_DEP_2)
	v_add_co_ci_u32_e64 v9, null, s56, 0, s28
	s_waitcnt lgkmcnt(0)
	v_add_co_u32 v8, vcc_lo, v8, v93
	s_delay_alu instid0(VALU_DEP_2)
	v_add_co_ci_u32_e32 v9, vcc_lo, 0, v9, vcc_lo
	s_barrier
	buffer_gl0_inv
	s_and_saveexec_b32 s28, s12
	s_cbranch_execz .LBB53_46
; %bb.45:                               ;   in Loop: Header=BB53_12 Depth=1
	global_load_u16 v10, v[8:9], off
.LBB53_46:                              ;   in Loop: Header=BB53_12 Depth=1
	s_or_b32 exec_lo, exec_lo, s28
	v_dual_mov_b32 v11, 0 :: v_dual_mov_b32 v12, 0
	s_and_saveexec_b32 s28, s13
	s_cbranch_execz .LBB53_48
; %bb.47:                               ;   in Loop: Header=BB53_12 Depth=1
	global_load_u16 v12, v[8:9], off offset:64
.LBB53_48:                              ;   in Loop: Header=BB53_12 Depth=1
	s_or_b32 exec_lo, exec_lo, s28
	s_and_saveexec_b32 s28, s14
	s_cbranch_execz .LBB53_50
; %bb.49:                               ;   in Loop: Header=BB53_12 Depth=1
	global_load_u16 v11, v[8:9], off offset:128
.LBB53_50:                              ;   in Loop: Header=BB53_12 Depth=1
	s_or_b32 exec_lo, exec_lo, s28
	v_dual_mov_b32 v13, 0 :: v_dual_mov_b32 v14, 0
	s_and_saveexec_b32 s28, s15
	s_cbranch_execz .LBB53_52
; %bb.51:                               ;   in Loop: Header=BB53_12 Depth=1
	global_load_u16 v14, v[8:9], off offset:192
.LBB53_52:                              ;   in Loop: Header=BB53_12 Depth=1
	s_or_b32 exec_lo, exec_lo, s28
	s_and_saveexec_b32 s28, s16
	s_cbranch_execz .LBB53_54
; %bb.53:                               ;   in Loop: Header=BB53_12 Depth=1
	global_load_u16 v13, v[8:9], off offset:256
.LBB53_54:                              ;   in Loop: Header=BB53_12 Depth=1
	s_or_b32 exec_lo, exec_lo, s28
	v_mov_b32_e32 v15, 0
	v_mov_b32_e32 v17, 0
	s_and_saveexec_b32 s28, s17
	s_cbranch_execz .LBB53_56
; %bb.55:                               ;   in Loop: Header=BB53_12 Depth=1
	global_load_u16 v17, v[8:9], off offset:320
.LBB53_56:                              ;   in Loop: Header=BB53_12 Depth=1
	s_or_b32 exec_lo, exec_lo, s28
	s_and_saveexec_b32 s28, s18
	s_cbranch_execz .LBB53_58
; %bb.57:                               ;   in Loop: Header=BB53_12 Depth=1
	global_load_u16 v15, v[8:9], off offset:384
.LBB53_58:                              ;   in Loop: Header=BB53_12 Depth=1
	s_or_b32 exec_lo, exec_lo, s28
	v_dual_mov_b32 v94, 0 :: v_dual_mov_b32 v95, 0
	s_and_saveexec_b32 s28, s19
	s_cbranch_execz .LBB53_60
; %bb.59:                               ;   in Loop: Header=BB53_12 Depth=1
	global_load_u16 v95, v[8:9], off offset:448
.LBB53_60:                              ;   in Loop: Header=BB53_12 Depth=1
	s_or_b32 exec_lo, exec_lo, s28
	s_and_saveexec_b32 s28, s20
	s_cbranch_execz .LBB53_62
; %bb.61:                               ;   in Loop: Header=BB53_12 Depth=1
	global_load_u16 v94, v[8:9], off offset:512
.LBB53_62:                              ;   in Loop: Header=BB53_12 Depth=1
	s_or_b32 exec_lo, exec_lo, s28
	v_dual_mov_b32 v96, 0 :: v_dual_mov_b32 v97, 0
	;; [unrolled: 13-line block ×4, first 2 shown]
	s_and_saveexec_b32 s28, s25
	s_cbranch_execnz .LBB53_267
; %bb.71:                               ;   in Loop: Header=BB53_12 Depth=1
	s_or_b32 exec_lo, exec_lo, s28
	s_and_saveexec_b32 s28, s26
	s_cbranch_execnz .LBB53_268
.LBB53_72:                              ;   in Loop: Header=BB53_12 Depth=1
	s_or_b32 exec_lo, exec_lo, s28
	v_mov_b32_e32 v102, 0
	s_and_saveexec_b32 s28, s27
	s_cbranch_execz .LBB53_74
.LBB53_73:                              ;   in Loop: Header=BB53_12 Depth=1
	global_load_u16 v102, v[8:9], off offset:960
.LBB53_74:                              ;   in Loop: Header=BB53_12 Depth=1
	s_or_b32 exec_lo, exec_lo, s28
	s_waitcnt vmcnt(0)
	ds_store_b16 v37, v10
	ds_store_b16 v37, v12 offset:64
	ds_store_b16 v38, v11 offset:128
	;; [unrolled: 1-line block ×15, first 2 shown]
	; wave barrier
	ds_load_b128 v[12:15], v52
	ds_load_b128 v[8:11], v52 offset:16
	s_waitcnt lgkmcnt(1)
	v_lshlrev_b32_e32 v17, 16, v12
	s_delay_alu instid0(VALU_DEP_1) | instskip(NEXT) | instid1(VALU_DEP_1)
	v_add_f32_e32 v94, s68, v17
	v_cmp_ge_f32_e32 vcc_lo, 0x41a00000, v94
	s_and_b32 s28, s79, vcc_lo
	s_delay_alu instid0(SALU_CYCLE_1)
	s_and_saveexec_b32 s29, s28
	s_cbranch_execz .LBB53_76
; %bb.75:                               ;   in Loop: Header=BB53_12 Depth=1
	v_mul_f32_e32 v17, 0x3fb8aa3b, v94
	v_cmp_ngt_f32_e32 vcc_lo, 0xc2ce8ed0, v94
	s_delay_alu instid0(VALU_DEP_2) | instskip(SKIP_1) | instid1(VALU_DEP_1)
	v_rndne_f32_e32 v95, v17
	v_fma_f32 v96, 0x3fb8aa3b, v94, -v17
	v_dual_sub_f32 v17, v17, v95 :: v_dual_fmac_f32 v96, 0x32a5705f, v94
	v_cvt_i32_f32_e32 v95, v95
	s_delay_alu instid0(VALU_DEP_2) | instskip(NEXT) | instid1(VALU_DEP_1)
	v_add_f32_e32 v17, v17, v96
	v_exp_f32_e32 v17, v17
	s_waitcnt_depctr 0xfff
	v_ldexp_f32 v17, v17, v95
	s_delay_alu instid0(VALU_DEP_1) | instskip(SKIP_1) | instid1(VALU_DEP_2)
	v_cndmask_b32_e32 v17, 0, v17, vcc_lo
	v_cmp_nlt_f32_e32 vcc_lo, 0x42b17218, v94
	v_cndmask_b32_e32 v17, 0x7f800000, v17, vcc_lo
	s_delay_alu instid0(VALU_DEP_1) | instskip(NEXT) | instid1(VALU_DEP_1)
	v_add_f32_e32 v96, 1.0, v17
	v_cvt_f64_f32_e32 v[94:95], v96
	s_delay_alu instid0(VALU_DEP_1) | instskip(SKIP_1) | instid1(VALU_DEP_1)
	v_frexp_exp_i32_f64_e32 v94, v[94:95]
	v_frexp_mant_f32_e32 v95, v96
	v_cmp_gt_f32_e32 vcc_lo, 0x3f2aaaab, v95
	v_add_f32_e32 v95, -1.0, v96
	s_delay_alu instid0(VALU_DEP_1) | instskip(NEXT) | instid1(VALU_DEP_1)
	v_dual_sub_f32 v98, v95, v96 :: v_dual_sub_f32 v95, v17, v95
	v_add_f32_e32 v98, 1.0, v98
	v_subrev_co_ci_u32_e32 v94, vcc_lo, 0, v94, vcc_lo
	s_delay_alu instid0(VALU_DEP_1) | instskip(SKIP_1) | instid1(VALU_DEP_2)
	v_sub_nc_u32_e32 v97, 0, v94
	v_cvt_f32_i32_e32 v94, v94
	v_ldexp_f32 v96, v96, v97
	v_add_f32_e32 v95, v95, v98
	s_delay_alu instid0(VALU_DEP_1) | instskip(NEXT) | instid1(VALU_DEP_3)
	v_ldexp_f32 v95, v95, v97
	v_add_f32_e32 v99, 1.0, v96
	s_delay_alu instid0(VALU_DEP_1) | instskip(NEXT) | instid1(VALU_DEP_1)
	v_add_f32_e32 v98, -1.0, v99
	v_sub_f32_e32 v98, v96, v98
	v_cmp_eq_f32_e32 vcc_lo, 0x7f800000, v17
	v_cmp_gt_f32_e64 s28, 0x33800000, v17
	s_delay_alu instid0(VALU_DEP_3) | instskip(NEXT) | instid1(VALU_DEP_2)
	v_dual_add_f32 v98, v95, v98 :: v_dual_add_f32 v97, -1.0, v96
	s_or_b32 vcc_lo, s28, vcc_lo
	s_delay_alu instid0(VALU_DEP_1) | instskip(NEXT) | instid1(VALU_DEP_1)
	v_add_f32_e32 v100, 1.0, v97
	v_sub_f32_e32 v96, v96, v100
	s_delay_alu instid0(VALU_DEP_3) | instskip(NEXT) | instid1(VALU_DEP_1)
	v_add_f32_e32 v100, v99, v98
	v_sub_f32_e32 v99, v99, v100
	s_delay_alu instid0(VALU_DEP_3) | instskip(SKIP_1) | instid1(VALU_DEP_2)
	v_add_f32_e32 v95, v95, v96
	v_rcp_f32_e32 v96, v100
	v_add_f32_e32 v98, v98, v99
	s_delay_alu instid0(VALU_DEP_2) | instskip(NEXT) | instid1(VALU_DEP_1)
	v_add_f32_e32 v101, v97, v95
	v_sub_f32_e32 v97, v97, v101
	s_waitcnt_depctr 0xfff
	v_dual_mul_f32 v102, v101, v96 :: v_dual_add_f32 v95, v95, v97
	s_delay_alu instid0(VALU_DEP_1) | instskip(NEXT) | instid1(VALU_DEP_1)
	v_mul_f32_e32 v103, v100, v102
	v_fma_f32 v99, v102, v100, -v103
	s_delay_alu instid0(VALU_DEP_1) | instskip(NEXT) | instid1(VALU_DEP_1)
	v_fmac_f32_e32 v99, v102, v98
	v_add_f32_e32 v104, v103, v99
	s_delay_alu instid0(VALU_DEP_1) | instskip(NEXT) | instid1(VALU_DEP_1)
	v_sub_f32_e32 v105, v101, v104
	v_sub_f32_e32 v101, v101, v105
	;; [unrolled: 1-line block ×3, first 2 shown]
	s_delay_alu instid0(VALU_DEP_2) | instskip(NEXT) | instid1(VALU_DEP_2)
	v_sub_f32_e32 v101, v101, v104
	v_sub_f32_e32 v97, v97, v99
	s_delay_alu instid0(VALU_DEP_2) | instskip(NEXT) | instid1(VALU_DEP_1)
	v_add_f32_e32 v95, v95, v101
	v_add_f32_e32 v95, v97, v95
	s_delay_alu instid0(VALU_DEP_1) | instskip(NEXT) | instid1(VALU_DEP_1)
	v_add_f32_e32 v97, v105, v95
	v_mul_f32_e32 v99, v96, v97
	s_delay_alu instid0(VALU_DEP_1) | instskip(NEXT) | instid1(VALU_DEP_1)
	v_dual_sub_f32 v104, v105, v97 :: v_dual_mul_f32 v101, v100, v99
	v_add_f32_e32 v95, v95, v104
	s_delay_alu instid0(VALU_DEP_2) | instskip(NEXT) | instid1(VALU_DEP_1)
	v_fma_f32 v100, v99, v100, -v101
	v_fmac_f32_e32 v100, v99, v98
	s_delay_alu instid0(VALU_DEP_1) | instskip(NEXT) | instid1(VALU_DEP_1)
	v_add_f32_e32 v98, v101, v100
	v_sub_f32_e32 v103, v97, v98
	v_sub_f32_e32 v101, v98, v101
	s_delay_alu instid0(VALU_DEP_2) | instskip(NEXT) | instid1(VALU_DEP_1)
	v_sub_f32_e32 v97, v97, v103
	v_sub_f32_e32 v97, v97, v98
	s_delay_alu instid0(VALU_DEP_1) | instskip(SKIP_1) | instid1(VALU_DEP_1)
	v_dual_sub_f32 v98, v101, v100 :: v_dual_add_f32 v95, v95, v97
	v_add_f32_e32 v97, v102, v99
	v_dual_add_f32 v95, v98, v95 :: v_dual_sub_f32 v98, v97, v102
	s_delay_alu instid0(VALU_DEP_1) | instskip(NEXT) | instid1(VALU_DEP_1)
	v_add_f32_e32 v95, v103, v95
	v_dual_sub_f32 v98, v99, v98 :: v_dual_mul_f32 v95, v96, v95
	s_delay_alu instid0(VALU_DEP_1) | instskip(NEXT) | instid1(VALU_DEP_1)
	v_add_f32_e32 v95, v98, v95
	v_add_f32_e32 v96, v97, v95
	s_delay_alu instid0(VALU_DEP_1) | instskip(NEXT) | instid1(VALU_DEP_1)
	v_mul_f32_e32 v98, v96, v96
	v_fmaak_f32 v99, s83, v98, 0x3ecc95a3
	v_mul_f32_e32 v100, v96, v98
	s_delay_alu instid0(VALU_DEP_2) | instskip(SKIP_2) | instid1(VALU_DEP_3)
	v_fmaak_f32 v98, v98, v99, 0x3f2aaada
	v_ldexp_f32 v99, v96, 1
	v_sub_f32_e32 v96, v96, v97
	v_mul_f32_e32 v98, v100, v98
	s_delay_alu instid0(VALU_DEP_2) | instskip(NEXT) | instid1(VALU_DEP_2)
	v_dual_mul_f32 v100, 0x3f317218, v94 :: v_dual_sub_f32 v95, v95, v96
	v_add_f32_e32 v97, v99, v98
	s_delay_alu instid0(VALU_DEP_2) | instskip(NEXT) | instid1(VALU_DEP_2)
	v_ldexp_f32 v95, v95, 1
	v_sub_f32_e32 v96, v97, v99
	s_delay_alu instid0(VALU_DEP_4) | instskip(NEXT) | instid1(VALU_DEP_1)
	v_fma_f32 v99, 0x3f317218, v94, -v100
	v_dual_sub_f32 v96, v98, v96 :: v_dual_fmac_f32 v99, 0xb102e308, v94
	s_delay_alu instid0(VALU_DEP_1) | instskip(NEXT) | instid1(VALU_DEP_1)
	v_dual_add_f32 v94, v95, v96 :: v_dual_add_f32 v95, v100, v99
	v_add_f32_e32 v96, v97, v94
	s_delay_alu instid0(VALU_DEP_2) | instskip(NEXT) | instid1(VALU_DEP_2)
	v_sub_f32_e32 v100, v95, v100
	v_dual_add_f32 v98, v95, v96 :: v_dual_sub_f32 v97, v96, v97
	s_delay_alu instid0(VALU_DEP_2) | instskip(NEXT) | instid1(VALU_DEP_2)
	v_sub_f32_e32 v99, v99, v100
	v_sub_f32_e32 v101, v98, v95
	s_delay_alu instid0(VALU_DEP_3) | instskip(NEXT) | instid1(VALU_DEP_2)
	v_sub_f32_e32 v94, v94, v97
	v_sub_f32_e32 v102, v98, v101
	s_delay_alu instid0(VALU_DEP_2) | instskip(NEXT) | instid1(VALU_DEP_2)
	v_dual_sub_f32 v96, v96, v101 :: v_dual_add_f32 v97, v99, v94
	v_sub_f32_e32 v95, v95, v102
	s_delay_alu instid0(VALU_DEP_1) | instskip(NEXT) | instid1(VALU_DEP_3)
	v_add_f32_e32 v95, v96, v95
	v_sub_f32_e32 v96, v97, v99
	s_delay_alu instid0(VALU_DEP_2) | instskip(NEXT) | instid1(VALU_DEP_2)
	v_add_f32_e32 v95, v97, v95
	v_sub_f32_e32 v97, v97, v96
	v_sub_f32_e32 v94, v94, v96
	s_delay_alu instid0(VALU_DEP_2) | instskip(NEXT) | instid1(VALU_DEP_1)
	v_dual_add_f32 v100, v98, v95 :: v_dual_sub_f32 v97, v99, v97
	v_sub_f32_e32 v96, v100, v98
	s_delay_alu instid0(VALU_DEP_1) | instskip(NEXT) | instid1(VALU_DEP_1)
	v_dual_add_f32 v94, v94, v97 :: v_dual_sub_f32 v95, v95, v96
	v_add_f32_e32 v94, v94, v95
	s_delay_alu instid0(VALU_DEP_1) | instskip(NEXT) | instid1(VALU_DEP_1)
	v_add_f32_e32 v94, v100, v94
	v_cndmask_b32_e32 v94, v94, v17, vcc_lo
.LBB53_76:                              ;   in Loop: Header=BB53_12 Depth=1
	s_or_b32 exec_lo, exec_lo, s29
	v_and_b32_e32 v12, 0xffff0000, v12
	s_delay_alu instid0(VALU_DEP_1) | instskip(NEXT) | instid1(VALU_DEP_1)
	v_add_f32_e32 v95, s68, v12
	v_cmp_ge_f32_e32 vcc_lo, 0x41a00000, v95
	s_and_b32 s28, s79, vcc_lo
	s_delay_alu instid0(SALU_CYCLE_1)
	s_and_saveexec_b32 s29, s28
	s_cbranch_execz .LBB53_78
; %bb.77:                               ;   in Loop: Header=BB53_12 Depth=1
	v_mul_f32_e32 v12, 0x3fb8aa3b, v95
	v_cmp_ngt_f32_e32 vcc_lo, 0xc2ce8ed0, v95
	s_delay_alu instid0(VALU_DEP_2) | instskip(SKIP_1) | instid1(VALU_DEP_2)
	v_rndne_f32_e32 v17, v12
	v_fma_f32 v96, 0x3fb8aa3b, v95, -v12
	v_sub_f32_e32 v12, v12, v17
	s_delay_alu instid0(VALU_DEP_2) | instskip(SKIP_1) | instid1(VALU_DEP_2)
	v_fmac_f32_e32 v96, 0x32a5705f, v95
	v_cvt_i32_f32_e32 v17, v17
	v_add_f32_e32 v12, v12, v96
	s_delay_alu instid0(VALU_DEP_1) | instskip(SKIP_2) | instid1(VALU_DEP_1)
	v_exp_f32_e32 v12, v12
	s_waitcnt_depctr 0xfff
	v_ldexp_f32 v12, v12, v17
	v_cndmask_b32_e32 v12, 0, v12, vcc_lo
	v_cmp_nlt_f32_e32 vcc_lo, 0x42b17218, v95
	s_delay_alu instid0(VALU_DEP_2) | instskip(NEXT) | instid1(VALU_DEP_1)
	v_cndmask_b32_e32 v12, 0x7f800000, v12, vcc_lo
	v_add_f32_e32 v17, 1.0, v12
	s_delay_alu instid0(VALU_DEP_1) | instskip(NEXT) | instid1(VALU_DEP_1)
	v_cvt_f64_f32_e32 v[95:96], v17
	v_frexp_exp_i32_f64_e32 v95, v[95:96]
	v_frexp_mant_f32_e32 v96, v17
	s_delay_alu instid0(VALU_DEP_1) | instskip(SKIP_1) | instid1(VALU_DEP_1)
	v_cmp_gt_f32_e32 vcc_lo, 0x3f2aaaab, v96
	v_add_f32_e32 v96, -1.0, v17
	v_sub_f32_e32 v98, v96, v17
	v_sub_f32_e32 v96, v12, v96
	s_delay_alu instid0(VALU_DEP_2) | instskip(NEXT) | instid1(VALU_DEP_1)
	v_add_f32_e32 v98, 1.0, v98
	v_add_f32_e32 v96, v96, v98
	v_subrev_co_ci_u32_e32 v95, vcc_lo, 0, v95, vcc_lo
	s_delay_alu instid0(VALU_DEP_1) | instskip(SKIP_1) | instid1(VALU_DEP_2)
	v_sub_nc_u32_e32 v97, 0, v95
	v_cvt_f32_i32_e32 v95, v95
	v_ldexp_f32 v17, v17, v97
	v_ldexp_f32 v96, v96, v97
	s_delay_alu instid0(VALU_DEP_2) | instskip(NEXT) | instid1(VALU_DEP_1)
	v_add_f32_e32 v99, 1.0, v17
	v_dual_add_f32 v97, -1.0, v17 :: v_dual_add_f32 v98, -1.0, v99
	s_delay_alu instid0(VALU_DEP_1) | instskip(NEXT) | instid1(VALU_DEP_2)
	v_add_f32_e32 v100, 1.0, v97
	v_sub_f32_e32 v98, v17, v98
	s_delay_alu instid0(VALU_DEP_2) | instskip(NEXT) | instid1(VALU_DEP_1)
	v_sub_f32_e32 v17, v17, v100
	v_add_f32_e32 v17, v96, v17
	s_delay_alu instid0(VALU_DEP_1) | instskip(SKIP_2) | instid1(VALU_DEP_3)
	v_add_f32_e32 v101, v97, v17
	v_cmp_eq_f32_e32 vcc_lo, 0x7f800000, v12
	v_cmp_gt_f32_e64 s28, 0x33800000, v12
	v_dual_sub_f32 v97, v97, v101 :: v_dual_add_f32 v98, v96, v98
	s_delay_alu instid0(VALU_DEP_2) | instskip(NEXT) | instid1(VALU_DEP_1)
	s_or_b32 vcc_lo, s28, vcc_lo
	v_dual_add_f32 v17, v17, v97 :: v_dual_add_f32 v100, v99, v98
	s_delay_alu instid0(VALU_DEP_1) | instskip(SKIP_1) | instid1(VALU_DEP_1)
	v_rcp_f32_e32 v96, v100
	v_sub_f32_e32 v99, v99, v100
	v_add_f32_e32 v98, v98, v99
	s_waitcnt_depctr 0xfff
	v_mul_f32_e32 v102, v101, v96
	s_delay_alu instid0(VALU_DEP_1) | instskip(NEXT) | instid1(VALU_DEP_1)
	v_mul_f32_e32 v103, v100, v102
	v_fma_f32 v99, v102, v100, -v103
	s_delay_alu instid0(VALU_DEP_1) | instskip(NEXT) | instid1(VALU_DEP_1)
	v_fmac_f32_e32 v99, v102, v98
	v_add_f32_e32 v104, v103, v99
	s_delay_alu instid0(VALU_DEP_1) | instskip(SKIP_1) | instid1(VALU_DEP_2)
	v_sub_f32_e32 v105, v101, v104
	v_sub_f32_e32 v97, v104, v103
	;; [unrolled: 1-line block ×3, first 2 shown]
	s_delay_alu instid0(VALU_DEP_2) | instskip(NEXT) | instid1(VALU_DEP_2)
	v_sub_f32_e32 v97, v97, v99
	v_sub_f32_e32 v101, v101, v104
	s_delay_alu instid0(VALU_DEP_1) | instskip(NEXT) | instid1(VALU_DEP_1)
	v_add_f32_e32 v17, v17, v101
	v_add_f32_e32 v17, v97, v17
	s_delay_alu instid0(VALU_DEP_1) | instskip(NEXT) | instid1(VALU_DEP_1)
	v_add_f32_e32 v97, v105, v17
	v_mul_f32_e32 v99, v96, v97
	s_delay_alu instid0(VALU_DEP_1) | instskip(NEXT) | instid1(VALU_DEP_1)
	v_mul_f32_e32 v101, v100, v99
	v_fma_f32 v100, v99, v100, -v101
	s_delay_alu instid0(VALU_DEP_1) | instskip(SKIP_1) | instid1(VALU_DEP_2)
	v_fmac_f32_e32 v100, v99, v98
	v_sub_f32_e32 v104, v105, v97
	v_add_f32_e32 v98, v101, v100
	s_delay_alu instid0(VALU_DEP_2) | instskip(NEXT) | instid1(VALU_DEP_2)
	v_add_f32_e32 v17, v17, v104
	v_sub_f32_e32 v103, v97, v98
	s_delay_alu instid0(VALU_DEP_1) | instskip(NEXT) | instid1(VALU_DEP_1)
	v_sub_f32_e32 v97, v97, v103
	v_sub_f32_e32 v97, v97, v98
	s_delay_alu instid0(VALU_DEP_1) | instskip(SKIP_2) | instid1(VALU_DEP_1)
	v_add_f32_e32 v17, v17, v97
	v_add_f32_e32 v97, v102, v99
	v_sub_f32_e32 v101, v98, v101
	v_sub_f32_e32 v98, v101, v100
	s_delay_alu instid0(VALU_DEP_1) | instskip(NEXT) | instid1(VALU_DEP_1)
	v_dual_add_f32 v17, v98, v17 :: v_dual_sub_f32 v98, v97, v102
	v_add_f32_e32 v17, v103, v17
	s_delay_alu instid0(VALU_DEP_1) | instskip(NEXT) | instid1(VALU_DEP_1)
	v_dual_sub_f32 v98, v99, v98 :: v_dual_mul_f32 v17, v96, v17
	v_add_f32_e32 v17, v98, v17
	s_delay_alu instid0(VALU_DEP_1) | instskip(NEXT) | instid1(VALU_DEP_1)
	v_add_f32_e32 v96, v97, v17
	v_mul_f32_e32 v98, v96, v96
	s_delay_alu instid0(VALU_DEP_1) | instskip(SKIP_1) | instid1(VALU_DEP_2)
	v_fmaak_f32 v99, s83, v98, 0x3ecc95a3
	v_mul_f32_e32 v100, v96, v98
	v_fmaak_f32 v98, v98, v99, 0x3f2aaada
	v_ldexp_f32 v99, v96, 1
	s_delay_alu instid0(VALU_DEP_2) | instskip(SKIP_1) | instid1(VALU_DEP_2)
	v_mul_f32_e32 v98, v100, v98
	v_sub_f32_e32 v96, v96, v97
	v_dual_mul_f32 v100, 0x3f317218, v95 :: v_dual_add_f32 v97, v99, v98
	s_delay_alu instid0(VALU_DEP_2) | instskip(NEXT) | instid1(VALU_DEP_2)
	v_sub_f32_e32 v17, v17, v96
	v_sub_f32_e32 v96, v97, v99
	s_delay_alu instid0(VALU_DEP_3) | instskip(NEXT) | instid1(VALU_DEP_3)
	v_fma_f32 v99, 0x3f317218, v95, -v100
	v_ldexp_f32 v17, v17, 1
	s_delay_alu instid0(VALU_DEP_2) | instskip(NEXT) | instid1(VALU_DEP_1)
	v_dual_sub_f32 v96, v98, v96 :: v_dual_fmac_f32 v99, 0xb102e308, v95
	v_add_f32_e32 v17, v17, v96
	s_delay_alu instid0(VALU_DEP_1) | instskip(NEXT) | instid1(VALU_DEP_1)
	v_dual_add_f32 v95, v100, v99 :: v_dual_add_f32 v96, v97, v17
	v_sub_f32_e32 v100, v95, v100
	s_delay_alu instid0(VALU_DEP_2) | instskip(NEXT) | instid1(VALU_DEP_2)
	v_dual_add_f32 v98, v95, v96 :: v_dual_sub_f32 v97, v96, v97
	v_sub_f32_e32 v99, v99, v100
	s_delay_alu instid0(VALU_DEP_2) | instskip(NEXT) | instid1(VALU_DEP_1)
	v_sub_f32_e32 v101, v98, v95
	v_sub_f32_e32 v102, v98, v101
	;; [unrolled: 1-line block ×4, first 2 shown]
	s_delay_alu instid0(VALU_DEP_1) | instskip(NEXT) | instid1(VALU_DEP_4)
	v_add_f32_e32 v97, v99, v17
	v_sub_f32_e32 v95, v95, v102
	s_delay_alu instid0(VALU_DEP_1) | instskip(NEXT) | instid1(VALU_DEP_3)
	v_add_f32_e32 v95, v96, v95
	v_sub_f32_e32 v96, v97, v99
	s_delay_alu instid0(VALU_DEP_2) | instskip(NEXT) | instid1(VALU_DEP_2)
	v_add_f32_e32 v95, v97, v95
	v_sub_f32_e32 v97, v97, v96
	s_delay_alu instid0(VALU_DEP_2) | instskip(NEXT) | instid1(VALU_DEP_1)
	v_dual_sub_f32 v17, v17, v96 :: v_dual_add_f32 v100, v98, v95
	v_dual_sub_f32 v96, v100, v98 :: v_dual_sub_f32 v97, v99, v97
	s_delay_alu instid0(VALU_DEP_1) | instskip(NEXT) | instid1(VALU_DEP_2)
	v_sub_f32_e32 v95, v95, v96
	v_add_f32_e32 v17, v17, v97
	s_delay_alu instid0(VALU_DEP_1) | instskip(NEXT) | instid1(VALU_DEP_1)
	v_add_f32_e32 v17, v17, v95
	v_add_f32_e32 v17, v100, v17
	s_delay_alu instid0(VALU_DEP_1)
	v_cndmask_b32_e32 v95, v17, v12, vcc_lo
.LBB53_78:                              ;   in Loop: Header=BB53_12 Depth=1
	s_or_b32 exec_lo, exec_lo, s29
	v_lshlrev_b32_e32 v12, 16, v13
	s_delay_alu instid0(VALU_DEP_1) | instskip(NEXT) | instid1(VALU_DEP_1)
	v_add_f32_e32 v96, s68, v12
	v_cmp_ge_f32_e32 vcc_lo, 0x41a00000, v96
	s_and_b32 s28, s79, vcc_lo
	s_delay_alu instid0(SALU_CYCLE_1)
	s_and_saveexec_b32 s29, s28
	s_cbranch_execz .LBB53_80
; %bb.79:                               ;   in Loop: Header=BB53_12 Depth=1
	v_mul_f32_e32 v12, 0x3fb8aa3b, v96
	v_cmp_ngt_f32_e32 vcc_lo, 0xc2ce8ed0, v96
	s_delay_alu instid0(VALU_DEP_2) | instskip(SKIP_1) | instid1(VALU_DEP_1)
	v_rndne_f32_e32 v17, v12
	v_fma_f32 v97, 0x3fb8aa3b, v96, -v12
	v_dual_sub_f32 v12, v12, v17 :: v_dual_fmac_f32 v97, 0x32a5705f, v96
	v_cvt_i32_f32_e32 v17, v17
	s_delay_alu instid0(VALU_DEP_2) | instskip(NEXT) | instid1(VALU_DEP_1)
	v_add_f32_e32 v12, v12, v97
	v_exp_f32_e32 v12, v12
	s_waitcnt_depctr 0xfff
	v_ldexp_f32 v12, v12, v17
	s_delay_alu instid0(VALU_DEP_1) | instskip(SKIP_1) | instid1(VALU_DEP_2)
	v_cndmask_b32_e32 v12, 0, v12, vcc_lo
	v_cmp_nlt_f32_e32 vcc_lo, 0x42b17218, v96
	v_cndmask_b32_e32 v12, 0x7f800000, v12, vcc_lo
	s_delay_alu instid0(VALU_DEP_1) | instskip(NEXT) | instid1(VALU_DEP_1)
	v_add_f32_e32 v17, 1.0, v12
	v_cvt_f64_f32_e32 v[96:97], v17
	s_delay_alu instid0(VALU_DEP_1) | instskip(SKIP_1) | instid1(VALU_DEP_1)
	v_frexp_exp_i32_f64_e32 v96, v[96:97]
	v_frexp_mant_f32_e32 v97, v17
	v_cmp_gt_f32_e32 vcc_lo, 0x3f2aaaab, v97
	v_add_f32_e32 v97, -1.0, v17
	s_delay_alu instid0(VALU_DEP_1) | instskip(SKIP_1) | instid1(VALU_DEP_2)
	v_sub_f32_e32 v99, v97, v17
	v_sub_f32_e32 v97, v12, v97
	v_add_f32_e32 v99, 1.0, v99
	s_delay_alu instid0(VALU_DEP_1) | instskip(SKIP_3) | instid1(VALU_DEP_2)
	v_add_f32_e32 v97, v97, v99
	v_cmp_gt_f32_e64 s28, 0x33800000, v12
	v_subrev_co_ci_u32_e32 v96, vcc_lo, 0, v96, vcc_lo
	v_cmp_eq_f32_e32 vcc_lo, 0x7f800000, v12
	v_sub_nc_u32_e32 v98, 0, v96
	v_cvt_f32_i32_e32 v96, v96
	s_or_b32 vcc_lo, s28, vcc_lo
	s_delay_alu instid0(VALU_DEP_2) | instskip(SKIP_1) | instid1(VALU_DEP_2)
	v_ldexp_f32 v17, v17, v98
	v_ldexp_f32 v97, v97, v98
	v_add_f32_e32 v100, 1.0, v17
	s_delay_alu instid0(VALU_DEP_1) | instskip(NEXT) | instid1(VALU_DEP_1)
	v_dual_add_f32 v98, -1.0, v17 :: v_dual_add_f32 v99, -1.0, v100
	v_add_f32_e32 v101, 1.0, v98
	s_delay_alu instid0(VALU_DEP_2) | instskip(NEXT) | instid1(VALU_DEP_2)
	v_sub_f32_e32 v99, v17, v99
	v_sub_f32_e32 v17, v17, v101
	s_delay_alu instid0(VALU_DEP_1) | instskip(NEXT) | instid1(VALU_DEP_1)
	v_add_f32_e32 v17, v97, v17
	v_dual_add_f32 v102, v98, v17 :: v_dual_add_f32 v99, v97, v99
	s_delay_alu instid0(VALU_DEP_1) | instskip(NEXT) | instid1(VALU_DEP_1)
	v_dual_sub_f32 v98, v98, v102 :: v_dual_add_f32 v101, v100, v99
	v_rcp_f32_e32 v97, v101
	v_sub_f32_e32 v100, v100, v101
	s_delay_alu instid0(VALU_DEP_1) | instskip(SKIP_2) | instid1(VALU_DEP_1)
	v_add_f32_e32 v99, v99, v100
	s_waitcnt_depctr 0xfff
	v_mul_f32_e32 v103, v102, v97
	v_mul_f32_e32 v104, v101, v103
	s_delay_alu instid0(VALU_DEP_1) | instskip(NEXT) | instid1(VALU_DEP_1)
	v_fma_f32 v100, v103, v101, -v104
	v_fmac_f32_e32 v100, v103, v99
	s_delay_alu instid0(VALU_DEP_1) | instskip(NEXT) | instid1(VALU_DEP_1)
	v_add_f32_e32 v105, v104, v100
	v_sub_f32_e32 v106, v102, v105
	s_delay_alu instid0(VALU_DEP_1) | instskip(SKIP_2) | instid1(VALU_DEP_3)
	v_sub_f32_e32 v102, v102, v106
	v_add_f32_e32 v17, v17, v98
	v_sub_f32_e32 v98, v105, v104
	v_sub_f32_e32 v102, v102, v105
	s_delay_alu instid0(VALU_DEP_1) | instskip(NEXT) | instid1(VALU_DEP_1)
	v_dual_sub_f32 v98, v98, v100 :: v_dual_add_f32 v17, v17, v102
	v_add_f32_e32 v17, v98, v17
	s_delay_alu instid0(VALU_DEP_1) | instskip(NEXT) | instid1(VALU_DEP_1)
	v_add_f32_e32 v98, v106, v17
	v_mul_f32_e32 v100, v97, v98
	s_delay_alu instid0(VALU_DEP_1) | instskip(NEXT) | instid1(VALU_DEP_1)
	v_dual_sub_f32 v105, v106, v98 :: v_dual_mul_f32 v102, v101, v100
	v_add_f32_e32 v17, v17, v105
	s_delay_alu instid0(VALU_DEP_2) | instskip(NEXT) | instid1(VALU_DEP_1)
	v_fma_f32 v101, v100, v101, -v102
	v_fmac_f32_e32 v101, v100, v99
	s_delay_alu instid0(VALU_DEP_1) | instskip(NEXT) | instid1(VALU_DEP_1)
	v_add_f32_e32 v99, v102, v101
	v_sub_f32_e32 v104, v98, v99
	s_delay_alu instid0(VALU_DEP_1) | instskip(NEXT) | instid1(VALU_DEP_1)
	v_sub_f32_e32 v98, v98, v104
	v_sub_f32_e32 v98, v98, v99
	s_delay_alu instid0(VALU_DEP_1) | instskip(SKIP_1) | instid1(VALU_DEP_1)
	v_dual_add_f32 v17, v17, v98 :: v_dual_add_f32 v98, v103, v100
	v_sub_f32_e32 v102, v99, v102
	v_sub_f32_e32 v99, v102, v101
	s_delay_alu instid0(VALU_DEP_1) | instskip(NEXT) | instid1(VALU_DEP_4)
	v_add_f32_e32 v17, v99, v17
	v_sub_f32_e32 v99, v98, v103
	s_delay_alu instid0(VALU_DEP_2) | instskip(NEXT) | instid1(VALU_DEP_2)
	v_add_f32_e32 v17, v104, v17
	v_sub_f32_e32 v99, v100, v99
	s_delay_alu instid0(VALU_DEP_2) | instskip(NEXT) | instid1(VALU_DEP_1)
	v_mul_f32_e32 v17, v97, v17
	v_add_f32_e32 v17, v99, v17
	s_delay_alu instid0(VALU_DEP_1) | instskip(NEXT) | instid1(VALU_DEP_1)
	v_add_f32_e32 v97, v98, v17
	v_mul_f32_e32 v99, v97, v97
	s_delay_alu instid0(VALU_DEP_1) | instskip(SKIP_1) | instid1(VALU_DEP_2)
	v_fmaak_f32 v100, s83, v99, 0x3ecc95a3
	v_mul_f32_e32 v101, v97, v99
	v_fmaak_f32 v99, v99, v100, 0x3f2aaada
	v_ldexp_f32 v100, v97, 1
	v_sub_f32_e32 v97, v97, v98
	s_delay_alu instid0(VALU_DEP_3) | instskip(SKIP_1) | instid1(VALU_DEP_2)
	v_mul_f32_e32 v99, v101, v99
	v_mul_f32_e32 v101, 0x3f317218, v96
	v_dual_sub_f32 v17, v17, v97 :: v_dual_add_f32 v98, v100, v99
	s_delay_alu instid0(VALU_DEP_1) | instskip(NEXT) | instid1(VALU_DEP_2)
	v_ldexp_f32 v17, v17, 1
	v_sub_f32_e32 v97, v98, v100
	s_delay_alu instid0(VALU_DEP_4) | instskip(NEXT) | instid1(VALU_DEP_1)
	v_fma_f32 v100, 0x3f317218, v96, -v101
	v_dual_sub_f32 v97, v99, v97 :: v_dual_fmac_f32 v100, 0xb102e308, v96
	s_delay_alu instid0(VALU_DEP_1) | instskip(NEXT) | instid1(VALU_DEP_1)
	v_add_f32_e32 v17, v17, v97
	v_dual_add_f32 v96, v101, v100 :: v_dual_add_f32 v97, v98, v17
	s_delay_alu instid0(VALU_DEP_1) | instskip(NEXT) | instid1(VALU_DEP_2)
	v_sub_f32_e32 v101, v96, v101
	v_dual_add_f32 v99, v96, v97 :: v_dual_sub_f32 v98, v97, v98
	s_delay_alu instid0(VALU_DEP_2) | instskip(NEXT) | instid1(VALU_DEP_2)
	v_sub_f32_e32 v100, v100, v101
	v_dual_sub_f32 v102, v99, v96 :: v_dual_sub_f32 v17, v17, v98
	s_delay_alu instid0(VALU_DEP_1) | instskip(NEXT) | instid1(VALU_DEP_2)
	v_sub_f32_e32 v103, v99, v102
	v_dual_sub_f32 v97, v97, v102 :: v_dual_add_f32 v98, v100, v17
	s_delay_alu instid0(VALU_DEP_2) | instskip(NEXT) | instid1(VALU_DEP_1)
	v_sub_f32_e32 v96, v96, v103
	v_add_f32_e32 v96, v97, v96
	s_delay_alu instid0(VALU_DEP_3) | instskip(NEXT) | instid1(VALU_DEP_2)
	v_sub_f32_e32 v97, v98, v100
	v_add_f32_e32 v96, v98, v96
	s_delay_alu instid0(VALU_DEP_2) | instskip(SKIP_1) | instid1(VALU_DEP_2)
	v_sub_f32_e32 v98, v98, v97
	v_sub_f32_e32 v17, v17, v97
	v_dual_add_f32 v101, v99, v96 :: v_dual_sub_f32 v98, v100, v98
	s_delay_alu instid0(VALU_DEP_1) | instskip(NEXT) | instid1(VALU_DEP_1)
	v_sub_f32_e32 v97, v101, v99
	v_dual_add_f32 v17, v17, v98 :: v_dual_sub_f32 v96, v96, v97
	s_delay_alu instid0(VALU_DEP_1) | instskip(NEXT) | instid1(VALU_DEP_1)
	v_add_f32_e32 v17, v17, v96
	v_add_f32_e32 v17, v101, v17
	s_delay_alu instid0(VALU_DEP_1)
	v_cndmask_b32_e32 v96, v17, v12, vcc_lo
.LBB53_80:                              ;   in Loop: Header=BB53_12 Depth=1
	s_or_b32 exec_lo, exec_lo, s29
	v_and_b32_e32 v12, 0xffff0000, v13
	s_delay_alu instid0(VALU_DEP_1) | instskip(NEXT) | instid1(VALU_DEP_1)
	v_add_f32_e32 v97, s68, v12
	v_cmp_ge_f32_e32 vcc_lo, 0x41a00000, v97
	s_and_b32 s28, s79, vcc_lo
	s_delay_alu instid0(SALU_CYCLE_1)
	s_and_saveexec_b32 s29, s28
	s_cbranch_execz .LBB53_82
; %bb.81:                               ;   in Loop: Header=BB53_12 Depth=1
	v_mul_f32_e32 v12, 0x3fb8aa3b, v97
	v_cmp_ngt_f32_e32 vcc_lo, 0xc2ce8ed0, v97
	s_delay_alu instid0(VALU_DEP_2) | instskip(SKIP_1) | instid1(VALU_DEP_2)
	v_rndne_f32_e32 v13, v12
	v_fma_f32 v17, 0x3fb8aa3b, v97, -v12
	v_sub_f32_e32 v12, v12, v13
	s_delay_alu instid0(VALU_DEP_2) | instskip(SKIP_1) | instid1(VALU_DEP_2)
	v_fmac_f32_e32 v17, 0x32a5705f, v97
	v_cvt_i32_f32_e32 v13, v13
	v_add_f32_e32 v12, v12, v17
	s_delay_alu instid0(VALU_DEP_1) | instskip(SKIP_2) | instid1(VALU_DEP_1)
	v_exp_f32_e32 v12, v12
	s_waitcnt_depctr 0xfff
	v_ldexp_f32 v12, v12, v13
	v_cndmask_b32_e32 v12, 0, v12, vcc_lo
	v_cmp_nlt_f32_e32 vcc_lo, 0x42b17218, v97
	s_delay_alu instid0(VALU_DEP_2) | instskip(NEXT) | instid1(VALU_DEP_1)
	v_cndmask_b32_e32 v17, 0x7f800000, v12, vcc_lo
	v_add_f32_e32 v97, 1.0, v17
	s_delay_alu instid0(VALU_DEP_1) | instskip(NEXT) | instid1(VALU_DEP_1)
	v_cvt_f64_f32_e32 v[12:13], v97
	v_frexp_exp_i32_f64_e32 v12, v[12:13]
	v_frexp_mant_f32_e32 v13, v97
	s_delay_alu instid0(VALU_DEP_1) | instskip(SKIP_1) | instid1(VALU_DEP_1)
	v_cmp_gt_f32_e32 vcc_lo, 0x3f2aaaab, v13
	v_add_f32_e32 v13, -1.0, v97
	v_sub_f32_e32 v99, v13, v97
	s_delay_alu instid0(VALU_DEP_1) | instskip(SKIP_1) | instid1(VALU_DEP_1)
	v_add_f32_e32 v99, 1.0, v99
	v_subrev_co_ci_u32_e32 v12, vcc_lo, 0, v12, vcc_lo
	v_sub_nc_u32_e32 v98, 0, v12
	v_cvt_f32_i32_e32 v12, v12
	s_delay_alu instid0(VALU_DEP_2) | instskip(NEXT) | instid1(VALU_DEP_1)
	v_ldexp_f32 v97, v97, v98
	v_add_f32_e32 v100, 1.0, v97
	v_sub_f32_e32 v13, v17, v13
	v_cmp_eq_f32_e32 vcc_lo, 0x7f800000, v17
	v_cmp_gt_f32_e64 s28, 0x33800000, v17
	s_delay_alu instid0(VALU_DEP_3) | instskip(SKIP_1) | instid1(VALU_DEP_3)
	v_add_f32_e32 v13, v13, v99
	v_add_f32_e32 v99, -1.0, v100
	s_or_b32 vcc_lo, s28, vcc_lo
	s_delay_alu instid0(VALU_DEP_2) | instskip(NEXT) | instid1(VALU_DEP_2)
	v_ldexp_f32 v13, v13, v98
	v_dual_add_f32 v98, -1.0, v97 :: v_dual_sub_f32 v99, v97, v99
	s_delay_alu instid0(VALU_DEP_1) | instskip(NEXT) | instid1(VALU_DEP_2)
	v_add_f32_e32 v101, 1.0, v98
	v_add_f32_e32 v99, v13, v99
	s_delay_alu instid0(VALU_DEP_2) | instskip(NEXT) | instid1(VALU_DEP_1)
	v_sub_f32_e32 v97, v97, v101
	v_add_f32_e32 v13, v13, v97
	s_delay_alu instid0(VALU_DEP_1) | instskip(NEXT) | instid1(VALU_DEP_1)
	v_dual_add_f32 v102, v98, v13 :: v_dual_add_f32 v101, v100, v99
	v_sub_f32_e32 v98, v98, v102
	s_delay_alu instid0(VALU_DEP_2) | instskip(NEXT) | instid1(VALU_DEP_1)
	v_rcp_f32_e32 v97, v101
	v_dual_sub_f32 v100, v100, v101 :: v_dual_add_f32 v13, v13, v98
	s_delay_alu instid0(VALU_DEP_1) | instskip(SKIP_2) | instid1(VALU_DEP_1)
	v_add_f32_e32 v99, v99, v100
	s_waitcnt_depctr 0xfff
	v_mul_f32_e32 v103, v102, v97
	v_mul_f32_e32 v104, v101, v103
	s_delay_alu instid0(VALU_DEP_1) | instskip(NEXT) | instid1(VALU_DEP_1)
	v_fma_f32 v100, v103, v101, -v104
	v_fmac_f32_e32 v100, v103, v99
	s_delay_alu instid0(VALU_DEP_1) | instskip(NEXT) | instid1(VALU_DEP_1)
	v_add_f32_e32 v105, v104, v100
	v_sub_f32_e32 v106, v102, v105
	v_sub_f32_e32 v98, v105, v104
	s_delay_alu instid0(VALU_DEP_2) | instskip(NEXT) | instid1(VALU_DEP_2)
	v_sub_f32_e32 v102, v102, v106
	v_sub_f32_e32 v98, v98, v100
	s_delay_alu instid0(VALU_DEP_2) | instskip(NEXT) | instid1(VALU_DEP_1)
	v_sub_f32_e32 v102, v102, v105
	v_add_f32_e32 v13, v13, v102
	s_delay_alu instid0(VALU_DEP_1) | instskip(NEXT) | instid1(VALU_DEP_1)
	v_add_f32_e32 v13, v98, v13
	v_add_f32_e32 v98, v106, v13
	s_delay_alu instid0(VALU_DEP_1) | instskip(NEXT) | instid1(VALU_DEP_1)
	v_mul_f32_e32 v100, v97, v98
	v_dual_sub_f32 v105, v106, v98 :: v_dual_mul_f32 v102, v101, v100
	s_delay_alu instid0(VALU_DEP_1) | instskip(NEXT) | instid1(VALU_DEP_1)
	v_fma_f32 v101, v100, v101, -v102
	v_fmac_f32_e32 v101, v100, v99
	s_delay_alu instid0(VALU_DEP_1) | instskip(NEXT) | instid1(VALU_DEP_1)
	v_add_f32_e32 v99, v102, v101
	v_dual_add_f32 v13, v13, v105 :: v_dual_sub_f32 v104, v98, v99
	s_delay_alu instid0(VALU_DEP_1) | instskip(NEXT) | instid1(VALU_DEP_1)
	v_sub_f32_e32 v98, v98, v104
	v_sub_f32_e32 v98, v98, v99
	s_delay_alu instid0(VALU_DEP_1) | instskip(SKIP_1) | instid1(VALU_DEP_1)
	v_dual_add_f32 v13, v13, v98 :: v_dual_add_f32 v98, v103, v100
	v_sub_f32_e32 v102, v99, v102
	v_sub_f32_e32 v99, v102, v101
	s_delay_alu instid0(VALU_DEP_1) | instskip(NEXT) | instid1(VALU_DEP_4)
	v_add_f32_e32 v13, v99, v13
	v_sub_f32_e32 v99, v98, v103
	s_delay_alu instid0(VALU_DEP_2) | instskip(NEXT) | instid1(VALU_DEP_2)
	v_add_f32_e32 v13, v104, v13
	v_sub_f32_e32 v99, v100, v99
	s_delay_alu instid0(VALU_DEP_2) | instskip(NEXT) | instid1(VALU_DEP_1)
	v_mul_f32_e32 v13, v97, v13
	v_add_f32_e32 v13, v99, v13
	s_delay_alu instid0(VALU_DEP_1) | instskip(NEXT) | instid1(VALU_DEP_1)
	v_add_f32_e32 v97, v98, v13
	v_mul_f32_e32 v99, v97, v97
	s_delay_alu instid0(VALU_DEP_1) | instskip(SKIP_1) | instid1(VALU_DEP_2)
	v_fmaak_f32 v100, s83, v99, 0x3ecc95a3
	v_mul_f32_e32 v101, v97, v99
	v_fmaak_f32 v99, v99, v100, 0x3f2aaada
	v_ldexp_f32 v100, v97, 1
	v_sub_f32_e32 v97, v97, v98
	s_delay_alu instid0(VALU_DEP_3) | instskip(SKIP_1) | instid1(VALU_DEP_2)
	v_mul_f32_e32 v99, v101, v99
	v_mul_f32_e32 v101, 0x3f317218, v12
	v_dual_sub_f32 v13, v13, v97 :: v_dual_add_f32 v98, v100, v99
	s_delay_alu instid0(VALU_DEP_1) | instskip(NEXT) | instid1(VALU_DEP_2)
	v_ldexp_f32 v13, v13, 1
	v_sub_f32_e32 v97, v98, v100
	s_delay_alu instid0(VALU_DEP_4) | instskip(NEXT) | instid1(VALU_DEP_1)
	v_fma_f32 v100, 0x3f317218, v12, -v101
	v_dual_sub_f32 v97, v99, v97 :: v_dual_fmac_f32 v100, 0xb102e308, v12
	s_delay_alu instid0(VALU_DEP_1) | instskip(NEXT) | instid1(VALU_DEP_2)
	v_add_f32_e32 v12, v13, v97
	v_add_f32_e32 v13, v101, v100
	s_delay_alu instid0(VALU_DEP_2) | instskip(NEXT) | instid1(VALU_DEP_2)
	v_add_f32_e32 v97, v98, v12
	v_sub_f32_e32 v101, v13, v101
	s_delay_alu instid0(VALU_DEP_2) | instskip(SKIP_1) | instid1(VALU_DEP_3)
	v_add_f32_e32 v99, v13, v97
	v_sub_f32_e32 v98, v97, v98
	v_sub_f32_e32 v100, v100, v101
	s_delay_alu instid0(VALU_DEP_3) | instskip(NEXT) | instid1(VALU_DEP_3)
	v_sub_f32_e32 v102, v99, v13
	v_sub_f32_e32 v12, v12, v98
	s_delay_alu instid0(VALU_DEP_2) | instskip(NEXT) | instid1(VALU_DEP_2)
	v_sub_f32_e32 v103, v99, v102
	v_dual_sub_f32 v97, v97, v102 :: v_dual_add_f32 v98, v100, v12
	s_delay_alu instid0(VALU_DEP_2) | instskip(NEXT) | instid1(VALU_DEP_1)
	v_sub_f32_e32 v13, v13, v103
	v_add_f32_e32 v13, v97, v13
	s_delay_alu instid0(VALU_DEP_3) | instskip(NEXT) | instid1(VALU_DEP_2)
	v_sub_f32_e32 v97, v98, v100
	v_add_f32_e32 v13, v98, v13
	s_delay_alu instid0(VALU_DEP_2) | instskip(SKIP_1) | instid1(VALU_DEP_1)
	v_sub_f32_e32 v12, v12, v97
	v_sub_f32_e32 v98, v98, v97
	v_dual_add_f32 v101, v99, v13 :: v_dual_sub_f32 v98, v100, v98
	s_delay_alu instid0(VALU_DEP_1) | instskip(NEXT) | instid1(VALU_DEP_1)
	v_dual_sub_f32 v97, v101, v99 :: v_dual_add_f32 v12, v12, v98
	v_sub_f32_e32 v13, v13, v97
	s_delay_alu instid0(VALU_DEP_1) | instskip(NEXT) | instid1(VALU_DEP_1)
	v_add_f32_e32 v12, v12, v13
	v_add_f32_e32 v12, v101, v12
	s_delay_alu instid0(VALU_DEP_1)
	v_cndmask_b32_e32 v97, v12, v17, vcc_lo
.LBB53_82:                              ;   in Loop: Header=BB53_12 Depth=1
	s_or_b32 exec_lo, exec_lo, s29
	v_lshlrev_b32_e32 v12, 16, v14
	s_delay_alu instid0(VALU_DEP_1) | instskip(NEXT) | instid1(VALU_DEP_1)
	v_add_f32_e32 v98, s68, v12
	v_cmp_ge_f32_e32 vcc_lo, 0x41a00000, v98
	s_and_b32 s28, s79, vcc_lo
	s_delay_alu instid0(SALU_CYCLE_1)
	s_and_saveexec_b32 s29, s28
	s_cbranch_execz .LBB53_84
; %bb.83:                               ;   in Loop: Header=BB53_12 Depth=1
	v_mul_f32_e32 v12, 0x3fb8aa3b, v98
	v_cmp_ngt_f32_e32 vcc_lo, 0xc2ce8ed0, v98
	s_delay_alu instid0(VALU_DEP_2) | instskip(SKIP_1) | instid1(VALU_DEP_1)
	v_rndne_f32_e32 v13, v12
	v_fma_f32 v17, 0x3fb8aa3b, v98, -v12
	v_dual_sub_f32 v12, v12, v13 :: v_dual_fmac_f32 v17, 0x32a5705f, v98
	v_cvt_i32_f32_e32 v13, v13
	s_delay_alu instid0(VALU_DEP_2) | instskip(NEXT) | instid1(VALU_DEP_1)
	v_add_f32_e32 v12, v12, v17
	v_exp_f32_e32 v12, v12
	s_waitcnt_depctr 0xfff
	v_ldexp_f32 v12, v12, v13
	s_delay_alu instid0(VALU_DEP_1) | instskip(SKIP_1) | instid1(VALU_DEP_2)
	v_cndmask_b32_e32 v12, 0, v12, vcc_lo
	v_cmp_nlt_f32_e32 vcc_lo, 0x42b17218, v98
	v_cndmask_b32_e32 v17, 0x7f800000, v12, vcc_lo
	s_delay_alu instid0(VALU_DEP_1) | instskip(NEXT) | instid1(VALU_DEP_1)
	v_add_f32_e32 v98, 1.0, v17
	v_cvt_f64_f32_e32 v[12:13], v98
	s_delay_alu instid0(VALU_DEP_1) | instskip(SKIP_1) | instid1(VALU_DEP_1)
	v_frexp_exp_i32_f64_e32 v12, v[12:13]
	v_frexp_mant_f32_e32 v13, v98
	v_cmp_gt_f32_e32 vcc_lo, 0x3f2aaaab, v13
	v_add_f32_e32 v13, -1.0, v98
	s_delay_alu instid0(VALU_DEP_1) | instskip(SKIP_2) | instid1(VALU_DEP_3)
	v_sub_f32_e32 v100, v13, v98
	v_sub_f32_e32 v13, v17, v13
	v_cmp_gt_f32_e64 s28, 0x33800000, v17
	v_add_f32_e32 v100, 1.0, v100
	s_delay_alu instid0(VALU_DEP_1) | instskip(SKIP_2) | instid1(VALU_DEP_2)
	v_add_f32_e32 v13, v13, v100
	v_subrev_co_ci_u32_e32 v12, vcc_lo, 0, v12, vcc_lo
	v_cmp_eq_f32_e32 vcc_lo, 0x7f800000, v17
	v_sub_nc_u32_e32 v99, 0, v12
	v_cvt_f32_i32_e32 v12, v12
	s_or_b32 vcc_lo, s28, vcc_lo
	s_delay_alu instid0(VALU_DEP_2) | instskip(SKIP_1) | instid1(VALU_DEP_2)
	v_ldexp_f32 v98, v98, v99
	v_ldexp_f32 v13, v13, v99
	v_add_f32_e32 v99, -1.0, v98
	s_delay_alu instid0(VALU_DEP_1) | instskip(NEXT) | instid1(VALU_DEP_1)
	v_dual_add_f32 v101, 1.0, v98 :: v_dual_add_f32 v102, 1.0, v99
	v_add_f32_e32 v100, -1.0, v101
	s_delay_alu instid0(VALU_DEP_1) | instskip(NEXT) | instid1(VALU_DEP_3)
	v_sub_f32_e32 v100, v98, v100
	v_sub_f32_e32 v98, v98, v102
	s_delay_alu instid0(VALU_DEP_2) | instskip(NEXT) | instid1(VALU_DEP_2)
	v_add_f32_e32 v100, v13, v100
	v_add_f32_e32 v13, v13, v98
	s_delay_alu instid0(VALU_DEP_1) | instskip(NEXT) | instid1(VALU_DEP_1)
	v_dual_add_f32 v103, v99, v13 :: v_dual_add_f32 v102, v101, v100
	v_sub_f32_e32 v99, v99, v103
	s_delay_alu instid0(VALU_DEP_2) | instskip(SKIP_1) | instid1(VALU_DEP_1)
	v_rcp_f32_e32 v98, v102
	v_sub_f32_e32 v101, v101, v102
	v_dual_add_f32 v13, v13, v99 :: v_dual_add_f32 v100, v100, v101
	s_waitcnt_depctr 0xfff
	v_mul_f32_e32 v104, v103, v98
	s_delay_alu instid0(VALU_DEP_1) | instskip(NEXT) | instid1(VALU_DEP_1)
	v_mul_f32_e32 v105, v102, v104
	v_fma_f32 v101, v104, v102, -v105
	s_delay_alu instid0(VALU_DEP_1) | instskip(NEXT) | instid1(VALU_DEP_1)
	v_fmac_f32_e32 v101, v104, v100
	v_add_f32_e32 v106, v105, v101
	s_delay_alu instid0(VALU_DEP_1) | instskip(SKIP_1) | instid1(VALU_DEP_2)
	v_sub_f32_e32 v107, v103, v106
	v_sub_f32_e32 v99, v106, v105
	;; [unrolled: 1-line block ×3, first 2 shown]
	s_delay_alu instid0(VALU_DEP_2) | instskip(NEXT) | instid1(VALU_DEP_2)
	v_sub_f32_e32 v99, v99, v101
	v_sub_f32_e32 v103, v103, v106
	s_delay_alu instid0(VALU_DEP_1) | instskip(NEXT) | instid1(VALU_DEP_1)
	v_add_f32_e32 v13, v13, v103
	v_add_f32_e32 v13, v99, v13
	s_delay_alu instid0(VALU_DEP_1) | instskip(NEXT) | instid1(VALU_DEP_1)
	v_add_f32_e32 v99, v107, v13
	v_mul_f32_e32 v101, v98, v99
	s_delay_alu instid0(VALU_DEP_1) | instskip(NEXT) | instid1(VALU_DEP_1)
	v_dual_sub_f32 v106, v107, v99 :: v_dual_mul_f32 v103, v102, v101
	v_add_f32_e32 v13, v13, v106
	s_delay_alu instid0(VALU_DEP_2) | instskip(NEXT) | instid1(VALU_DEP_1)
	v_fma_f32 v102, v101, v102, -v103
	v_fmac_f32_e32 v102, v101, v100
	s_delay_alu instid0(VALU_DEP_1) | instskip(NEXT) | instid1(VALU_DEP_1)
	v_add_f32_e32 v100, v103, v102
	v_sub_f32_e32 v105, v99, v100
	s_delay_alu instid0(VALU_DEP_1) | instskip(NEXT) | instid1(VALU_DEP_1)
	v_sub_f32_e32 v99, v99, v105
	v_sub_f32_e32 v99, v99, v100
	s_delay_alu instid0(VALU_DEP_1) | instskip(SKIP_2) | instid1(VALU_DEP_1)
	v_add_f32_e32 v13, v13, v99
	v_add_f32_e32 v99, v104, v101
	v_sub_f32_e32 v103, v100, v103
	v_sub_f32_e32 v100, v103, v102
	s_delay_alu instid0(VALU_DEP_1) | instskip(NEXT) | instid1(VALU_DEP_1)
	v_dual_add_f32 v13, v100, v13 :: v_dual_sub_f32 v100, v99, v104
	v_add_f32_e32 v13, v105, v13
	s_delay_alu instid0(VALU_DEP_1) | instskip(NEXT) | instid1(VALU_DEP_1)
	v_dual_sub_f32 v100, v101, v100 :: v_dual_mul_f32 v13, v98, v13
	v_add_f32_e32 v13, v100, v13
	s_delay_alu instid0(VALU_DEP_1) | instskip(NEXT) | instid1(VALU_DEP_1)
	v_add_f32_e32 v98, v99, v13
	v_mul_f32_e32 v100, v98, v98
	s_delay_alu instid0(VALU_DEP_1) | instskip(SKIP_1) | instid1(VALU_DEP_2)
	v_fmaak_f32 v101, s83, v100, 0x3ecc95a3
	v_mul_f32_e32 v102, v98, v100
	v_fmaak_f32 v100, v100, v101, 0x3f2aaada
	v_ldexp_f32 v101, v98, 1
	v_sub_f32_e32 v98, v98, v99
	s_delay_alu instid0(VALU_DEP_3) | instskip(NEXT) | instid1(VALU_DEP_2)
	v_mul_f32_e32 v100, v102, v100
	v_dual_mul_f32 v102, 0x3f317218, v12 :: v_dual_sub_f32 v13, v13, v98
	s_delay_alu instid0(VALU_DEP_2) | instskip(NEXT) | instid1(VALU_DEP_2)
	v_add_f32_e32 v99, v101, v100
	v_ldexp_f32 v13, v13, 1
	s_delay_alu instid0(VALU_DEP_2) | instskip(NEXT) | instid1(VALU_DEP_4)
	v_sub_f32_e32 v98, v99, v101
	v_fma_f32 v101, 0x3f317218, v12, -v102
	s_delay_alu instid0(VALU_DEP_1) | instskip(NEXT) | instid1(VALU_DEP_1)
	v_dual_sub_f32 v98, v100, v98 :: v_dual_fmac_f32 v101, 0xb102e308, v12
	v_add_f32_e32 v12, v13, v98
	s_delay_alu instid0(VALU_DEP_1) | instskip(NEXT) | instid1(VALU_DEP_1)
	v_add_f32_e32 v98, v99, v12
	v_sub_f32_e32 v99, v98, v99
	s_delay_alu instid0(VALU_DEP_1) | instskip(NEXT) | instid1(VALU_DEP_1)
	v_dual_sub_f32 v12, v12, v99 :: v_dual_add_f32 v13, v102, v101
	v_add_f32_e32 v100, v13, v98
	s_delay_alu instid0(VALU_DEP_1) | instskip(NEXT) | instid1(VALU_DEP_1)
	v_dual_sub_f32 v102, v13, v102 :: v_dual_sub_f32 v103, v100, v13
	v_dual_sub_f32 v101, v101, v102 :: v_dual_sub_f32 v104, v100, v103
	s_delay_alu instid0(VALU_DEP_1) | instskip(NEXT) | instid1(VALU_DEP_2)
	v_dual_sub_f32 v98, v98, v103 :: v_dual_add_f32 v99, v101, v12
	v_sub_f32_e32 v13, v13, v104
	s_delay_alu instid0(VALU_DEP_1) | instskip(NEXT) | instid1(VALU_DEP_3)
	v_add_f32_e32 v13, v98, v13
	v_sub_f32_e32 v98, v99, v101
	s_delay_alu instid0(VALU_DEP_2) | instskip(NEXT) | instid1(VALU_DEP_2)
	v_add_f32_e32 v13, v99, v13
	v_sub_f32_e32 v99, v99, v98
	v_sub_f32_e32 v12, v12, v98
	s_delay_alu instid0(VALU_DEP_2) | instskip(NEXT) | instid1(VALU_DEP_1)
	v_dual_add_f32 v102, v100, v13 :: v_dual_sub_f32 v99, v101, v99
	v_sub_f32_e32 v98, v102, v100
	s_delay_alu instid0(VALU_DEP_1) | instskip(NEXT) | instid1(VALU_DEP_1)
	v_dual_add_f32 v12, v12, v99 :: v_dual_sub_f32 v13, v13, v98
	v_add_f32_e32 v12, v12, v13
	s_delay_alu instid0(VALU_DEP_1) | instskip(NEXT) | instid1(VALU_DEP_1)
	v_add_f32_e32 v12, v102, v12
	v_cndmask_b32_e32 v98, v12, v17, vcc_lo
.LBB53_84:                              ;   in Loop: Header=BB53_12 Depth=1
	s_or_b32 exec_lo, exec_lo, s29
	v_and_b32_e32 v12, 0xffff0000, v14
	s_delay_alu instid0(VALU_DEP_1) | instskip(NEXT) | instid1(VALU_DEP_1)
	v_add_f32_e32 v99, s68, v12
	v_cmp_ge_f32_e32 vcc_lo, 0x41a00000, v99
	s_and_b32 s28, s79, vcc_lo
	s_delay_alu instid0(SALU_CYCLE_1)
	s_and_saveexec_b32 s29, s28
	s_cbranch_execz .LBB53_86
; %bb.85:                               ;   in Loop: Header=BB53_12 Depth=1
	v_mul_f32_e32 v12, 0x3fb8aa3b, v99
	v_cmp_ngt_f32_e32 vcc_lo, 0xc2ce8ed0, v99
	s_delay_alu instid0(VALU_DEP_2) | instskip(SKIP_1) | instid1(VALU_DEP_2)
	v_rndne_f32_e32 v13, v12
	v_fma_f32 v14, 0x3fb8aa3b, v99, -v12
	v_sub_f32_e32 v12, v12, v13
	s_delay_alu instid0(VALU_DEP_2) | instskip(SKIP_1) | instid1(VALU_DEP_2)
	v_fmac_f32_e32 v14, 0x32a5705f, v99
	v_cvt_i32_f32_e32 v13, v13
	v_add_f32_e32 v12, v12, v14
	s_delay_alu instid0(VALU_DEP_1) | instskip(SKIP_2) | instid1(VALU_DEP_1)
	v_exp_f32_e32 v12, v12
	s_waitcnt_depctr 0xfff
	v_ldexp_f32 v12, v12, v13
	v_cndmask_b32_e32 v12, 0, v12, vcc_lo
	v_cmp_nlt_f32_e32 vcc_lo, 0x42b17218, v99
	s_delay_alu instid0(VALU_DEP_2) | instskip(NEXT) | instid1(VALU_DEP_1)
	v_cndmask_b32_e32 v14, 0x7f800000, v12, vcc_lo
	v_add_f32_e32 v17, 1.0, v14
	s_delay_alu instid0(VALU_DEP_1) | instskip(NEXT) | instid1(VALU_DEP_1)
	v_cvt_f64_f32_e32 v[12:13], v17
	v_frexp_exp_i32_f64_e32 v12, v[12:13]
	v_frexp_mant_f32_e32 v13, v17
	s_delay_alu instid0(VALU_DEP_1) | instskip(SKIP_1) | instid1(VALU_DEP_1)
	v_cmp_gt_f32_e32 vcc_lo, 0x3f2aaaab, v13
	v_add_f32_e32 v13, -1.0, v17
	v_sub_f32_e32 v100, v13, v17
	v_sub_f32_e32 v13, v14, v13
	v_subrev_co_ci_u32_e32 v12, vcc_lo, 0, v12, vcc_lo
	s_delay_alu instid0(VALU_DEP_1) | instskip(SKIP_1) | instid1(VALU_DEP_2)
	v_sub_nc_u32_e32 v99, 0, v12
	v_cvt_f32_i32_e32 v12, v12
	v_ldexp_f32 v17, v17, v99
	s_delay_alu instid0(VALU_DEP_1) | instskip(NEXT) | instid1(VALU_DEP_1)
	v_dual_add_f32 v100, 1.0, v100 :: v_dual_add_f32 v101, 1.0, v17
	v_dual_add_f32 v13, v13, v100 :: v_dual_add_f32 v100, -1.0, v101
	s_delay_alu instid0(VALU_DEP_1) | instskip(SKIP_4) | instid1(VALU_DEP_4)
	v_ldexp_f32 v13, v13, v99
	v_add_f32_e32 v99, -1.0, v17
	v_cmp_eq_f32_e32 vcc_lo, 0x7f800000, v14
	v_cmp_gt_f32_e64 s28, 0x33800000, v14
	v_sub_f32_e32 v100, v17, v100
	v_add_f32_e32 v102, 1.0, v99
	s_delay_alu instid0(VALU_DEP_3) | instskip(NEXT) | instid1(VALU_DEP_2)
	s_or_b32 vcc_lo, s28, vcc_lo
	v_add_f32_e32 v100, v13, v100
	s_delay_alu instid0(VALU_DEP_2) | instskip(NEXT) | instid1(VALU_DEP_1)
	v_sub_f32_e32 v17, v17, v102
	v_add_f32_e32 v13, v13, v17
	s_delay_alu instid0(VALU_DEP_1) | instskip(NEXT) | instid1(VALU_DEP_1)
	v_dual_add_f32 v103, v99, v13 :: v_dual_add_f32 v102, v101, v100
	v_sub_f32_e32 v99, v99, v103
	s_delay_alu instid0(VALU_DEP_2) | instskip(SKIP_1) | instid1(VALU_DEP_1)
	v_rcp_f32_e32 v17, v102
	v_sub_f32_e32 v101, v101, v102
	v_dual_add_f32 v13, v13, v99 :: v_dual_add_f32 v100, v100, v101
	s_waitcnt_depctr 0xfff
	v_mul_f32_e32 v104, v103, v17
	s_delay_alu instid0(VALU_DEP_1) | instskip(NEXT) | instid1(VALU_DEP_1)
	v_mul_f32_e32 v105, v102, v104
	v_fma_f32 v101, v104, v102, -v105
	s_delay_alu instid0(VALU_DEP_1) | instskip(NEXT) | instid1(VALU_DEP_1)
	v_fmac_f32_e32 v101, v104, v100
	v_add_f32_e32 v106, v105, v101
	s_delay_alu instid0(VALU_DEP_1) | instskip(NEXT) | instid1(VALU_DEP_1)
	v_sub_f32_e32 v107, v103, v106
	v_sub_f32_e32 v103, v103, v107
	;; [unrolled: 1-line block ×3, first 2 shown]
	s_delay_alu instid0(VALU_DEP_2) | instskip(NEXT) | instid1(VALU_DEP_2)
	v_sub_f32_e32 v103, v103, v106
	v_sub_f32_e32 v99, v99, v101
	s_delay_alu instid0(VALU_DEP_2) | instskip(NEXT) | instid1(VALU_DEP_1)
	v_add_f32_e32 v13, v13, v103
	v_add_f32_e32 v13, v99, v13
	s_delay_alu instid0(VALU_DEP_1) | instskip(NEXT) | instid1(VALU_DEP_1)
	v_add_f32_e32 v99, v107, v13
	v_mul_f32_e32 v101, v17, v99
	s_delay_alu instid0(VALU_DEP_1) | instskip(NEXT) | instid1(VALU_DEP_1)
	v_dual_sub_f32 v106, v107, v99 :: v_dual_mul_f32 v103, v102, v101
	v_add_f32_e32 v13, v13, v106
	s_delay_alu instid0(VALU_DEP_2) | instskip(NEXT) | instid1(VALU_DEP_1)
	v_fma_f32 v102, v101, v102, -v103
	v_fmac_f32_e32 v102, v101, v100
	s_delay_alu instid0(VALU_DEP_1) | instskip(NEXT) | instid1(VALU_DEP_1)
	v_add_f32_e32 v100, v103, v102
	v_sub_f32_e32 v105, v99, v100
	v_sub_f32_e32 v103, v100, v103
	s_delay_alu instid0(VALU_DEP_2) | instskip(NEXT) | instid1(VALU_DEP_1)
	v_sub_f32_e32 v99, v99, v105
	v_sub_f32_e32 v99, v99, v100
	s_delay_alu instid0(VALU_DEP_1) | instskip(SKIP_1) | instid1(VALU_DEP_1)
	v_dual_sub_f32 v100, v103, v102 :: v_dual_add_f32 v13, v13, v99
	v_add_f32_e32 v99, v104, v101
	v_dual_add_f32 v13, v100, v13 :: v_dual_sub_f32 v100, v99, v104
	s_delay_alu instid0(VALU_DEP_1) | instskip(NEXT) | instid1(VALU_DEP_2)
	v_add_f32_e32 v13, v105, v13
	v_sub_f32_e32 v100, v101, v100
	s_delay_alu instid0(VALU_DEP_2) | instskip(NEXT) | instid1(VALU_DEP_1)
	v_mul_f32_e32 v13, v17, v13
	v_add_f32_e32 v13, v100, v13
	s_delay_alu instid0(VALU_DEP_1) | instskip(NEXT) | instid1(VALU_DEP_1)
	v_add_f32_e32 v17, v99, v13
	v_mul_f32_e32 v100, v17, v17
	s_delay_alu instid0(VALU_DEP_1) | instskip(SKIP_1) | instid1(VALU_DEP_2)
	v_fmaak_f32 v101, s83, v100, 0x3ecc95a3
	v_mul_f32_e32 v102, v17, v100
	v_fmaak_f32 v100, v100, v101, 0x3f2aaada
	v_ldexp_f32 v101, v17, 1
	s_delay_alu instid0(VALU_DEP_2) | instskip(NEXT) | instid1(VALU_DEP_1)
	v_dual_sub_f32 v17, v17, v99 :: v_dual_mul_f32 v100, v102, v100
	v_dual_mul_f32 v102, 0x3f317218, v12 :: v_dual_sub_f32 v13, v13, v17
	s_delay_alu instid0(VALU_DEP_2) | instskip(NEXT) | instid1(VALU_DEP_2)
	v_add_f32_e32 v99, v101, v100
	v_ldexp_f32 v13, v13, 1
	s_delay_alu instid0(VALU_DEP_2) | instskip(NEXT) | instid1(VALU_DEP_4)
	v_sub_f32_e32 v17, v99, v101
	v_fma_f32 v101, 0x3f317218, v12, -v102
	s_delay_alu instid0(VALU_DEP_2) | instskip(NEXT) | instid1(VALU_DEP_1)
	v_sub_f32_e32 v17, v100, v17
	v_dual_fmac_f32 v101, 0xb102e308, v12 :: v_dual_add_f32 v12, v13, v17
	s_delay_alu instid0(VALU_DEP_1) | instskip(NEXT) | instid1(VALU_DEP_1)
	v_add_f32_e32 v13, v102, v101
	v_dual_add_f32 v17, v99, v12 :: v_dual_sub_f32 v102, v13, v102
	s_delay_alu instid0(VALU_DEP_1) | instskip(SKIP_1) | instid1(VALU_DEP_3)
	v_add_f32_e32 v100, v13, v17
	v_sub_f32_e32 v99, v17, v99
	v_sub_f32_e32 v101, v101, v102
	s_delay_alu instid0(VALU_DEP_3) | instskip(NEXT) | instid1(VALU_DEP_3)
	v_sub_f32_e32 v103, v100, v13
	v_sub_f32_e32 v12, v12, v99
	s_delay_alu instid0(VALU_DEP_2) | instskip(SKIP_1) | instid1(VALU_DEP_3)
	v_sub_f32_e32 v104, v100, v103
	v_sub_f32_e32 v17, v17, v103
	v_add_f32_e32 v99, v101, v12
	s_delay_alu instid0(VALU_DEP_3) | instskip(NEXT) | instid1(VALU_DEP_1)
	v_sub_f32_e32 v13, v13, v104
	v_add_f32_e32 v13, v17, v13
	s_delay_alu instid0(VALU_DEP_3) | instskip(NEXT) | instid1(VALU_DEP_2)
	v_sub_f32_e32 v17, v99, v101
	v_add_f32_e32 v13, v99, v13
	s_delay_alu instid0(VALU_DEP_2) | instskip(SKIP_1) | instid1(VALU_DEP_2)
	v_sub_f32_e32 v99, v99, v17
	v_sub_f32_e32 v12, v12, v17
	v_dual_add_f32 v102, v100, v13 :: v_dual_sub_f32 v99, v101, v99
	s_delay_alu instid0(VALU_DEP_1) | instskip(NEXT) | instid1(VALU_DEP_1)
	v_dual_sub_f32 v17, v102, v100 :: v_dual_add_f32 v12, v12, v99
	v_sub_f32_e32 v13, v13, v17
	s_delay_alu instid0(VALU_DEP_1) | instskip(NEXT) | instid1(VALU_DEP_1)
	v_add_f32_e32 v12, v12, v13
	v_add_f32_e32 v12, v102, v12
	s_delay_alu instid0(VALU_DEP_1)
	v_cndmask_b32_e32 v99, v12, v14, vcc_lo
.LBB53_86:                              ;   in Loop: Header=BB53_12 Depth=1
	s_or_b32 exec_lo, exec_lo, s29
	v_lshlrev_b32_e32 v12, 16, v15
	s_delay_alu instid0(VALU_DEP_1) | instskip(NEXT) | instid1(VALU_DEP_1)
	v_add_f32_e32 v100, s68, v12
	v_cmp_ge_f32_e32 vcc_lo, 0x41a00000, v100
	s_and_b32 s28, s79, vcc_lo
	s_delay_alu instid0(SALU_CYCLE_1)
	s_and_saveexec_b32 s29, s28
	s_cbranch_execz .LBB53_88
; %bb.87:                               ;   in Loop: Header=BB53_12 Depth=1
	v_mul_f32_e32 v12, 0x3fb8aa3b, v100
	v_cmp_ngt_f32_e32 vcc_lo, 0xc2ce8ed0, v100
	s_delay_alu instid0(VALU_DEP_2) | instskip(SKIP_1) | instid1(VALU_DEP_2)
	v_rndne_f32_e32 v13, v12
	v_fma_f32 v14, 0x3fb8aa3b, v100, -v12
	v_sub_f32_e32 v12, v12, v13
	s_delay_alu instid0(VALU_DEP_2) | instskip(SKIP_1) | instid1(VALU_DEP_2)
	v_fmac_f32_e32 v14, 0x32a5705f, v100
	v_cvt_i32_f32_e32 v13, v13
	v_add_f32_e32 v12, v12, v14
	s_delay_alu instid0(VALU_DEP_1) | instskip(SKIP_2) | instid1(VALU_DEP_1)
	v_exp_f32_e32 v12, v12
	s_waitcnt_depctr 0xfff
	v_ldexp_f32 v12, v12, v13
	v_cndmask_b32_e32 v12, 0, v12, vcc_lo
	v_cmp_nlt_f32_e32 vcc_lo, 0x42b17218, v100
	s_delay_alu instid0(VALU_DEP_2) | instskip(NEXT) | instid1(VALU_DEP_1)
	v_cndmask_b32_e32 v14, 0x7f800000, v12, vcc_lo
	v_add_f32_e32 v17, 1.0, v14
	s_delay_alu instid0(VALU_DEP_1) | instskip(NEXT) | instid1(VALU_DEP_1)
	v_cvt_f64_f32_e32 v[12:13], v17
	v_frexp_exp_i32_f64_e32 v12, v[12:13]
	v_frexp_mant_f32_e32 v13, v17
	s_delay_alu instid0(VALU_DEP_1) | instskip(SKIP_1) | instid1(VALU_DEP_1)
	v_cmp_gt_f32_e32 vcc_lo, 0x3f2aaaab, v13
	v_add_f32_e32 v13, -1.0, v17
	v_sub_f32_e32 v101, v13, v17
	s_delay_alu instid0(VALU_DEP_1) | instskip(SKIP_2) | instid1(VALU_DEP_2)
	v_add_f32_e32 v101, 1.0, v101
	v_sub_f32_e32 v13, v14, v13
	v_cmp_gt_f32_e64 s28, 0x33800000, v14
	v_add_f32_e32 v13, v13, v101
	v_subrev_co_ci_u32_e32 v12, vcc_lo, 0, v12, vcc_lo
	v_cmp_eq_f32_e32 vcc_lo, 0x7f800000, v14
	s_delay_alu instid0(VALU_DEP_2) | instskip(SKIP_2) | instid1(VALU_DEP_2)
	v_sub_nc_u32_e32 v100, 0, v12
	v_cvt_f32_i32_e32 v12, v12
	s_or_b32 vcc_lo, s28, vcc_lo
	v_ldexp_f32 v17, v17, v100
	v_ldexp_f32 v13, v13, v100
	s_delay_alu instid0(VALU_DEP_2) | instskip(NEXT) | instid1(VALU_DEP_1)
	v_add_f32_e32 v100, -1.0, v17
	v_dual_add_f32 v102, 1.0, v17 :: v_dual_add_f32 v103, 1.0, v100
	s_delay_alu instid0(VALU_DEP_1) | instskip(NEXT) | instid1(VALU_DEP_1)
	v_add_f32_e32 v101, -1.0, v102
	v_sub_f32_e32 v101, v17, v101
	s_delay_alu instid0(VALU_DEP_3) | instskip(NEXT) | instid1(VALU_DEP_2)
	v_sub_f32_e32 v17, v17, v103
	v_add_f32_e32 v101, v13, v101
	s_delay_alu instid0(VALU_DEP_2) | instskip(NEXT) | instid1(VALU_DEP_1)
	v_add_f32_e32 v13, v13, v17
	v_add_f32_e32 v104, v100, v13
	s_delay_alu instid0(VALU_DEP_1) | instskip(NEXT) | instid1(VALU_DEP_1)
	v_dual_sub_f32 v100, v100, v104 :: v_dual_add_f32 v103, v102, v101
	v_add_f32_e32 v13, v13, v100
	s_delay_alu instid0(VALU_DEP_2) | instskip(SKIP_1) | instid1(VALU_DEP_1)
	v_rcp_f32_e32 v17, v103
	v_sub_f32_e32 v102, v102, v103
	v_add_f32_e32 v101, v101, v102
	s_waitcnt_depctr 0xfff
	v_mul_f32_e32 v105, v104, v17
	s_delay_alu instid0(VALU_DEP_1) | instskip(NEXT) | instid1(VALU_DEP_1)
	v_mul_f32_e32 v106, v103, v105
	v_fma_f32 v102, v105, v103, -v106
	s_delay_alu instid0(VALU_DEP_1) | instskip(NEXT) | instid1(VALU_DEP_1)
	v_fmac_f32_e32 v102, v105, v101
	v_add_f32_e32 v107, v106, v102
	s_delay_alu instid0(VALU_DEP_1) | instskip(SKIP_1) | instid1(VALU_DEP_2)
	v_sub_f32_e32 v108, v104, v107
	v_sub_f32_e32 v100, v107, v106
	;; [unrolled: 1-line block ×3, first 2 shown]
	s_delay_alu instid0(VALU_DEP_1) | instskip(NEXT) | instid1(VALU_DEP_1)
	v_sub_f32_e32 v104, v104, v107
	v_dual_sub_f32 v100, v100, v102 :: v_dual_add_f32 v13, v13, v104
	s_delay_alu instid0(VALU_DEP_1) | instskip(NEXT) | instid1(VALU_DEP_1)
	v_add_f32_e32 v13, v100, v13
	v_add_f32_e32 v100, v108, v13
	s_delay_alu instid0(VALU_DEP_1) | instskip(NEXT) | instid1(VALU_DEP_1)
	v_mul_f32_e32 v102, v17, v100
	v_dual_sub_f32 v107, v108, v100 :: v_dual_mul_f32 v104, v103, v102
	s_delay_alu instid0(VALU_DEP_1) | instskip(NEXT) | instid1(VALU_DEP_2)
	v_add_f32_e32 v13, v13, v107
	v_fma_f32 v103, v102, v103, -v104
	s_delay_alu instid0(VALU_DEP_1) | instskip(NEXT) | instid1(VALU_DEP_1)
	v_fmac_f32_e32 v103, v102, v101
	v_add_f32_e32 v101, v104, v103
	s_delay_alu instid0(VALU_DEP_1) | instskip(NEXT) | instid1(VALU_DEP_1)
	v_sub_f32_e32 v106, v100, v101
	v_sub_f32_e32 v100, v100, v106
	s_delay_alu instid0(VALU_DEP_1) | instskip(NEXT) | instid1(VALU_DEP_1)
	v_sub_f32_e32 v100, v100, v101
	v_add_f32_e32 v13, v13, v100
	v_add_f32_e32 v100, v105, v102
	v_sub_f32_e32 v104, v101, v104
	s_delay_alu instid0(VALU_DEP_1) | instskip(NEXT) | instid1(VALU_DEP_1)
	v_sub_f32_e32 v101, v104, v103
	v_add_f32_e32 v13, v101, v13
	s_delay_alu instid0(VALU_DEP_4) | instskip(NEXT) | instid1(VALU_DEP_2)
	v_sub_f32_e32 v101, v100, v105
	v_add_f32_e32 v13, v106, v13
	s_delay_alu instid0(VALU_DEP_2) | instskip(NEXT) | instid1(VALU_DEP_2)
	v_sub_f32_e32 v101, v102, v101
	v_mul_f32_e32 v13, v17, v13
	s_delay_alu instid0(VALU_DEP_1) | instskip(NEXT) | instid1(VALU_DEP_1)
	v_add_f32_e32 v13, v101, v13
	v_add_f32_e32 v17, v100, v13
	s_delay_alu instid0(VALU_DEP_1) | instskip(NEXT) | instid1(VALU_DEP_1)
	v_mul_f32_e32 v101, v17, v17
	v_fmaak_f32 v102, s83, v101, 0x3ecc95a3
	v_mul_f32_e32 v103, v17, v101
	s_delay_alu instid0(VALU_DEP_2) | instskip(SKIP_1) | instid1(VALU_DEP_2)
	v_fmaak_f32 v101, v101, v102, 0x3f2aaada
	v_ldexp_f32 v102, v17, 1
	v_mul_f32_e32 v101, v103, v101
	s_delay_alu instid0(VALU_DEP_1) | instskip(NEXT) | instid1(VALU_DEP_1)
	v_dual_sub_f32 v17, v17, v100 :: v_dual_add_f32 v100, v102, v101
	v_sub_f32_e32 v13, v13, v17
	s_delay_alu instid0(VALU_DEP_2) | instskip(NEXT) | instid1(VALU_DEP_2)
	v_sub_f32_e32 v17, v100, v102
	v_ldexp_f32 v13, v13, 1
	s_delay_alu instid0(VALU_DEP_2) | instskip(SKIP_1) | instid1(VALU_DEP_1)
	v_sub_f32_e32 v17, v101, v17
	v_mul_f32_e32 v103, 0x3f317218, v12
	v_fma_f32 v102, 0x3f317218, v12, -v103
	s_delay_alu instid0(VALU_DEP_1) | instskip(NEXT) | instid1(VALU_DEP_1)
	v_fmac_f32_e32 v102, 0xb102e308, v12
	v_dual_add_f32 v12, v13, v17 :: v_dual_add_f32 v13, v103, v102
	s_delay_alu instid0(VALU_DEP_1) | instskip(NEXT) | instid1(VALU_DEP_1)
	v_add_f32_e32 v17, v100, v12
	v_add_f32_e32 v101, v13, v17
	v_sub_f32_e32 v100, v17, v100
	s_delay_alu instid0(VALU_DEP_2) | instskip(NEXT) | instid1(VALU_DEP_2)
	v_sub_f32_e32 v104, v101, v13
	v_dual_sub_f32 v12, v12, v100 :: v_dual_sub_f32 v103, v13, v103
	s_delay_alu instid0(VALU_DEP_2) | instskip(NEXT) | instid1(VALU_DEP_2)
	v_sub_f32_e32 v105, v101, v104
	v_dual_sub_f32 v17, v17, v104 :: v_dual_sub_f32 v102, v102, v103
	s_delay_alu instid0(VALU_DEP_1) | instskip(NEXT) | instid1(VALU_DEP_1)
	v_dual_sub_f32 v13, v13, v105 :: v_dual_add_f32 v100, v102, v12
	v_add_f32_e32 v13, v17, v13
	s_delay_alu instid0(VALU_DEP_2) | instskip(NEXT) | instid1(VALU_DEP_2)
	v_sub_f32_e32 v17, v100, v102
	v_add_f32_e32 v13, v100, v13
	s_delay_alu instid0(VALU_DEP_2) | instskip(SKIP_1) | instid1(VALU_DEP_2)
	v_sub_f32_e32 v100, v100, v17
	v_sub_f32_e32 v12, v12, v17
	v_dual_add_f32 v103, v101, v13 :: v_dual_sub_f32 v100, v102, v100
	s_delay_alu instid0(VALU_DEP_1) | instskip(NEXT) | instid1(VALU_DEP_1)
	v_dual_sub_f32 v17, v103, v101 :: v_dual_add_f32 v12, v12, v100
	v_sub_f32_e32 v13, v13, v17
	s_delay_alu instid0(VALU_DEP_1) | instskip(NEXT) | instid1(VALU_DEP_1)
	v_add_f32_e32 v12, v12, v13
	v_add_f32_e32 v12, v103, v12
	s_delay_alu instid0(VALU_DEP_1)
	v_cndmask_b32_e32 v100, v12, v14, vcc_lo
.LBB53_88:                              ;   in Loop: Header=BB53_12 Depth=1
	s_or_b32 exec_lo, exec_lo, s29
	v_and_b32_e32 v12, 0xffff0000, v15
	s_delay_alu instid0(VALU_DEP_1) | instskip(NEXT) | instid1(VALU_DEP_1)
	v_add_f32_e32 v105, s68, v12
	v_cmp_ge_f32_e32 vcc_lo, 0x41a00000, v105
	s_and_b32 s28, s79, vcc_lo
	s_delay_alu instid0(SALU_CYCLE_1)
	s_and_saveexec_b32 s29, s28
	s_cbranch_execz .LBB53_90
; %bb.89:                               ;   in Loop: Header=BB53_12 Depth=1
	v_mul_f32_e32 v12, 0x3fb8aa3b, v105
	v_cmp_ngt_f32_e32 vcc_lo, 0xc2ce8ed0, v105
	s_delay_alu instid0(VALU_DEP_2) | instskip(SKIP_1) | instid1(VALU_DEP_2)
	v_rndne_f32_e32 v13, v12
	v_fma_f32 v14, 0x3fb8aa3b, v105, -v12
	v_sub_f32_e32 v12, v12, v13
	s_delay_alu instid0(VALU_DEP_2) | instskip(SKIP_1) | instid1(VALU_DEP_2)
	v_fmac_f32_e32 v14, 0x32a5705f, v105
	v_cvt_i32_f32_e32 v13, v13
	v_add_f32_e32 v12, v12, v14
	s_delay_alu instid0(VALU_DEP_1) | instskip(SKIP_2) | instid1(VALU_DEP_1)
	v_exp_f32_e32 v12, v12
	s_waitcnt_depctr 0xfff
	v_ldexp_f32 v12, v12, v13
	v_cndmask_b32_e32 v12, 0, v12, vcc_lo
	v_cmp_nlt_f32_e32 vcc_lo, 0x42b17218, v105
	s_delay_alu instid0(VALU_DEP_2) | instskip(NEXT) | instid1(VALU_DEP_1)
	v_cndmask_b32_e32 v14, 0x7f800000, v12, vcc_lo
	v_add_f32_e32 v15, 1.0, v14
	s_delay_alu instid0(VALU_DEP_1) | instskip(NEXT) | instid1(VALU_DEP_1)
	v_cvt_f64_f32_e32 v[12:13], v15
	v_frexp_exp_i32_f64_e32 v12, v[12:13]
	v_frexp_mant_f32_e32 v13, v15
	s_delay_alu instid0(VALU_DEP_1) | instskip(SKIP_1) | instid1(VALU_DEP_1)
	v_cmp_gt_f32_e32 vcc_lo, 0x3f2aaaab, v13
	v_add_f32_e32 v13, -1.0, v15
	v_sub_f32_e32 v101, v13, v15
	v_sub_f32_e32 v13, v14, v13
	s_delay_alu instid0(VALU_DEP_2) | instskip(NEXT) | instid1(VALU_DEP_1)
	v_add_f32_e32 v101, 1.0, v101
	v_add_f32_e32 v13, v13, v101
	v_cmp_gt_f32_e64 s28, 0x33800000, v14
	v_subrev_co_ci_u32_e32 v12, vcc_lo, 0, v12, vcc_lo
	v_cmp_eq_f32_e32 vcc_lo, 0x7f800000, v14
	s_delay_alu instid0(VALU_DEP_2) | instskip(SKIP_2) | instid1(VALU_DEP_2)
	v_sub_nc_u32_e32 v17, 0, v12
	v_cvt_f32_i32_e32 v12, v12
	s_or_b32 vcc_lo, s28, vcc_lo
	v_ldexp_f32 v15, v15, v17
	v_ldexp_f32 v13, v13, v17
	s_delay_alu instid0(VALU_DEP_2) | instskip(SKIP_1) | instid1(VALU_DEP_2)
	v_add_f32_e32 v102, 1.0, v15
	v_add_f32_e32 v17, -1.0, v15
	v_add_f32_e32 v101, -1.0, v102
	s_delay_alu instid0(VALU_DEP_2) | instskip(NEXT) | instid1(VALU_DEP_2)
	v_add_f32_e32 v103, 1.0, v17
	v_sub_f32_e32 v101, v15, v101
	s_delay_alu instid0(VALU_DEP_2) | instskip(NEXT) | instid1(VALU_DEP_2)
	v_sub_f32_e32 v15, v15, v103
	v_add_f32_e32 v101, v13, v101
	s_delay_alu instid0(VALU_DEP_2) | instskip(NEXT) | instid1(VALU_DEP_1)
	v_add_f32_e32 v13, v13, v15
	v_add_f32_e32 v104, v17, v13
	s_delay_alu instid0(VALU_DEP_3) | instskip(NEXT) | instid1(VALU_DEP_1)
	v_add_f32_e32 v103, v102, v101
	v_rcp_f32_e32 v15, v103
	v_sub_f32_e32 v102, v102, v103
	s_delay_alu instid0(VALU_DEP_1) | instskip(SKIP_2) | instid1(VALU_DEP_1)
	v_add_f32_e32 v101, v101, v102
	s_waitcnt_depctr 0xfff
	v_mul_f32_e32 v105, v104, v15
	v_dual_mul_f32 v106, v103, v105 :: v_dual_sub_f32 v17, v17, v104
	s_delay_alu instid0(VALU_DEP_1) | instskip(NEXT) | instid1(VALU_DEP_2)
	v_fma_f32 v102, v105, v103, -v106
	v_add_f32_e32 v13, v13, v17
	s_delay_alu instid0(VALU_DEP_2) | instskip(NEXT) | instid1(VALU_DEP_1)
	v_fmac_f32_e32 v102, v105, v101
	v_add_f32_e32 v107, v106, v102
	s_delay_alu instid0(VALU_DEP_1) | instskip(NEXT) | instid1(VALU_DEP_1)
	v_dual_sub_f32 v108, v104, v107 :: v_dual_sub_f32 v17, v107, v106
	v_dual_sub_f32 v104, v104, v108 :: v_dual_sub_f32 v17, v17, v102
	s_delay_alu instid0(VALU_DEP_1) | instskip(NEXT) | instid1(VALU_DEP_1)
	v_sub_f32_e32 v104, v104, v107
	v_add_f32_e32 v13, v13, v104
	s_delay_alu instid0(VALU_DEP_1) | instskip(NEXT) | instid1(VALU_DEP_1)
	v_add_f32_e32 v13, v17, v13
	v_add_f32_e32 v17, v108, v13
	s_delay_alu instid0(VALU_DEP_1) | instskip(NEXT) | instid1(VALU_DEP_1)
	v_mul_f32_e32 v102, v15, v17
	v_dual_sub_f32 v107, v108, v17 :: v_dual_mul_f32 v104, v103, v102
	s_delay_alu instid0(VALU_DEP_1) | instskip(NEXT) | instid1(VALU_DEP_2)
	v_add_f32_e32 v13, v13, v107
	v_fma_f32 v103, v102, v103, -v104
	s_delay_alu instid0(VALU_DEP_1) | instskip(NEXT) | instid1(VALU_DEP_1)
	v_fmac_f32_e32 v103, v102, v101
	v_add_f32_e32 v101, v104, v103
	s_delay_alu instid0(VALU_DEP_1) | instskip(SKIP_1) | instid1(VALU_DEP_2)
	v_sub_f32_e32 v106, v17, v101
	v_sub_f32_e32 v104, v101, v104
	;; [unrolled: 1-line block ×3, first 2 shown]
	s_delay_alu instid0(VALU_DEP_1) | instskip(NEXT) | instid1(VALU_DEP_3)
	v_sub_f32_e32 v17, v17, v101
	v_sub_f32_e32 v101, v104, v103
	s_delay_alu instid0(VALU_DEP_2) | instskip(SKIP_1) | instid1(VALU_DEP_2)
	v_add_f32_e32 v13, v13, v17
	v_add_f32_e32 v17, v105, v102
	;; [unrolled: 1-line block ×3, first 2 shown]
	s_delay_alu instid0(VALU_DEP_2) | instskip(NEXT) | instid1(VALU_DEP_2)
	v_sub_f32_e32 v101, v17, v105
	v_add_f32_e32 v13, v106, v13
	s_delay_alu instid0(VALU_DEP_2) | instskip(NEXT) | instid1(VALU_DEP_2)
	v_sub_f32_e32 v101, v102, v101
	v_mul_f32_e32 v13, v15, v13
	s_delay_alu instid0(VALU_DEP_1) | instskip(NEXT) | instid1(VALU_DEP_1)
	v_add_f32_e32 v13, v101, v13
	v_add_f32_e32 v15, v17, v13
	s_delay_alu instid0(VALU_DEP_1) | instskip(NEXT) | instid1(VALU_DEP_1)
	v_mul_f32_e32 v101, v15, v15
	v_fmaak_f32 v102, s83, v101, 0x3ecc95a3
	v_mul_f32_e32 v103, v15, v101
	s_delay_alu instid0(VALU_DEP_2) | instskip(SKIP_2) | instid1(VALU_DEP_3)
	v_fmaak_f32 v101, v101, v102, 0x3f2aaada
	v_ldexp_f32 v102, v15, 1
	v_sub_f32_e32 v15, v15, v17
	v_mul_f32_e32 v101, v103, v101
	v_mul_f32_e32 v103, 0x3f317218, v12
	s_delay_alu instid0(VALU_DEP_3) | instskip(NEXT) | instid1(VALU_DEP_3)
	v_sub_f32_e32 v13, v13, v15
	v_add_f32_e32 v17, v102, v101
	s_delay_alu instid0(VALU_DEP_2) | instskip(NEXT) | instid1(VALU_DEP_2)
	v_ldexp_f32 v13, v13, 1
	v_sub_f32_e32 v15, v17, v102
	v_fma_f32 v102, 0x3f317218, v12, -v103
	s_delay_alu instid0(VALU_DEP_1) | instskip(NEXT) | instid1(VALU_DEP_1)
	v_dual_sub_f32 v15, v101, v15 :: v_dual_fmac_f32 v102, 0xb102e308, v12
	v_dual_add_f32 v12, v13, v15 :: v_dual_add_f32 v13, v103, v102
	s_delay_alu instid0(VALU_DEP_1) | instskip(NEXT) | instid1(VALU_DEP_1)
	v_add_f32_e32 v15, v17, v12
	v_add_f32_e32 v101, v13, v15
	v_sub_f32_e32 v17, v15, v17
	s_delay_alu instid0(VALU_DEP_2) | instskip(NEXT) | instid1(VALU_DEP_2)
	v_sub_f32_e32 v104, v101, v13
	v_dual_sub_f32 v103, v13, v103 :: v_dual_sub_f32 v12, v12, v17
	s_delay_alu instid0(VALU_DEP_1) | instskip(SKIP_1) | instid1(VALU_DEP_2)
	v_dual_sub_f32 v105, v101, v104 :: v_dual_sub_f32 v102, v102, v103
	v_sub_f32_e32 v15, v15, v104
	v_sub_f32_e32 v13, v13, v105
	s_delay_alu instid0(VALU_DEP_3) | instskip(NEXT) | instid1(VALU_DEP_2)
	v_add_f32_e32 v17, v102, v12
	v_add_f32_e32 v13, v15, v13
	s_delay_alu instid0(VALU_DEP_2) | instskip(NEXT) | instid1(VALU_DEP_2)
	v_sub_f32_e32 v15, v17, v102
	v_add_f32_e32 v13, v17, v13
	s_delay_alu instid0(VALU_DEP_2) | instskip(NEXT) | instid1(VALU_DEP_2)
	v_sub_f32_e32 v17, v17, v15
	v_dual_sub_f32 v12, v12, v15 :: v_dual_add_f32 v103, v101, v13
	s_delay_alu instid0(VALU_DEP_2) | instskip(NEXT) | instid1(VALU_DEP_2)
	v_sub_f32_e32 v17, v102, v17
	v_sub_f32_e32 v15, v103, v101
	s_delay_alu instid0(VALU_DEP_1) | instskip(NEXT) | instid1(VALU_DEP_1)
	v_dual_add_f32 v12, v12, v17 :: v_dual_sub_f32 v13, v13, v15
	v_add_f32_e32 v12, v12, v13
	s_delay_alu instid0(VALU_DEP_1) | instskip(NEXT) | instid1(VALU_DEP_1)
	v_add_f32_e32 v12, v103, v12
	v_cndmask_b32_e32 v105, v12, v14, vcc_lo
.LBB53_90:                              ;   in Loop: Header=BB53_12 Depth=1
	s_or_b32 exec_lo, exec_lo, s29
	s_waitcnt lgkmcnt(0)
	v_lshlrev_b32_e32 v12, 16, v8
	s_delay_alu instid0(VALU_DEP_1) | instskip(NEXT) | instid1(VALU_DEP_1)
	v_add_f32_e32 v108, s68, v12
	v_cmp_ge_f32_e32 vcc_lo, 0x41a00000, v108
	s_and_b32 s28, s79, vcc_lo
	s_delay_alu instid0(SALU_CYCLE_1)
	s_and_saveexec_b32 s29, s28
	s_cbranch_execz .LBB53_92
; %bb.91:                               ;   in Loop: Header=BB53_12 Depth=1
	v_mul_f32_e32 v12, 0x3fb8aa3b, v108
	v_cmp_ngt_f32_e32 vcc_lo, 0xc2ce8ed0, v108
	s_delay_alu instid0(VALU_DEP_2) | instskip(SKIP_1) | instid1(VALU_DEP_2)
	v_rndne_f32_e32 v13, v12
	v_fma_f32 v14, 0x3fb8aa3b, v108, -v12
	v_sub_f32_e32 v12, v12, v13
	s_delay_alu instid0(VALU_DEP_2) | instskip(SKIP_1) | instid1(VALU_DEP_2)
	v_fmac_f32_e32 v14, 0x32a5705f, v108
	v_cvt_i32_f32_e32 v13, v13
	v_add_f32_e32 v12, v12, v14
	s_delay_alu instid0(VALU_DEP_1) | instskip(SKIP_2) | instid1(VALU_DEP_1)
	v_exp_f32_e32 v12, v12
	s_waitcnt_depctr 0xfff
	v_ldexp_f32 v12, v12, v13
	v_cndmask_b32_e32 v12, 0, v12, vcc_lo
	v_cmp_nlt_f32_e32 vcc_lo, 0x42b17218, v108
	s_delay_alu instid0(VALU_DEP_2) | instskip(NEXT) | instid1(VALU_DEP_1)
	v_cndmask_b32_e32 v14, 0x7f800000, v12, vcc_lo
	v_add_f32_e32 v15, 1.0, v14
	s_delay_alu instid0(VALU_DEP_1) | instskip(NEXT) | instid1(VALU_DEP_1)
	v_cvt_f64_f32_e32 v[12:13], v15
	v_frexp_exp_i32_f64_e32 v12, v[12:13]
	v_frexp_mant_f32_e32 v13, v15
	s_delay_alu instid0(VALU_DEP_1) | instskip(SKIP_1) | instid1(VALU_DEP_1)
	v_cmp_gt_f32_e32 vcc_lo, 0x3f2aaaab, v13
	v_add_f32_e32 v13, -1.0, v15
	v_sub_f32_e32 v101, v13, v15
	v_sub_f32_e32 v13, v14, v13
	s_delay_alu instid0(VALU_DEP_2) | instskip(NEXT) | instid1(VALU_DEP_1)
	v_add_f32_e32 v101, 1.0, v101
	v_add_f32_e32 v13, v13, v101
	v_cmp_gt_f32_e64 s28, 0x33800000, v14
	v_subrev_co_ci_u32_e32 v12, vcc_lo, 0, v12, vcc_lo
	v_cmp_eq_f32_e32 vcc_lo, 0x7f800000, v14
	s_delay_alu instid0(VALU_DEP_2) | instskip(SKIP_2) | instid1(VALU_DEP_2)
	v_sub_nc_u32_e32 v17, 0, v12
	v_cvt_f32_i32_e32 v12, v12
	s_or_b32 vcc_lo, s28, vcc_lo
	v_ldexp_f32 v15, v15, v17
	v_ldexp_f32 v13, v13, v17
	s_delay_alu instid0(VALU_DEP_2) | instskip(SKIP_1) | instid1(VALU_DEP_2)
	v_add_f32_e32 v102, 1.0, v15
	v_add_f32_e32 v17, -1.0, v15
	v_add_f32_e32 v101, -1.0, v102
	s_delay_alu instid0(VALU_DEP_2) | instskip(NEXT) | instid1(VALU_DEP_2)
	v_add_f32_e32 v103, 1.0, v17
	v_sub_f32_e32 v101, v15, v101
	s_delay_alu instid0(VALU_DEP_2) | instskip(NEXT) | instid1(VALU_DEP_2)
	v_sub_f32_e32 v15, v15, v103
	v_add_f32_e32 v101, v13, v101
	s_delay_alu instid0(VALU_DEP_2) | instskip(NEXT) | instid1(VALU_DEP_2)
	v_add_f32_e32 v13, v13, v15
	v_add_f32_e32 v103, v102, v101
	s_delay_alu instid0(VALU_DEP_2) | instskip(NEXT) | instid1(VALU_DEP_2)
	v_add_f32_e32 v104, v17, v13
	v_rcp_f32_e32 v15, v103
	v_sub_f32_e32 v102, v102, v103
	s_waitcnt_depctr 0xfff
	v_dual_add_f32 v101, v101, v102 :: v_dual_mul_f32 v106, v104, v15
	s_delay_alu instid0(VALU_DEP_1) | instskip(NEXT) | instid1(VALU_DEP_1)
	v_mul_f32_e32 v107, v103, v106
	v_fma_f32 v102, v106, v103, -v107
	s_delay_alu instid0(VALU_DEP_1) | instskip(NEXT) | instid1(VALU_DEP_1)
	v_dual_fmac_f32 v102, v106, v101 :: v_dual_sub_f32 v17, v17, v104
	v_add_f32_e32 v108, v107, v102
	s_delay_alu instid0(VALU_DEP_1) | instskip(NEXT) | instid1(VALU_DEP_1)
	v_sub_f32_e32 v109, v104, v108
	v_sub_f32_e32 v104, v104, v109
	s_delay_alu instid0(VALU_DEP_1) | instskip(SKIP_1) | instid1(VALU_DEP_2)
	v_dual_sub_f32 v104, v104, v108 :: v_dual_add_f32 v13, v13, v17
	v_sub_f32_e32 v17, v108, v107
	v_add_f32_e32 v13, v13, v104
	s_delay_alu instid0(VALU_DEP_2) | instskip(NEXT) | instid1(VALU_DEP_1)
	v_sub_f32_e32 v17, v17, v102
	v_add_f32_e32 v13, v17, v13
	s_delay_alu instid0(VALU_DEP_1) | instskip(NEXT) | instid1(VALU_DEP_1)
	v_add_f32_e32 v17, v109, v13
	v_mul_f32_e32 v102, v15, v17
	s_delay_alu instid0(VALU_DEP_1) | instskip(SKIP_1) | instid1(VALU_DEP_2)
	v_mul_f32_e32 v104, v103, v102
	v_sub_f32_e32 v108, v109, v17
	v_fma_f32 v103, v102, v103, -v104
	s_delay_alu instid0(VALU_DEP_2) | instskip(NEXT) | instid1(VALU_DEP_2)
	v_add_f32_e32 v13, v13, v108
	v_fmac_f32_e32 v103, v102, v101
	s_delay_alu instid0(VALU_DEP_1) | instskip(NEXT) | instid1(VALU_DEP_1)
	v_add_f32_e32 v101, v104, v103
	v_sub_f32_e32 v107, v17, v101
	v_sub_f32_e32 v104, v101, v104
	s_delay_alu instid0(VALU_DEP_2) | instskip(NEXT) | instid1(VALU_DEP_1)
	v_sub_f32_e32 v17, v17, v107
	v_sub_f32_e32 v17, v17, v101
	s_delay_alu instid0(VALU_DEP_3) | instskip(NEXT) | instid1(VALU_DEP_2)
	v_sub_f32_e32 v101, v104, v103
	v_add_f32_e32 v13, v13, v17
	v_add_f32_e32 v17, v106, v102
	s_delay_alu instid0(VALU_DEP_2) | instskip(NEXT) | instid1(VALU_DEP_2)
	v_add_f32_e32 v13, v101, v13
	v_sub_f32_e32 v101, v17, v106
	s_delay_alu instid0(VALU_DEP_2) | instskip(NEXT) | instid1(VALU_DEP_2)
	v_add_f32_e32 v13, v107, v13
	v_sub_f32_e32 v101, v102, v101
	s_delay_alu instid0(VALU_DEP_2) | instskip(NEXT) | instid1(VALU_DEP_1)
	v_mul_f32_e32 v13, v15, v13
	v_add_f32_e32 v13, v101, v13
	s_delay_alu instid0(VALU_DEP_1) | instskip(NEXT) | instid1(VALU_DEP_1)
	v_add_f32_e32 v15, v17, v13
	v_mul_f32_e32 v101, v15, v15
	s_delay_alu instid0(VALU_DEP_1) | instskip(SKIP_1) | instid1(VALU_DEP_2)
	v_fmaak_f32 v102, s83, v101, 0x3ecc95a3
	v_mul_f32_e32 v103, v15, v101
	v_fmaak_f32 v101, v101, v102, 0x3f2aaada
	v_ldexp_f32 v102, v15, 1
	v_sub_f32_e32 v15, v15, v17
	s_delay_alu instid0(VALU_DEP_3) | instskip(SKIP_1) | instid1(VALU_DEP_3)
	v_mul_f32_e32 v101, v103, v101
	v_mul_f32_e32 v103, 0x3f317218, v12
	v_sub_f32_e32 v13, v13, v15
	s_delay_alu instid0(VALU_DEP_3) | instskip(NEXT) | instid1(VALU_DEP_2)
	v_add_f32_e32 v17, v102, v101
	v_ldexp_f32 v13, v13, 1
	s_delay_alu instid0(VALU_DEP_2) | instskip(SKIP_1) | instid1(VALU_DEP_1)
	v_sub_f32_e32 v15, v17, v102
	v_fma_f32 v102, 0x3f317218, v12, -v103
	v_dual_sub_f32 v15, v101, v15 :: v_dual_fmac_f32 v102, 0xb102e308, v12
	s_delay_alu instid0(VALU_DEP_1) | instskip(NEXT) | instid1(VALU_DEP_1)
	v_dual_add_f32 v12, v13, v15 :: v_dual_add_f32 v13, v103, v102
	v_add_f32_e32 v15, v17, v12
	s_delay_alu instid0(VALU_DEP_2) | instskip(NEXT) | instid1(VALU_DEP_2)
	v_sub_f32_e32 v103, v13, v103
	v_add_f32_e32 v101, v13, v15
	s_delay_alu instid0(VALU_DEP_2) | instskip(NEXT) | instid1(VALU_DEP_2)
	v_dual_sub_f32 v17, v15, v17 :: v_dual_sub_f32 v102, v102, v103
	v_sub_f32_e32 v104, v101, v13
	s_delay_alu instid0(VALU_DEP_2) | instskip(NEXT) | instid1(VALU_DEP_2)
	v_sub_f32_e32 v12, v12, v17
	v_sub_f32_e32 v106, v101, v104
	;; [unrolled: 1-line block ×3, first 2 shown]
	s_delay_alu instid0(VALU_DEP_3) | instskip(NEXT) | instid1(VALU_DEP_3)
	v_add_f32_e32 v17, v102, v12
	v_sub_f32_e32 v13, v13, v106
	s_delay_alu instid0(VALU_DEP_1) | instskip(NEXT) | instid1(VALU_DEP_3)
	v_add_f32_e32 v13, v15, v13
	v_sub_f32_e32 v15, v17, v102
	s_delay_alu instid0(VALU_DEP_2) | instskip(NEXT) | instid1(VALU_DEP_2)
	v_add_f32_e32 v13, v17, v13
	v_sub_f32_e32 v17, v17, v15
	s_delay_alu instid0(VALU_DEP_2) | instskip(NEXT) | instid1(VALU_DEP_2)
	v_dual_sub_f32 v12, v12, v15 :: v_dual_add_f32 v103, v101, v13
	v_sub_f32_e32 v17, v102, v17
	s_delay_alu instid0(VALU_DEP_2) | instskip(NEXT) | instid1(VALU_DEP_1)
	v_sub_f32_e32 v15, v103, v101
	v_dual_add_f32 v12, v12, v17 :: v_dual_sub_f32 v13, v13, v15
	s_delay_alu instid0(VALU_DEP_1) | instskip(NEXT) | instid1(VALU_DEP_1)
	v_add_f32_e32 v12, v12, v13
	v_add_f32_e32 v12, v103, v12
	s_delay_alu instid0(VALU_DEP_1)
	v_cndmask_b32_e32 v108, v12, v14, vcc_lo
.LBB53_92:                              ;   in Loop: Header=BB53_12 Depth=1
	s_or_b32 exec_lo, exec_lo, s29
	v_and_b32_e32 v8, 0xffff0000, v8
	s_delay_alu instid0(VALU_DEP_1) | instskip(NEXT) | instid1(VALU_DEP_1)
	v_add_f32_e32 v113, s68, v8
	v_cmp_ge_f32_e32 vcc_lo, 0x41a00000, v113
	s_and_b32 s28, s79, vcc_lo
	s_delay_alu instid0(SALU_CYCLE_1)
	s_and_saveexec_b32 s29, s28
	s_cbranch_execz .LBB53_94
; %bb.93:                               ;   in Loop: Header=BB53_12 Depth=1
	v_mul_f32_e32 v8, 0x3fb8aa3b, v113
	v_cmp_ngt_f32_e32 vcc_lo, 0xc2ce8ed0, v113
	s_delay_alu instid0(VALU_DEP_2) | instskip(SKIP_1) | instid1(VALU_DEP_1)
	v_rndne_f32_e32 v12, v8
	v_fma_f32 v13, 0x3fb8aa3b, v113, -v8
	v_dual_sub_f32 v8, v8, v12 :: v_dual_fmac_f32 v13, 0x32a5705f, v113
	v_cvt_i32_f32_e32 v12, v12
	s_delay_alu instid0(VALU_DEP_2) | instskip(NEXT) | instid1(VALU_DEP_1)
	v_add_f32_e32 v8, v8, v13
	v_exp_f32_e32 v8, v8
	s_waitcnt_depctr 0xfff
	v_ldexp_f32 v8, v8, v12
	s_delay_alu instid0(VALU_DEP_1) | instskip(SKIP_1) | instid1(VALU_DEP_2)
	v_cndmask_b32_e32 v8, 0, v8, vcc_lo
	v_cmp_nlt_f32_e32 vcc_lo, 0x42b17218, v113
	v_cndmask_b32_e32 v8, 0x7f800000, v8, vcc_lo
	s_delay_alu instid0(VALU_DEP_1) | instskip(NEXT) | instid1(VALU_DEP_1)
	v_add_f32_e32 v14, 1.0, v8
	v_cvt_f64_f32_e32 v[12:13], v14
	s_delay_alu instid0(VALU_DEP_1) | instskip(SKIP_1) | instid1(VALU_DEP_1)
	v_frexp_exp_i32_f64_e32 v12, v[12:13]
	v_frexp_mant_f32_e32 v13, v14
	v_cmp_gt_f32_e32 vcc_lo, 0x3f2aaaab, v13
	v_add_f32_e32 v13, -1.0, v14
	s_delay_alu instid0(VALU_DEP_1) | instskip(NEXT) | instid1(VALU_DEP_1)
	v_sub_f32_e32 v17, v13, v14
	v_add_f32_e32 v17, 1.0, v17
	v_subrev_co_ci_u32_e32 v12, vcc_lo, 0, v12, vcc_lo
	s_delay_alu instid0(VALU_DEP_1) | instskip(SKIP_1) | instid1(VALU_DEP_2)
	v_sub_nc_u32_e32 v15, 0, v12
	v_cvt_f32_i32_e32 v12, v12
	v_ldexp_f32 v14, v14, v15
	s_delay_alu instid0(VALU_DEP_1) | instskip(SKIP_3) | instid1(VALU_DEP_3)
	v_add_f32_e32 v101, 1.0, v14
	v_sub_f32_e32 v13, v8, v13
	v_cmp_eq_f32_e32 vcc_lo, 0x7f800000, v8
	v_cmp_gt_f32_e64 s28, 0x33800000, v8
	v_add_f32_e32 v13, v13, v17
	s_delay_alu instid0(VALU_DEP_2) | instskip(NEXT) | instid1(VALU_DEP_1)
	s_or_b32 vcc_lo, s28, vcc_lo
	v_ldexp_f32 v13, v13, v15
	v_add_f32_e32 v15, -1.0, v14
	s_delay_alu instid0(VALU_DEP_1) | instskip(NEXT) | instid1(VALU_DEP_1)
	v_dual_add_f32 v102, 1.0, v15 :: v_dual_add_f32 v17, -1.0, v101
	v_sub_f32_e32 v17, v14, v17
	s_delay_alu instid0(VALU_DEP_1) | instskip(NEXT) | instid1(VALU_DEP_1)
	v_dual_sub_f32 v14, v14, v102 :: v_dual_add_f32 v17, v13, v17
	v_add_f32_e32 v13, v13, v14
	s_delay_alu instid0(VALU_DEP_2) | instskip(NEXT) | instid1(VALU_DEP_2)
	v_add_f32_e32 v102, v101, v17
	v_add_f32_e32 v103, v15, v13
	s_delay_alu instid0(VALU_DEP_2) | instskip(SKIP_1) | instid1(VALU_DEP_2)
	v_rcp_f32_e32 v14, v102
	v_sub_f32_e32 v101, v101, v102
	v_sub_f32_e32 v15, v15, v103
	s_waitcnt_depctr 0xfff
	v_dual_add_f32 v13, v13, v15 :: v_dual_mul_f32 v104, v103, v14
	s_delay_alu instid0(VALU_DEP_1) | instskip(NEXT) | instid1(VALU_DEP_1)
	v_dual_mul_f32 v106, v102, v104 :: v_dual_add_f32 v17, v17, v101
	v_fma_f32 v101, v104, v102, -v106
	s_delay_alu instid0(VALU_DEP_1) | instskip(NEXT) | instid1(VALU_DEP_1)
	v_fmac_f32_e32 v101, v104, v17
	v_add_f32_e32 v107, v106, v101
	s_delay_alu instid0(VALU_DEP_1) | instskip(SKIP_1) | instid1(VALU_DEP_2)
	v_sub_f32_e32 v109, v103, v107
	v_sub_f32_e32 v15, v107, v106
	;; [unrolled: 1-line block ×3, first 2 shown]
	s_delay_alu instid0(VALU_DEP_2) | instskip(NEXT) | instid1(VALU_DEP_2)
	v_sub_f32_e32 v15, v15, v101
	v_sub_f32_e32 v103, v103, v107
	s_delay_alu instid0(VALU_DEP_1) | instskip(NEXT) | instid1(VALU_DEP_1)
	v_add_f32_e32 v13, v13, v103
	v_add_f32_e32 v13, v15, v13
	s_delay_alu instid0(VALU_DEP_1) | instskip(NEXT) | instid1(VALU_DEP_1)
	v_add_f32_e32 v15, v109, v13
	v_mul_f32_e32 v101, v14, v15
	s_delay_alu instid0(VALU_DEP_1) | instskip(NEXT) | instid1(VALU_DEP_1)
	v_mul_f32_e32 v103, v102, v101
	v_fma_f32 v102, v101, v102, -v103
	s_delay_alu instid0(VALU_DEP_1) | instskip(SKIP_1) | instid1(VALU_DEP_2)
	v_fmac_f32_e32 v102, v101, v17
	v_sub_f32_e32 v107, v109, v15
	v_add_f32_e32 v17, v103, v102
	s_delay_alu instid0(VALU_DEP_1) | instskip(SKIP_1) | instid1(VALU_DEP_2)
	v_dual_add_f32 v13, v13, v107 :: v_dual_sub_f32 v106, v15, v17
	v_sub_f32_e32 v103, v17, v103
	v_sub_f32_e32 v15, v15, v106
	s_delay_alu instid0(VALU_DEP_1) | instskip(NEXT) | instid1(VALU_DEP_3)
	v_sub_f32_e32 v15, v15, v17
	v_sub_f32_e32 v17, v103, v102
	s_delay_alu instid0(VALU_DEP_2) | instskip(SKIP_1) | instid1(VALU_DEP_2)
	v_add_f32_e32 v13, v13, v15
	v_add_f32_e32 v15, v104, v101
	;; [unrolled: 1-line block ×3, first 2 shown]
	s_delay_alu instid0(VALU_DEP_2) | instskip(NEXT) | instid1(VALU_DEP_2)
	v_sub_f32_e32 v17, v15, v104
	v_add_f32_e32 v13, v106, v13
	s_delay_alu instid0(VALU_DEP_2) | instskip(NEXT) | instid1(VALU_DEP_2)
	v_sub_f32_e32 v17, v101, v17
	v_mul_f32_e32 v13, v14, v13
	s_delay_alu instid0(VALU_DEP_1) | instskip(NEXT) | instid1(VALU_DEP_1)
	v_add_f32_e32 v13, v17, v13
	v_add_f32_e32 v14, v15, v13
	s_delay_alu instid0(VALU_DEP_1) | instskip(NEXT) | instid1(VALU_DEP_1)
	v_mul_f32_e32 v17, v14, v14
	v_fmaak_f32 v101, s83, v17, 0x3ecc95a3
	v_mul_f32_e32 v102, v14, v17
	s_delay_alu instid0(VALU_DEP_2) | instskip(SKIP_2) | instid1(VALU_DEP_3)
	v_fmaak_f32 v17, v17, v101, 0x3f2aaada
	v_ldexp_f32 v101, v14, 1
	v_sub_f32_e32 v14, v14, v15
	v_dual_mul_f32 v17, v102, v17 :: v_dual_mul_f32 v102, 0x3f317218, v12
	s_delay_alu instid0(VALU_DEP_2) | instskip(NEXT) | instid1(VALU_DEP_2)
	v_sub_f32_e32 v13, v13, v14
	v_add_f32_e32 v15, v101, v17
	s_delay_alu instid0(VALU_DEP_2) | instskip(NEXT) | instid1(VALU_DEP_2)
	v_ldexp_f32 v13, v13, 1
	v_sub_f32_e32 v14, v15, v101
	v_fma_f32 v101, 0x3f317218, v12, -v102
	s_delay_alu instid0(VALU_DEP_1) | instskip(NEXT) | instid1(VALU_DEP_1)
	v_dual_sub_f32 v14, v17, v14 :: v_dual_fmac_f32 v101, 0xb102e308, v12
	v_dual_add_f32 v12, v13, v14 :: v_dual_add_f32 v13, v102, v101
	s_delay_alu instid0(VALU_DEP_1) | instskip(NEXT) | instid1(VALU_DEP_2)
	v_add_f32_e32 v14, v15, v12
	v_sub_f32_e32 v102, v13, v102
	s_delay_alu instid0(VALU_DEP_2) | instskip(SKIP_1) | instid1(VALU_DEP_3)
	v_add_f32_e32 v17, v13, v14
	v_sub_f32_e32 v15, v14, v15
	v_sub_f32_e32 v101, v101, v102
	s_delay_alu instid0(VALU_DEP_2) | instskip(NEXT) | instid1(VALU_DEP_1)
	v_dual_sub_f32 v103, v17, v13 :: v_dual_sub_f32 v12, v12, v15
	v_sub_f32_e32 v104, v17, v103
	s_delay_alu instid0(VALU_DEP_2) | instskip(NEXT) | instid1(VALU_DEP_2)
	v_dual_sub_f32 v14, v14, v103 :: v_dual_add_f32 v15, v101, v12
	v_sub_f32_e32 v13, v13, v104
	s_delay_alu instid0(VALU_DEP_1) | instskip(NEXT) | instid1(VALU_DEP_3)
	v_add_f32_e32 v13, v14, v13
	v_sub_f32_e32 v14, v15, v101
	s_delay_alu instid0(VALU_DEP_2) | instskip(NEXT) | instid1(VALU_DEP_2)
	v_add_f32_e32 v13, v15, v13
	v_sub_f32_e32 v15, v15, v14
	v_sub_f32_e32 v12, v12, v14
	s_delay_alu instid0(VALU_DEP_3) | instskip(NEXT) | instid1(VALU_DEP_1)
	v_add_f32_e32 v102, v17, v13
	v_dual_sub_f32 v15, v101, v15 :: v_dual_sub_f32 v14, v102, v17
	s_delay_alu instid0(VALU_DEP_1) | instskip(NEXT) | instid1(VALU_DEP_1)
	v_dual_add_f32 v12, v12, v15 :: v_dual_sub_f32 v13, v13, v14
	v_add_f32_e32 v12, v12, v13
	s_delay_alu instid0(VALU_DEP_1) | instskip(NEXT) | instid1(VALU_DEP_1)
	v_add_f32_e32 v12, v102, v12
	v_cndmask_b32_e32 v113, v12, v8, vcc_lo
.LBB53_94:                              ;   in Loop: Header=BB53_12 Depth=1
	s_or_b32 exec_lo, exec_lo, s29
	v_lshlrev_b32_e32 v8, 16, v9
	s_delay_alu instid0(VALU_DEP_1) | instskip(NEXT) | instid1(VALU_DEP_1)
	v_add_f32_e32 v116, s68, v8
	v_cmp_ge_f32_e32 vcc_lo, 0x41a00000, v116
	s_and_b32 s28, s79, vcc_lo
	s_delay_alu instid0(SALU_CYCLE_1)
	s_and_saveexec_b32 s29, s28
	s_cbranch_execz .LBB53_96
; %bb.95:                               ;   in Loop: Header=BB53_12 Depth=1
	v_mul_f32_e32 v8, 0x3fb8aa3b, v116
	v_cmp_ngt_f32_e32 vcc_lo, 0xc2ce8ed0, v116
	s_delay_alu instid0(VALU_DEP_2) | instskip(SKIP_1) | instid1(VALU_DEP_2)
	v_rndne_f32_e32 v12, v8
	v_fma_f32 v13, 0x3fb8aa3b, v116, -v8
	v_sub_f32_e32 v8, v8, v12
	s_delay_alu instid0(VALU_DEP_2) | instskip(SKIP_1) | instid1(VALU_DEP_2)
	v_fmac_f32_e32 v13, 0x32a5705f, v116
	v_cvt_i32_f32_e32 v12, v12
	v_add_f32_e32 v8, v8, v13
	s_delay_alu instid0(VALU_DEP_1) | instskip(SKIP_2) | instid1(VALU_DEP_1)
	v_exp_f32_e32 v8, v8
	s_waitcnt_depctr 0xfff
	v_ldexp_f32 v8, v8, v12
	v_cndmask_b32_e32 v8, 0, v8, vcc_lo
	v_cmp_nlt_f32_e32 vcc_lo, 0x42b17218, v116
	s_delay_alu instid0(VALU_DEP_2) | instskip(NEXT) | instid1(VALU_DEP_1)
	v_cndmask_b32_e32 v8, 0x7f800000, v8, vcc_lo
	v_add_f32_e32 v14, 1.0, v8
	s_delay_alu instid0(VALU_DEP_1) | instskip(NEXT) | instid1(VALU_DEP_1)
	v_cvt_f64_f32_e32 v[12:13], v14
	v_frexp_exp_i32_f64_e32 v12, v[12:13]
	v_frexp_mant_f32_e32 v13, v14
	s_delay_alu instid0(VALU_DEP_1) | instskip(SKIP_1) | instid1(VALU_DEP_1)
	v_cmp_gt_f32_e32 vcc_lo, 0x3f2aaaab, v13
	v_add_f32_e32 v13, -1.0, v14
	v_sub_f32_e32 v17, v13, v14
	v_sub_f32_e32 v13, v8, v13
	s_delay_alu instid0(VALU_DEP_2) | instskip(NEXT) | instid1(VALU_DEP_1)
	v_add_f32_e32 v17, 1.0, v17
	v_add_f32_e32 v13, v13, v17
	v_cmp_gt_f32_e64 s28, 0x33800000, v8
	v_subrev_co_ci_u32_e32 v12, vcc_lo, 0, v12, vcc_lo
	v_cmp_eq_f32_e32 vcc_lo, 0x7f800000, v8
	s_delay_alu instid0(VALU_DEP_2) | instskip(SKIP_2) | instid1(VALU_DEP_2)
	v_sub_nc_u32_e32 v15, 0, v12
	v_cvt_f32_i32_e32 v12, v12
	s_or_b32 vcc_lo, s28, vcc_lo
	v_ldexp_f32 v14, v14, v15
	v_ldexp_f32 v13, v13, v15
	s_delay_alu instid0(VALU_DEP_2) | instskip(SKIP_1) | instid1(VALU_DEP_1)
	v_add_f32_e32 v101, 1.0, v14
	v_add_f32_e32 v15, -1.0, v14
	v_dual_add_f32 v102, 1.0, v15 :: v_dual_add_f32 v17, -1.0, v101
	s_delay_alu instid0(VALU_DEP_1) | instskip(NEXT) | instid1(VALU_DEP_1)
	v_sub_f32_e32 v17, v14, v17
	v_dual_sub_f32 v14, v14, v102 :: v_dual_add_f32 v17, v13, v17
	s_delay_alu instid0(VALU_DEP_1) | instskip(NEXT) | instid1(VALU_DEP_2)
	v_add_f32_e32 v13, v13, v14
	v_add_f32_e32 v102, v101, v17
	s_delay_alu instid0(VALU_DEP_2) | instskip(NEXT) | instid1(VALU_DEP_2)
	v_add_f32_e32 v103, v15, v13
	v_rcp_f32_e32 v14, v102
	v_sub_f32_e32 v101, v101, v102
	s_delay_alu instid0(VALU_DEP_2) | instskip(SKIP_2) | instid1(VALU_DEP_1)
	v_sub_f32_e32 v15, v15, v103
	s_waitcnt_depctr 0xfff
	v_dual_add_f32 v13, v13, v15 :: v_dual_mul_f32 v104, v103, v14
	v_dual_mul_f32 v106, v102, v104 :: v_dual_add_f32 v17, v17, v101
	s_delay_alu instid0(VALU_DEP_1) | instskip(NEXT) | instid1(VALU_DEP_1)
	v_fma_f32 v101, v104, v102, -v106
	v_fmac_f32_e32 v101, v104, v17
	s_delay_alu instid0(VALU_DEP_1) | instskip(NEXT) | instid1(VALU_DEP_1)
	v_add_f32_e32 v107, v106, v101
	v_sub_f32_e32 v109, v103, v107
	v_sub_f32_e32 v15, v107, v106
	s_delay_alu instid0(VALU_DEP_2) | instskip(NEXT) | instid1(VALU_DEP_2)
	v_sub_f32_e32 v103, v103, v109
	v_sub_f32_e32 v15, v15, v101
	s_delay_alu instid0(VALU_DEP_2) | instskip(NEXT) | instid1(VALU_DEP_1)
	v_sub_f32_e32 v103, v103, v107
	v_add_f32_e32 v13, v13, v103
	s_delay_alu instid0(VALU_DEP_1) | instskip(NEXT) | instid1(VALU_DEP_1)
	v_add_f32_e32 v13, v15, v13
	v_add_f32_e32 v15, v109, v13
	s_delay_alu instid0(VALU_DEP_1) | instskip(NEXT) | instid1(VALU_DEP_1)
	v_mul_f32_e32 v101, v14, v15
	v_mul_f32_e32 v103, v102, v101
	s_delay_alu instid0(VALU_DEP_1) | instskip(NEXT) | instid1(VALU_DEP_1)
	v_fma_f32 v102, v101, v102, -v103
	v_fmac_f32_e32 v102, v101, v17
	v_sub_f32_e32 v107, v109, v15
	s_delay_alu instid0(VALU_DEP_2) | instskip(NEXT) | instid1(VALU_DEP_1)
	v_add_f32_e32 v17, v103, v102
	v_dual_add_f32 v13, v13, v107 :: v_dual_sub_f32 v106, v15, v17
	v_sub_f32_e32 v103, v17, v103
	s_delay_alu instid0(VALU_DEP_2) | instskip(NEXT) | instid1(VALU_DEP_1)
	v_sub_f32_e32 v15, v15, v106
	v_sub_f32_e32 v15, v15, v17
	s_delay_alu instid0(VALU_DEP_3) | instskip(NEXT) | instid1(VALU_DEP_2)
	v_sub_f32_e32 v17, v103, v102
	v_add_f32_e32 v13, v13, v15
	v_add_f32_e32 v15, v104, v101
	s_delay_alu instid0(VALU_DEP_2) | instskip(NEXT) | instid1(VALU_DEP_2)
	v_add_f32_e32 v13, v17, v13
	v_sub_f32_e32 v17, v15, v104
	s_delay_alu instid0(VALU_DEP_2) | instskip(NEXT) | instid1(VALU_DEP_2)
	v_add_f32_e32 v13, v106, v13
	v_sub_f32_e32 v17, v101, v17
	s_delay_alu instid0(VALU_DEP_2) | instskip(NEXT) | instid1(VALU_DEP_1)
	v_mul_f32_e32 v13, v14, v13
	v_add_f32_e32 v13, v17, v13
	s_delay_alu instid0(VALU_DEP_1) | instskip(NEXT) | instid1(VALU_DEP_1)
	v_add_f32_e32 v14, v15, v13
	v_mul_f32_e32 v17, v14, v14
	s_delay_alu instid0(VALU_DEP_1) | instskip(SKIP_1) | instid1(VALU_DEP_2)
	v_fmaak_f32 v101, s83, v17, 0x3ecc95a3
	v_mul_f32_e32 v102, v14, v17
	v_fmaak_f32 v17, v17, v101, 0x3f2aaada
	v_ldexp_f32 v101, v14, 1
	v_sub_f32_e32 v14, v14, v15
	s_delay_alu instid0(VALU_DEP_3) | instskip(NEXT) | instid1(VALU_DEP_2)
	v_dual_mul_f32 v17, v102, v17 :: v_dual_mul_f32 v102, 0x3f317218, v12
	v_sub_f32_e32 v13, v13, v14
	s_delay_alu instid0(VALU_DEP_2) | instskip(NEXT) | instid1(VALU_DEP_2)
	v_add_f32_e32 v15, v101, v17
	v_ldexp_f32 v13, v13, 1
	s_delay_alu instid0(VALU_DEP_2) | instskip(SKIP_1) | instid1(VALU_DEP_1)
	v_sub_f32_e32 v14, v15, v101
	v_fma_f32 v101, 0x3f317218, v12, -v102
	v_dual_sub_f32 v14, v17, v14 :: v_dual_fmac_f32 v101, 0xb102e308, v12
	s_delay_alu instid0(VALU_DEP_1) | instskip(NEXT) | instid1(VALU_DEP_1)
	v_dual_add_f32 v12, v13, v14 :: v_dual_add_f32 v13, v102, v101
	v_add_f32_e32 v14, v15, v12
	s_delay_alu instid0(VALU_DEP_2) | instskip(NEXT) | instid1(VALU_DEP_2)
	v_sub_f32_e32 v102, v13, v102
	v_add_f32_e32 v17, v13, v14
	v_sub_f32_e32 v15, v14, v15
	s_delay_alu instid0(VALU_DEP_3) | instskip(NEXT) | instid1(VALU_DEP_2)
	v_sub_f32_e32 v101, v101, v102
	v_dual_sub_f32 v103, v17, v13 :: v_dual_sub_f32 v12, v12, v15
	s_delay_alu instid0(VALU_DEP_1) | instskip(NEXT) | instid1(VALU_DEP_2)
	v_sub_f32_e32 v104, v17, v103
	v_dual_sub_f32 v14, v14, v103 :: v_dual_add_f32 v15, v101, v12
	s_delay_alu instid0(VALU_DEP_2) | instskip(NEXT) | instid1(VALU_DEP_1)
	v_sub_f32_e32 v13, v13, v104
	v_add_f32_e32 v13, v14, v13
	s_delay_alu instid0(VALU_DEP_3) | instskip(NEXT) | instid1(VALU_DEP_2)
	v_sub_f32_e32 v14, v15, v101
	v_add_f32_e32 v13, v15, v13
	s_delay_alu instid0(VALU_DEP_2) | instskip(SKIP_1) | instid1(VALU_DEP_3)
	v_sub_f32_e32 v15, v15, v14
	v_sub_f32_e32 v12, v12, v14
	v_add_f32_e32 v102, v17, v13
	s_delay_alu instid0(VALU_DEP_1) | instskip(NEXT) | instid1(VALU_DEP_1)
	v_dual_sub_f32 v15, v101, v15 :: v_dual_sub_f32 v14, v102, v17
	v_dual_add_f32 v12, v12, v15 :: v_dual_sub_f32 v13, v13, v14
	s_delay_alu instid0(VALU_DEP_1) | instskip(NEXT) | instid1(VALU_DEP_1)
	v_add_f32_e32 v12, v12, v13
	v_add_f32_e32 v12, v102, v12
	s_delay_alu instid0(VALU_DEP_1)
	v_cndmask_b32_e32 v116, v12, v8, vcc_lo
.LBB53_96:                              ;   in Loop: Header=BB53_12 Depth=1
	s_or_b32 exec_lo, exec_lo, s29
	v_and_b32_e32 v8, 0xffff0000, v9
	s_delay_alu instid0(VALU_DEP_1) | instskip(NEXT) | instid1(VALU_DEP_1)
	v_add_f32_e32 v121, s68, v8
	v_cmp_ge_f32_e32 vcc_lo, 0x41a00000, v121
	s_and_b32 s28, s79, vcc_lo
	s_delay_alu instid0(SALU_CYCLE_1)
	s_and_saveexec_b32 s29, s28
	s_cbranch_execz .LBB53_98
; %bb.97:                               ;   in Loop: Header=BB53_12 Depth=1
	v_mul_f32_e32 v8, 0x3fb8aa3b, v121
	v_cmp_ngt_f32_e32 vcc_lo, 0xc2ce8ed0, v121
	s_delay_alu instid0(VALU_DEP_2) | instskip(SKIP_1) | instid1(VALU_DEP_2)
	v_rndne_f32_e32 v9, v8
	v_fma_f32 v12, 0x3fb8aa3b, v121, -v8
	v_sub_f32_e32 v8, v8, v9
	s_delay_alu instid0(VALU_DEP_2) | instskip(SKIP_1) | instid1(VALU_DEP_2)
	v_fmac_f32_e32 v12, 0x32a5705f, v121
	v_cvt_i32_f32_e32 v9, v9
	v_add_f32_e32 v8, v8, v12
	s_delay_alu instid0(VALU_DEP_1) | instskip(SKIP_2) | instid1(VALU_DEP_1)
	v_exp_f32_e32 v8, v8
	s_waitcnt_depctr 0xfff
	v_ldexp_f32 v8, v8, v9
	v_cndmask_b32_e32 v8, 0, v8, vcc_lo
	v_cmp_nlt_f32_e32 vcc_lo, 0x42b17218, v121
	s_delay_alu instid0(VALU_DEP_2) | instskip(NEXT) | instid1(VALU_DEP_1)
	v_cndmask_b32_e32 v12, 0x7f800000, v8, vcc_lo
	v_add_f32_e32 v13, 1.0, v12
	s_delay_alu instid0(VALU_DEP_1) | instskip(NEXT) | instid1(VALU_DEP_1)
	v_cvt_f64_f32_e32 v[8:9], v13
	v_frexp_exp_i32_f64_e32 v8, v[8:9]
	v_frexp_mant_f32_e32 v9, v13
	s_delay_alu instid0(VALU_DEP_1) | instskip(SKIP_1) | instid1(VALU_DEP_1)
	v_cmp_gt_f32_e32 vcc_lo, 0x3f2aaaab, v9
	v_add_f32_e32 v9, -1.0, v13
	v_sub_f32_e32 v15, v9, v13
	s_delay_alu instid0(VALU_DEP_1) | instskip(SKIP_1) | instid1(VALU_DEP_1)
	v_add_f32_e32 v15, 1.0, v15
	v_subrev_co_ci_u32_e32 v8, vcc_lo, 0, v8, vcc_lo
	v_sub_nc_u32_e32 v14, 0, v8
	v_cvt_f32_i32_e32 v8, v8
	s_delay_alu instid0(VALU_DEP_2) | instskip(NEXT) | instid1(VALU_DEP_1)
	v_ldexp_f32 v13, v13, v14
	v_add_f32_e32 v17, 1.0, v13
	v_sub_f32_e32 v9, v12, v9
	v_cmp_eq_f32_e32 vcc_lo, 0x7f800000, v12
	v_cmp_gt_f32_e64 s28, 0x33800000, v12
	s_delay_alu instid0(VALU_DEP_3) | instskip(NEXT) | instid1(VALU_DEP_2)
	v_add_f32_e32 v9, v9, v15
	s_or_b32 vcc_lo, s28, vcc_lo
	s_delay_alu instid0(VALU_DEP_1) | instskip(SKIP_2) | instid1(VALU_DEP_1)
	v_ldexp_f32 v9, v9, v14
	v_add_f32_e32 v14, -1.0, v13
	v_add_f32_e32 v15, -1.0, v17
	v_sub_f32_e32 v15, v13, v15
	s_delay_alu instid0(VALU_DEP_3) | instskip(NEXT) | instid1(VALU_DEP_2)
	v_add_f32_e32 v101, 1.0, v14
	v_add_f32_e32 v15, v9, v15
	s_delay_alu instid0(VALU_DEP_2) | instskip(NEXT) | instid1(VALU_DEP_2)
	v_sub_f32_e32 v13, v13, v101
	v_add_f32_e32 v101, v17, v15
	s_delay_alu instid0(VALU_DEP_2) | instskip(NEXT) | instid1(VALU_DEP_2)
	v_add_f32_e32 v9, v9, v13
	v_rcp_f32_e32 v13, v101
	s_delay_alu instid0(VALU_DEP_1) | instskip(NEXT) | instid1(VALU_DEP_1)
	v_add_f32_e32 v102, v14, v9
	v_dual_sub_f32 v17, v17, v101 :: v_dual_sub_f32 v14, v14, v102
	s_delay_alu instid0(VALU_DEP_1) | instskip(SKIP_2) | instid1(VALU_DEP_1)
	v_add_f32_e32 v15, v15, v17
	s_waitcnt_depctr 0xfff
	v_mul_f32_e32 v103, v102, v13
	v_mul_f32_e32 v104, v101, v103
	s_delay_alu instid0(VALU_DEP_1) | instskip(NEXT) | instid1(VALU_DEP_1)
	v_fma_f32 v17, v103, v101, -v104
	v_fmac_f32_e32 v17, v103, v15
	s_delay_alu instid0(VALU_DEP_1) | instskip(NEXT) | instid1(VALU_DEP_1)
	v_add_f32_e32 v106, v104, v17
	v_sub_f32_e32 v107, v102, v106
	s_delay_alu instid0(VALU_DEP_1) | instskip(NEXT) | instid1(VALU_DEP_1)
	v_sub_f32_e32 v102, v102, v107
	v_sub_f32_e32 v102, v102, v106
	v_dual_add_f32 v9, v9, v14 :: v_dual_sub_f32 v14, v106, v104
	s_delay_alu instid0(VALU_DEP_1) | instskip(NEXT) | instid1(VALU_DEP_1)
	v_dual_sub_f32 v14, v14, v17 :: v_dual_add_f32 v9, v9, v102
	v_add_f32_e32 v9, v14, v9
	s_delay_alu instid0(VALU_DEP_1) | instskip(NEXT) | instid1(VALU_DEP_1)
	v_add_f32_e32 v14, v107, v9
	v_mul_f32_e32 v17, v13, v14
	s_delay_alu instid0(VALU_DEP_1) | instskip(NEXT) | instid1(VALU_DEP_1)
	v_mul_f32_e32 v102, v101, v17
	v_fma_f32 v101, v17, v101, -v102
	s_delay_alu instid0(VALU_DEP_1) | instskip(NEXT) | instid1(VALU_DEP_1)
	v_dual_fmac_f32 v101, v17, v15 :: v_dual_sub_f32 v106, v107, v14
	v_add_f32_e32 v15, v102, v101
	s_delay_alu instid0(VALU_DEP_1) | instskip(SKIP_1) | instid1(VALU_DEP_2)
	v_sub_f32_e32 v104, v14, v15
	v_sub_f32_e32 v102, v15, v102
	v_dual_add_f32 v9, v9, v106 :: v_dual_sub_f32 v14, v14, v104
	s_delay_alu instid0(VALU_DEP_1) | instskip(NEXT) | instid1(VALU_DEP_3)
	v_sub_f32_e32 v14, v14, v15
	v_sub_f32_e32 v15, v102, v101
	s_delay_alu instid0(VALU_DEP_2) | instskip(NEXT) | instid1(VALU_DEP_1)
	v_dual_add_f32 v9, v9, v14 :: v_dual_add_f32 v14, v103, v17
	v_add_f32_e32 v9, v15, v9
	s_delay_alu instid0(VALU_DEP_2) | instskip(NEXT) | instid1(VALU_DEP_2)
	v_sub_f32_e32 v15, v14, v103
	v_add_f32_e32 v9, v104, v9
	s_delay_alu instid0(VALU_DEP_2) | instskip(NEXT) | instid1(VALU_DEP_2)
	v_sub_f32_e32 v15, v17, v15
	v_mul_f32_e32 v9, v13, v9
	s_delay_alu instid0(VALU_DEP_1) | instskip(NEXT) | instid1(VALU_DEP_1)
	v_add_f32_e32 v9, v15, v9
	v_add_f32_e32 v13, v14, v9
	s_delay_alu instid0(VALU_DEP_1) | instskip(NEXT) | instid1(VALU_DEP_1)
	v_mul_f32_e32 v15, v13, v13
	v_fmaak_f32 v17, s83, v15, 0x3ecc95a3
	v_mul_f32_e32 v101, v13, v15
	s_delay_alu instid0(VALU_DEP_2) | instskip(SKIP_2) | instid1(VALU_DEP_3)
	v_fmaak_f32 v15, v15, v17, 0x3f2aaada
	v_ldexp_f32 v17, v13, 1
	v_sub_f32_e32 v13, v13, v14
	v_mul_f32_e32 v15, v101, v15
	v_mul_f32_e32 v101, 0x3f317218, v8
	s_delay_alu instid0(VALU_DEP_3) | instskip(NEXT) | instid1(VALU_DEP_3)
	v_sub_f32_e32 v9, v9, v13
	v_add_f32_e32 v14, v17, v15
	s_delay_alu instid0(VALU_DEP_2) | instskip(NEXT) | instid1(VALU_DEP_2)
	v_ldexp_f32 v9, v9, 1
	v_sub_f32_e32 v13, v14, v17
	v_fma_f32 v17, 0x3f317218, v8, -v101
	s_delay_alu instid0(VALU_DEP_2) | instskip(NEXT) | instid1(VALU_DEP_1)
	v_sub_f32_e32 v13, v15, v13
	v_dual_fmac_f32 v17, 0xb102e308, v8 :: v_dual_add_f32 v8, v9, v13
	s_delay_alu instid0(VALU_DEP_1) | instskip(NEXT) | instid1(VALU_DEP_2)
	v_add_f32_e32 v9, v101, v17
	v_add_f32_e32 v13, v14, v8
	s_delay_alu instid0(VALU_DEP_2) | instskip(NEXT) | instid1(VALU_DEP_2)
	v_sub_f32_e32 v101, v9, v101
	v_add_f32_e32 v15, v9, v13
	v_sub_f32_e32 v14, v13, v14
	s_delay_alu instid0(VALU_DEP_3) | instskip(NEXT) | instid1(VALU_DEP_3)
	v_sub_f32_e32 v17, v17, v101
	v_sub_f32_e32 v102, v15, v9
	s_delay_alu instid0(VALU_DEP_3) | instskip(NEXT) | instid1(VALU_DEP_2)
	v_sub_f32_e32 v8, v8, v14
	v_sub_f32_e32 v103, v15, v102
	;; [unrolled: 1-line block ×3, first 2 shown]
	s_delay_alu instid0(VALU_DEP_3) | instskip(NEXT) | instid1(VALU_DEP_3)
	v_add_f32_e32 v14, v17, v8
	v_sub_f32_e32 v9, v9, v103
	s_delay_alu instid0(VALU_DEP_1) | instskip(NEXT) | instid1(VALU_DEP_3)
	v_add_f32_e32 v9, v13, v9
	v_sub_f32_e32 v13, v14, v17
	s_delay_alu instid0(VALU_DEP_2) | instskip(NEXT) | instid1(VALU_DEP_2)
	v_add_f32_e32 v9, v14, v9
	v_sub_f32_e32 v14, v14, v13
	v_sub_f32_e32 v8, v8, v13
	s_delay_alu instid0(VALU_DEP_2) | instskip(NEXT) | instid1(VALU_DEP_1)
	v_dual_add_f32 v101, v15, v9 :: v_dual_sub_f32 v14, v17, v14
	v_dual_sub_f32 v13, v101, v15 :: v_dual_add_f32 v8, v8, v14
	s_delay_alu instid0(VALU_DEP_1) | instskip(NEXT) | instid1(VALU_DEP_1)
	v_sub_f32_e32 v9, v9, v13
	v_add_f32_e32 v8, v8, v9
	s_delay_alu instid0(VALU_DEP_1) | instskip(NEXT) | instid1(VALU_DEP_1)
	v_add_f32_e32 v8, v101, v8
	v_cndmask_b32_e32 v121, v8, v12, vcc_lo
.LBB53_98:                              ;   in Loop: Header=BB53_12 Depth=1
	s_or_b32 exec_lo, exec_lo, s29
	v_lshlrev_b32_e32 v8, 16, v10
	s_delay_alu instid0(VALU_DEP_1) | instskip(NEXT) | instid1(VALU_DEP_1)
	v_add_f32_e32 v122, s68, v8
	v_cmp_ge_f32_e32 vcc_lo, 0x41a00000, v122
	s_and_b32 s28, s79, vcc_lo
	s_delay_alu instid0(SALU_CYCLE_1)
	s_and_saveexec_b32 s29, s28
	s_cbranch_execz .LBB53_100
; %bb.99:                               ;   in Loop: Header=BB53_12 Depth=1
	v_mul_f32_e32 v8, 0x3fb8aa3b, v122
	v_cmp_ngt_f32_e32 vcc_lo, 0xc2ce8ed0, v122
	s_delay_alu instid0(VALU_DEP_2) | instskip(SKIP_1) | instid1(VALU_DEP_2)
	v_rndne_f32_e32 v9, v8
	v_fma_f32 v12, 0x3fb8aa3b, v122, -v8
	v_sub_f32_e32 v8, v8, v9
	s_delay_alu instid0(VALU_DEP_2) | instskip(SKIP_1) | instid1(VALU_DEP_2)
	v_fmac_f32_e32 v12, 0x32a5705f, v122
	v_cvt_i32_f32_e32 v9, v9
	v_add_f32_e32 v8, v8, v12
	s_delay_alu instid0(VALU_DEP_1) | instskip(SKIP_2) | instid1(VALU_DEP_1)
	v_exp_f32_e32 v8, v8
	s_waitcnt_depctr 0xfff
	v_ldexp_f32 v8, v8, v9
	v_cndmask_b32_e32 v8, 0, v8, vcc_lo
	v_cmp_nlt_f32_e32 vcc_lo, 0x42b17218, v122
	s_delay_alu instid0(VALU_DEP_2) | instskip(NEXT) | instid1(VALU_DEP_1)
	v_cndmask_b32_e32 v12, 0x7f800000, v8, vcc_lo
	v_add_f32_e32 v13, 1.0, v12
	s_delay_alu instid0(VALU_DEP_1) | instskip(NEXT) | instid1(VALU_DEP_1)
	v_cvt_f64_f32_e32 v[8:9], v13
	v_frexp_exp_i32_f64_e32 v8, v[8:9]
	v_frexp_mant_f32_e32 v9, v13
	s_delay_alu instid0(VALU_DEP_1) | instskip(SKIP_1) | instid1(VALU_DEP_1)
	v_cmp_gt_f32_e32 vcc_lo, 0x3f2aaaab, v9
	v_add_f32_e32 v9, -1.0, v13
	v_sub_f32_e32 v15, v9, v13
	s_delay_alu instid0(VALU_DEP_1) | instskip(SKIP_1) | instid1(VALU_DEP_1)
	v_add_f32_e32 v15, 1.0, v15
	v_subrev_co_ci_u32_e32 v8, vcc_lo, 0, v8, vcc_lo
	v_sub_nc_u32_e32 v14, 0, v8
	v_cvt_f32_i32_e32 v8, v8
	s_delay_alu instid0(VALU_DEP_2) | instskip(NEXT) | instid1(VALU_DEP_1)
	v_ldexp_f32 v13, v13, v14
	v_add_f32_e32 v17, 1.0, v13
	v_sub_f32_e32 v9, v12, v9
	v_cmp_eq_f32_e32 vcc_lo, 0x7f800000, v12
	v_cmp_gt_f32_e64 s28, 0x33800000, v12
	s_delay_alu instid0(VALU_DEP_3) | instskip(SKIP_1) | instid1(VALU_DEP_3)
	v_add_f32_e32 v9, v9, v15
	v_add_f32_e32 v15, -1.0, v17
	s_or_b32 vcc_lo, s28, vcc_lo
	s_delay_alu instid0(VALU_DEP_2) | instskip(NEXT) | instid1(VALU_DEP_2)
	v_ldexp_f32 v9, v9, v14
	v_dual_add_f32 v14, -1.0, v13 :: v_dual_sub_f32 v15, v13, v15
	s_delay_alu instid0(VALU_DEP_1) | instskip(NEXT) | instid1(VALU_DEP_2)
	v_add_f32_e32 v101, 1.0, v14
	v_add_f32_e32 v15, v9, v15
	s_delay_alu instid0(VALU_DEP_2) | instskip(NEXT) | instid1(VALU_DEP_1)
	v_sub_f32_e32 v13, v13, v101
	v_add_f32_e32 v9, v9, v13
	s_delay_alu instid0(VALU_DEP_1) | instskip(NEXT) | instid1(VALU_DEP_1)
	v_add_f32_e32 v102, v14, v9
	v_dual_sub_f32 v14, v14, v102 :: v_dual_add_f32 v101, v17, v15
	s_delay_alu instid0(VALU_DEP_1) | instskip(SKIP_1) | instid1(VALU_DEP_1)
	v_rcp_f32_e32 v13, v101
	v_sub_f32_e32 v17, v17, v101
	v_add_f32_e32 v15, v15, v17
	s_waitcnt_depctr 0xfff
	v_mul_f32_e32 v103, v102, v13
	s_delay_alu instid0(VALU_DEP_1) | instskip(NEXT) | instid1(VALU_DEP_1)
	v_mul_f32_e32 v104, v101, v103
	v_fma_f32 v17, v103, v101, -v104
	s_delay_alu instid0(VALU_DEP_1) | instskip(NEXT) | instid1(VALU_DEP_1)
	v_fmac_f32_e32 v17, v103, v15
	v_add_f32_e32 v106, v104, v17
	s_delay_alu instid0(VALU_DEP_1) | instskip(NEXT) | instid1(VALU_DEP_1)
	v_sub_f32_e32 v107, v102, v106
	v_sub_f32_e32 v102, v102, v107
	s_delay_alu instid0(VALU_DEP_1) | instskip(SKIP_1) | instid1(VALU_DEP_1)
	v_sub_f32_e32 v102, v102, v106
	v_dual_add_f32 v9, v9, v14 :: v_dual_sub_f32 v14, v106, v104
	v_dual_sub_f32 v14, v14, v17 :: v_dual_add_f32 v9, v9, v102
	s_delay_alu instid0(VALU_DEP_1) | instskip(NEXT) | instid1(VALU_DEP_1)
	v_add_f32_e32 v9, v14, v9
	v_add_f32_e32 v14, v107, v9
	s_delay_alu instid0(VALU_DEP_1) | instskip(NEXT) | instid1(VALU_DEP_1)
	v_mul_f32_e32 v17, v13, v14
	v_mul_f32_e32 v102, v101, v17
	s_delay_alu instid0(VALU_DEP_1) | instskip(NEXT) | instid1(VALU_DEP_1)
	v_fma_f32 v101, v17, v101, -v102
	v_dual_fmac_f32 v101, v17, v15 :: v_dual_sub_f32 v106, v107, v14
	s_delay_alu instid0(VALU_DEP_1) | instskip(NEXT) | instid1(VALU_DEP_1)
	v_add_f32_e32 v15, v102, v101
	v_sub_f32_e32 v104, v14, v15
	v_sub_f32_e32 v102, v15, v102
	s_delay_alu instid0(VALU_DEP_2) | instskip(NEXT) | instid1(VALU_DEP_1)
	v_dual_add_f32 v9, v9, v106 :: v_dual_sub_f32 v14, v14, v104
	v_sub_f32_e32 v14, v14, v15
	s_delay_alu instid0(VALU_DEP_3) | instskip(NEXT) | instid1(VALU_DEP_2)
	v_sub_f32_e32 v15, v102, v101
	v_dual_add_f32 v9, v9, v14 :: v_dual_add_f32 v14, v103, v17
	s_delay_alu instid0(VALU_DEP_1) | instskip(NEXT) | instid1(VALU_DEP_2)
	v_add_f32_e32 v9, v15, v9
	v_sub_f32_e32 v15, v14, v103
	s_delay_alu instid0(VALU_DEP_2) | instskip(NEXT) | instid1(VALU_DEP_2)
	v_add_f32_e32 v9, v104, v9
	v_sub_f32_e32 v15, v17, v15
	s_delay_alu instid0(VALU_DEP_2) | instskip(NEXT) | instid1(VALU_DEP_1)
	v_mul_f32_e32 v9, v13, v9
	v_add_f32_e32 v9, v15, v9
	s_delay_alu instid0(VALU_DEP_1) | instskip(NEXT) | instid1(VALU_DEP_1)
	v_add_f32_e32 v13, v14, v9
	v_mul_f32_e32 v15, v13, v13
	s_delay_alu instid0(VALU_DEP_1) | instskip(SKIP_1) | instid1(VALU_DEP_2)
	v_fmaak_f32 v17, s83, v15, 0x3ecc95a3
	v_mul_f32_e32 v101, v13, v15
	v_fmaak_f32 v15, v15, v17, 0x3f2aaada
	v_ldexp_f32 v17, v13, 1
	v_sub_f32_e32 v13, v13, v14
	s_delay_alu instid0(VALU_DEP_3) | instskip(SKIP_1) | instid1(VALU_DEP_3)
	v_mul_f32_e32 v15, v101, v15
	v_mul_f32_e32 v101, 0x3f317218, v8
	v_sub_f32_e32 v9, v9, v13
	s_delay_alu instid0(VALU_DEP_3) | instskip(NEXT) | instid1(VALU_DEP_2)
	v_add_f32_e32 v14, v17, v15
	v_ldexp_f32 v9, v9, 1
	s_delay_alu instid0(VALU_DEP_2) | instskip(SKIP_1) | instid1(VALU_DEP_2)
	v_sub_f32_e32 v13, v14, v17
	v_fma_f32 v17, 0x3f317218, v8, -v101
	v_sub_f32_e32 v13, v15, v13
	s_delay_alu instid0(VALU_DEP_1) | instskip(NEXT) | instid1(VALU_DEP_1)
	v_dual_fmac_f32 v17, 0xb102e308, v8 :: v_dual_add_f32 v8, v9, v13
	v_add_f32_e32 v9, v101, v17
	s_delay_alu instid0(VALU_DEP_2) | instskip(NEXT) | instid1(VALU_DEP_2)
	v_add_f32_e32 v13, v14, v8
	v_sub_f32_e32 v101, v9, v101
	s_delay_alu instid0(VALU_DEP_2) | instskip(SKIP_1) | instid1(VALU_DEP_3)
	v_add_f32_e32 v15, v9, v13
	v_sub_f32_e32 v14, v13, v14
	v_sub_f32_e32 v17, v17, v101
	s_delay_alu instid0(VALU_DEP_3) | instskip(NEXT) | instid1(VALU_DEP_3)
	v_sub_f32_e32 v102, v15, v9
	v_sub_f32_e32 v8, v8, v14
	s_delay_alu instid0(VALU_DEP_2) | instskip(SKIP_1) | instid1(VALU_DEP_3)
	v_sub_f32_e32 v103, v15, v102
	v_sub_f32_e32 v13, v13, v102
	v_add_f32_e32 v14, v17, v8
	s_delay_alu instid0(VALU_DEP_3) | instskip(NEXT) | instid1(VALU_DEP_1)
	v_sub_f32_e32 v9, v9, v103
	v_add_f32_e32 v9, v13, v9
	s_delay_alu instid0(VALU_DEP_3) | instskip(NEXT) | instid1(VALU_DEP_2)
	v_sub_f32_e32 v13, v14, v17
	v_add_f32_e32 v9, v14, v9
	s_delay_alu instid0(VALU_DEP_2) | instskip(SKIP_1) | instid1(VALU_DEP_2)
	v_sub_f32_e32 v14, v14, v13
	v_sub_f32_e32 v8, v8, v13
	v_dual_add_f32 v101, v15, v9 :: v_dual_sub_f32 v14, v17, v14
	s_delay_alu instid0(VALU_DEP_1) | instskip(NEXT) | instid1(VALU_DEP_1)
	v_dual_sub_f32 v13, v101, v15 :: v_dual_add_f32 v8, v8, v14
	v_sub_f32_e32 v9, v9, v13
	s_delay_alu instid0(VALU_DEP_1) | instskip(NEXT) | instid1(VALU_DEP_1)
	v_add_f32_e32 v8, v8, v9
	v_add_f32_e32 v8, v101, v8
	s_delay_alu instid0(VALU_DEP_1)
	v_cndmask_b32_e32 v122, v8, v12, vcc_lo
.LBB53_100:                             ;   in Loop: Header=BB53_12 Depth=1
	s_or_b32 exec_lo, exec_lo, s29
	v_and_b32_e32 v8, 0xffff0000, v10
	s_delay_alu instid0(VALU_DEP_1) | instskip(NEXT) | instid1(VALU_DEP_1)
	v_add_f32_e32 v123, s68, v8
	v_cmp_ge_f32_e32 vcc_lo, 0x41a00000, v123
	s_and_b32 s28, s79, vcc_lo
	s_delay_alu instid0(SALU_CYCLE_1)
	s_and_saveexec_b32 s29, s28
	s_cbranch_execz .LBB53_102
; %bb.101:                              ;   in Loop: Header=BB53_12 Depth=1
	v_mul_f32_e32 v8, 0x3fb8aa3b, v123
	v_cmp_ngt_f32_e32 vcc_lo, 0xc2ce8ed0, v123
	s_delay_alu instid0(VALU_DEP_2) | instskip(SKIP_1) | instid1(VALU_DEP_2)
	v_rndne_f32_e32 v9, v8
	v_fma_f32 v10, 0x3fb8aa3b, v123, -v8
	v_sub_f32_e32 v8, v8, v9
	s_delay_alu instid0(VALU_DEP_2) | instskip(SKIP_1) | instid1(VALU_DEP_2)
	v_fmac_f32_e32 v10, 0x32a5705f, v123
	v_cvt_i32_f32_e32 v9, v9
	v_add_f32_e32 v8, v8, v10
	s_delay_alu instid0(VALU_DEP_1) | instskip(SKIP_2) | instid1(VALU_DEP_1)
	v_exp_f32_e32 v8, v8
	s_waitcnt_depctr 0xfff
	v_ldexp_f32 v8, v8, v9
	v_cndmask_b32_e32 v8, 0, v8, vcc_lo
	v_cmp_nlt_f32_e32 vcc_lo, 0x42b17218, v123
	s_delay_alu instid0(VALU_DEP_2) | instskip(NEXT) | instid1(VALU_DEP_1)
	v_cndmask_b32_e32 v10, 0x7f800000, v8, vcc_lo
	v_add_f32_e32 v12, 1.0, v10
	s_delay_alu instid0(VALU_DEP_1) | instskip(NEXT) | instid1(VALU_DEP_1)
	v_cvt_f64_f32_e32 v[8:9], v12
	v_frexp_exp_i32_f64_e32 v8, v[8:9]
	v_frexp_mant_f32_e32 v9, v12
	s_delay_alu instid0(VALU_DEP_1) | instskip(SKIP_1) | instid1(VALU_DEP_1)
	v_cmp_gt_f32_e32 vcc_lo, 0x3f2aaaab, v9
	v_add_f32_e32 v9, -1.0, v12
	v_dual_sub_f32 v14, v9, v12 :: v_dual_sub_f32 v9, v10, v9
	v_subrev_co_ci_u32_e32 v8, vcc_lo, 0, v8, vcc_lo
	s_delay_alu instid0(VALU_DEP_1) | instskip(SKIP_1) | instid1(VALU_DEP_2)
	v_sub_nc_u32_e32 v13, 0, v8
	v_cvt_f32_i32_e32 v8, v8
	v_ldexp_f32 v12, v12, v13
	s_delay_alu instid0(VALU_DEP_1) | instskip(NEXT) | instid1(VALU_DEP_1)
	v_dual_add_f32 v14, 1.0, v14 :: v_dual_add_f32 v15, 1.0, v12
	v_add_f32_e32 v9, v9, v14
	s_delay_alu instid0(VALU_DEP_1) | instskip(NEXT) | instid1(VALU_DEP_3)
	v_ldexp_f32 v9, v9, v13
	v_dual_add_f32 v13, -1.0, v12 :: v_dual_add_f32 v14, -1.0, v15
	s_delay_alu instid0(VALU_DEP_1) | instskip(NEXT) | instid1(VALU_DEP_1)
	v_dual_add_f32 v17, 1.0, v13 :: v_dual_sub_f32 v14, v12, v14
	v_sub_f32_e32 v12, v12, v17
	s_delay_alu instid0(VALU_DEP_2) | instskip(NEXT) | instid1(VALU_DEP_2)
	v_add_f32_e32 v14, v9, v14
	v_add_f32_e32 v9, v9, v12
	s_delay_alu instid0(VALU_DEP_2) | instskip(SKIP_2) | instid1(VALU_DEP_4)
	v_add_f32_e32 v17, v15, v14
	v_cmp_eq_f32_e32 vcc_lo, 0x7f800000, v10
	v_cmp_gt_f32_e64 s28, 0x33800000, v10
	v_add_f32_e32 v101, v13, v9
	s_delay_alu instid0(VALU_DEP_4) | instskip(SKIP_1) | instid1(VALU_DEP_3)
	v_rcp_f32_e32 v12, v17
	v_sub_f32_e32 v15, v15, v17
	s_or_b32 vcc_lo, s28, vcc_lo
	s_delay_alu instid0(VALU_DEP_1) | instskip(NEXT) | instid1(VALU_DEP_1)
	v_dual_sub_f32 v13, v13, v101 :: v_dual_add_f32 v14, v14, v15
	v_add_f32_e32 v9, v9, v13
	s_waitcnt_depctr 0xfff
	v_mul_f32_e32 v102, v101, v12
	s_delay_alu instid0(VALU_DEP_1) | instskip(NEXT) | instid1(VALU_DEP_1)
	v_mul_f32_e32 v103, v17, v102
	v_fma_f32 v15, v102, v17, -v103
	s_delay_alu instid0(VALU_DEP_1) | instskip(NEXT) | instid1(VALU_DEP_1)
	v_fmac_f32_e32 v15, v102, v14
	v_add_f32_e32 v104, v103, v15
	s_delay_alu instid0(VALU_DEP_1) | instskip(NEXT) | instid1(VALU_DEP_1)
	v_dual_sub_f32 v106, v101, v104 :: v_dual_sub_f32 v13, v104, v103
	v_sub_f32_e32 v101, v101, v106
	s_delay_alu instid0(VALU_DEP_2) | instskip(NEXT) | instid1(VALU_DEP_2)
	v_sub_f32_e32 v13, v13, v15
	v_sub_f32_e32 v101, v101, v104
	s_delay_alu instid0(VALU_DEP_1) | instskip(NEXT) | instid1(VALU_DEP_1)
	v_add_f32_e32 v9, v9, v101
	v_add_f32_e32 v9, v13, v9
	s_delay_alu instid0(VALU_DEP_1) | instskip(NEXT) | instid1(VALU_DEP_1)
	v_add_f32_e32 v13, v106, v9
	v_mul_f32_e32 v15, v12, v13
	s_delay_alu instid0(VALU_DEP_1) | instskip(NEXT) | instid1(VALU_DEP_1)
	v_dual_sub_f32 v104, v106, v13 :: v_dual_mul_f32 v101, v17, v15
	v_add_f32_e32 v9, v9, v104
	s_delay_alu instid0(VALU_DEP_2) | instskip(NEXT) | instid1(VALU_DEP_1)
	v_fma_f32 v17, v15, v17, -v101
	v_fmac_f32_e32 v17, v15, v14
	s_delay_alu instid0(VALU_DEP_1) | instskip(NEXT) | instid1(VALU_DEP_1)
	v_add_f32_e32 v14, v101, v17
	v_sub_f32_e32 v103, v13, v14
	s_delay_alu instid0(VALU_DEP_1) | instskip(NEXT) | instid1(VALU_DEP_1)
	v_sub_f32_e32 v13, v13, v103
	v_sub_f32_e32 v13, v13, v14
	s_delay_alu instid0(VALU_DEP_1) | instskip(SKIP_2) | instid1(VALU_DEP_1)
	v_add_f32_e32 v9, v9, v13
	v_add_f32_e32 v13, v102, v15
	v_sub_f32_e32 v101, v14, v101
	v_sub_f32_e32 v14, v101, v17
	s_delay_alu instid0(VALU_DEP_1) | instskip(NEXT) | instid1(VALU_DEP_1)
	v_dual_add_f32 v9, v14, v9 :: v_dual_sub_f32 v14, v13, v102
	v_add_f32_e32 v9, v103, v9
	s_delay_alu instid0(VALU_DEP_1) | instskip(NEXT) | instid1(VALU_DEP_1)
	v_dual_sub_f32 v14, v15, v14 :: v_dual_mul_f32 v9, v12, v9
	v_add_f32_e32 v9, v14, v9
	s_delay_alu instid0(VALU_DEP_1) | instskip(NEXT) | instid1(VALU_DEP_1)
	v_add_f32_e32 v12, v13, v9
	v_mul_f32_e32 v14, v12, v12
	s_delay_alu instid0(VALU_DEP_1) | instskip(NEXT) | instid1(VALU_DEP_1)
	v_fmaak_f32 v15, s83, v14, 0x3ecc95a3
	v_dual_mul_f32 v17, v12, v14 :: v_dual_fmaak_f32 v14, v14, v15, 0x3f2aaada
	v_ldexp_f32 v15, v12, 1
	v_sub_f32_e32 v12, v12, v13
	s_delay_alu instid0(VALU_DEP_3) | instskip(NEXT) | instid1(VALU_DEP_2)
	v_dual_mul_f32 v14, v17, v14 :: v_dual_mul_f32 v17, 0x3f317218, v8
	v_sub_f32_e32 v9, v9, v12
	s_delay_alu instid0(VALU_DEP_2) | instskip(NEXT) | instid1(VALU_DEP_2)
	v_add_f32_e32 v13, v15, v14
	v_ldexp_f32 v9, v9, 1
	s_delay_alu instid0(VALU_DEP_2) | instskip(SKIP_1) | instid1(VALU_DEP_2)
	v_sub_f32_e32 v12, v13, v15
	v_fma_f32 v15, 0x3f317218, v8, -v17
	v_sub_f32_e32 v12, v14, v12
	s_delay_alu instid0(VALU_DEP_2) | instskip(NEXT) | instid1(VALU_DEP_2)
	v_fmac_f32_e32 v15, 0xb102e308, v8
	v_add_f32_e32 v8, v9, v12
	s_delay_alu instid0(VALU_DEP_2) | instskip(NEXT) | instid1(VALU_DEP_2)
	v_add_f32_e32 v9, v17, v15
	v_add_f32_e32 v12, v13, v8
	s_delay_alu instid0(VALU_DEP_2) | instskip(NEXT) | instid1(VALU_DEP_2)
	v_sub_f32_e32 v17, v9, v17
	v_dual_add_f32 v14, v9, v12 :: v_dual_sub_f32 v13, v12, v13
	s_delay_alu instid0(VALU_DEP_2) | instskip(NEXT) | instid1(VALU_DEP_2)
	v_sub_f32_e32 v15, v15, v17
	v_sub_f32_e32 v101, v14, v9
	s_delay_alu instid0(VALU_DEP_3) | instskip(NEXT) | instid1(VALU_DEP_2)
	v_sub_f32_e32 v8, v8, v13
	v_sub_f32_e32 v102, v14, v101
	s_delay_alu instid0(VALU_DEP_2) | instskip(NEXT) | instid1(VALU_DEP_2)
	v_dual_sub_f32 v12, v12, v101 :: v_dual_add_f32 v13, v15, v8
	v_sub_f32_e32 v9, v9, v102
	s_delay_alu instid0(VALU_DEP_1) | instskip(NEXT) | instid1(VALU_DEP_1)
	v_dual_add_f32 v9, v12, v9 :: v_dual_sub_f32 v12, v13, v15
	v_add_f32_e32 v9, v13, v9
	s_delay_alu instid0(VALU_DEP_2) | instskip(NEXT) | instid1(VALU_DEP_2)
	v_sub_f32_e32 v13, v13, v12
	v_dual_sub_f32 v8, v8, v12 :: v_dual_add_f32 v17, v14, v9
	s_delay_alu instid0(VALU_DEP_1) | instskip(NEXT) | instid1(VALU_DEP_1)
	v_dual_sub_f32 v13, v15, v13 :: v_dual_sub_f32 v12, v17, v14
	v_dual_add_f32 v8, v8, v13 :: v_dual_sub_f32 v9, v9, v12
	s_delay_alu instid0(VALU_DEP_1) | instskip(NEXT) | instid1(VALU_DEP_1)
	v_add_f32_e32 v8, v8, v9
	v_add_f32_e32 v8, v17, v8
	s_delay_alu instid0(VALU_DEP_1)
	v_cndmask_b32_e32 v123, v8, v10, vcc_lo
.LBB53_102:                             ;   in Loop: Header=BB53_12 Depth=1
	s_or_b32 exec_lo, exec_lo, s29
	v_lshlrev_b32_e32 v8, 16, v11
	s_delay_alu instid0(VALU_DEP_1) | instskip(NEXT) | instid1(VALU_DEP_1)
	v_add_f32_e32 v124, s68, v8
	v_cmp_ge_f32_e32 vcc_lo, 0x41a00000, v124
	s_and_b32 s28, s79, vcc_lo
	s_delay_alu instid0(SALU_CYCLE_1)
	s_and_saveexec_b32 s29, s28
	s_cbranch_execz .LBB53_104
; %bb.103:                              ;   in Loop: Header=BB53_12 Depth=1
	v_mul_f32_e32 v8, 0x3fb8aa3b, v124
	v_cmp_ngt_f32_e32 vcc_lo, 0xc2ce8ed0, v124
	s_delay_alu instid0(VALU_DEP_2) | instskip(SKIP_1) | instid1(VALU_DEP_2)
	v_rndne_f32_e32 v9, v8
	v_fma_f32 v10, 0x3fb8aa3b, v124, -v8
	v_sub_f32_e32 v8, v8, v9
	s_delay_alu instid0(VALU_DEP_2) | instskip(SKIP_1) | instid1(VALU_DEP_2)
	v_fmac_f32_e32 v10, 0x32a5705f, v124
	v_cvt_i32_f32_e32 v9, v9
	v_add_f32_e32 v8, v8, v10
	s_delay_alu instid0(VALU_DEP_1) | instskip(SKIP_2) | instid1(VALU_DEP_1)
	v_exp_f32_e32 v8, v8
	s_waitcnt_depctr 0xfff
	v_ldexp_f32 v8, v8, v9
	v_cndmask_b32_e32 v8, 0, v8, vcc_lo
	v_cmp_nlt_f32_e32 vcc_lo, 0x42b17218, v124
	s_delay_alu instid0(VALU_DEP_2) | instskip(NEXT) | instid1(VALU_DEP_1)
	v_cndmask_b32_e32 v10, 0x7f800000, v8, vcc_lo
	v_add_f32_e32 v12, 1.0, v10
	s_delay_alu instid0(VALU_DEP_1) | instskip(NEXT) | instid1(VALU_DEP_1)
	v_cvt_f64_f32_e32 v[8:9], v12
	v_frexp_exp_i32_f64_e32 v8, v[8:9]
	v_frexp_mant_f32_e32 v9, v12
	s_delay_alu instid0(VALU_DEP_1) | instskip(SKIP_1) | instid1(VALU_DEP_1)
	v_cmp_gt_f32_e32 vcc_lo, 0x3f2aaaab, v9
	v_add_f32_e32 v9, -1.0, v12
	v_dual_sub_f32 v14, v9, v12 :: v_dual_sub_f32 v9, v10, v9
	v_subrev_co_ci_u32_e32 v8, vcc_lo, 0, v8, vcc_lo
	s_delay_alu instid0(VALU_DEP_1) | instskip(SKIP_1) | instid1(VALU_DEP_2)
	v_sub_nc_u32_e32 v13, 0, v8
	v_cvt_f32_i32_e32 v8, v8
	v_ldexp_f32 v12, v12, v13
	s_delay_alu instid0(VALU_DEP_1) | instskip(NEXT) | instid1(VALU_DEP_1)
	v_dual_add_f32 v14, 1.0, v14 :: v_dual_add_f32 v15, 1.0, v12
	v_add_f32_e32 v9, v9, v14
	s_delay_alu instid0(VALU_DEP_1) | instskip(NEXT) | instid1(VALU_DEP_3)
	v_ldexp_f32 v9, v9, v13
	v_dual_add_f32 v13, -1.0, v12 :: v_dual_add_f32 v14, -1.0, v15
	s_delay_alu instid0(VALU_DEP_1) | instskip(NEXT) | instid1(VALU_DEP_1)
	v_dual_add_f32 v17, 1.0, v13 :: v_dual_sub_f32 v14, v12, v14
	v_sub_f32_e32 v12, v12, v17
	s_delay_alu instid0(VALU_DEP_2) | instskip(NEXT) | instid1(VALU_DEP_2)
	v_add_f32_e32 v14, v9, v14
	v_add_f32_e32 v9, v9, v12
	s_delay_alu instid0(VALU_DEP_2) | instskip(SKIP_2) | instid1(VALU_DEP_4)
	v_add_f32_e32 v17, v15, v14
	v_cmp_eq_f32_e32 vcc_lo, 0x7f800000, v10
	v_cmp_gt_f32_e64 s28, 0x33800000, v10
	v_add_f32_e32 v101, v13, v9
	s_delay_alu instid0(VALU_DEP_4) | instskip(SKIP_1) | instid1(VALU_DEP_3)
	v_rcp_f32_e32 v12, v17
	v_sub_f32_e32 v15, v15, v17
	s_or_b32 vcc_lo, s28, vcc_lo
	s_delay_alu instid0(VALU_DEP_1) | instskip(NEXT) | instid1(VALU_DEP_1)
	v_dual_sub_f32 v13, v13, v101 :: v_dual_add_f32 v14, v14, v15
	v_add_f32_e32 v9, v9, v13
	s_waitcnt_depctr 0xfff
	v_mul_f32_e32 v102, v101, v12
	s_delay_alu instid0(VALU_DEP_1) | instskip(NEXT) | instid1(VALU_DEP_1)
	v_mul_f32_e32 v103, v17, v102
	v_fma_f32 v15, v102, v17, -v103
	s_delay_alu instid0(VALU_DEP_1) | instskip(NEXT) | instid1(VALU_DEP_1)
	v_fmac_f32_e32 v15, v102, v14
	v_add_f32_e32 v104, v103, v15
	s_delay_alu instid0(VALU_DEP_1) | instskip(NEXT) | instid1(VALU_DEP_1)
	v_dual_sub_f32 v106, v101, v104 :: v_dual_sub_f32 v13, v104, v103
	v_sub_f32_e32 v101, v101, v106
	s_delay_alu instid0(VALU_DEP_2) | instskip(NEXT) | instid1(VALU_DEP_2)
	v_sub_f32_e32 v13, v13, v15
	v_sub_f32_e32 v101, v101, v104
	s_delay_alu instid0(VALU_DEP_1) | instskip(NEXT) | instid1(VALU_DEP_1)
	v_add_f32_e32 v9, v9, v101
	v_add_f32_e32 v9, v13, v9
	s_delay_alu instid0(VALU_DEP_1) | instskip(NEXT) | instid1(VALU_DEP_1)
	v_add_f32_e32 v13, v106, v9
	v_mul_f32_e32 v15, v12, v13
	s_delay_alu instid0(VALU_DEP_1) | instskip(NEXT) | instid1(VALU_DEP_1)
	v_dual_sub_f32 v104, v106, v13 :: v_dual_mul_f32 v101, v17, v15
	v_add_f32_e32 v9, v9, v104
	s_delay_alu instid0(VALU_DEP_2) | instskip(NEXT) | instid1(VALU_DEP_1)
	v_fma_f32 v17, v15, v17, -v101
	v_fmac_f32_e32 v17, v15, v14
	s_delay_alu instid0(VALU_DEP_1) | instskip(NEXT) | instid1(VALU_DEP_1)
	v_add_f32_e32 v14, v101, v17
	v_sub_f32_e32 v103, v13, v14
	s_delay_alu instid0(VALU_DEP_1) | instskip(NEXT) | instid1(VALU_DEP_1)
	v_sub_f32_e32 v13, v13, v103
	v_sub_f32_e32 v13, v13, v14
	s_delay_alu instid0(VALU_DEP_1) | instskip(SKIP_2) | instid1(VALU_DEP_1)
	v_add_f32_e32 v9, v9, v13
	v_add_f32_e32 v13, v102, v15
	v_sub_f32_e32 v101, v14, v101
	v_sub_f32_e32 v14, v101, v17
	s_delay_alu instid0(VALU_DEP_1) | instskip(NEXT) | instid1(VALU_DEP_1)
	v_dual_add_f32 v9, v14, v9 :: v_dual_sub_f32 v14, v13, v102
	v_add_f32_e32 v9, v103, v9
	s_delay_alu instid0(VALU_DEP_1) | instskip(NEXT) | instid1(VALU_DEP_1)
	v_dual_sub_f32 v14, v15, v14 :: v_dual_mul_f32 v9, v12, v9
	v_add_f32_e32 v9, v14, v9
	s_delay_alu instid0(VALU_DEP_1) | instskip(NEXT) | instid1(VALU_DEP_1)
	v_add_f32_e32 v12, v13, v9
	v_mul_f32_e32 v14, v12, v12
	s_delay_alu instid0(VALU_DEP_1) | instskip(NEXT) | instid1(VALU_DEP_1)
	v_fmaak_f32 v15, s83, v14, 0x3ecc95a3
	v_dual_mul_f32 v17, v12, v14 :: v_dual_fmaak_f32 v14, v14, v15, 0x3f2aaada
	v_ldexp_f32 v15, v12, 1
	v_sub_f32_e32 v12, v12, v13
	s_delay_alu instid0(VALU_DEP_3) | instskip(NEXT) | instid1(VALU_DEP_2)
	v_dual_mul_f32 v14, v17, v14 :: v_dual_mul_f32 v17, 0x3f317218, v8
	v_sub_f32_e32 v9, v9, v12
	s_delay_alu instid0(VALU_DEP_2) | instskip(NEXT) | instid1(VALU_DEP_2)
	v_add_f32_e32 v13, v15, v14
	v_ldexp_f32 v9, v9, 1
	s_delay_alu instid0(VALU_DEP_2) | instskip(SKIP_1) | instid1(VALU_DEP_2)
	v_sub_f32_e32 v12, v13, v15
	v_fma_f32 v15, 0x3f317218, v8, -v17
	v_sub_f32_e32 v12, v14, v12
	s_delay_alu instid0(VALU_DEP_2) | instskip(NEXT) | instid1(VALU_DEP_2)
	v_fmac_f32_e32 v15, 0xb102e308, v8
	v_add_f32_e32 v8, v9, v12
	s_delay_alu instid0(VALU_DEP_2) | instskip(NEXT) | instid1(VALU_DEP_2)
	v_add_f32_e32 v9, v17, v15
	v_add_f32_e32 v12, v13, v8
	s_delay_alu instid0(VALU_DEP_2) | instskip(NEXT) | instid1(VALU_DEP_2)
	v_sub_f32_e32 v17, v9, v17
	v_dual_add_f32 v14, v9, v12 :: v_dual_sub_f32 v13, v12, v13
	s_delay_alu instid0(VALU_DEP_2) | instskip(NEXT) | instid1(VALU_DEP_2)
	v_sub_f32_e32 v15, v15, v17
	v_sub_f32_e32 v101, v14, v9
	s_delay_alu instid0(VALU_DEP_3) | instskip(NEXT) | instid1(VALU_DEP_2)
	v_sub_f32_e32 v8, v8, v13
	v_sub_f32_e32 v102, v14, v101
	s_delay_alu instid0(VALU_DEP_2) | instskip(NEXT) | instid1(VALU_DEP_2)
	v_dual_sub_f32 v12, v12, v101 :: v_dual_add_f32 v13, v15, v8
	v_sub_f32_e32 v9, v9, v102
	s_delay_alu instid0(VALU_DEP_1) | instskip(NEXT) | instid1(VALU_DEP_1)
	v_dual_add_f32 v9, v12, v9 :: v_dual_sub_f32 v12, v13, v15
	v_add_f32_e32 v9, v13, v9
	s_delay_alu instid0(VALU_DEP_2) | instskip(NEXT) | instid1(VALU_DEP_2)
	v_sub_f32_e32 v13, v13, v12
	v_dual_sub_f32 v8, v8, v12 :: v_dual_add_f32 v17, v14, v9
	s_delay_alu instid0(VALU_DEP_1) | instskip(NEXT) | instid1(VALU_DEP_1)
	v_dual_sub_f32 v13, v15, v13 :: v_dual_sub_f32 v12, v17, v14
	v_dual_add_f32 v8, v8, v13 :: v_dual_sub_f32 v9, v9, v12
	s_delay_alu instid0(VALU_DEP_1) | instskip(NEXT) | instid1(VALU_DEP_1)
	v_add_f32_e32 v8, v8, v9
	v_add_f32_e32 v8, v17, v8
	s_delay_alu instid0(VALU_DEP_1)
	v_cndmask_b32_e32 v124, v8, v10, vcc_lo
.LBB53_104:                             ;   in Loop: Header=BB53_12 Depth=1
	s_or_b32 exec_lo, exec_lo, s29
	v_and_b32_e32 v8, 0xffff0000, v11
	s_delay_alu instid0(VALU_DEP_1) | instskip(NEXT) | instid1(VALU_DEP_1)
	v_add_f32_e32 v125, s68, v8
	v_cmp_ge_f32_e32 vcc_lo, 0x41a00000, v125
	s_and_b32 s28, s79, vcc_lo
	s_delay_alu instid0(SALU_CYCLE_1)
	s_and_saveexec_b32 s29, s28
	s_cbranch_execz .LBB53_106
; %bb.105:                              ;   in Loop: Header=BB53_12 Depth=1
	v_mul_f32_e32 v8, 0x3fb8aa3b, v125
	v_cmp_ngt_f32_e32 vcc_lo, 0xc2ce8ed0, v125
	s_delay_alu instid0(VALU_DEP_2) | instskip(SKIP_1) | instid1(VALU_DEP_2)
	v_rndne_f32_e32 v9, v8
	v_fma_f32 v10, 0x3fb8aa3b, v125, -v8
	v_sub_f32_e32 v8, v8, v9
	s_delay_alu instid0(VALU_DEP_2) | instskip(SKIP_1) | instid1(VALU_DEP_2)
	v_fmac_f32_e32 v10, 0x32a5705f, v125
	v_cvt_i32_f32_e32 v9, v9
	v_add_f32_e32 v8, v8, v10
	s_delay_alu instid0(VALU_DEP_1) | instskip(SKIP_2) | instid1(VALU_DEP_1)
	v_exp_f32_e32 v8, v8
	s_waitcnt_depctr 0xfff
	v_ldexp_f32 v8, v8, v9
	v_cndmask_b32_e32 v8, 0, v8, vcc_lo
	v_cmp_nlt_f32_e32 vcc_lo, 0x42b17218, v125
	s_delay_alu instid0(VALU_DEP_2) | instskip(NEXT) | instid1(VALU_DEP_1)
	v_cndmask_b32_e32 v10, 0x7f800000, v8, vcc_lo
	v_add_f32_e32 v11, 1.0, v10
	s_delay_alu instid0(VALU_DEP_1) | instskip(NEXT) | instid1(VALU_DEP_1)
	v_cvt_f64_f32_e32 v[8:9], v11
	v_frexp_exp_i32_f64_e32 v8, v[8:9]
	v_frexp_mant_f32_e32 v9, v11
	s_delay_alu instid0(VALU_DEP_1) | instskip(SKIP_1) | instid1(VALU_DEP_1)
	v_cmp_gt_f32_e32 vcc_lo, 0x3f2aaaab, v9
	v_add_f32_e32 v9, -1.0, v11
	v_sub_f32_e32 v13, v9, v11
	v_sub_f32_e32 v9, v10, v9
	s_delay_alu instid0(VALU_DEP_2) | instskip(NEXT) | instid1(VALU_DEP_1)
	v_add_f32_e32 v13, 1.0, v13
	v_add_f32_e32 v9, v9, v13
	v_cmp_gt_f32_e64 s28, 0x33800000, v10
	v_subrev_co_ci_u32_e32 v8, vcc_lo, 0, v8, vcc_lo
	v_cmp_eq_f32_e32 vcc_lo, 0x7f800000, v10
	s_delay_alu instid0(VALU_DEP_2) | instskip(SKIP_2) | instid1(VALU_DEP_2)
	v_sub_nc_u32_e32 v12, 0, v8
	v_cvt_f32_i32_e32 v8, v8
	s_or_b32 vcc_lo, s28, vcc_lo
	v_ldexp_f32 v11, v11, v12
	v_ldexp_f32 v9, v9, v12
	s_delay_alu instid0(VALU_DEP_2) | instskip(NEXT) | instid1(VALU_DEP_1)
	v_add_f32_e32 v14, 1.0, v11
	v_dual_add_f32 v12, -1.0, v11 :: v_dual_add_f32 v13, -1.0, v14
	s_delay_alu instid0(VALU_DEP_1) | instskip(NEXT) | instid1(VALU_DEP_2)
	v_add_f32_e32 v15, 1.0, v12
	v_sub_f32_e32 v13, v11, v13
	s_delay_alu instid0(VALU_DEP_2) | instskip(NEXT) | instid1(VALU_DEP_2)
	v_sub_f32_e32 v11, v11, v15
	v_add_f32_e32 v13, v9, v13
	s_delay_alu instid0(VALU_DEP_2) | instskip(NEXT) | instid1(VALU_DEP_1)
	v_add_f32_e32 v9, v9, v11
	v_add_f32_e32 v17, v12, v9
	s_delay_alu instid0(VALU_DEP_3) | instskip(NEXT) | instid1(VALU_DEP_2)
	v_add_f32_e32 v15, v14, v13
	v_sub_f32_e32 v12, v12, v17
	s_delay_alu instid0(VALU_DEP_2) | instskip(SKIP_1) | instid1(VALU_DEP_1)
	v_rcp_f32_e32 v11, v15
	v_sub_f32_e32 v14, v14, v15
	v_add_f32_e32 v13, v13, v14
	s_waitcnt_depctr 0xfff
	v_mul_f32_e32 v101, v17, v11
	s_delay_alu instid0(VALU_DEP_1) | instskip(NEXT) | instid1(VALU_DEP_1)
	v_dual_mul_f32 v102, v15, v101 :: v_dual_add_f32 v9, v9, v12
	v_fma_f32 v14, v101, v15, -v102
	s_delay_alu instid0(VALU_DEP_1) | instskip(NEXT) | instid1(VALU_DEP_1)
	v_fmac_f32_e32 v14, v101, v13
	v_add_f32_e32 v103, v102, v14
	s_delay_alu instid0(VALU_DEP_1) | instskip(SKIP_1) | instid1(VALU_DEP_1)
	v_sub_f32_e32 v12, v103, v102
	v_sub_f32_e32 v104, v17, v103
	v_dual_sub_f32 v12, v12, v14 :: v_dual_sub_f32 v17, v17, v104
	s_delay_alu instid0(VALU_DEP_1) | instskip(NEXT) | instid1(VALU_DEP_1)
	v_sub_f32_e32 v17, v17, v103
	v_add_f32_e32 v9, v9, v17
	s_delay_alu instid0(VALU_DEP_1) | instskip(NEXT) | instid1(VALU_DEP_1)
	v_add_f32_e32 v9, v12, v9
	v_add_f32_e32 v12, v104, v9
	s_delay_alu instid0(VALU_DEP_1) | instskip(SKIP_1) | instid1(VALU_DEP_2)
	v_mul_f32_e32 v14, v11, v12
	v_sub_f32_e32 v103, v104, v12
	v_mul_f32_e32 v17, v15, v14
	s_delay_alu instid0(VALU_DEP_2) | instskip(NEXT) | instid1(VALU_DEP_2)
	v_add_f32_e32 v9, v9, v103
	v_fma_f32 v15, v14, v15, -v17
	s_delay_alu instid0(VALU_DEP_1) | instskip(NEXT) | instid1(VALU_DEP_1)
	v_fmac_f32_e32 v15, v14, v13
	v_add_f32_e32 v13, v17, v15
	s_delay_alu instid0(VALU_DEP_1) | instskip(NEXT) | instid1(VALU_DEP_1)
	v_sub_f32_e32 v102, v12, v13
	v_dual_sub_f32 v17, v13, v17 :: v_dual_sub_f32 v12, v12, v102
	s_delay_alu instid0(VALU_DEP_1) | instskip(NEXT) | instid1(VALU_DEP_1)
	v_dual_sub_f32 v12, v12, v13 :: v_dual_sub_f32 v13, v17, v15
	v_add_f32_e32 v9, v9, v12
	v_add_f32_e32 v12, v101, v14
	s_delay_alu instid0(VALU_DEP_2) | instskip(NEXT) | instid1(VALU_DEP_2)
	v_add_f32_e32 v9, v13, v9
	v_sub_f32_e32 v13, v12, v101
	s_delay_alu instid0(VALU_DEP_2) | instskip(NEXT) | instid1(VALU_DEP_2)
	v_add_f32_e32 v9, v102, v9
	v_sub_f32_e32 v13, v14, v13
	s_delay_alu instid0(VALU_DEP_2) | instskip(NEXT) | instid1(VALU_DEP_1)
	v_mul_f32_e32 v9, v11, v9
	v_add_f32_e32 v9, v13, v9
	s_delay_alu instid0(VALU_DEP_1) | instskip(NEXT) | instid1(VALU_DEP_1)
	v_add_f32_e32 v11, v12, v9
	v_mul_f32_e32 v13, v11, v11
	s_delay_alu instid0(VALU_DEP_1) | instskip(SKIP_1) | instid1(VALU_DEP_2)
	v_fmaak_f32 v14, s83, v13, 0x3ecc95a3
	v_mul_f32_e32 v15, v11, v13
	v_fmaak_f32 v13, v13, v14, 0x3f2aaada
	v_ldexp_f32 v14, v11, 1
	v_sub_f32_e32 v11, v11, v12
	s_delay_alu instid0(VALU_DEP_3) | instskip(SKIP_1) | instid1(VALU_DEP_2)
	v_mul_f32_e32 v13, v15, v13
	v_mul_f32_e32 v15, 0x3f317218, v8
	v_dual_sub_f32 v9, v9, v11 :: v_dual_add_f32 v12, v14, v13
	s_delay_alu instid0(VALU_DEP_1) | instskip(NEXT) | instid1(VALU_DEP_2)
	v_ldexp_f32 v9, v9, 1
	v_sub_f32_e32 v11, v12, v14
	s_delay_alu instid0(VALU_DEP_4) | instskip(NEXT) | instid1(VALU_DEP_1)
	v_fma_f32 v14, 0x3f317218, v8, -v15
	v_dual_sub_f32 v11, v13, v11 :: v_dual_fmac_f32 v14, 0xb102e308, v8
	s_delay_alu instid0(VALU_DEP_1) | instskip(NEXT) | instid1(VALU_DEP_1)
	v_dual_add_f32 v8, v9, v11 :: v_dual_add_f32 v9, v15, v14
	v_add_f32_e32 v11, v12, v8
	s_delay_alu instid0(VALU_DEP_2) | instskip(NEXT) | instid1(VALU_DEP_2)
	v_sub_f32_e32 v15, v9, v15
	v_dual_add_f32 v13, v9, v11 :: v_dual_sub_f32 v12, v11, v12
	s_delay_alu instid0(VALU_DEP_1) | instskip(NEXT) | instid1(VALU_DEP_1)
	v_dual_sub_f32 v14, v14, v15 :: v_dual_sub_f32 v17, v13, v9
	v_dual_sub_f32 v8, v8, v12 :: v_dual_sub_f32 v101, v13, v17
	s_delay_alu instid0(VALU_DEP_1) | instskip(NEXT) | instid1(VALU_DEP_2)
	v_dual_sub_f32 v11, v11, v17 :: v_dual_add_f32 v12, v14, v8
	v_sub_f32_e32 v9, v9, v101
	s_delay_alu instid0(VALU_DEP_1) | instskip(NEXT) | instid1(VALU_DEP_3)
	v_add_f32_e32 v9, v11, v9
	v_sub_f32_e32 v11, v12, v14
	s_delay_alu instid0(VALU_DEP_2) | instskip(NEXT) | instid1(VALU_DEP_2)
	v_add_f32_e32 v9, v12, v9
	v_sub_f32_e32 v12, v12, v11
	s_delay_alu instid0(VALU_DEP_2) | instskip(NEXT) | instid1(VALU_DEP_1)
	v_dual_sub_f32 v8, v8, v11 :: v_dual_add_f32 v15, v13, v9
	v_dual_sub_f32 v12, v14, v12 :: v_dual_sub_f32 v11, v15, v13
	s_delay_alu instid0(VALU_DEP_1) | instskip(NEXT) | instid1(VALU_DEP_1)
	v_dual_add_f32 v8, v8, v12 :: v_dual_sub_f32 v9, v9, v11
	v_add_f32_e32 v8, v8, v9
	s_delay_alu instid0(VALU_DEP_1) | instskip(NEXT) | instid1(VALU_DEP_1)
	v_add_f32_e32 v8, v15, v8
	v_cndmask_b32_e32 v125, v8, v10, vcc_lo
.LBB53_106:                             ;   in Loop: Header=BB53_12 Depth=1
	s_or_b32 exec_lo, exec_lo, s29
	v_and_b32_e32 v10, 0xffff0000, v5
	v_lshlrev_b32_e32 v5, 16, v5
	v_and_b32_e32 v9, 0xffff0000, v6
	v_and_b32_e32 v14, 0xffff0000, v7
	;; [unrolled: 1-line block ×4, first 2 shown]
	v_lshlrev_b32_e32 v1, 16, v1
	v_and_b32_e32 v12, 0xffff0000, v2
	v_lshlrev_b32_e32 v0, 16, v0
	v_lshlrev_b32_e32 v2, 16, v2
	v_mul_f32_e32 v106, s69, v5
	v_dual_mul_f32 v103, s69, v9 :: v_dual_lshlrev_b32 v8, 16, v7
	v_lshlrev_b32_e32 v6, 16, v6
	v_mul_f32_e32 v120, s69, v15
	s_delay_alu instid0(VALU_DEP_3)
	v_dual_mul_f32 v118, s69, v13 :: v_dual_mul_f32 v101, s69, v8
	v_mul_f32_e32 v119, s69, v0
	v_dual_mul_f32 v114, s69, v2 :: v_dual_and_b32 v11, 0xffff0000, v3
	v_and_b32_e32 v7, 0xffff0000, v4
	v_lshlrev_b32_e32 v3, 16, v3
	v_lshlrev_b32_e32 v4, 16, v4
	v_mul_f32_e32 v102, s69, v6
	v_mul_f32_e32 v112, s69, v11
	s_and_b32 vcc_lo, exec_lo, s80
	v_mul_f32_e32 v111, s69, v3
	v_mul_f32_e32 v109, s69, v4
	;; [unrolled: 1-line block ×3, first 2 shown]
	v_dual_mul_f32 v104, s69, v14 :: v_dual_mul_f32 v117, s69, v1
	v_dual_mul_f32 v110, s69, v7 :: v_dual_mul_f32 v115, s69, v12
	s_barrier
	buffer_gl0_inv
	s_cbranch_vccz .LBB53_202
; %bb.107:                              ;   in Loop: Header=BB53_12 Depth=1
	v_dual_mul_f32 v126, v125, v14 :: v_dual_mul_f32 v131, v124, v8
	v_add_co_u32 v14, s28, s61, v16
	s_delay_alu instid0(VALU_DEP_1) | instskip(SKIP_1) | instid1(VALU_DEP_1)
	v_add_co_ci_u32_e64 v17, null, s62, 0, s28
	v_add_co_u32 v16, s28, s74, v16
	v_add_co_ci_u32_e64 v130, null, s75, 0, s28
	s_delay_alu instid0(VALU_DEP_4) | instskip(NEXT) | instid1(VALU_DEP_4)
	v_add_co_u32 v127, vcc_lo, v14, v93
	v_add_co_ci_u32_e32 v128, vcc_lo, 0, v17, vcc_lo
	s_delay_alu instid0(VALU_DEP_4) | instskip(NEXT) | instid1(VALU_DEP_4)
	v_add_co_u32 v129, vcc_lo, v16, v93
	v_add_co_ci_u32_e32 v130, vcc_lo, 0, v130, vcc_lo
	v_cmp_gt_u32_e32 vcc_lo, s40, v18
	s_cmp_lg_u32 s85, 0
	v_cmp_gt_u32_e64 s30, s40, v79
	s_cselect_b32 s51, -1, 0
	s_cmp_eq_u32 s85, s82
	v_cmp_gt_u32_e64 s31, s40, v80
	s_cselect_b32 s86, -1, 0
	s_or_b32 s28, s81, vcc_lo
	v_cmp_gt_u32_e32 vcc_lo, s40, v78
	v_cmp_gt_u32_e64 s33, s40, v81
	v_cmp_gt_u32_e64 s34, s40, v82
	;; [unrolled: 1-line block ×4, first 2 shown]
	s_or_b32 s29, s81, vcc_lo
	v_cmp_gt_u32_e32 vcc_lo, s40, v83
	v_cmp_gt_u32_e64 s38, s40, v86
	v_cmp_gt_u32_e64 s39, s40, v87
	;; [unrolled: 1-line block ×4, first 2 shown]
	s_or_b32 s35, s81, vcc_lo
	v_cmp_gt_u32_e32 vcc_lo, s40, v88
	v_cmp_gt_u32_e64 s43, s40, v91
	v_cmp_gt_u32_e64 s44, s40, v92
	v_dual_mul_f32 v132, v123, v9 :: v_dual_mul_f32 v133, v122, v6
	v_dual_mul_f32 v134, v121, v10 :: v_dual_mul_f32 v135, v116, v5
	;; [unrolled: 1-line block ×7, first 2 shown]
	s_mov_b32 s66, 0
	s_or_b32 s30, s81, s30
	s_or_b32 s31, s81, s31
	;; [unrolled: 1-line block ×8, first 2 shown]
	s_or_b32 s40, s81, vcc_lo
	s_or_b32 s41, s81, s41
	s_or_b32 s42, s81, s42
	;; [unrolled: 1-line block ×4, first 2 shown]
	s_mov_b32 s52, s66
	s_mov_b32 s54, s66
	;; [unrolled: 1-line block ×5, first 2 shown]
	s_branch .LBB53_109
.LBB53_108:                             ;   in Loop: Header=BB53_109 Depth=2
	s_or_b32 exec_lo, exec_lo, s45
	v_cndmask_b32_e64 v9, v175, v11, s11
	v_cndmask_b32_e64 v10, v174, v10, s11
	s_add_i32 s87, s87, -1
	s_add_i32 s88, s88, 8
	s_add_i32 s58, s58, s49
	v_fma_f32 v9, v9, v149, v148
	v_mul_f32_e32 v10, v10, v149
	s_add_i32 s54, s54, s48
	s_add_i32 s52, s52, s60
	;; [unrolled: 1-line block ×3, first 2 shown]
	v_cndmask_b32_e64 v9, v9, v148, s10
	v_cndmask_b32_e64 v10, v10, v149, s10
	s_cmp_eq_u32 s87, 0
	s_waitcnt lgkmcnt(0)
	s_delay_alu instid0(VALU_DEP_1) | instskip(NEXT) | instid1(VALU_DEP_1)
	v_dual_fmac_f32 v9, v8, v10 :: v_dual_and_b32 v10, 0xffff0000, v5
	v_dual_fmac_f32 v12, v9, v151 :: v_dual_lshlrev_b32 v5, 16, v5
	s_delay_alu instid0(VALU_DEP_1) | instskip(NEXT) | instid1(VALU_DEP_1)
	v_fmac_f32_e32 v13, v12, v152
	v_fmac_f32_e32 v14, v13, v154
	s_delay_alu instid0(VALU_DEP_3) | instskip(NEXT) | instid1(VALU_DEP_2)
	v_fmac_f32_e32 v117, v13, v5
	v_fmac_f32_e32 v15, v14, v157
	s_delay_alu instid0(VALU_DEP_1) | instskip(NEXT) | instid1(VALU_DEP_1)
	v_fmac_f32_e32 v146, v15, v158
	v_fmac_f32_e32 v147, v146, v159
	s_delay_alu instid0(VALU_DEP_1) | instskip(NEXT) | instid1(VALU_DEP_1)
	v_fmac_f32_e32 v150, v147, v160
	v_dual_fmac_f32 v153, v150, v162 :: v_dual_and_b32 v8, 0xffff0000, v4
	v_lshlrev_b32_e32 v4, 16, v4
	s_delay_alu instid0(VALU_DEP_2) | instskip(SKIP_1) | instid1(VALU_DEP_3)
	v_dual_fmac_f32 v120, v12, v8 :: v_dual_fmac_f32 v155, v153, v163
	v_and_b32_e32 v11, 0xffff0000, v6
	v_dual_fmac_f32 v119, v9, v4 :: v_dual_and_b32 v16, 0xffff0000, v7
	s_delay_alu instid0(VALU_DEP_3) | instskip(NEXT) | instid1(VALU_DEP_3)
	v_dual_fmac_f32 v156, v155, v164 :: v_dual_lshlrev_b32 v7, 16, v7
	v_dual_fmac_f32 v115, v146, v11 :: v_dual_and_b32 v148, 0xffff0000, v1
	s_delay_alu instid0(VALU_DEP_2) | instskip(NEXT) | instid1(VALU_DEP_3)
	v_dual_fmac_f32 v112, v150, v16 :: v_dual_fmac_f32 v111, v147, v7
	v_dual_fmac_f32 v161, v156, v172 :: v_dual_lshlrev_b32 v6, 16, v6
	v_dual_fmac_f32 v118, v14, v10 :: v_dual_lshlrev_b32 v1, 16, v1
	s_delay_alu instid0(VALU_DEP_2) | instskip(SKIP_3) | instid1(VALU_DEP_4)
	v_fmac_f32_e32 v165, v161, v167
	v_and_b32_e32 v17, 0xffff0000, v0
	v_lshlrev_b32_e32 v0, 16, v0
	v_dual_fmac_f32 v114, v15, v6 :: v_dual_and_b32 v151, 0xffff0000, v3
	v_dual_fmac_f32 v166, v165, v169 :: v_dual_and_b32 v149, 0xffff0000, v2
	v_lshlrev_b32_e32 v2, 16, v2
	v_lshlrev_b32_e32 v3, 16, v3
	v_dual_fmac_f32 v109, v153, v0 :: v_dual_fmac_f32 v110, v155, v17
	s_delay_alu instid0(VALU_DEP_4) | instskip(SKIP_2) | instid1(VALU_DEP_3)
	v_fmac_f32_e32 v168, v166, v171
	v_dual_fmac_f32 v106, v156, v1 :: v_dual_fmac_f32 v107, v161, v148
	v_dual_fmac_f32 v102, v165, v2 :: v_dual_fmac_f32 v103, v166, v149
	v_fmac_f32_e32 v170, v168, v173
	v_fmac_f32_e32 v101, v168, v3
	s_delay_alu instid0(VALU_DEP_2)
	v_fmac_f32_e32 v104, v170, v151
	s_cbranch_scc1 .LBB53_202
.LBB53_109:                             ;   Parent Loop BB53_12 Depth=1
                                        ; =>  This Inner Loop Header: Depth=2
	s_lshl_b64 s[90:91], s[66:67], 2
	s_mov_b32 s53, s67
	s_add_u32 s90, s72, s90
	s_addc_u32 s91, s73, s91
	v_dual_mov_b32 v2, 0 :: v_dual_mov_b32 v3, 0
	global_load_b32 v146, v21, s[90:91]
	s_lshl_b64 s[90:91], s[52:53], 1
	s_delay_alu instid0(SALU_CYCLE_1)
	v_add_co_u32 v0, vcc_lo, v127, s90
	v_add_co_ci_u32_e32 v1, vcc_lo, s91, v128, vcc_lo
	s_and_saveexec_b32 s45, s12
	s_cbranch_execz .LBB53_111
; %bb.110:                              ;   in Loop: Header=BB53_109 Depth=2
	global_load_u16 v3, v[0:1], off
.LBB53_111:                             ;   in Loop: Header=BB53_109 Depth=2
	s_or_b32 exec_lo, exec_lo, s45
	s_and_saveexec_b32 s45, s13
	s_cbranch_execz .LBB53_113
; %bb.112:                              ;   in Loop: Header=BB53_109 Depth=2
	global_load_u16 v2, v[0:1], off offset:64
.LBB53_113:                             ;   in Loop: Header=BB53_109 Depth=2
	s_or_b32 exec_lo, exec_lo, s45
	v_dual_mov_b32 v4, 0 :: v_dual_mov_b32 v5, 0
	s_and_saveexec_b32 s45, s14
	s_cbranch_execz .LBB53_115
; %bb.114:                              ;   in Loop: Header=BB53_109 Depth=2
	global_load_u16 v5, v[0:1], off offset:128
.LBB53_115:                             ;   in Loop: Header=BB53_109 Depth=2
	s_or_b32 exec_lo, exec_lo, s45
	s_and_saveexec_b32 s45, s15
	s_cbranch_execz .LBB53_117
; %bb.116:                              ;   in Loop: Header=BB53_109 Depth=2
	global_load_u16 v4, v[0:1], off offset:192
.LBB53_117:                             ;   in Loop: Header=BB53_109 Depth=2
	s_or_b32 exec_lo, exec_lo, s45
	v_dual_mov_b32 v6, 0 :: v_dual_mov_b32 v7, 0
	s_and_saveexec_b32 s45, s16
	s_cbranch_execz .LBB53_119
; %bb.118:                              ;   in Loop: Header=BB53_109 Depth=2
	global_load_u16 v7, v[0:1], off offset:256
.LBB53_119:                             ;   in Loop: Header=BB53_109 Depth=2
	;; [unrolled: 13-line block ×7, first 2 shown]
	s_or_b32 exec_lo, exec_lo, s45
	s_and_saveexec_b32 s45, s27
	s_cbranch_execz .LBB53_141
; %bb.140:                              ;   in Loop: Header=BB53_109 Depth=2
	global_load_u16 v16, v[0:1], off offset:960
.LBB53_141:                             ;   in Loop: Header=BB53_109 Depth=2
	s_or_b32 exec_lo, exec_lo, s45
	s_waitcnt vmcnt(0)
	ds_store_b16 v37, v3
	ds_store_b16 v37, v2 offset:64
	ds_store_b16 v38, v5 offset:128
	;; [unrolled: 1-line block ×15, first 2 shown]
	; wave barrier
	ds_load_b128 v[12:15], v52
	ds_load_b128 v[8:11], v52 offset:16
	s_mov_b32 s55, s67
	v_dual_mov_b32 v2, 0 :: v_dual_mov_b32 v3, 0
	s_lshl_b64 s[90:91], s[54:55], 1
	s_delay_alu instid0(SALU_CYCLE_1)
	v_add_co_u32 v0, vcc_lo, v129, s90
	v_add_co_ci_u32_e32 v1, vcc_lo, s91, v130, vcc_lo
	s_and_saveexec_b32 s45, s12
	s_cbranch_execz .LBB53_143
; %bb.142:                              ;   in Loop: Header=BB53_109 Depth=2
	global_load_u16 v3, v[0:1], off
.LBB53_143:                             ;   in Loop: Header=BB53_109 Depth=2
	s_or_b32 exec_lo, exec_lo, s45
	s_and_saveexec_b32 s45, s13
	s_cbranch_execz .LBB53_145
; %bb.144:                              ;   in Loop: Header=BB53_109 Depth=2
	global_load_u16 v2, v[0:1], off offset:64
.LBB53_145:                             ;   in Loop: Header=BB53_109 Depth=2
	s_or_b32 exec_lo, exec_lo, s45
	v_dual_mov_b32 v4, 0 :: v_dual_mov_b32 v5, 0
	s_and_saveexec_b32 s45, s14
	s_cbranch_execz .LBB53_147
; %bb.146:                              ;   in Loop: Header=BB53_109 Depth=2
	global_load_u16 v5, v[0:1], off offset:128
.LBB53_147:                             ;   in Loop: Header=BB53_109 Depth=2
	s_or_b32 exec_lo, exec_lo, s45
	s_and_saveexec_b32 s45, s15
	s_cbranch_execz .LBB53_149
; %bb.148:                              ;   in Loop: Header=BB53_109 Depth=2
	global_load_u16 v4, v[0:1], off offset:192
.LBB53_149:                             ;   in Loop: Header=BB53_109 Depth=2
	s_or_b32 exec_lo, exec_lo, s45
	v_dual_mov_b32 v6, 0 :: v_dual_mov_b32 v7, 0
	s_and_saveexec_b32 s45, s16
	s_cbranch_execz .LBB53_151
; %bb.150:                              ;   in Loop: Header=BB53_109 Depth=2
	global_load_u16 v7, v[0:1], off offset:256
.LBB53_151:                             ;   in Loop: Header=BB53_109 Depth=2
	;; [unrolled: 13-line block ×7, first 2 shown]
	s_or_b32 exec_lo, exec_lo, s45
	s_and_saveexec_b32 s45, s27
	s_cbranch_execz .LBB53_173
; %bb.172:                              ;   in Loop: Header=BB53_109 Depth=2
	global_load_u16 v153, v[0:1], off offset:960
.LBB53_173:                             ;   in Loop: Header=BB53_109 Depth=2
	s_or_b32 exec_lo, exec_lo, s45
	s_waitcnt vmcnt(0)
	ds_store_b16 v37, v3 offset:2112
	ds_store_b16 v53, v2 offset:64
	;; [unrolled: 1-line block ×16, first 2 shown]
	; wave barrier
	ds_load_b128 v[4:7], v52 offset:2112
	ds_load_b128 v[0:3], v68 offset:16
	s_and_not1_b32 vcc_lo, exec_lo, s51
	s_cbranch_vccnz .LBB53_175
; %bb.174:                              ;   in Loop: Header=BB53_109 Depth=2
	v_mov_b32_e32 v16, s88
	ds_load_b64 v[16:17], v16
	s_cbranch_execz .LBB53_176
	s_branch .LBB53_179
.LBB53_175:                             ;   in Loop: Header=BB53_109 Depth=2
                                        ; implicit-def: $vgpr16
.LBB53_176:                             ;   in Loop: Header=BB53_109 Depth=2
	s_waitcnt lgkmcnt(0)
	v_mov_b32_e32 v17, 0
	s_and_not1_b32 vcc_lo, exec_lo, s47
	s_cbranch_vccnz .LBB53_178
; %bb.177:                              ;   in Loop: Header=BB53_109 Depth=2
	s_mov_b32 s59, s67
	s_delay_alu instid0(SALU_CYCLE_1) | instskip(NEXT) | instid1(SALU_CYCLE_1)
	s_lshl_b64 s[90:91], s[58:59], 2
	s_add_u32 s90, s76, s90
	s_addc_u32 s91, s77, s91
	global_load_b32 v17, v21, s[90:91]
.LBB53_178:                             ;   in Loop: Header=BB53_109 Depth=2
	v_mov_b32_e32 v16, 1.0
.LBB53_179:                             ;   in Loop: Header=BB53_109 Depth=2
	s_waitcnt lgkmcnt(19)
	v_dual_mul_f32 v168, 0x3fb8aa3b, v146 :: v_dual_lshlrev_b32 v147, 16, v12
	v_and_b32_e32 v12, 0xffff0000, v12
	v_lshlrev_b32_e32 v146, 16, v13
	v_and_b32_e32 v150, 0xffff0000, v13
	v_lshlrev_b32_e32 v153, 16, v14
	v_mul_f32_e32 v13, v168, v94
	v_dual_mul_f32 v14, v168, v95 :: v_dual_and_b32 v155, 0xffff0000, v14
	v_dual_mul_f32 v149, v168, v97 :: v_dual_lshlrev_b32 v156, 16, v15
	s_delay_alu instid0(VALU_DEP_3) | instskip(SKIP_1) | instid1(VALU_DEP_4)
	v_cmp_gt_f32_e32 vcc_lo, 0xc2fc0000, v13
	v_dual_mul_f32 v12, v144, v12 :: v_dual_and_b32 v159, 0xffff0000, v15
	v_cmp_gt_f32_e64 s45, 0xc2fc0000, v14
	v_mul_f32_e32 v15, v168, v96
	v_cndmask_b32_e64 v13, 0, 0x42800000, vcc_lo
	v_cndmask_b32_e64 v148, 1.0, 0x1f800000, vcc_lo
	s_waitcnt lgkmcnt(18)
	v_lshlrev_b32_e32 v165, 16, v10
	v_cndmask_b32_e64 v14, 0, 0x42800000, s45
	v_mul_f32_e32 v147, v145, v147
	v_fmac_f32_e32 v13, v168, v94
	v_dual_mul_f32 v146, v143, v146 :: v_dual_lshlrev_b32 v161, 16, v8
	v_and_b32_e32 v8, 0xffff0000, v8
	v_fmac_f32_e32 v14, v168, v95
	s_delay_alu instid0(VALU_DEP_4) | instskip(SKIP_2) | instid1(VALU_DEP_3)
	v_exp_f32_e32 v13, v13
	v_cmp_gt_f32_e32 vcc_lo, 0xc2fc0000, v15
	v_dual_mul_f32 v155, v140, v155 :: v_dual_and_b32 v10, 0xffff0000, v10
	v_exp_f32_e32 v14, v14
	v_dual_mul_f32 v161, v137, v161 :: v_dual_mul_f32 v8, v136, v8
	v_cndmask_b32_e64 v15, 0, 0x42800000, vcc_lo
	v_lshlrev_b32_e32 v170, 16, v11
	v_and_b32_e32 v11, 0xffff0000, v11
	s_delay_alu instid0(TRANS32_DEP_2)
	v_mul_f32_e32 v13, v13, v148
	v_cndmask_b32_e64 v148, 0, v147, s28
	v_cndmask_b32_e64 v147, 1.0, 0x1f800000, s45
	v_cmp_gt_f32_e64 s45, 0xc2fc0000, v149
	v_fmac_f32_e32 v15, v168, v96
	v_cndmask_b32_e64 v149, 1.0, v13, s28
	v_cndmask_b32_e64 v12, 0, v12, s29
	v_mul_f32_e32 v13, v14, v147
	v_cndmask_b32_e64 v151, 0, 0x42800000, s45
	v_exp_f32_e32 v14, v15
	v_cndmask_b32_e64 v147, 1.0, 0x1f800000, vcc_lo
	v_lshlrev_b32_e32 v163, 16, v9
	v_mul_f32_e32 v15, v168, v98
	v_fmac_f32_e32 v151, v168, v97
	v_and_b32_e32 v9, 0xffff0000, v9
	v_mul_f32_e32 v171, v168, v123
	v_mul_f32_e32 v173, v168, v125
	v_cmp_gt_f32_e32 vcc_lo, 0xc2fc0000, v15
	v_exp_f32_e32 v154, v151
	v_mul_f32_e32 v14, v14, v147
	v_cndmask_b32_e64 v147, 1.0, 0x1f800000, s45
	v_mul_f32_e32 v157, v168, v105
	v_cndmask_b32_e64 v15, 0, 0x42800000, vcc_lo
	v_mul_f32_e32 v160, v168, v108
	v_cndmask_b32_e64 v152, 1.0, v14, s30
	v_mul_f32_e32 v14, v142, v150
	v_mul_f32_e32 v150, v168, v100
	v_fmac_f32_e32 v15, v168, v98
	v_mul_f32_e32 v147, v154, v147
	v_cmp_gt_f32_e64 s46, 0xc2fc0000, v157
	v_cndmask_b32_e64 v14, 0, v14, s31
	v_mul_f32_e32 v162, v168, v116
	v_exp_f32_e32 v15, v15
	v_cndmask_b32_e64 v154, 1.0, v147, s31
	v_cndmask_b32_e64 v147, 1.0, 0x1f800000, vcc_lo
	v_cmp_gt_f32_e32 vcc_lo, 0xc2fc0000, v150
	v_mul_f32_e32 v170, v131, v170
	v_dual_mul_f32 v10, v132, v10 :: v_dual_mul_f32 v11, v126, v11
	v_cndmask_b32_e64 v150, 0, 0x42800000, vcc_lo
	s_delay_alu instid0(TRANS32_DEP_1) | instskip(SKIP_2) | instid1(VALU_DEP_4)
	v_mul_f32_e32 v147, v15, v147
	v_mul_f32_e32 v15, v141, v153
	v_cndmask_b32_e64 v153, 0, 0x42800000, s46
	v_fmac_f32_e32 v150, v168, v100
	v_cndmask_b32_e64 v151, 1.0, v13, s29
	v_cndmask_b32_e64 v13, 0, v146, s30
	v_mul_f32_e32 v146, v168, v99
	v_cndmask_b32_e64 v157, 1.0, v147, s33
	v_exp_f32_e32 v150, v150
	v_fma_f32 v169, v151, v148, v12
	v_cndmask_b32_e64 v15, 0, v15, s33
	v_cmp_gt_f32_e64 s45, 0xc2fc0000, v146
	s_delay_alu instid0(VALU_DEP_1) | instskip(SKIP_1) | instid1(VALU_DEP_2)
	v_cndmask_b32_e64 v146, 0, 0x42800000, s45
	v_cndmask_b32_e64 v158, 1.0, 0x1f800000, s45
	v_fmac_f32_e32 v146, v168, v99
	s_delay_alu instid0(VALU_DEP_1)
	v_exp_f32_e32 v146, v146
	s_waitcnt_depctr 0xfff
	v_mul_f32_e32 v147, v146, v158
	v_cndmask_b32_e64 v146, 0, v155, s34
	v_cndmask_b32_e64 v155, 1.0, 0x1f800000, vcc_lo
	v_cmp_gt_f32_e32 vcc_lo, 0xc2fc0000, v160
	v_mul_f32_e32 v160, v138, v159
	v_cndmask_b32_e64 v158, 1.0, v147, s34
	s_delay_alu instid0(VALU_DEP_4)
	v_dual_mul_f32 v147, v139, v156 :: v_dual_mul_f32 v150, v150, v155
	v_cndmask_b32_e64 v155, 1.0, 0x1f800000, s46
	v_cmp_gt_f32_e64 s46, 0xc2fc0000, v162
	v_mul_f32_e32 v162, v168, v121
	v_cndmask_b32_e64 v156, 0, 0x42800000, vcc_lo
	v_cndmask_b32_e64 v164, 1.0, 0x1f800000, vcc_lo
	v_cndmask_b32_e64 v159, 1.0, v150, s35
	v_cndmask_b32_e64 v150, 0, v160, s36
	v_cmp_gt_f32_e32 vcc_lo, 0xc2fc0000, v162
	v_fmac_f32_e32 v156, v168, v108
	v_cndmask_b32_e64 v147, 0, v147, s35
	v_cndmask_b32_e64 v166, 0, 0x42800000, vcc_lo
	v_cndmask_b32_e64 v167, 1.0, 0x1f800000, vcc_lo
	s_delay_alu instid0(VALU_DEP_2) | instskip(NEXT) | instid1(VALU_DEP_1)
	v_fmac_f32_e32 v166, v168, v121
	v_exp_f32_e32 v166, v166
	v_fmac_f32_e32 v153, v168, v105
	s_delay_alu instid0(VALU_DEP_1) | instskip(SKIP_3) | instid1(VALU_DEP_2)
	v_exp_f32_e32 v153, v153
	s_waitcnt_depctr 0xfff
	v_mul_f32_e32 v153, v153, v155
	v_mul_f32_e32 v155, v168, v113
	v_cndmask_b32_e64 v160, 1.0, v153, s36
	s_delay_alu instid0(VALU_DEP_2) | instskip(SKIP_2) | instid1(VALU_DEP_2)
	v_cmp_gt_f32_e64 s45, 0xc2fc0000, v155
	v_exp_f32_e32 v153, v156
	v_cndmask_b32_e64 v156, 0, 0x42800000, s46
	v_cndmask_b32_e64 v155, 0, 0x42800000, s45
	s_delay_alu instid0(VALU_DEP_2)
	v_fmac_f32_e32 v156, v168, v116
	s_waitcnt_depctr 0xfff
	v_dual_fmac_f32 v155, v168, v113 :: v_dual_mul_f32 v162, v153, v164
	v_cndmask_b32_e64 v153, 0, v161, s37
	v_exp_f32_e32 v156, v156
	v_cndmask_b32_e64 v161, 1.0, 0x1f800000, s45
	s_delay_alu instid0(VALU_DEP_3) | instskip(SKIP_3) | instid1(VALU_DEP_2)
	v_exp_f32_e32 v155, v155
	v_cndmask_b32_e64 v164, 1.0, 0x1f800000, s46
	v_cmp_gt_f32_e64 s45, 0xc2fc0000, v171
	v_cndmask_b32_e64 v162, 1.0, v162, s37
	v_cndmask_b32_e64 v171, 1.0, 0x1f800000, s45
	s_waitcnt_depctr 0xfff
	v_dual_mul_f32 v164, v156, v164 :: v_dual_mul_f32 v161, v155, v161
	v_cndmask_b32_e64 v155, 0, v8, s38
	v_mul_f32_e32 v8, v135, v163
	s_delay_alu instid0(VALU_DEP_3) | instskip(NEXT) | instid1(VALU_DEP_4)
	v_cndmask_b32_e64 v164, 1.0, v164, s39
	v_cndmask_b32_e64 v163, 1.0, v161, s38
	v_mul_f32_e32 v161, v168, v122
	s_delay_alu instid0(VALU_DEP_4) | instskip(SKIP_1) | instid1(VALU_DEP_3)
	v_cndmask_b32_e64 v156, 0, v8, s39
	v_dual_mul_f32 v8, v166, v167 :: v_dual_mul_f32 v167, v151, v149
	v_cmp_gt_f32_e32 vcc_lo, 0xc2fc0000, v161
	s_delay_alu instid0(VALU_DEP_2) | instskip(SKIP_3) | instid1(VALU_DEP_3)
	v_cndmask_b32_e64 v172, 1.0, v8, s40
	v_cndmask_b32_e64 v166, 0, 0x42800000, vcc_lo
	v_mul_f32_e32 v9, v134, v9
	v_cndmask_b32_e64 v8, 1.0, 0x1f800000, vcc_lo
	v_fmac_f32_e32 v166, v168, v122
	s_delay_alu instid0(VALU_DEP_3)
	v_cndmask_b32_e64 v161, 0, v9, s40
	v_mul_f32_e32 v9, v167, v152
	v_fma_f32 v167, v169, v152, v13
	v_cndmask_b32_e64 v169, 0, 0x42800000, s45
	v_exp_f32_e32 v166, v166
	v_cmp_gt_f32_e64 s45, 0xc2fc0000, v173
	v_mul_f32_e32 v9, v9, v154
	v_fma_f32 v167, v167, v154, v14
	v_fmac_f32_e32 v169, v168, v123
	s_delay_alu instid0(VALU_DEP_3) | instskip(NEXT) | instid1(VALU_DEP_3)
	v_mul_f32_e32 v9, v9, v157
	v_fma_f32 v167, v167, v157, v15
	s_delay_alu instid0(VALU_DEP_3)
	v_exp_f32_e32 v169, v169
	s_delay_alu instid0(TRANS32_DEP_2) | instid1(VALU_DEP_2)
	v_dual_mul_f32 v8, v166, v8 :: v_dual_mul_f32 v9, v9, v158
	s_delay_alu instid0(VALU_DEP_2) | instskip(NEXT) | instid1(VALU_DEP_2)
	v_fma_f32 v166, v167, v158, v146
	v_cndmask_b32_e64 v167, 1.0, v8, s41
	s_delay_alu instid0(VALU_DEP_3) | instskip(NEXT) | instid1(VALU_DEP_3)
	v_mul_f32_e32 v8, v9, v159
	v_fma_f32 v9, v166, v159, v147
	v_mul_f32_e32 v166, v168, v124
	s_delay_alu instid0(VALU_DEP_3) | instskip(NEXT) | instid1(VALU_DEP_3)
	v_mul_f32_e32 v8, v8, v160
	v_fma_f32 v9, v9, v160, v150
	s_delay_alu instid0(VALU_DEP_3)
	v_cmp_gt_f32_e32 vcc_lo, 0xc2fc0000, v166
	v_mul_f32_e32 v165, v133, v165
	v_cndmask_b32_e64 v166, 0, v10, s42
	v_mul_f32_e32 v8, v8, v162
	v_fma_f32 v9, v9, v162, v153
	v_cndmask_b32_e64 v10, 0, 0x42800000, s45
	v_mul_f32_e32 v169, v169, v171
	v_cndmask_b32_e64 v171, 0, 0x42800000, vcc_lo
	v_mul_f32_e32 v8, v8, v163
	v_fma_f32 v9, v9, v163, v155
	v_fmac_f32_e32 v10, v168, v125
	v_cndmask_b32_e64 v165, 0, v165, s41
	v_fmac_f32_e32 v171, v168, v124
	v_mul_f32_e32 v8, v8, v164
	v_fma_f32 v9, v9, v164, v156
	v_cndmask_b32_e64 v168, 1.0, 0x1f800000, vcc_lo
	v_exp_f32_e32 v10, v10
	v_exp_f32_e32 v171, v171
	v_mul_f32_e32 v8, v8, v172
	v_fma_f32 v9, v9, v172, v161
	v_cndmask_b32_e64 v169, 1.0, v169, s42
	s_delay_alu instid0(VALU_DEP_3) | instskip(NEXT) | instid1(VALU_DEP_3)
	v_mul_f32_e32 v8, v8, v167
	v_fma_f32 v9, v9, v167, v165
	s_waitcnt_depctr 0xfff
	v_mul_f32_e32 v171, v171, v168
	v_cndmask_b32_e64 v168, 0, v170, s43
	v_cndmask_b32_e64 v170, 1.0, 0x1f800000, s45
	v_mul_f32_e32 v8, v8, v169
	v_fma_f32 v9, v9, v169, v166
	v_cndmask_b32_e64 v171, 1.0, v171, s43
	s_delay_alu instid0(VALU_DEP_4) | instskip(SKIP_1) | instid1(VALU_DEP_3)
	v_mul_f32_e32 v10, v10, v170
	v_cndmask_b32_e64 v170, 0, v11, s44
	v_mul_f32_e32 v8, v8, v171
	v_fma_f32 v9, v9, v171, v168
	s_delay_alu instid0(VALU_DEP_4) | instskip(NEXT) | instid1(VALU_DEP_1)
	v_cndmask_b32_e64 v173, 1.0, v10, s44
	v_mul_f32_e32 v8, v8, v173
	s_delay_alu instid0(VALU_DEP_3) | instskip(NEXT) | instid1(VALU_DEP_2)
	v_fma_f32 v9, v9, v173, v170
	v_mov_b32_dpp v11, v8 row_shr:1 row_mask:0xf bank_mask:0xf
	s_delay_alu instid0(VALU_DEP_2)
	v_mov_b32_dpp v10, v9 row_shr:1 row_mask:0xf bank_mask:0xf
	s_and_saveexec_b32 s45, s0
; %bb.180:                              ;   in Loop: Header=BB53_109 Depth=2
	s_delay_alu instid0(VALU_DEP_2) | instskip(NEXT) | instid1(VALU_DEP_1)
	v_mul_f32_e32 v11, v8, v11
	v_dual_fmac_f32 v9, v8, v10 :: v_dual_mov_b32 v8, v11
; %bb.181:                              ;   in Loop: Header=BB53_109 Depth=2
	s_or_b32 exec_lo, exec_lo, s45
	s_delay_alu instid0(VALU_DEP_1) | instskip(NEXT) | instid1(VALU_DEP_2)
	v_mov_b32_dpp v10, v8 row_shr:2 row_mask:0xf bank_mask:0xf
	v_mov_b32_dpp v11, v9 row_shr:2 row_mask:0xf bank_mask:0xf
	s_and_saveexec_b32 s45, s1
; %bb.182:                              ;   in Loop: Header=BB53_109 Depth=2
	s_delay_alu instid0(VALU_DEP_1) | instskip(NEXT) | instid1(VALU_DEP_3)
	v_fmac_f32_e32 v9, v8, v11
	v_mul_f32_e32 v8, v8, v10
; %bb.183:                              ;   in Loop: Header=BB53_109 Depth=2
	s_or_b32 exec_lo, exec_lo, s45
	s_delay_alu instid0(VALU_DEP_1) | instskip(NEXT) | instid1(VALU_DEP_3)
	v_mov_b32_dpp v10, v8 row_shr:4 row_mask:0xf bank_mask:0xf
	v_mov_b32_dpp v11, v9 row_shr:4 row_mask:0xf bank_mask:0xf
	s_and_saveexec_b32 s45, s2
; %bb.184:                              ;   in Loop: Header=BB53_109 Depth=2
	s_delay_alu instid0(VALU_DEP_1) | instskip(NEXT) | instid1(VALU_DEP_3)
	v_fmac_f32_e32 v9, v8, v11
	v_mul_f32_e32 v8, v8, v10
; %bb.185:                              ;   in Loop: Header=BB53_109 Depth=2
	s_or_b32 exec_lo, exec_lo, s45
	s_delay_alu instid0(VALU_DEP_1) | instskip(NEXT) | instid1(VALU_DEP_3)
	v_mov_b32_dpp v10, v8 row_shr:8 row_mask:0xf bank_mask:0xf
	v_mov_b32_dpp v11, v9 row_shr:8 row_mask:0xf bank_mask:0xf
	s_and_saveexec_b32 s45, s3
; %bb.186:                              ;   in Loop: Header=BB53_109 Depth=2
	s_delay_alu instid0(VALU_DEP_1) | instskip(NEXT) | instid1(VALU_DEP_3)
	v_fmac_f32_e32 v9, v8, v11
	v_mul_f32_e32 v8, v8, v10
; %bb.187:                              ;   in Loop: Header=BB53_109 Depth=2
	s_or_b32 exec_lo, exec_lo, s45
	ds_swizzle_b32 v11, v8 offset:swizzle(BROADCAST,32,15)
	ds_swizzle_b32 v10, v9 offset:swizzle(BROADCAST,32,15)
	s_and_saveexec_b32 s45, s4
	s_cbranch_execz .LBB53_189
; %bb.188:                              ;   in Loop: Header=BB53_109 Depth=2
	s_waitcnt lgkmcnt(1)
	v_mul_f32_e32 v11, v8, v11
	s_waitcnt lgkmcnt(0)
	s_delay_alu instid0(VALU_DEP_1)
	v_dual_fmac_f32 v9, v8, v10 :: v_dual_mov_b32 v8, v11
.LBB53_189:                             ;   in Loop: Header=BB53_109 Depth=2
	s_or_b32 exec_lo, exec_lo, s45
	s_and_saveexec_b32 s45, s5
	s_cbranch_execz .LBB53_191
; %bb.190:                              ;   in Loop: Header=BB53_109 Depth=2
	ds_store_b64 v69, v[8:9] offset:4224
.LBB53_191:                             ;   in Loop: Header=BB53_109 Depth=2
	s_or_b32 exec_lo, exec_lo, s45
	s_waitcnt vmcnt(0) lgkmcnt(0)
	s_waitcnt_vscnt null, 0x0
	s_barrier
	buffer_gl0_inv
	s_and_saveexec_b32 s45, s6
	s_cbranch_execz .LBB53_193
; %bb.192:                              ;   in Loop: Header=BB53_109 Depth=2
	ds_load_b64 v[10:11], v70 offset:4224
	s_waitcnt lgkmcnt(0)
	v_mov_b32_dpp v174, v10 row_shr:1 row_mask:0xf bank_mask:0xf
	v_mov_b32_dpp v175, v11 row_shr:1 row_mask:0xf bank_mask:0xf
	s_delay_alu instid0(VALU_DEP_2) | instskip(NEXT) | instid1(VALU_DEP_2)
	v_mul_f32_e32 v174, v10, v174
	v_fma_f32 v175, v10, v175, v11
	s_delay_alu instid0(VALU_DEP_2) | instskip(NEXT) | instid1(VALU_DEP_2)
	v_cndmask_b32_e64 v10, v174, v10, s7
	v_cndmask_b32_e64 v11, v175, v11, s7
	ds_store_b64 v70, v[10:11] offset:4224
.LBB53_193:                             ;   in Loop: Header=BB53_109 Depth=2
	s_or_b32 exec_lo, exec_lo, s45
	s_waitcnt lgkmcnt(0)
	s_barrier
	buffer_gl0_inv
                                        ; implicit-def: $vgpr11
	s_and_saveexec_b32 s45, s9
	s_cbranch_execz .LBB53_195
; %bb.194:                              ;   in Loop: Header=BB53_109 Depth=2
	ds_load_b64 v[10:11], v69 offset:4216
	s_waitcnt lgkmcnt(0)
	v_mul_f32_e32 v174, v8, v10
	s_delay_alu instid0(VALU_DEP_1)
	v_dual_fmac_f32 v9, v8, v11 :: v_dual_mov_b32 v8, v174
.LBB53_195:                             ;   in Loop: Header=BB53_109 Depth=2
	s_or_b32 exec_lo, exec_lo, s45
	ds_bpermute_b32 v174, v71, v8
	ds_bpermute_b32 v175, v71, v9
	s_and_saveexec_b32 s45, s8
	s_cbranch_execz .LBB53_199
; %bb.196:                              ;   in Loop: Header=BB53_109 Depth=2
	ds_load_b64 v[8:9], v21 offset:4232
	s_and_saveexec_b32 s46, s10
	s_cbranch_execz .LBB53_198
; %bb.197:                              ;   in Loop: Header=BB53_109 Depth=2
	ds_store_b64 v21, v[16:17] offset:4232
.LBB53_198:                             ;   in Loop: Header=BB53_109 Depth=2
	s_or_b32 exec_lo, exec_lo, s46
	s_waitcnt lgkmcnt(0)
	v_fmac_f32_e32 v9, v17, v8
	s_delay_alu instid0(VALU_DEP_1)
	v_dual_mul_f32 v16, v16, v8 :: v_dual_mov_b32 v17, v9
.LBB53_199:                             ;   in Loop: Header=BB53_109 Depth=2
	s_or_b32 exec_lo, exec_lo, s45
	s_waitcnt lgkmcnt(0)
	s_barrier
	buffer_gl0_inv
	ds_load_b32 v8, v21 offset:4236
	s_and_saveexec_b32 s45, s10
	s_cbranch_execz .LBB53_108
; %bb.200:                              ;   in Loop: Header=BB53_109 Depth=2
	v_mov_b32_e32 v9, s88
	s_and_not1_b32 vcc_lo, exec_lo, s86
	ds_store_b64 v9, v[16:17]
	s_cbranch_vccnz .LBB53_108
; %bb.201:                              ;   in Loop: Header=BB53_109 Depth=2
	s_mov_b32 s59, s67
	s_delay_alu instid0(SALU_CYCLE_1) | instskip(NEXT) | instid1(SALU_CYCLE_1)
	s_lshl_b64 s[90:91], s[58:59], 2
	s_add_u32 s90, s76, s90
	s_addc_u32 s91, s77, s91
	global_store_b32 v21, v17, s[90:91]
	s_branch .LBB53_108
.LBB53_202:                             ;   in Loop: Header=BB53_12 Depth=1
	v_bfe_u32 v0, v119, 16, 1
	v_bfe_u32 v1, v120, 16, 1
	v_cmp_o_f32_e32 vcc_lo, v119, v119
	v_bfe_u32 v2, v117, 16, 1
	v_bfe_u32 v4, v115, 16, 1
	v_add3_u32 v0, v119, v0, 0x7fff
	v_add3_u32 v1, v120, v1, 0x7fff
	v_bfe_u32 v7, v111, 16, 1
	v_add3_u32 v2, v117, v2, 0x7fff
	v_bfe_u32 v6, v112, 16, 1
	v_lshrrev_b32_e32 v0, 16, v0
	v_lshrrev_b32_e32 v1, 16, v1
	v_add3_u32 v4, v115, v4, 0x7fff
	v_lshrrev_b32_e32 v2, 16, v2
	v_add3_u32 v7, v111, v7, 0x7fff
	v_cndmask_b32_e32 v0, 0x7fc0, v0, vcc_lo
	v_cmp_o_f32_e32 vcc_lo, v120, v120
	v_add3_u32 v6, v112, v6, 0x7fff
	v_bfe_u32 v3, v118, 16, 1
	v_bfe_u32 v10, v107, 16, 1
	;; [unrolled: 1-line block ×3, first 2 shown]
	v_cndmask_b32_e32 v5, 0x7fc0, v1, vcc_lo
	v_bfe_u32 v1, v114, 16, 1
	v_cmp_o_f32_e32 vcc_lo, v117, v117
	v_lshrrev_b32_e32 v6, 16, v6
	v_add3_u32 v3, v118, v3, 0x7fff
	v_bfe_u32 v12, v104, 16, 1
	v_add3_u32 v1, v114, v1, 0x7fff
	v_cndmask_b32_e32 v8, 0x7fc0, v2, vcc_lo
	v_cmp_o_f32_e32 vcc_lo, v114, v114
	v_lshrrev_b32_e32 v2, 16, v4
	v_lshrrev_b32_e32 v4, 16, v7
	;; [unrolled: 1-line block ×4, first 2 shown]
	v_bfe_u32 v7, v109, 16, 1
	v_add3_u32 v11, v101, v11, 0x7fff
	v_perm_b32 v0, v5, v0, 0x5040100
	v_cndmask_b32_e32 v1, 0x7fc0, v1, vcc_lo
	v_cmp_o_f32_e32 vcc_lo, v111, v111
	s_waitcnt_vscnt null, 0x0
	s_barrier
	buffer_gl0_inv
	s_mov_b32 s51, s67
	v_cndmask_b32_e32 v4, 0x7fc0, v4, vcc_lo
	v_cmp_o_f32_e32 vcc_lo, v112, v112
	s_lshl_b64 s[34:35], s[50:51], 1
	v_cndmask_b32_e32 v6, 0x7fc0, v6, vcc_lo
	v_cmp_o_f32_e32 vcc_lo, v115, v115
	v_cndmask_b32_e32 v2, 0x7fc0, v2, vcc_lo
	v_cmp_o_f32_e32 vcc_lo, v118, v118
	s_delay_alu instid0(VALU_DEP_2)
	v_perm_b32 v2, v2, v1, 0x5040100
	v_cndmask_b32_e32 v9, 0x7fc0, v3, vcc_lo
	v_perm_b32 v3, v6, v4, 0x5040100
	v_add3_u32 v6, v109, v7, 0x7fff
	v_bfe_u32 v7, v106, 16, 1
	v_cmp_o_f32_e32 vcc_lo, v109, v109
	v_perm_b32 v1, v9, v8, 0x5040100
	v_add3_u32 v8, v107, v10, 0x7fff
	v_lshrrev_b32_e32 v6, 16, v6
	v_add3_u32 v7, v106, v7, 0x7fff
	v_bfe_u32 v10, v103, 16, 1
	v_bfe_u32 v4, v110, 16, 1
	s_delay_alu instid0(VALU_DEP_4) | instskip(NEXT) | instid1(VALU_DEP_4)
	v_cndmask_b32_e32 v9, 0x7fc0, v6, vcc_lo
	v_lshrrev_b32_e32 v6, 16, v7
	v_lshrrev_b32_e32 v7, 16, v8
	v_bfe_u32 v8, v102, 16, 1
	v_cmp_o_f32_e32 vcc_lo, v106, v106
	v_add3_u32 v4, v110, v4, 0x7fff
	s_delay_alu instid0(VALU_DEP_3)
	v_add3_u32 v8, v102, v8, 0x7fff
	v_cndmask_b32_e32 v13, 0x7fc0, v6, vcc_lo
	v_cmp_o_f32_e32 vcc_lo, v107, v107
	v_add3_u32 v6, v103, v10, 0x7fff
	v_add3_u32 v10, v104, v12, 0x7fff
	v_lshrrev_b32_e32 v4, 16, v4
	v_cndmask_b32_e32 v12, 0x7fc0, v7, vcc_lo
	v_lshrrev_b32_e32 v7, 16, v8
	v_cmp_o_f32_e32 vcc_lo, v102, v102
	v_lshrrev_b32_e32 v8, 16, v11
	v_lshrrev_b32_e32 v10, 16, v10
	;; [unrolled: 1-line block ×3, first 2 shown]
	v_perm_b32 v5, v12, v13, 0x5040100
	v_cndmask_b32_e32 v11, 0x7fc0, v7, vcc_lo
	v_cmp_o_f32_e32 vcc_lo, v101, v101
	v_cndmask_b32_e32 v7, 0x7fc0, v8, vcc_lo
	v_cmp_o_f32_e32 vcc_lo, v104, v104
	;; [unrolled: 2-line block ×3, first 2 shown]
	s_delay_alu instid0(VALU_DEP_2) | instskip(SKIP_2) | instid1(VALU_DEP_2)
	v_perm_b32 v7, v8, v7, 0x5040100
	v_cndmask_b32_e32 v6, 0x7fc0, v6, vcc_lo
	v_cmp_o_f32_e32 vcc_lo, v110, v110
	v_perm_b32 v6, v6, v11, 0x5040100
	v_cndmask_b32_e32 v4, 0x7fc0, v4, vcc_lo
	s_delay_alu instid0(VALU_DEP_1)
	v_perm_b32 v4, v4, v9, 0x5040100
	ds_store_b128 v52, v[0:3]
	ds_store_b128 v52, v[4:7] offset:16
	; wave barrier
	ds_load_u16 v16, v37 offset:64
	ds_load_u16 v15, v38 offset:128
	;; [unrolled: 1-line block ×15, first 2 shown]
	v_add_co_u32 v0, vcc_lo, v72, s34
	v_add_co_ci_u32_e32 v1, vcc_lo, s35, v73, vcc_lo
	s_and_saveexec_b32 s28, s12
	s_cbranch_execnz .LBB53_269
; %bb.203:                              ;   in Loop: Header=BB53_12 Depth=1
	s_or_b32 exec_lo, exec_lo, s28
	s_and_saveexec_b32 s28, s13
	s_cbranch_execnz .LBB53_270
.LBB53_204:                             ;   in Loop: Header=BB53_12 Depth=1
	s_or_b32 exec_lo, exec_lo, s28
	s_and_saveexec_b32 s28, s14
	s_cbranch_execnz .LBB53_271
.LBB53_205:                             ;   in Loop: Header=BB53_12 Depth=1
	s_or_b32 exec_lo, exec_lo, s28
	s_and_saveexec_b32 s28, s15
	s_cbranch_execnz .LBB53_272
.LBB53_206:                             ;   in Loop: Header=BB53_12 Depth=1
	s_or_b32 exec_lo, exec_lo, s28
	s_and_saveexec_b32 s28, s16
	s_cbranch_execnz .LBB53_273
.LBB53_207:                             ;   in Loop: Header=BB53_12 Depth=1
	s_or_b32 exec_lo, exec_lo, s28
	s_and_saveexec_b32 s28, s17
	s_cbranch_execnz .LBB53_274
.LBB53_208:                             ;   in Loop: Header=BB53_12 Depth=1
	s_or_b32 exec_lo, exec_lo, s28
	s_and_saveexec_b32 s28, s18
	s_cbranch_execnz .LBB53_275
.LBB53_209:                             ;   in Loop: Header=BB53_12 Depth=1
	s_or_b32 exec_lo, exec_lo, s28
	s_and_saveexec_b32 s28, s19
	s_cbranch_execnz .LBB53_276
.LBB53_210:                             ;   in Loop: Header=BB53_12 Depth=1
	s_or_b32 exec_lo, exec_lo, s28
	s_and_saveexec_b32 s28, s20
	s_cbranch_execnz .LBB53_277
.LBB53_211:                             ;   in Loop: Header=BB53_12 Depth=1
	s_or_b32 exec_lo, exec_lo, s28
	s_and_saveexec_b32 s28, s21
	s_cbranch_execnz .LBB53_278
.LBB53_212:                             ;   in Loop: Header=BB53_12 Depth=1
	s_or_b32 exec_lo, exec_lo, s28
	s_and_saveexec_b32 s28, s22
	s_cbranch_execnz .LBB53_279
.LBB53_213:                             ;   in Loop: Header=BB53_12 Depth=1
	s_or_b32 exec_lo, exec_lo, s28
	s_and_saveexec_b32 s28, s23
	s_cbranch_execnz .LBB53_280
.LBB53_214:                             ;   in Loop: Header=BB53_12 Depth=1
	s_or_b32 exec_lo, exec_lo, s28
	s_and_saveexec_b32 s28, s24
	s_cbranch_execnz .LBB53_281
.LBB53_215:                             ;   in Loop: Header=BB53_12 Depth=1
	s_or_b32 exec_lo, exec_lo, s28
	s_and_saveexec_b32 s28, s25
	s_cbranch_execnz .LBB53_282
.LBB53_216:                             ;   in Loop: Header=BB53_12 Depth=1
	s_or_b32 exec_lo, exec_lo, s28
	s_and_saveexec_b32 s28, s26
	s_cbranch_execnz .LBB53_283
.LBB53_217:                             ;   in Loop: Header=BB53_12 Depth=1
	s_or_b32 exec_lo, exec_lo, s28
	s_and_saveexec_b32 s28, s27
	s_cbranch_execz .LBB53_219
.LBB53_218:                             ;   in Loop: Header=BB53_12 Depth=1
	s_waitcnt lgkmcnt(0)
	global_store_b16 v[0:1], v2, off offset:960
.LBB53_219:                             ;   in Loop: Header=BB53_12 Depth=1
	s_or_b32 exec_lo, exec_lo, s28
	v_add_co_u32 v0, vcc_lo, v74, s34
	v_add_co_ci_u32_e32 v1, vcc_lo, s35, v75, vcc_lo
	s_waitcnt lgkmcnt(0)
	v_dual_mov_b32 v2, 0 :: v_dual_mov_b32 v3, 0
	s_waitcnt_vscnt null, 0x0
	s_barrier
	buffer_gl0_inv
	s_and_saveexec_b32 s28, s12
	s_cbranch_execz .LBB53_221
; %bb.220:                              ;   in Loop: Header=BB53_12 Depth=1
	global_load_u16 v3, v[0:1], off
.LBB53_221:                             ;   in Loop: Header=BB53_12 Depth=1
	s_or_b32 exec_lo, exec_lo, s28
	s_and_saveexec_b32 s28, s13
	s_cbranch_execz .LBB53_223
; %bb.222:                              ;   in Loop: Header=BB53_12 Depth=1
	global_load_u16 v2, v[0:1], off offset:64
.LBB53_223:                             ;   in Loop: Header=BB53_12 Depth=1
	s_or_b32 exec_lo, exec_lo, s28
	v_dual_mov_b32 v4, 0 :: v_dual_mov_b32 v5, 0
	s_and_saveexec_b32 s28, s14
	s_cbranch_execz .LBB53_225
; %bb.224:                              ;   in Loop: Header=BB53_12 Depth=1
	global_load_u16 v5, v[0:1], off offset:128
.LBB53_225:                             ;   in Loop: Header=BB53_12 Depth=1
	s_or_b32 exec_lo, exec_lo, s28
	s_and_saveexec_b32 s28, s15
	s_cbranch_execz .LBB53_227
; %bb.226:                              ;   in Loop: Header=BB53_12 Depth=1
	global_load_u16 v4, v[0:1], off offset:192
.LBB53_227:                             ;   in Loop: Header=BB53_12 Depth=1
	s_or_b32 exec_lo, exec_lo, s28
	v_dual_mov_b32 v6, 0 :: v_dual_mov_b32 v7, 0
	s_and_saveexec_b32 s28, s16
	s_cbranch_execz .LBB53_229
; %bb.228:                              ;   in Loop: Header=BB53_12 Depth=1
	global_load_u16 v7, v[0:1], off offset:256
.LBB53_229:                             ;   in Loop: Header=BB53_12 Depth=1
	;; [unrolled: 13-line block ×7, first 2 shown]
	s_or_b32 exec_lo, exec_lo, s28
	s_and_saveexec_b32 s28, s27
	s_cbranch_execz .LBB53_251
; %bb.250:                              ;   in Loop: Header=BB53_12 Depth=1
	global_load_u16 v16, v[0:1], off offset:960
.LBB53_251:                             ;   in Loop: Header=BB53_12 Depth=1
	s_or_b32 exec_lo, exec_lo, s28
	s_waitcnt vmcnt(0)
	ds_store_b16 v37, v3
	ds_store_b16 v37, v2 offset:64
	ds_store_b16 v38, v5 offset:128
	;; [unrolled: 1-line block ×15, first 2 shown]
	; wave barrier
	ds_load_b128 v[4:7], v52
	ds_load_b128 v[0:3], v52 offset:16
	s_waitcnt lgkmcnt(0)
	s_barrier
	buffer_gl0_inv
	v_and_b32_e32 v8, 0xffff0000, v4
	v_and_b32_e32 v15, 0xffff0000, v5
	;; [unrolled: 1-line block ×3, first 2 shown]
	v_lshlrev_b32_e32 v5, 16, v5
	s_delay_alu instid0(VALU_DEP_4) | instskip(NEXT) | instid1(VALU_DEP_3)
	v_mul_f32_e32 v9, 0xbfb8aa3b, v8
	v_mul_f32_e32 v17, 0xbfb8aa3b, v16
	s_delay_alu instid0(VALU_DEP_3) | instskip(NEXT) | instid1(VALU_DEP_3)
	v_cmp_nlt_f32_e64 s29, 0x42ce8ed0, v5
	v_fma_f32 v11, 0xbfb8aa3b, v8, -v9
	v_rndne_f32_e32 v12, v9
	s_delay_alu instid0(VALU_DEP_4) | instskip(NEXT) | instid1(VALU_DEP_3)
	v_rndne_f32_e32 v100, v17
	v_fmac_f32_e32 v11, 0xb2a5705f, v8
	s_delay_alu instid0(VALU_DEP_3) | instskip(SKIP_1) | instid1(VALU_DEP_2)
	v_sub_f32_e32 v9, v9, v12
	v_cvt_i32_f32_e32 v12, v12
	v_add_f32_e32 v9, v9, v11
	v_cmp_nlt_f32_e32 vcc_lo, 0x42ce8ed0, v8
	v_lshlrev_b32_e32 v11, 16, v6
	s_delay_alu instid0(VALU_DEP_3) | instskip(SKIP_2) | instid1(VALU_DEP_1)
	v_exp_f32_e32 v9, v9
	s_waitcnt_depctr 0xfff
	v_ldexp_f32 v9, v9, v12
	v_dual_cndmask_b32 v9, 0, v9 :: v_dual_lshlrev_b32 v4, 16, v4
	s_delay_alu instid0(VALU_DEP_1) | instskip(SKIP_1) | instid1(VALU_DEP_2)
	v_mul_f32_e32 v10, 0xbfb8aa3b, v4
	v_cmp_nlt_f32_e32 vcc_lo, 0x42ce8ed0, v4
	v_rndne_f32_e32 v13, v10
	v_fma_f32 v14, 0xbfb8aa3b, v4, -v10
	s_delay_alu instid0(VALU_DEP_2) | instskip(NEXT) | instid1(VALU_DEP_2)
	v_sub_f32_e32 v10, v10, v13
	v_fmac_f32_e32 v14, 0xb2a5705f, v4
	v_cvt_i32_f32_e32 v13, v13
	s_delay_alu instid0(VALU_DEP_2) | instskip(SKIP_2) | instid1(VALU_DEP_3)
	v_add_f32_e32 v6, v10, v14
	v_mul_f32_e32 v14, 0xbfb8aa3b, v5
	v_mul_f32_e32 v10, 0xbfb8aa3b, v15
	v_exp_f32_e32 v6, v6
	s_delay_alu instid0(VALU_DEP_1) | instskip(SKIP_1) | instid1(VALU_DEP_2)
	v_fma_f32 v94, 0xbfb8aa3b, v15, -v10
	v_rndne_f32_e32 v95, v10
	v_fmac_f32_e32 v94, 0xb2a5705f, v15
	s_waitcnt_depctr 0xfff
	v_ldexp_f32 v6, v6, v13
	v_mul_f32_e32 v13, 0xbfb8aa3b, v11
	v_rndne_f32_e32 v96, v14
	v_fma_f32 v97, 0xbfb8aa3b, v5, -v14
	v_sub_f32_e32 v10, v10, v95
	v_cndmask_b32_e32 v6, 0, v6, vcc_lo
	v_cmp_ngt_f32_e32 vcc_lo, 0xc2b17218, v8
	s_delay_alu instid0(VALU_DEP_4) | instskip(SKIP_4) | instid1(VALU_DEP_2)
	v_dual_sub_f32 v12, v14, v96 :: v_dual_fmac_f32 v97, 0xb2a5705f, v5
	v_cvt_i32_f32_e32 v95, v95
	v_cvt_i32_f32_e32 v96, v96
	v_cndmask_b32_e32 v9, 0x7f800000, v9, vcc_lo
	v_cmp_ngt_f32_e32 vcc_lo, 0xc2b17218, v4
	v_dual_add_f32 v9, 1.0, v9 :: v_dual_cndmask_b32 v6, 0x7f800000, v6
	v_cmp_nlt_f32_e32 vcc_lo, 0x42ce8ed0, v15
	s_delay_alu instid0(VALU_DEP_2) | instskip(NEXT) | instid1(VALU_DEP_3)
	v_div_scale_f32 v14, null, v9, v9, v8
	v_add_f32_e32 v6, 1.0, v6
	s_delay_alu instid0(VALU_DEP_2) | instskip(NEXT) | instid1(VALU_DEP_1)
	v_rcp_f32_e32 v98, v14
	v_div_scale_f32 v113, s28, v4, v6, v4
	v_add_f32_e32 v12, v12, v97
	v_fma_f32 v97, 0xbfb8aa3b, v16, -v17
	v_dual_add_f32 v10, v10, v94 :: v_dual_sub_f32 v17, v17, v100
	v_div_scale_f32 v94, null, v6, v6, v4
	s_delay_alu instid0(VALU_DEP_3) | instskip(NEXT) | instid1(VALU_DEP_3)
	v_fmac_f32_e32 v97, 0xb2a5705f, v16
	v_exp_f32_e32 v10, v10
	v_cvt_i32_f32_e32 v100, v100
	s_delay_alu instid0(VALU_DEP_3) | instskip(NEXT) | instid1(VALU_DEP_2)
	v_rcp_f32_e32 v99, v94
	v_add_f32_e32 v17, v17, v97
	s_waitcnt_depctr 0xfff
	v_ldexp_f32 v10, v10, v95
	v_rndne_f32_e32 v95, v13
	v_fma_f32 v105, -v94, v99, 1.0
	s_delay_alu instid0(VALU_DEP_1) | instskip(NEXT) | instid1(VALU_DEP_1)
	v_fmac_f32_e32 v99, v105, v99
	v_mul_f32_e32 v105, v113, v99
	v_exp_f32_e32 v12, v12
	s_delay_alu instid0(VALU_DEP_1) | instskip(SKIP_2) | instid1(VALU_DEP_3)
	v_fma_f32 v121, -v94, v105, v113
	v_cndmask_b32_e32 v10, 0, v10, vcc_lo
	v_div_scale_f32 v108, vcc_lo, v8, v9, v8
	v_fmac_f32_e32 v105, v121, v99
	s_waitcnt_depctr 0xfff
	v_ldexp_f32 v12, v12, v96
	v_fma_f32 v96, -v14, v98, 1.0
	v_fma_f32 v94, -v94, v105, v113
	s_delay_alu instid0(VALU_DEP_3) | instskip(SKIP_1) | instid1(VALU_DEP_4)
	v_cndmask_b32_e64 v12, 0, v12, s29
	v_cmp_ngt_f32_e64 s29, 0xc2b17218, v15
	v_fmac_f32_e32 v98, v96, v98
	s_delay_alu instid0(VALU_DEP_2) | instskip(SKIP_1) | instid1(VALU_DEP_2)
	v_cndmask_b32_e64 v10, 0x7f800000, v10, s29
	v_cmp_ngt_f32_e64 s29, 0xc2b17218, v5
	v_add_f32_e32 v10, 1.0, v10
	s_delay_alu instid0(VALU_DEP_2) | instskip(SKIP_1) | instid1(VALU_DEP_3)
	v_cndmask_b32_e64 v12, 0x7f800000, v12, s29
	v_cmp_nlt_f32_e64 s29, 0x42ce8ed0, v16
	v_div_scale_f32 v122, null, v10, v10, v15
	s_delay_alu instid0(VALU_DEP_1) | instskip(SKIP_1) | instid1(VALU_DEP_1)
	v_rcp_f32_e32 v121, v122
	v_mul_f32_e32 v96, v108, v98
	v_fma_f32 v116, -v14, v96, v108
	s_delay_alu instid0(VALU_DEP_1) | instskip(NEXT) | instid1(VALU_DEP_1)
	v_fmac_f32_e32 v96, v116, v98
	v_fma_f32 v14, -v14, v96, v108
	v_sub_f32_e32 v108, v13, v95
	v_fma_f32 v13, 0xbfb8aa3b, v11, -v13
	v_add_f32_e32 v12, 1.0, v12
	v_cvt_i32_f32_e32 v95, v95
	v_div_fmas_f32 v14, v14, v98, v96
	s_mov_b32 vcc_lo, s28
	v_fmac_f32_e32 v13, 0xb2a5705f, v11
	v_div_scale_f32 v116, null, v12, v12, v5
	v_div_fmas_f32 v94, v94, v99, v105
	v_div_fixup_f32 v8, v14, v9, v8
	v_fma_f32 v9, -v122, v121, 1.0
	s_delay_alu instid0(VALU_DEP_4) | instskip(SKIP_2) | instid1(VALU_DEP_3)
	v_rcp_f32_e32 v96, v116
	v_div_scale_f32 v98, s28, v5, v12, v5
	v_div_fixup_f32 v4, v94, v6, v4
	v_fmac_f32_e32 v121, v9, v121
	s_delay_alu instid0(VALU_DEP_2)
	v_mul_f32_e32 v9, v119, v4
	v_div_scale_f32 v6, vcc_lo, v15, v10, v15
	s_waitcnt_depctr 0xfff
	v_fma_f32 v14, -v116, v96, 1.0
	v_exp_f32_e32 v4, v17
	v_bfe_u32 v97, v9, 16, 1
	s_delay_alu instid0(VALU_DEP_2) | instskip(NEXT) | instid1(VALU_DEP_2)
	v_fmac_f32_e32 v96, v14, v96
	v_add3_u32 v14, v9, v97, 0x7fff
	s_delay_alu instid0(VALU_DEP_2) | instskip(SKIP_2) | instid1(VALU_DEP_4)
	v_mul_f32_e32 v97, v98, v96
	v_add_f32_e32 v13, v108, v13
	v_mul_f32_e32 v94, v6, v121
	v_lshrrev_b32_e32 v14, 16, v14
	s_delay_alu instid0(TRANS32_DEP_1) | instskip(NEXT) | instid1(VALU_DEP_4)
	v_ldexp_f32 v4, v4, v100
	v_exp_f32_e32 v13, v13
	s_delay_alu instid0(VALU_DEP_3) | instskip(NEXT) | instid1(VALU_DEP_2)
	v_fma_f32 v99, -v122, v94, v6
	v_cndmask_b32_e64 v4, 0, v4, s29
	s_delay_alu instid0(VALU_DEP_2) | instskip(SKIP_1) | instid1(VALU_DEP_2)
	v_fmac_f32_e32 v94, v99, v121
	v_fma_f32 v99, -v116, v97, v98
	v_fma_f32 v6, -v122, v94, v6
	s_delay_alu instid0(VALU_DEP_2) | instskip(SKIP_1) | instid1(VALU_DEP_3)
	v_fmac_f32_e32 v97, v99, v96
	v_lshlrev_b32_e32 v99, 16, v7
	v_div_fmas_f32 v6, v6, v121, v94
	v_cmp_ngt_f32_e32 vcc_lo, 0xc2b17218, v16
	s_delay_alu instid0(VALU_DEP_3) | instskip(NEXT) | instid1(VALU_DEP_3)
	v_mul_f32_e32 v100, 0xbfb8aa3b, v99
	v_div_fixup_f32 v6, v6, v10, v15
	v_cndmask_b32_e32 v94, 0x7f800000, v4, vcc_lo
	v_mul_f32_e32 v8, v120, v8
	v_ldexp_f32 v10, v13, v95
	v_fma_f32 v113, 0xbfb8aa3b, v99, -v100
	s_delay_alu instid0(VALU_DEP_4) | instskip(NEXT) | instid1(VALU_DEP_4)
	v_add_f32_e32 v13, 1.0, v94
	v_bfe_u32 v17, v8, 16, 1
	v_cmp_o_f32_e32 vcc_lo, v8, v8
	s_delay_alu instid0(VALU_DEP_4) | instskip(NEXT) | instid1(VALU_DEP_4)
	v_fmac_f32_e32 v113, 0xb2a5705f, v99
	v_div_scale_f32 v15, null, v13, v13, v16
	s_delay_alu instid0(VALU_DEP_4) | instskip(SKIP_1) | instid1(VALU_DEP_2)
	v_add3_u32 v17, v8, v17, 0x7fff
	v_fma_f32 v8, -v116, v97, v98
	v_lshrrev_b32_e32 v17, 16, v17
	s_delay_alu instid0(VALU_DEP_1) | instskip(SKIP_1) | instid1(VALU_DEP_3)
	v_cndmask_b32_e32 v4, 0x7fc0, v17, vcc_lo
	s_mov_b32 vcc_lo, s28
	v_div_fmas_f32 v8, v8, v96, v97
	v_cmp_nlt_f32_e32 vcc_lo, 0x42ce8ed0, v11
	s_delay_alu instid0(VALU_DEP_2) | instskip(SKIP_3) | instid1(VALU_DEP_3)
	v_div_fixup_f32 v5, v8, v12, v5
	v_cndmask_b32_e32 v10, 0, v10, vcc_lo
	v_cmp_ngt_f32_e32 vcc_lo, 0xc2b17218, v11
	v_rcp_f32_e32 v8, v15
	v_mul_f32_e32 v12, v117, v5
	s_delay_alu instid0(VALU_DEP_3)
	v_cndmask_b32_e32 v10, 0x7f800000, v10, vcc_lo
	v_cmp_o_f32_e32 vcc_lo, v9, v9
	v_cndmask_b32_e32 v5, 0x7fc0, v14, vcc_lo
	v_and_b32_e32 v14, 0xffff0000, v7
	s_waitcnt_depctr 0xfff
	v_fma_f32 v94, -v15, v8, 1.0
	v_div_scale_f32 v7, vcc_lo, v16, v13, v16
	v_mul_f32_e32 v96, 0xbfb8aa3b, v14
	s_delay_alu instid0(VALU_DEP_3) | instskip(NEXT) | instid1(VALU_DEP_2)
	v_fmac_f32_e32 v8, v94, v8
	v_fma_f32 v97, 0xbfb8aa3b, v14, -v96
	v_rndne_f32_e32 v98, v96
	s_delay_alu instid0(VALU_DEP_3) | instskip(NEXT) | instid1(VALU_DEP_3)
	v_mul_f32_e32 v105, v7, v8
	v_fmac_f32_e32 v97, 0xb2a5705f, v14
	v_bfe_u32 v17, v12, 16, 1
	s_delay_alu instid0(VALU_DEP_3) | instskip(SKIP_1) | instid1(VALU_DEP_3)
	v_fma_f32 v116, -v15, v105, v7
	v_mul_f32_e32 v6, v118, v6
	v_add3_u32 v17, v12, v17, 0x7fff
	s_delay_alu instid0(VALU_DEP_3) | instskip(NEXT) | instid1(VALU_DEP_3)
	v_fmac_f32_e32 v105, v116, v8
	v_bfe_u32 v9, v6, 16, 1
	v_cmp_o_f32_e64 s29, v6, v6
	s_delay_alu instid0(VALU_DEP_4) | instskip(SKIP_1) | instid1(VALU_DEP_4)
	v_lshrrev_b32_e32 v17, 16, v17
	v_sub_f32_e32 v96, v96, v98
	v_add3_u32 v9, v6, v9, 0x7fff
	v_cvt_i32_f32_e32 v98, v98
	v_fma_f32 v7, -v15, v105, v7
	s_delay_alu instid0(VALU_DEP_4) | instskip(NEXT) | instid1(VALU_DEP_4)
	v_add_f32_e32 v96, v96, v97
	v_lshrrev_b32_e32 v9, 16, v9
	v_rndne_f32_e32 v97, v100
	s_delay_alu instid0(VALU_DEP_4)
	v_div_fmas_f32 v7, v7, v8, v105
	v_cmp_ngt_f32_e32 vcc_lo, 0xc2b17218, v14
	v_exp_f32_e32 v96, v96
	v_cndmask_b32_e64 v6, 0x7fc0, v9, s29
	v_cmp_nlt_f32_e64 s29, 0x42ce8ed0, v14
	v_sub_f32_e32 v100, v100, v97
	v_cvt_i32_f32_e32 v97, v97
	v_div_fixup_f32 v13, v7, v13, v16
	s_delay_alu instid0(VALU_DEP_3) | instskip(NEXT) | instid1(TRANS32_DEP_1)
	v_add_f32_e32 v100, v100, v113
	v_ldexp_f32 v9, v96, v98
	s_delay_alu instid0(VALU_DEP_2) | instskip(NEXT) | instid1(VALU_DEP_1)
	v_exp_f32_e32 v96, v100
	v_cndmask_b32_e64 v9, 0, v9, s29
	s_delay_alu instid0(VALU_DEP_1) | instskip(NEXT) | instid1(VALU_DEP_1)
	v_dual_add_f32 v10, 1.0, v10 :: v_dual_cndmask_b32 v9, 0x7f800000, v9
	v_div_scale_f32 v95, null, v10, v10, v11
	s_waitcnt_depctr 0xfff
	v_ldexp_f32 v8, v96, v97
	v_cmp_nlt_f32_e32 vcc_lo, 0x42ce8ed0, v99
	v_add_f32_e32 v9, 1.0, v9
	v_rcp_f32_e32 v94, v95
	s_delay_alu instid0(VALU_DEP_3) | instskip(SKIP_2) | instid1(VALU_DEP_1)
	v_cndmask_b32_e32 v8, 0, v8, vcc_lo
	s_waitcnt_depctr 0xfff
	v_fma_f32 v108, -v95, v94, 1.0
	v_fmac_f32_e32 v94, v108, v94
	v_div_scale_f32 v108, s28, v11, v10, v11
	s_delay_alu instid0(VALU_DEP_1) | instskip(NEXT) | instid1(VALU_DEP_1)
	s_mov_b32 vcc_lo, s28
	v_mul_f32_e32 v113, v108, v94
	v_div_scale_f32 v16, null, v9, v9, v14
	s_delay_alu instid0(VALU_DEP_2) | instskip(NEXT) | instid1(VALU_DEP_1)
	v_fma_f32 v15, -v95, v113, v108
	v_fmac_f32_e32 v113, v15, v94
	s_delay_alu instid0(VALU_DEP_1) | instskip(NEXT) | instid1(VALU_DEP_1)
	v_fma_f32 v7, -v95, v113, v108
	v_div_fmas_f32 v15, v7, v94, v113
	v_cmp_ngt_f32_e32 vcc_lo, 0xc2b17218, v99
	s_delay_alu instid0(VALU_DEP_2)
	v_div_fixup_f32 v10, v15, v10, v11
	v_cndmask_b32_e32 v8, 0x7f800000, v8, vcc_lo
	v_cmp_o_f32_e32 vcc_lo, v12, v12
	v_mul_f32_e32 v11, v115, v13
	v_rcp_f32_e32 v12, v16
	v_and_b32_e32 v13, 0xffff0000, v0
	v_dual_cndmask_b32 v7, 0x7fc0, v17 :: v_dual_lshlrev_b32 v0, 16, v0
	v_div_scale_f32 v105, vcc_lo, v14, v9, v14
	s_delay_alu instid0(VALU_DEP_3) | instskip(SKIP_3) | instid1(TRANS32_DEP_1)
	v_mul_f32_e32 v94, 0xbfb8aa3b, v13
	v_mul_f32_e32 v10, v114, v10
	v_cmp_nlt_f32_e64 s29, 0x42ce8ed0, v13
	v_bfe_u32 v15, v11, 16, 1
	v_fma_f32 v96, -v16, v12, 1.0
	v_fma_f32 v98, 0xbfb8aa3b, v13, -v94
	v_rndne_f32_e32 v100, v94
	s_delay_alu instid0(VALU_DEP_4) | instskip(NEXT) | instid1(VALU_DEP_4)
	v_add3_u32 v15, v11, v15, 0x7fff
	v_fmac_f32_e32 v12, v96, v12
	s_delay_alu instid0(VALU_DEP_4) | instskip(NEXT) | instid1(VALU_DEP_4)
	v_fmac_f32_e32 v98, 0xb2a5705f, v13
	v_sub_f32_e32 v94, v94, v100
	v_mul_f32_e32 v96, 0xbfb8aa3b, v0
	v_cvt_i32_f32_e32 v100, v100
	v_lshrrev_b32_e32 v15, 16, v15
	s_delay_alu instid0(VALU_DEP_4) | instskip(NEXT) | instid1(VALU_DEP_4)
	v_add_f32_e32 v94, v94, v98
	v_rndne_f32_e32 v98, v96
	v_fma_f32 v113, 0xbfb8aa3b, v0, -v96
	s_delay_alu instid0(VALU_DEP_1) | instskip(SKIP_1) | instid1(VALU_DEP_2)
	v_dual_sub_f32 v96, v96, v98 :: v_dual_fmac_f32 v113, 0xb2a5705f, v0
	v_cvt_i32_f32_e32 v98, v98
	v_add_f32_e32 v96, v96, v113
	s_delay_alu instid0(VALU_DEP_1) | instskip(SKIP_4) | instid1(VALU_DEP_1)
	v_exp_f32_e32 v96, v96
	s_waitcnt_depctr 0xfff
	v_ldexp_f32 v96, v96, v98
	v_and_b32_e32 v98, 0xffff0000, v1
	v_dual_mul_f32 v114, v105, v12 :: v_dual_lshlrev_b32 v1, 16, v1
	v_fma_f32 v113, -v16, v114, v105
	s_delay_alu instid0(VALU_DEP_1) | instskip(NEXT) | instid1(VALU_DEP_1)
	v_fmac_f32_e32 v114, v113, v12
	v_fma_f32 v16, -v16, v114, v105
	s_delay_alu instid0(VALU_DEP_1) | instskip(SKIP_1) | instid1(VALU_DEP_2)
	v_div_fmas_f32 v12, v16, v12, v114
	v_cmp_nlt_f32_e32 vcc_lo, 0x42ce8ed0, v0
	v_div_fixup_f32 v9, v12, v9, v14
	s_delay_alu instid0(VALU_DEP_1) | instskip(NEXT) | instid1(VALU_DEP_1)
	v_dual_add_f32 v8, 1.0, v8 :: v_dual_mul_f32 v9, v112, v9
	v_div_scale_f32 v17, null, v8, v8, v99
	v_mul_f32_e32 v112, 0xbfb8aa3b, v1
	s_delay_alu instid0(VALU_DEP_2) | instskip(NEXT) | instid1(VALU_DEP_1)
	v_rcp_f32_e32 v97, v17
	v_fma_f32 v113, 0xbfb8aa3b, v1, -v112
	s_delay_alu instid0(VALU_DEP_1) | instskip(SKIP_3) | instid1(VALU_DEP_1)
	v_fmac_f32_e32 v113, 0xb2a5705f, v1
	v_exp_f32_e32 v94, v94
	s_waitcnt_depctr 0xfff
	v_fma_f32 v108, -v17, v97, 1.0
	v_fmac_f32_e32 v97, v108, v97
	v_div_scale_f32 v108, s28, v99, v8, v99
	v_ldexp_f32 v94, v94, v100
	s_delay_alu instid0(VALU_DEP_2) | instskip(NEXT) | instid1(VALU_DEP_2)
	v_mul_f32_e32 v115, v108, v97
	v_cndmask_b32_e64 v94, 0, v94, s29
	v_cmp_ngt_f32_e64 s29, 0xc2b17218, v13
	s_delay_alu instid0(VALU_DEP_3) | instskip(NEXT) | instid1(VALU_DEP_2)
	v_fma_f32 v100, -v17, v115, v108
	v_cndmask_b32_e64 v94, 0x7f800000, v94, s29
	v_cmp_nlt_f32_e64 s29, 0x42ce8ed0, v98
	s_delay_alu instid0(VALU_DEP_3) | instskip(NEXT) | instid1(VALU_DEP_3)
	v_dual_fmac_f32 v115, v100, v97 :: v_dual_mul_f32 v100, 0xbfb8aa3b, v98
	v_add_f32_e32 v16, 1.0, v94
	v_cndmask_b32_e32 v94, 0, v96, vcc_lo
	s_delay_alu instid0(VALU_DEP_3) | instskip(SKIP_3) | instid1(VALU_DEP_3)
	v_fma_f32 v17, -v17, v115, v108
	s_mov_b32 vcc_lo, s28
	v_fma_f32 v14, 0xbfb8aa3b, v98, -v100
	v_div_scale_f32 v96, null, v16, v16, v13
	v_div_fmas_f32 v17, v17, v97, v115
	v_cmp_ngt_f32_e32 vcc_lo, 0xc2b17218, v0
	s_delay_alu instid0(VALU_DEP_4) | instskip(NEXT) | instid1(VALU_DEP_4)
	v_fmac_f32_e32 v14, 0xb2a5705f, v98
	v_rcp_f32_e32 v97, v96
	s_delay_alu instid0(VALU_DEP_3) | instskip(SKIP_2) | instid1(VALU_DEP_3)
	v_div_fixup_f32 v8, v17, v8, v99
	v_cndmask_b32_e32 v94, 0x7f800000, v94, vcc_lo
	v_cmp_o_f32_e32 vcc_lo, v11, v11
	v_mul_f32_e32 v8, v111, v8
	s_delay_alu instid0(VALU_DEP_3) | instskip(SKIP_1) | instid1(TRANS32_DEP_1)
	v_dual_add_f32 v12, 1.0, v94 :: v_dual_cndmask_b32 v11, 0x7fc0, v15
	v_rndne_f32_e32 v15, v100
	v_fma_f32 v17, -v96, v97, 1.0
	s_delay_alu instid0(VALU_DEP_2) | instskip(NEXT) | instid1(VALU_DEP_2)
	v_sub_f32_e32 v99, v100, v15
	v_fmac_f32_e32 v97, v17, v97
	v_bfe_u32 v95, v10, 16, 1
	v_cmp_o_f32_e64 s28, v10, v10
	v_cvt_i32_f32_e32 v15, v15
	v_add_f32_e32 v14, v99, v14
	v_div_scale_f32 v99, vcc_lo, v13, v16, v13
	v_add3_u32 v95, v10, v95, 0x7fff
	v_bfe_u32 v100, v8, 16, 1
	s_delay_alu instid0(VALU_DEP_4) | instskip(NEXT) | instid1(VALU_DEP_3)
	v_exp_f32_e32 v14, v14
	v_mul_f32_e32 v105, v99, v97
	v_div_scale_f32 v94, null, v12, v12, v0
	v_lshrrev_b32_e32 v95, 16, v95
	v_add3_u32 v100, v8, v100, 0x7fff
	s_delay_alu instid0(VALU_DEP_4) | instskip(NEXT) | instid1(VALU_DEP_4)
	v_fma_f32 v111, -v96, v105, v99
	v_rcp_f32_e32 v17, v94
	s_delay_alu instid0(VALU_DEP_3) | instskip(NEXT) | instid1(TRANS32_DEP_2)
	v_cndmask_b32_e64 v10, 0x7fc0, v95, s28
	v_ldexp_f32 v14, v14, v15
	v_div_scale_f32 v15, s28, v0, v12, v0
	v_fmac_f32_e32 v105, v111, v97
	v_bfe_u32 v95, v9, 16, 1
	s_delay_alu instid0(VALU_DEP_4) | instskip(SKIP_1) | instid1(TRANS32_DEP_1)
	v_cndmask_b32_e64 v14, 0, v14, s29
	v_cmp_ngt_f32_e64 s29, 0xc2b17218, v98
	v_fma_f32 v108, -v94, v17, 1.0
	v_fma_f32 v96, -v96, v105, v99
	v_add3_u32 v95, v9, v95, 0x7fff
	s_delay_alu instid0(VALU_DEP_4) | instskip(NEXT) | instid1(VALU_DEP_4)
	v_cndmask_b32_e64 v14, 0x7f800000, v14, s29
	v_fmac_f32_e32 v17, v108, v17
	v_rndne_f32_e32 v108, v112
	v_div_fmas_f32 v96, v96, v97, v105
	s_mov_b32 vcc_lo, s28
	v_add_f32_e32 v14, 1.0, v14
	v_mul_f32_e32 v114, v15, v17
	v_sub_f32_e32 v112, v112, v108
	v_div_fixup_f32 v13, v96, v16, v13
	v_lshrrev_b32_e32 v16, 16, v95
	v_cmp_o_f32_e64 s28, v9, v9
	v_fma_f32 v111, -v94, v114, v15
	v_add_f32_e32 v112, v112, v113
	s_delay_alu instid0(VALU_DEP_3) | instskip(NEXT) | instid1(VALU_DEP_3)
	v_cndmask_b32_e64 v9, 0x7fc0, v16, s28
	v_fmac_f32_e32 v114, v111, v17
	s_delay_alu instid0(VALU_DEP_3) | instskip(SKIP_2) | instid1(VALU_DEP_3)
	v_exp_f32_e32 v99, v112
	v_div_scale_f32 v111, null, v14, v14, v98
	v_cmp_o_f32_e64 s28, v8, v8
	v_fma_f32 v15, -v94, v114, v15
	v_cvt_i32_f32_e32 v94, v108
	s_delay_alu instid0(VALU_DEP_4) | instskip(NEXT) | instid1(VALU_DEP_2)
	v_rcp_f32_e32 v97, v111
	v_div_fmas_f32 v15, v15, v17, v114
	s_delay_alu instid0(TRANS32_DEP_2) | instid1(VALU_DEP_2)
	v_ldexp_f32 v17, v99, v94
	v_cmp_nlt_f32_e32 vcc_lo, 0x42ce8ed0, v1
	v_lshrrev_b32_e32 v94, 16, v100
	v_and_b32_e32 v100, 0xffff0000, v2
	v_div_fixup_f32 v0, v15, v12, v0
	v_mul_f32_e32 v12, v110, v13
	v_cndmask_b32_e32 v13, 0, v17, vcc_lo
	v_cmp_ngt_f32_e32 vcc_lo, 0xc2b17218, v1
	v_fma_f32 v15, -v111, v97, 1.0
	v_mul_f32_e32 v0, v109, v0
	v_bfe_u32 v17, v12, 16, 1
	v_cndmask_b32_e64 v8, 0x7fc0, v94, s28
	v_cndmask_b32_e32 v13, 0x7f800000, v13, vcc_lo
	v_fmac_f32_e32 v97, v15, v97
	v_div_scale_f32 v15, vcc_lo, v98, v14, v98
	v_add3_u32 v17, v12, v17, 0x7fff
	s_delay_alu instid0(VALU_DEP_4) | instskip(SKIP_1) | instid1(VALU_DEP_4)
	v_add_f32_e32 v13, 1.0, v13
	v_bfe_u32 v16, v0, 16, 1
	v_mul_f32_e32 v95, v15, v97
	v_cmp_o_f32_e64 s28, v12, v12
	v_lshrrev_b32_e32 v17, 16, v17
	v_div_scale_f32 v96, null, v13, v13, v1
	s_delay_alu instid0(VALU_DEP_4) | instskip(SKIP_1) | instid1(VALU_DEP_4)
	v_fma_f32 v94, -v111, v95, v15
	v_add3_u32 v16, v0, v16, 0x7fff
	v_cndmask_b32_e64 v12, 0x7fc0, v17, s28
	s_delay_alu instid0(VALU_DEP_4) | instskip(SKIP_4) | instid1(VALU_DEP_3)
	v_rcp_f32_e32 v99, v96
	v_cmp_o_f32_e64 s28, v0, v0
	v_fmac_f32_e32 v95, v94, v97
	v_mul_f32_e32 v17, 0xbfb8aa3b, v100
	v_lshrrev_b32_e32 v16, 16, v16
	v_fma_f32 v0, -v111, v95, v15
	s_delay_alu instid0(VALU_DEP_3) | instskip(SKIP_1) | instid1(TRANS32_DEP_1)
	v_fma_f32 v94, 0xbfb8aa3b, v100, -v17
	v_rndne_f32_e32 v105, v17
	v_fma_f32 v15, -v96, v99, 1.0
	v_cndmask_b32_e64 v16, 0x7fc0, v16, s28
	v_div_fmas_f32 v0, v0, v97, v95
	v_div_scale_f32 v95, vcc_lo, v1, v13, v1
	s_delay_alu instid0(VALU_DEP_4) | instskip(SKIP_3) | instid1(VALU_DEP_4)
	v_dual_fmac_f32 v99, v15, v99 :: v_dual_fmac_f32 v94, 0xb2a5705f, v100
	v_sub_f32_e32 v17, v17, v105
	v_cvt_i32_f32_e32 v105, v105
	v_cmp_nlt_f32_e64 s28, 0x42ce8ed0, v100
	v_mul_f32_e32 v97, v95, v99
	v_div_fixup_f32 v0, v0, v14, v98
	v_dual_add_f32 v17, v17, v94 :: v_dual_and_b32 v98, 0xffff0000, v3
	v_lshlrev_b32_e32 v3, 16, v3
	s_delay_alu instid0(VALU_DEP_4) | instskip(NEXT) | instid1(VALU_DEP_4)
	v_fma_f32 v108, -v96, v97, v95
	v_mul_f32_e32 v0, v107, v0
	s_delay_alu instid0(VALU_DEP_4) | instskip(SKIP_1) | instid1(VALU_DEP_3)
	v_exp_f32_e32 v17, v17
	v_mul_f32_e32 v109, 0xbfb8aa3b, v98
	v_fmac_f32_e32 v97, v108, v99
	s_delay_alu instid0(VALU_DEP_2) | instskip(NEXT) | instid1(VALU_DEP_2)
	v_rndne_f32_e32 v108, v109
	v_fma_f32 v95, -v96, v97, v95
	s_waitcnt_depctr 0xfff
	v_ldexp_f32 v17, v17, v105
	v_mul_f32_e32 v105, 0xbfb8aa3b, v3
	v_div_fmas_f32 v95, v95, v99, v97
	s_delay_alu instid0(VALU_DEP_3) | instskip(SKIP_1) | instid1(VALU_DEP_4)
	v_cndmask_b32_e64 v17, 0, v17, s28
	v_cmp_ngt_f32_e64 s28, 0xc2b17218, v100
	v_rndne_f32_e32 v110, v105
	s_delay_alu instid0(VALU_DEP_4)
	v_div_fixup_f32 v1, v95, v13, v1
	v_lshlrev_b32_e32 v2, 16, v2
	v_fma_f32 v111, 0xbfb8aa3b, v3, -v105
	v_cndmask_b32_e64 v17, 0x7f800000, v17, s28
	v_sub_f32_e32 v105, v105, v110
	v_mul_f32_e32 v1, v106, v1
	v_mul_f32_e32 v15, 0xbfb8aa3b, v2
	v_fmac_f32_e32 v111, 0xb2a5705f, v3
	v_add_f32_e32 v17, 1.0, v17
	v_cmp_nlt_f32_e64 s28, 0x42ce8ed0, v2
	v_bfe_u32 v116, v1, 16, 1
	v_rndne_f32_e32 v14, v15
	v_fma_f32 v94, 0xbfb8aa3b, v2, -v15
	v_div_scale_f32 v99, vcc_lo, v100, v17, v100
	s_delay_alu instid0(VALU_DEP_3) | instskip(NEXT) | instid1(VALU_DEP_3)
	v_sub_f32_e32 v15, v15, v14
	v_fmac_f32_e32 v94, 0xb2a5705f, v2
	v_cvt_i32_f32_e32 v14, v14
	s_delay_alu instid0(VALU_DEP_2) | instskip(SKIP_2) | instid1(VALU_DEP_3)
	v_add_f32_e32 v15, v15, v94
	v_fma_f32 v94, 0xbfb8aa3b, v98, -v109
	v_sub_f32_e32 v109, v109, v108
	v_exp_f32_e32 v15, v15
	s_delay_alu instid0(VALU_DEP_2)
	v_fmac_f32_e32 v94, 0xb2a5705f, v98
	s_waitcnt_depctr 0xfff
	v_ldexp_f32 v14, v15, v14
	v_add_f32_e32 v15, v109, v94
	v_add_f32_e32 v94, v105, v111
	v_cvt_i32_f32_e32 v105, v108
	v_div_scale_f32 v108, null, v17, v17, v100
	v_cvt_i32_f32_e32 v109, v110
	s_delay_alu instid0(VALU_DEP_4) | instskip(SKIP_1) | instid1(VALU_DEP_2)
	v_exp_f32_e32 v94, v94
	v_exp_f32_e32 v15, v15
	v_rcp_f32_e32 v96, v108
	v_cndmask_b32_e64 v14, 0, v14, s28
	v_cmp_ngt_f32_e64 s28, 0xc2b17218, v2
	s_delay_alu instid0(VALU_DEP_1) | instskip(NEXT) | instid1(TRANS32_DEP_3)
	v_cndmask_b32_e64 v14, 0x7f800000, v14, s28
	v_ldexp_f32 v94, v94, v109
	s_waitcnt_depctr 0xfff
	v_ldexp_f32 v15, v15, v105
	v_fma_f32 v109, -v108, v96, 1.0
	s_delay_alu instid0(VALU_DEP_1) | instskip(NEXT) | instid1(VALU_DEP_1)
	v_fmac_f32_e32 v96, v109, v96
	v_mul_f32_e32 v13, v99, v96
	s_delay_alu instid0(VALU_DEP_1) | instskip(NEXT) | instid1(VALU_DEP_1)
	v_fma_f32 v113, -v108, v13, v99
	v_fmac_f32_e32 v13, v113, v96
	v_cmp_nlt_f32_e64 s28, 0x42ce8ed0, v98
	s_delay_alu instid0(VALU_DEP_2) | instskip(NEXT) | instid1(VALU_DEP_2)
	v_fma_f32 v99, -v108, v13, v99
	v_cndmask_b32_e64 v15, 0, v15, s28
	v_cmp_nlt_f32_e64 s28, 0x42ce8ed0, v3
	s_delay_alu instid0(VALU_DEP_1) | instskip(SKIP_1) | instid1(VALU_DEP_1)
	v_cndmask_b32_e64 v94, 0, v94, s28
	v_cmp_ngt_f32_e64 s28, 0xc2b17218, v98
	v_cndmask_b32_e64 v15, 0x7f800000, v15, s28
	v_cmp_ngt_f32_e64 s28, 0xc2b17218, v3
	s_delay_alu instid0(VALU_DEP_2) | instskip(NEXT) | instid1(VALU_DEP_2)
	v_add_f32_e32 v15, 1.0, v15
	v_cndmask_b32_e64 v94, 0x7f800000, v94, s28
	s_delay_alu instid0(VALU_DEP_2) | instskip(NEXT) | instid1(VALU_DEP_2)
	v_div_scale_f32 v97, null, v15, v15, v98
	v_add_f32_e32 v94, 1.0, v94
	s_delay_alu instid0(VALU_DEP_2) | instskip(NEXT) | instid1(VALU_DEP_1)
	v_rcp_f32_e32 v111, v97
	v_div_scale_f32 v112, null, v94, v94, v3
	s_delay_alu instid0(VALU_DEP_1) | instskip(SKIP_2) | instid1(VALU_DEP_1)
	v_rcp_f32_e32 v95, v112
	s_waitcnt_depctr 0xfff
	v_fma_f32 v115, -v112, v95, 1.0
	v_fmac_f32_e32 v95, v115, v95
	v_div_scale_f32 v115, s30, v3, v94, v3
	v_add_f32_e32 v14, 1.0, v14
	s_delay_alu instid0(VALU_DEP_1) | instskip(SKIP_1) | instid1(VALU_DEP_2)
	v_div_scale_f32 v105, null, v14, v14, v2
	v_div_scale_f32 v107, s28, v2, v14, v2
	v_rcp_f32_e32 v110, v105
	s_waitcnt_depctr 0xfff
	v_fma_f32 v109, -v105, v110, 1.0
	s_delay_alu instid0(VALU_DEP_1) | instskip(SKIP_1) | instid1(VALU_DEP_1)
	v_fmac_f32_e32 v110, v109, v110
	v_fma_f32 v109, -v97, v111, 1.0
	v_dual_mul_f32 v114, v107, v110 :: v_dual_fmac_f32 v111, v109, v111
	v_div_scale_f32 v109, s29, v98, v15, v98
	s_delay_alu instid0(VALU_DEP_2) | instskip(NEXT) | instid1(VALU_DEP_2)
	v_fma_f32 v113, -v105, v114, v107
	v_mul_f32_e32 v117, v109, v111
	s_delay_alu instid0(VALU_DEP_2) | instskip(NEXT) | instid1(VALU_DEP_2)
	v_dual_fmac_f32 v114, v113, v110 :: v_dual_mul_f32 v113, v115, v95
	v_fma_f32 v108, -v97, v117, v109
	s_delay_alu instid0(VALU_DEP_1) | instskip(SKIP_1) | instid1(VALU_DEP_4)
	v_fmac_f32_e32 v117, v108, v111
	v_div_fmas_f32 v13, v99, v96, v13
	v_fma_f32 v96, -v105, v114, v107
	s_mov_b32 vcc_lo, s28
	v_fma_f32 v99, -v112, v113, v115
	s_delay_alu instid0(VALU_DEP_3)
	v_div_fixup_f32 v13, v13, v17, v100
	v_fma_f32 v17, -v97, v117, v109
	v_div_fmas_f32 v96, v96, v110, v114
	s_mov_b32 vcc_lo, s29
	v_fmac_f32_e32 v113, v99, v95
	v_mul_f32_e32 v13, v103, v13
	v_div_fmas_f32 v17, v17, v111, v117
	v_div_fixup_f32 v2, v96, v14, v2
	s_mov_b32 vcc_lo, s30
	v_fma_f32 v14, -v112, v113, v115
	v_add3_u32 v99, v1, v116, 0x7fff
	v_div_fixup_f32 v15, v17, v15, v98
	v_mul_f32_e32 v2, v102, v2
	v_bfe_u32 v17, v13, 16, 1
	v_div_fmas_f32 v14, v14, v95, v113
	s_delay_alu instid0(VALU_DEP_4) | instskip(SKIP_2) | instid1(VALU_DEP_4)
	v_mul_f32_e32 v15, v104, v15
	v_bfe_u32 v106, v0, 16, 1
	v_cmp_o_f32_e32 vcc_lo, v0, v0
	v_div_fixup_f32 v3, v14, v94, v3
	v_lshrrev_b32_e32 v14, 16, v99
	v_bfe_u32 v94, v2, 16, 1
	v_add3_u32 v106, v0, v106, 0x7fff
	v_add3_u32 v0, v13, v17, 0x7fff
	v_mul_f32_e32 v3, v101, v3
	s_delay_alu instid0(VALU_DEP_4) | instskip(NEXT) | instid1(VALU_DEP_4)
	v_add3_u32 v17, v2, v94, 0x7fff
	v_lshrrev_b32_e32 v95, 16, v106
	v_bfe_u32 v94, v15, 16, 1
	v_lshrrev_b32_e32 v0, 16, v0
	v_bfe_u32 v96, v3, 16, 1
	v_lshrrev_b32_e32 v17, 16, v17
	v_cndmask_b32_e32 v95, 0x7fc0, v95, vcc_lo
	v_cmp_o_f32_e32 vcc_lo, v1, v1
	v_add3_u32 v1, v15, v94, 0x7fff
	v_add3_u32 v94, v3, v96, 0x7fff
	v_cndmask_b32_e32 v14, 0x7fc0, v14, vcc_lo
	v_cmp_o_f32_e32 vcc_lo, v13, v13
	v_cndmask_b32_e32 v13, 0x7fc0, v0, vcc_lo
	v_cmp_o_f32_e32 vcc_lo, v2, v2
	v_lshrrev_b32_e32 v0, 16, v1
	v_lshrrev_b32_e32 v1, 16, v94
	v_perm_b32 v2, v11, v10, 0x5040100
	v_cndmask_b32_e32 v17, 0x7fc0, v17, vcc_lo
	v_cmp_o_f32_e32 vcc_lo, v15, v15
	v_cndmask_b32_e32 v15, 0x7fc0, v0, vcc_lo
	v_cmp_o_f32_e32 vcc_lo, v3, v3
	v_perm_b32 v3, v9, v8, 0x5040100
	v_perm_b32 v0, v4, v5, 0x5040100
	;; [unrolled: 1-line block ×4, first 2 shown]
	v_cndmask_b32_e32 v94, 0x7fc0, v1, vcc_lo
	v_perm_b32 v1, v6, v7, 0x5040100
	v_perm_b32 v6, v13, v17, 0x5040100
	s_delay_alu instid0(VALU_DEP_3)
	v_perm_b32 v7, v15, v94, 0x5040100
	ds_store_b128 v52, v[0:3]
	ds_store_b128 v52, v[4:7] offset:16
	; wave barrier
	ds_load_u16 v16, v37 offset:64
	ds_load_u16 v15, v38 offset:128
	;; [unrolled: 1-line block ×15, first 2 shown]
	v_add_co_u32 v0, vcc_lo, v76, s34
	v_add_co_ci_u32_e32 v1, vcc_lo, s35, v77, vcc_lo
	s_and_saveexec_b32 s28, s12
	s_cbranch_execnz .LBB53_284
; %bb.252:                              ;   in Loop: Header=BB53_12 Depth=1
	s_or_b32 exec_lo, exec_lo, s28
	s_and_saveexec_b32 s12, s13
	s_cbranch_execnz .LBB53_285
.LBB53_253:                             ;   in Loop: Header=BB53_12 Depth=1
	s_or_b32 exec_lo, exec_lo, s12
	s_and_saveexec_b32 s12, s14
	s_cbranch_execnz .LBB53_286
.LBB53_254:                             ;   in Loop: Header=BB53_12 Depth=1
	s_or_b32 exec_lo, exec_lo, s12
	s_and_saveexec_b32 s12, s15
	s_cbranch_execnz .LBB53_287
.LBB53_255:                             ;   in Loop: Header=BB53_12 Depth=1
	s_or_b32 exec_lo, exec_lo, s12
	s_and_saveexec_b32 s12, s16
	s_cbranch_execnz .LBB53_288
.LBB53_256:                             ;   in Loop: Header=BB53_12 Depth=1
	s_or_b32 exec_lo, exec_lo, s12
	s_and_saveexec_b32 s12, s17
	s_cbranch_execnz .LBB53_289
.LBB53_257:                             ;   in Loop: Header=BB53_12 Depth=1
	s_or_b32 exec_lo, exec_lo, s12
	s_and_saveexec_b32 s12, s18
	s_cbranch_execnz .LBB53_290
.LBB53_258:                             ;   in Loop: Header=BB53_12 Depth=1
	s_or_b32 exec_lo, exec_lo, s12
	s_and_saveexec_b32 s12, s19
	s_cbranch_execnz .LBB53_291
.LBB53_259:                             ;   in Loop: Header=BB53_12 Depth=1
	s_or_b32 exec_lo, exec_lo, s12
	s_and_saveexec_b32 s12, s20
	s_cbranch_execnz .LBB53_292
.LBB53_260:                             ;   in Loop: Header=BB53_12 Depth=1
	s_or_b32 exec_lo, exec_lo, s12
	s_and_saveexec_b32 s12, s21
	s_cbranch_execnz .LBB53_293
.LBB53_261:                             ;   in Loop: Header=BB53_12 Depth=1
	s_or_b32 exec_lo, exec_lo, s12
	s_and_saveexec_b32 s12, s22
	s_cbranch_execnz .LBB53_294
.LBB53_262:                             ;   in Loop: Header=BB53_12 Depth=1
	s_or_b32 exec_lo, exec_lo, s12
	s_and_saveexec_b32 s12, s23
	s_cbranch_execnz .LBB53_295
.LBB53_263:                             ;   in Loop: Header=BB53_12 Depth=1
	s_or_b32 exec_lo, exec_lo, s12
	s_and_saveexec_b32 s12, s24
	s_cbranch_execnz .LBB53_296
.LBB53_264:                             ;   in Loop: Header=BB53_12 Depth=1
	s_or_b32 exec_lo, exec_lo, s12
	s_and_saveexec_b32 s12, s25
	s_cbranch_execnz .LBB53_297
.LBB53_265:                             ;   in Loop: Header=BB53_12 Depth=1
	s_or_b32 exec_lo, exec_lo, s12
	s_and_saveexec_b32 s12, s26
	s_cbranch_execnz .LBB53_298
.LBB53_266:                             ;   in Loop: Header=BB53_12 Depth=1
	s_or_b32 exec_lo, exec_lo, s12
	s_and_saveexec_b32 s12, s27
	s_cbranch_execz .LBB53_11
	s_branch .LBB53_299
.LBB53_267:                             ;   in Loop: Header=BB53_12 Depth=1
	global_load_u16 v101, v[8:9], off offset:832
	s_or_b32 exec_lo, exec_lo, s28
	s_and_saveexec_b32 s28, s26
	s_cbranch_execz .LBB53_72
.LBB53_268:                             ;   in Loop: Header=BB53_12 Depth=1
	global_load_u16 v100, v[8:9], off offset:896
	s_or_b32 exec_lo, exec_lo, s28
	v_mov_b32_e32 v102, 0
	s_and_saveexec_b32 s28, s27
	s_cbranch_execnz .LBB53_73
	s_branch .LBB53_74
.LBB53_269:                             ;   in Loop: Header=BB53_12 Depth=1
	ds_load_u16 v17, v37
	s_waitcnt lgkmcnt(0)
	global_store_b16 v[0:1], v17, off
	s_or_b32 exec_lo, exec_lo, s28
	s_and_saveexec_b32 s28, s13
	s_cbranch_execz .LBB53_204
.LBB53_270:                             ;   in Loop: Header=BB53_12 Depth=1
	s_waitcnt lgkmcnt(14)
	global_store_b16 v[0:1], v16, off offset:64
	s_or_b32 exec_lo, exec_lo, s28
	s_and_saveexec_b32 s28, s14
	s_cbranch_execz .LBB53_205
.LBB53_271:                             ;   in Loop: Header=BB53_12 Depth=1
	s_waitcnt lgkmcnt(13)
	global_store_b16 v[0:1], v15, off offset:128
	s_or_b32 exec_lo, exec_lo, s28
	s_and_saveexec_b32 s28, s15
	s_cbranch_execz .LBB53_206
.LBB53_272:                             ;   in Loop: Header=BB53_12 Depth=1
	s_waitcnt lgkmcnt(12)
	global_store_b16 v[0:1], v14, off offset:192
	s_or_b32 exec_lo, exec_lo, s28
	s_and_saveexec_b32 s28, s16
	s_cbranch_execz .LBB53_207
.LBB53_273:                             ;   in Loop: Header=BB53_12 Depth=1
	s_waitcnt lgkmcnt(11)
	global_store_b16 v[0:1], v13, off offset:256
	s_or_b32 exec_lo, exec_lo, s28
	s_and_saveexec_b32 s28, s17
	s_cbranch_execz .LBB53_208
.LBB53_274:                             ;   in Loop: Header=BB53_12 Depth=1
	s_waitcnt lgkmcnt(10)
	global_store_b16 v[0:1], v12, off offset:320
	s_or_b32 exec_lo, exec_lo, s28
	s_and_saveexec_b32 s28, s18
	s_cbranch_execz .LBB53_209
.LBB53_275:                             ;   in Loop: Header=BB53_12 Depth=1
	s_waitcnt lgkmcnt(9)
	global_store_b16 v[0:1], v11, off offset:384
	s_or_b32 exec_lo, exec_lo, s28
	s_and_saveexec_b32 s28, s19
	s_cbranch_execz .LBB53_210
.LBB53_276:                             ;   in Loop: Header=BB53_12 Depth=1
	s_waitcnt lgkmcnt(8)
	global_store_b16 v[0:1], v10, off offset:448
	s_or_b32 exec_lo, exec_lo, s28
	s_and_saveexec_b32 s28, s20
	s_cbranch_execz .LBB53_211
.LBB53_277:                             ;   in Loop: Header=BB53_12 Depth=1
	s_waitcnt lgkmcnt(7)
	global_store_b16 v[0:1], v9, off offset:512
	s_or_b32 exec_lo, exec_lo, s28
	s_and_saveexec_b32 s28, s21
	s_cbranch_execz .LBB53_212
.LBB53_278:                             ;   in Loop: Header=BB53_12 Depth=1
	s_waitcnt lgkmcnt(6)
	global_store_b16 v[0:1], v8, off offset:576
	s_or_b32 exec_lo, exec_lo, s28
	s_and_saveexec_b32 s28, s22
	s_cbranch_execz .LBB53_213
.LBB53_279:                             ;   in Loop: Header=BB53_12 Depth=1
	s_waitcnt lgkmcnt(5)
	global_store_b16 v[0:1], v7, off offset:640
	s_or_b32 exec_lo, exec_lo, s28
	s_and_saveexec_b32 s28, s23
	s_cbranch_execz .LBB53_214
.LBB53_280:                             ;   in Loop: Header=BB53_12 Depth=1
	s_waitcnt lgkmcnt(4)
	global_store_b16 v[0:1], v6, off offset:704
	s_or_b32 exec_lo, exec_lo, s28
	s_and_saveexec_b32 s28, s24
	s_cbranch_execz .LBB53_215
.LBB53_281:                             ;   in Loop: Header=BB53_12 Depth=1
	s_waitcnt lgkmcnt(3)
	global_store_b16 v[0:1], v5, off offset:768
	s_or_b32 exec_lo, exec_lo, s28
	s_and_saveexec_b32 s28, s25
	s_cbranch_execz .LBB53_216
.LBB53_282:                             ;   in Loop: Header=BB53_12 Depth=1
	s_waitcnt lgkmcnt(2)
	global_store_b16 v[0:1], v4, off offset:832
	s_or_b32 exec_lo, exec_lo, s28
	s_and_saveexec_b32 s28, s26
	s_cbranch_execz .LBB53_217
.LBB53_283:                             ;   in Loop: Header=BB53_12 Depth=1
	s_waitcnt lgkmcnt(1)
	global_store_b16 v[0:1], v3, off offset:896
	s_or_b32 exec_lo, exec_lo, s28
	s_and_saveexec_b32 s28, s27
	s_cbranch_execnz .LBB53_218
	s_branch .LBB53_219
.LBB53_284:                             ;   in Loop: Header=BB53_12 Depth=1
	ds_load_u16 v17, v37
	s_waitcnt lgkmcnt(0)
	global_store_b16 v[0:1], v17, off
	s_or_b32 exec_lo, exec_lo, s28
	s_and_saveexec_b32 s12, s13
	s_cbranch_execz .LBB53_253
.LBB53_285:                             ;   in Loop: Header=BB53_12 Depth=1
	s_waitcnt lgkmcnt(14)
	global_store_b16 v[0:1], v16, off offset:64
	s_or_b32 exec_lo, exec_lo, s12
	s_and_saveexec_b32 s12, s14
	s_cbranch_execz .LBB53_254
.LBB53_286:                             ;   in Loop: Header=BB53_12 Depth=1
	s_waitcnt lgkmcnt(13)
	global_store_b16 v[0:1], v15, off offset:128
	s_or_b32 exec_lo, exec_lo, s12
	s_and_saveexec_b32 s12, s15
	s_cbranch_execz .LBB53_255
.LBB53_287:                             ;   in Loop: Header=BB53_12 Depth=1
	s_waitcnt lgkmcnt(12)
	global_store_b16 v[0:1], v14, off offset:192
	s_or_b32 exec_lo, exec_lo, s12
	s_and_saveexec_b32 s12, s16
	s_cbranch_execz .LBB53_256
.LBB53_288:                             ;   in Loop: Header=BB53_12 Depth=1
	s_waitcnt lgkmcnt(11)
	global_store_b16 v[0:1], v13, off offset:256
	s_or_b32 exec_lo, exec_lo, s12
	s_and_saveexec_b32 s12, s17
	s_cbranch_execz .LBB53_257
.LBB53_289:                             ;   in Loop: Header=BB53_12 Depth=1
	s_waitcnt lgkmcnt(10)
	global_store_b16 v[0:1], v12, off offset:320
	s_or_b32 exec_lo, exec_lo, s12
	s_and_saveexec_b32 s12, s18
	s_cbranch_execz .LBB53_258
.LBB53_290:                             ;   in Loop: Header=BB53_12 Depth=1
	s_waitcnt lgkmcnt(9)
	global_store_b16 v[0:1], v11, off offset:384
	s_or_b32 exec_lo, exec_lo, s12
	s_and_saveexec_b32 s12, s19
	s_cbranch_execz .LBB53_259
.LBB53_291:                             ;   in Loop: Header=BB53_12 Depth=1
	s_waitcnt lgkmcnt(8)
	global_store_b16 v[0:1], v10, off offset:448
	s_or_b32 exec_lo, exec_lo, s12
	s_and_saveexec_b32 s12, s20
	s_cbranch_execz .LBB53_260
.LBB53_292:                             ;   in Loop: Header=BB53_12 Depth=1
	s_waitcnt lgkmcnt(7)
	global_store_b16 v[0:1], v9, off offset:512
	s_or_b32 exec_lo, exec_lo, s12
	s_and_saveexec_b32 s12, s21
	s_cbranch_execz .LBB53_261
.LBB53_293:                             ;   in Loop: Header=BB53_12 Depth=1
	s_waitcnt lgkmcnt(6)
	global_store_b16 v[0:1], v8, off offset:576
	s_or_b32 exec_lo, exec_lo, s12
	s_and_saveexec_b32 s12, s22
	s_cbranch_execz .LBB53_262
.LBB53_294:                             ;   in Loop: Header=BB53_12 Depth=1
	s_waitcnt lgkmcnt(5)
	global_store_b16 v[0:1], v7, off offset:640
	s_or_b32 exec_lo, exec_lo, s12
	s_and_saveexec_b32 s12, s23
	s_cbranch_execz .LBB53_263
.LBB53_295:                             ;   in Loop: Header=BB53_12 Depth=1
	s_waitcnt lgkmcnt(4)
	global_store_b16 v[0:1], v6, off offset:704
	s_or_b32 exec_lo, exec_lo, s12
	s_and_saveexec_b32 s12, s24
	s_cbranch_execz .LBB53_264
.LBB53_296:                             ;   in Loop: Header=BB53_12 Depth=1
	s_waitcnt lgkmcnt(3)
	global_store_b16 v[0:1], v5, off offset:768
	s_or_b32 exec_lo, exec_lo, s12
	s_and_saveexec_b32 s12, s25
	s_cbranch_execz .LBB53_265
.LBB53_297:                             ;   in Loop: Header=BB53_12 Depth=1
	s_waitcnt lgkmcnt(2)
	global_store_b16 v[0:1], v4, off offset:832
	s_or_b32 exec_lo, exec_lo, s12
	s_and_saveexec_b32 s12, s26
	s_cbranch_execz .LBB53_266
.LBB53_298:                             ;   in Loop: Header=BB53_12 Depth=1
	s_waitcnt lgkmcnt(1)
	global_store_b16 v[0:1], v3, off offset:896
	s_or_b32 exec_lo, exec_lo, s12
	s_and_saveexec_b32 s12, s27
	s_cbranch_execz .LBB53_11
.LBB53_299:                             ;   in Loop: Header=BB53_12 Depth=1
	s_waitcnt lgkmcnt(0)
	global_store_b16 v[0:1], v2, off offset:960
	s_branch .LBB53_11
.LBB53_300:
	s_nop 0
	s_sendmsg sendmsg(MSG_DEALLOC_VGPRS)
	s_endpgm
	.section	.rodata,"a",@progbits
	.p2align	6, 0x0
	.amdhsa_kernel _Z25selective_scan_fwd_kernelI32Selective_Scan_fwd_kernel_traitsILi64ELi16ELi1ELb0ELb1ELb1ELb1ELb0EN3c108BFloat16EffEEv13SSMParamsBase
		.amdhsa_group_segment_fixed_size 0
		.amdhsa_private_segment_fixed_size 0
		.amdhsa_kernarg_size 248
		.amdhsa_user_sgpr_count 14
		.amdhsa_user_sgpr_dispatch_ptr 0
		.amdhsa_user_sgpr_queue_ptr 0
		.amdhsa_user_sgpr_kernarg_segment_ptr 1
		.amdhsa_user_sgpr_dispatch_id 0
		.amdhsa_user_sgpr_private_segment_size 0
		.amdhsa_wavefront_size32 1
		.amdhsa_uses_dynamic_stack 0
		.amdhsa_enable_private_segment 0
		.amdhsa_system_sgpr_workgroup_id_x 1
		.amdhsa_system_sgpr_workgroup_id_y 1
		.amdhsa_system_sgpr_workgroup_id_z 0
		.amdhsa_system_sgpr_workgroup_info 0
		.amdhsa_system_vgpr_workitem_id 0
		.amdhsa_next_free_vgpr 176
		.amdhsa_next_free_sgpr 92
		.amdhsa_reserve_vcc 1
		.amdhsa_float_round_mode_32 0
		.amdhsa_float_round_mode_16_64 0
		.amdhsa_float_denorm_mode_32 3
		.amdhsa_float_denorm_mode_16_64 3
		.amdhsa_dx10_clamp 1
		.amdhsa_ieee_mode 1
		.amdhsa_fp16_overflow 0
		.amdhsa_workgroup_processor_mode 1
		.amdhsa_memory_ordered 1
		.amdhsa_forward_progress 0
		.amdhsa_shared_vgpr_count 0
		.amdhsa_exception_fp_ieee_invalid_op 0
		.amdhsa_exception_fp_denorm_src 0
		.amdhsa_exception_fp_ieee_div_zero 0
		.amdhsa_exception_fp_ieee_overflow 0
		.amdhsa_exception_fp_ieee_underflow 0
		.amdhsa_exception_fp_ieee_inexact 0
		.amdhsa_exception_int_div_zero 0
	.end_amdhsa_kernel
	.section	.text._Z25selective_scan_fwd_kernelI32Selective_Scan_fwd_kernel_traitsILi64ELi16ELi1ELb0ELb1ELb1ELb1ELb0EN3c108BFloat16EffEEv13SSMParamsBase,"axG",@progbits,_Z25selective_scan_fwd_kernelI32Selective_Scan_fwd_kernel_traitsILi64ELi16ELi1ELb0ELb1ELb1ELb1ELb0EN3c108BFloat16EffEEv13SSMParamsBase,comdat
.Lfunc_end53:
	.size	_Z25selective_scan_fwd_kernelI32Selective_Scan_fwd_kernel_traitsILi64ELi16ELi1ELb0ELb1ELb1ELb1ELb0EN3c108BFloat16EffEEv13SSMParamsBase, .Lfunc_end53-_Z25selective_scan_fwd_kernelI32Selective_Scan_fwd_kernel_traitsILi64ELi16ELi1ELb0ELb1ELb1ELb1ELb0EN3c108BFloat16EffEEv13SSMParamsBase
                                        ; -- End function
	.section	.AMDGPU.csdata,"",@progbits
; Kernel info:
; codeLenInByte = 26988
; NumSgprs: 94
; NumVgprs: 176
; ScratchSize: 0
; MemoryBound: 0
; FloatMode: 240
; IeeeMode: 1
; LDSByteSize: 0 bytes/workgroup (compile time only)
; SGPRBlocks: 11
; VGPRBlocks: 21
; NumSGPRsForWavesPerEU: 94
; NumVGPRsForWavesPerEU: 176
; Occupancy: 8
; WaveLimiterHint : 0
; COMPUTE_PGM_RSRC2:SCRATCH_EN: 0
; COMPUTE_PGM_RSRC2:USER_SGPR: 14
; COMPUTE_PGM_RSRC2:TRAP_HANDLER: 0
; COMPUTE_PGM_RSRC2:TGID_X_EN: 1
; COMPUTE_PGM_RSRC2:TGID_Y_EN: 1
; COMPUTE_PGM_RSRC2:TGID_Z_EN: 0
; COMPUTE_PGM_RSRC2:TIDIG_COMP_CNT: 0
	.section	.text._Z25selective_scan_fwd_kernelI32Selective_Scan_fwd_kernel_traitsILi64ELi16ELi1ELb0ELb1ELb1ELb0ELb1EN3c108BFloat16EffEEv13SSMParamsBase,"axG",@progbits,_Z25selective_scan_fwd_kernelI32Selective_Scan_fwd_kernel_traitsILi64ELi16ELi1ELb0ELb1ELb1ELb0ELb1EN3c108BFloat16EffEEv13SSMParamsBase,comdat
	.protected	_Z25selective_scan_fwd_kernelI32Selective_Scan_fwd_kernel_traitsILi64ELi16ELi1ELb0ELb1ELb1ELb0ELb1EN3c108BFloat16EffEEv13SSMParamsBase ; -- Begin function _Z25selective_scan_fwd_kernelI32Selective_Scan_fwd_kernel_traitsILi64ELi16ELi1ELb0ELb1ELb1ELb0ELb1EN3c108BFloat16EffEEv13SSMParamsBase
	.globl	_Z25selective_scan_fwd_kernelI32Selective_Scan_fwd_kernel_traitsILi64ELi16ELi1ELb0ELb1ELb1ELb0ELb1EN3c108BFloat16EffEEv13SSMParamsBase
	.p2align	8
	.type	_Z25selective_scan_fwd_kernelI32Selective_Scan_fwd_kernel_traitsILi64ELi16ELi1ELb0ELb1ELb1ELb0ELb1EN3c108BFloat16EffEEv13SSMParamsBase,@function
_Z25selective_scan_fwd_kernelI32Selective_Scan_fwd_kernel_traitsILi64ELi16ELi1ELb0ELb1ELb1ELb0ELb1EN3c108BFloat16EffEEv13SSMParamsBase: ; @_Z25selective_scan_fwd_kernelI32Selective_Scan_fwd_kernel_traitsILi64ELi16ELi1ELb0ELb1ELb1ELb0ELb1EN3c108BFloat16EffEEv13SSMParamsBase
; %bb.0:
	s_clause 0x2
	s_load_b32 s34, s[0:1], 0x18
	s_load_b128 s[4:7], s[0:1], 0xe0
	s_load_b64 s[10:11], s[0:1], 0xf0
	s_mov_b32 s12, s15
	s_ashr_i32 s15, s14, 31
	s_mov_b32 s47, 0
	s_lshl_b64 s[8:9], s[14:15], 2
	s_waitcnt lgkmcnt(0)
	s_abs_i32 s33, s34
	s_add_u32 s2, s4, s8
	v_cvt_f32_u32_e32 v1, s33
	s_addc_u32 s3, s5, s9
	s_cmp_eq_u64 s[10:11], 0
	s_delay_alu instid0(VALU_DEP_1) | instskip(SKIP_2) | instid1(VALU_DEP_1)
	v_rcp_iflag_f32_e32 v1, v1
	s_waitcnt_depctr 0xfff
	v_mul_f32_e32 v1, 0x4f7ffffe, v1
	v_cvt_u32_f32_e32 v1, v1
	s_delay_alu instid0(VALU_DEP_1)
	v_readfirstlane_b32 s35, v1
	s_cbranch_scc1 .LBB54_2
; %bb.1:
	v_mov_b32_e32 v1, 0
	s_add_u32 s4, s10, s14
	s_addc_u32 s5, s11, s15
	global_load_u8 v1, v1, s[4:5]
	s_waitcnt vmcnt(0)
	v_and_b32_e32 v1, 1, v1
	s_delay_alu instid0(VALU_DEP_1)
	v_cmp_eq_u32_e64 s47, 1, v1
.LBB54_2:
	s_load_b64 s[4:5], s[0:1], 0x20
	s_cmp_eq_u64 s[6:7], 0
	s_cbranch_scc1 .LBB54_4
; %bb.3:
	s_add_u32 s6, s6, s8
	s_addc_u32 s7, s7, s9
	s_load_b32 s14, s[6:7], 0x0
	s_waitcnt lgkmcnt(0)
	s_ashr_i32 s15, s14, 31
.LBB54_4:
	s_waitcnt lgkmcnt(0)
	s_cmp_eq_u64 s[4:5], s[14:15]
	s_cbranch_scc1 .LBB54_236
; %bb.5:
	s_load_b512 s[16:31], s[0:1], 0x88
	s_load_b64 s[10:11], s[2:3], 0x0
	s_mov_b32 s66, 0
	s_mov_b32 s67, 0
	s_waitcnt lgkmcnt(0)
	s_cmp_eq_u64 s[22:23], 0
	s_cbranch_scc1 .LBB54_7
; %bb.6:
	s_ashr_i32 s13, s12, 31
	s_delay_alu instid0(SALU_CYCLE_1) | instskip(NEXT) | instid1(SALU_CYCLE_1)
	s_lshl_b64 s[2:3], s[12:13], 2
	s_add_u32 s2, s22, s2
	s_addc_u32 s3, s23, s3
	s_load_b32 s67, s[2:3], 0x0
.LBB54_7:
	s_cmp_eq_u64 s[28:29], 0
	s_cbranch_scc1 .LBB54_9
; %bb.8:
	s_ashr_i32 s13, s12, 31
	s_delay_alu instid0(SALU_CYCLE_1) | instskip(NEXT) | instid1(SALU_CYCLE_1)
	s_lshl_b64 s[2:3], s[12:13], 2
	s_add_u32 s2, s28, s2
	s_addc_u32 s3, s29, s3
	s_load_b32 s66, s[2:3], 0x0
.LBB54_9:
	s_sub_i32 s68, s11, s10
	s_delay_alu instid0(SALU_CYCLE_1)
	s_cmp_lt_i32 s68, 1
	s_cbranch_scc1 .LBB54_236
; %bb.10:
	s_sub_i32 s2, 0, s33
	s_abs_i32 s5, s12
	s_mul_i32 s4, s2, s35
	s_clause 0x1
	s_load_b64 s[2:3], s[0:1], 0x5c
	s_load_b128 s[56:59], s[0:1], 0x4c
	s_mul_hi_u32 s4, s35, s4
	s_ashr_i32 s7, s34, 31
	s_add_i32 s35, s35, s4
	s_ashr_i32 s4, s12, 31
	s_mul_hi_u32 s6, s5, s35
	s_xor_b32 s7, s4, s7
	s_mul_i32 s8, s6, s33
	s_load_b256 s[48:55], s[0:1], 0x2c
	s_sub_i32 s4, s5, s8
	s_add_i32 s5, s6, 1
	s_sub_i32 s8, s4, s33
	s_cmp_ge_u32 s4, s33
	s_mov_b32 s65, 0
	s_cselect_b32 s5, s5, s6
	s_cselect_b32 s4, s8, s4
	s_add_i32 s6, s5, 1
	s_cmp_ge_u32 s4, s33
	s_load_b128 s[60:63], s[0:1], 0x7c
	s_cselect_b32 s4, s6, s5
	s_waitcnt lgkmcnt(0)
	s_mul_i32 s64, s10, s58
	s_xor_b32 s6, s4, s7
	s_lshl_b64 s[4:5], s[64:65], 1
	s_sub_i32 s6, s6, s7
	s_mul_i32 s64, s59, s12
	s_add_u32 s7, s24, s4
	s_addc_u32 s8, s25, s5
	s_lshl_b64 s[4:5], s[64:65], 1
	s_mul_i32 s64, s10, s2
	s_add_u32 s69, s7, s4
	s_addc_u32 s70, s8, s5
	s_lshl_b64 s[4:5], s[64:65], 1
	;; [unrolled: 4-line block ×3, first 2 shown]
	v_dual_mov_b32 v21, 0 :: v_dual_lshlrev_b32 v18, 4, v0
	s_add_u32 s71, s4, s2
	s_mul_i32 s64, s48, s12
	s_addc_u32 s48, s5, s3
	s_load_b64 s[4:5], s[0:1], 0xc8
	s_lshl_b64 s[2:3], s[64:65], 2
	v_mbcnt_lo_u32_b32 v19, -1, 0
	v_and_b32_e32 v1, 0x200, v18
	s_mul_i32 s64, s10, s50
	s_add_u32 s72, s16, s2
	s_addc_u32 s63, s17, s3
	s_lshl_b64 s[2:3], s[64:65], 1
	s_mul_i32 s64, s6, s53
	s_clause 0x2
	s_load_b64 s[16:17], s[0:1], 0x6c
	s_load_b32 s77, s[0:1], 0xc
	s_load_b32 s0, s[0:1], 0x28
	s_add_u32 s7, s18, s2
	v_or_b32_e32 v20, v19, v1
	s_addc_u32 s8, s19, s3
	s_lshl_b64 s[2:3], s[64:65], 1
	s_mul_i32 s64, s10, s54
	s_add_u32 s53, s7, s2
	s_addc_u32 s73, s8, s3
	s_lshl_b64 s[2:3], s[64:65], 1
	s_mul_i32 s64, s6, s57
	v_or_b32_e32 v24, 0x60, v20
	v_and_b32_e32 v14, 32, v0
	s_add_u32 s7, s20, s2
	s_addc_u32 s6, s21, s3
	s_lshl_b64 s[2:3], s[64:65], 1
	s_mul_i32 s64, s14, s60
	s_add_u32 s57, s7, s2
	s_addc_u32 s74, s6, s3
	s_lshl_b64 s[2:3], s[64:65], 2
	v_or_b32_e32 v26, 0xa0, v20
	v_or_b32_e32 v28, 0xe0, v20
	;; [unrolled: 1-line block ×5, first 2 shown]
	v_lshrrev_b32_e32 v2, 5, v24
	v_or_b32_e32 v36, 0x1e0, v20
	v_or_b32_e32 v16, v19, v14
	s_mul_i32 s64, s61, s12
	s_waitcnt lgkmcnt(0)
	s_add_u32 s4, s4, s2
	s_addc_u32 s5, s5, s3
	s_lshl_b64 s[2:3], s[64:65], 2
	v_or_b32_e32 v23, 64, v20
	s_add_u32 s75, s4, s2
	v_or_b32_e32 v25, 0x80, v20
	v_or_b32_e32 v27, 0xc0, v20
	;; [unrolled: 1-line block ×6, first 2 shown]
	v_and_b32_e32 v2, 18, v2
	v_lshrrev_b32_e32 v5, 5, v26
	v_lshrrev_b32_e32 v8, 5, v28
	;; [unrolled: 1-line block ×6, first 2 shown]
	v_lshrrev_b16 v50, 1, v16
	s_addc_u32 s76, s5, s3
	s_add_i32 s2, s68, 0x7ff
	v_lshrrev_b32_e32 v3, 5, v1
	s_lshr_b32 s78, s2, 11
	s_bitcmp1_b32 s0, 0
	v_lshrrev_b32_e32 v4, 5, v23
	v_lshrrev_b32_e32 v6, 5, v25
	v_add_lshl_u32 v2, v2, v20, 1
	v_and_b32_e32 v5, 20, v5
	v_lshrrev_b32_e32 v7, 5, v27
	v_and_b32_e32 v8, 22, v8
	v_lshrrev_b32_e32 v10, 5, v29
	;; [unrolled: 2-line block ×5, first 2 shown]
	v_and_b32_e32 v51, 30, v49
	v_lshlrev_b32_e32 v16, 4, v16
	v_and_b32_e32 v52, 30, v50
	s_cselect_b32 s79, -1, 0
	s_cmp_gt_i32 s77, 0
	v_add_lshl_u32 v3, v3, v20, 1
	s_cselect_b32 s80, -1, 0
	s_add_i32 s0, 0, 0x840
	v_add_lshl_u32 v4, v4, v20, 1
	v_add_lshl_u32 v6, v6, v20, 1
	v_add_nc_u32_e32 v39, 0, v2
	v_add_lshl_u32 v5, v5, v20, 1
	v_add_lshl_u32 v7, v7, v20, 1
	v_add_lshl_u32 v8, v8, v20, 1
	v_add_lshl_u32 v10, v10, v20, 1
	v_add_lshl_u32 v9, v9, v20, 1
	v_add_lshl_u32 v12, v12, v20, 1
	v_add_lshl_u32 v11, v11, v20, 1
	v_add_lshl_u32 v13, v13, v20, 1
	v_add_lshl_u32 v15, v15, v20, 1
	v_add_lshl_u32 v17, v17, v20, 1
	v_add_lshl_u32 v67, v51, v20, 1
	v_add_lshl_u32 v16, v52, v16, 1
	v_add_nc_u32_e32 v55, s0, v2
	v_and_b32_e32 v2, 15, v19
	s_and_b32 s1, s68, 0x3ff
	v_add_nc_u32_e32 v51, 0, v67
	v_add_nc_u32_e32 v53, s0, v3
	;; [unrolled: 1-line block ×15, first 2 shown]
	s_cmp_eq_u32 s1, 0
	v_add_nc_u32_e32 v68, s0, v16
	v_cmp_ne_u32_e64 s0, 0, v2
	v_cmp_lt_u32_e64 s1, 1, v2
	v_cmp_lt_u32_e64 s2, 3, v2
	v_cmp_lt_u32_e64 s3, 7, v2
	v_add_nc_u32_e32 v2, -1, v19
	v_add_nc_u32_e32 v37, 0, v3
	v_lshrrev_b32_e32 v3, 2, v0
	v_add_nc_u32_e32 v41, 0, v5
	v_or_b32_e32 v5, 31, v14
	v_cmp_gt_i32_e32 vcc_lo, 0, v2
	s_mul_i32 s64, s10, s16
	v_and_b32_e32 v3, 8, v3
	s_cselect_b32 s81, -1, 0
	s_lshl_b64 s[14:15], s[64:65], 1
	v_cndmask_b32_e32 v2, v2, v19, vcc_lo
	s_add_i32 s82, s78, -1
	s_mul_i32 s64, s17, s12
	v_cmp_eq_u32_e64 s5, v5, v0
	v_cmp_gt_u32_e64 s6, 2, v0
	v_lshl_add_u32 v70, v0, 3, 0
	v_cmp_gt_u32_e64 s8, 32, v0
	v_cmp_lt_u32_e64 s9, 31, v0
	v_cmp_eq_u32_e64 s10, 0, v0
	s_add_u32 s11, s30, s14
	v_lshlrev_b32_e32 v0, 1, v19
	s_addc_u32 s14, s31, s15
	s_lshl_b64 s[12:13], s[64:65], 1
	v_add_nc_u32_e32 v69, 0, v3
	v_and_b32_e32 v3, 1, v19
	s_add_u32 s11, s11, s12
	v_lshlrev_b32_e32 v71, 2, v2
	s_addc_u32 s12, s14, s13
	v_lshlrev_b32_e32 v2, 1, v1
	v_add_co_u32 v0, s11, s11, v0
	v_add_nc_u32_e32 v38, 0, v4
	v_and_b32_e32 v4, 16, v19
	v_cmp_eq_u32_e64 s7, 0, v3
	v_add_co_ci_u32_e64 v3, null, s12, 0, s11
	v_add_co_u32 v72, vcc_lo, v0, v2
	v_or_b32_e32 v22, 32, v20
	v_add_nc_u32_e32 v40, 0, v6
	v_add_nc_u32_e32 v42, 0, v7
	;; [unrolled: 1-line block ×11, first 2 shown]
	v_cmp_ne_u32_e64 s4, 0, v4
	v_cmp_eq_u32_e64 s11, 0, v19
	v_add_co_ci_u32_e32 v73, vcc_lo, 0, v3, vcc_lo
	v_or_b32_e32 v74, 1, v18
	v_or_b32_e32 v75, 2, v18
	;; [unrolled: 1-line block ×15, first 2 shown]
	v_lshlrev_b32_e32 v89, 1, v1
	s_mov_b32 s83, 0x3e9b6dac
	s_add_i32 s84, 0, 0x1090
	s_mov_b32 s85, 0
	s_branch .LBB54_12
.LBB54_11:                              ;   in Loop: Header=BB54_12 Depth=1
	s_or_b32 exec_lo, exec_lo, s12
	s_add_u32 s71, s71, 0x800
	s_addc_u32 s48, s48, 0
	s_add_u32 s69, s69, 0x800
	s_addc_u32 s70, s70, 0
	;; [unrolled: 2-line block ×4, first 2 shown]
	s_add_i32 s85, s85, 1
	s_delay_alu instid0(SALU_CYCLE_1)
	s_cmp_eq_u32 s85, s78
	s_cbranch_scc1 .LBB54_236
.LBB54_12:                              ; =>This Loop Header: Depth=1
                                        ;     Child Loop BB54_109 Depth 2
	s_waitcnt lgkmcnt(14)
	v_lshlrev_b32_e32 v16, 1, v19
	s_lshl_b32 s50, s85, 10
	s_waitcnt lgkmcnt(0)
	v_mov_b32_e32 v2, 0
	s_sub_i32 s40, s68, s50
	v_add_co_u32 v0, s12, s69, v16
	s_delay_alu instid0(VALU_DEP_1) | instskip(SKIP_1) | instid1(VALU_DEP_3)
	v_add_co_ci_u32_e64 v1, null, s70, 0, s12
	v_cmp_gt_u32_e64 s12, s40, v20
	v_add_co_u32 v0, vcc_lo, v0, v89
	s_delay_alu instid0(VALU_DEP_3)
	v_add_co_ci_u32_e32 v1, vcc_lo, 0, v1, vcc_lo
	s_waitcnt_vscnt null, 0x0
	s_barrier
	buffer_gl0_inv
	s_and_saveexec_b32 s13, s12
	s_cbranch_execz .LBB54_14
; %bb.13:                               ;   in Loop: Header=BB54_12 Depth=1
	global_load_u16 v2, v[0:1], off
.LBB54_14:                              ;   in Loop: Header=BB54_12 Depth=1
	s_or_b32 exec_lo, exec_lo, s13
	v_cmp_gt_u32_e64 s13, s40, v22
	v_dual_mov_b32 v3, 0 :: v_dual_mov_b32 v4, 0
	s_delay_alu instid0(VALU_DEP_2)
	s_and_saveexec_b32 s14, s13
	s_cbranch_execz .LBB54_16
; %bb.15:                               ;   in Loop: Header=BB54_12 Depth=1
	global_load_u16 v4, v[0:1], off offset:64
.LBB54_16:                              ;   in Loop: Header=BB54_12 Depth=1
	s_or_b32 exec_lo, exec_lo, s14
	v_cmp_gt_u32_e64 s14, s40, v23
	s_delay_alu instid0(VALU_DEP_1)
	s_and_saveexec_b32 s15, s14
	s_cbranch_execz .LBB54_18
; %bb.17:                               ;   in Loop: Header=BB54_12 Depth=1
	global_load_u16 v3, v[0:1], off offset:128
.LBB54_18:                              ;   in Loop: Header=BB54_12 Depth=1
	s_or_b32 exec_lo, exec_lo, s15
	v_cmp_gt_u32_e64 s15, s40, v24
	v_dual_mov_b32 v5, 0 :: v_dual_mov_b32 v6, 0
	s_delay_alu instid0(VALU_DEP_2)
	s_and_saveexec_b32 s16, s15
	s_cbranch_execz .LBB54_20
; %bb.19:                               ;   in Loop: Header=BB54_12 Depth=1
	global_load_u16 v6, v[0:1], off offset:192
.LBB54_20:                              ;   in Loop: Header=BB54_12 Depth=1
	s_or_b32 exec_lo, exec_lo, s16
	v_cmp_gt_u32_e64 s16, s40, v25
	s_delay_alu instid0(VALU_DEP_1)
	s_and_saveexec_b32 s17, s16
	s_cbranch_execz .LBB54_22
; %bb.21:                               ;   in Loop: Header=BB54_12 Depth=1
	global_load_u16 v5, v[0:1], off offset:256
.LBB54_22:                              ;   in Loop: Header=BB54_12 Depth=1
	;; [unrolled: 17-line block ×3, first 2 shown]
	s_or_b32 exec_lo, exec_lo, s19
	v_cmp_gt_u32_e64 s19, s40, v28
	v_mov_b32_e32 v9, 0
	v_mov_b32_e32 v11, 0
	s_delay_alu instid0(VALU_DEP_3)
	s_and_saveexec_b32 s20, s19
	s_cbranch_execz .LBB54_28
; %bb.27:                               ;   in Loop: Header=BB54_12 Depth=1
	global_load_u16 v11, v[0:1], off offset:448
.LBB54_28:                              ;   in Loop: Header=BB54_12 Depth=1
	s_or_b32 exec_lo, exec_lo, s20
	v_cmp_gt_u32_e64 s20, s40, v29
	s_delay_alu instid0(VALU_DEP_1)
	s_and_saveexec_b32 s21, s20
	s_cbranch_execz .LBB54_30
; %bb.29:                               ;   in Loop: Header=BB54_12 Depth=1
	global_load_u16 v9, v[0:1], off offset:512
.LBB54_30:                              ;   in Loop: Header=BB54_12 Depth=1
	s_or_b32 exec_lo, exec_lo, s21
	v_cmp_gt_u32_e64 s21, s40, v30
	v_dual_mov_b32 v12, 0 :: v_dual_mov_b32 v13, 0
	s_delay_alu instid0(VALU_DEP_2)
	s_and_saveexec_b32 s22, s21
	s_cbranch_execz .LBB54_32
; %bb.31:                               ;   in Loop: Header=BB54_12 Depth=1
	global_load_u16 v13, v[0:1], off offset:576
.LBB54_32:                              ;   in Loop: Header=BB54_12 Depth=1
	s_or_b32 exec_lo, exec_lo, s22
	v_cmp_gt_u32_e64 s22, s40, v31
	s_delay_alu instid0(VALU_DEP_1)
	s_and_saveexec_b32 s23, s22
	s_cbranch_execz .LBB54_34
; %bb.33:                               ;   in Loop: Header=BB54_12 Depth=1
	global_load_u16 v12, v[0:1], off offset:640
.LBB54_34:                              ;   in Loop: Header=BB54_12 Depth=1
	s_or_b32 exec_lo, exec_lo, s23
	v_cmp_gt_u32_e64 s23, s40, v32
	v_dual_mov_b32 v14, 0 :: v_dual_mov_b32 v15, 0
	s_delay_alu instid0(VALU_DEP_2)
	;; [unrolled: 17-line block ×4, first 2 shown]
	s_and_saveexec_b32 s28, s27
	s_cbranch_execz .LBB54_44
; %bb.43:                               ;   in Loop: Header=BB54_12 Depth=1
	global_load_u16 v91, v[0:1], off offset:960
.LBB54_44:                              ;   in Loop: Header=BB54_12 Depth=1
	s_or_b32 exec_lo, exec_lo, s28
	s_waitcnt vmcnt(0)
	ds_store_b16 v37, v2
	ds_store_b16 v37, v4 offset:64
	ds_store_b16 v38, v3 offset:128
	;; [unrolled: 1-line block ×15, first 2 shown]
	; wave barrier
	ds_load_b128 v[0:3], v52
	ds_load_b128 v[4:7], v52 offset:16
	v_add_co_u32 v8, s28, s71, v16
	s_delay_alu instid0(VALU_DEP_1) | instskip(SKIP_1) | instid1(VALU_DEP_2)
	v_add_co_ci_u32_e64 v9, null, s48, 0, s28
	s_waitcnt lgkmcnt(0)
	v_add_co_u32 v8, vcc_lo, v8, v89
	s_delay_alu instid0(VALU_DEP_2)
	v_add_co_ci_u32_e32 v9, vcc_lo, 0, v9, vcc_lo
	s_barrier
	buffer_gl0_inv
	s_and_saveexec_b32 s28, s12
	s_cbranch_execz .LBB54_46
; %bb.45:                               ;   in Loop: Header=BB54_12 Depth=1
	global_load_u16 v10, v[8:9], off
.LBB54_46:                              ;   in Loop: Header=BB54_12 Depth=1
	s_or_b32 exec_lo, exec_lo, s28
	v_dual_mov_b32 v11, 0 :: v_dual_mov_b32 v12, 0
	s_and_saveexec_b32 s28, s13
	s_cbranch_execz .LBB54_48
; %bb.47:                               ;   in Loop: Header=BB54_12 Depth=1
	global_load_u16 v12, v[8:9], off offset:64
.LBB54_48:                              ;   in Loop: Header=BB54_12 Depth=1
	s_or_b32 exec_lo, exec_lo, s28
	s_and_saveexec_b32 s28, s14
	s_cbranch_execz .LBB54_50
; %bb.49:                               ;   in Loop: Header=BB54_12 Depth=1
	global_load_u16 v11, v[8:9], off offset:128
.LBB54_50:                              ;   in Loop: Header=BB54_12 Depth=1
	s_or_b32 exec_lo, exec_lo, s28
	v_dual_mov_b32 v13, 0 :: v_dual_mov_b32 v14, 0
	s_and_saveexec_b32 s28, s15
	s_cbranch_execz .LBB54_52
; %bb.51:                               ;   in Loop: Header=BB54_12 Depth=1
	global_load_u16 v14, v[8:9], off offset:192
.LBB54_52:                              ;   in Loop: Header=BB54_12 Depth=1
	s_or_b32 exec_lo, exec_lo, s28
	s_and_saveexec_b32 s28, s16
	s_cbranch_execz .LBB54_54
; %bb.53:                               ;   in Loop: Header=BB54_12 Depth=1
	global_load_u16 v13, v[8:9], off offset:256
.LBB54_54:                              ;   in Loop: Header=BB54_12 Depth=1
	s_or_b32 exec_lo, exec_lo, s28
	v_mov_b32_e32 v15, 0
	v_mov_b32_e32 v17, 0
	s_and_saveexec_b32 s28, s17
	s_cbranch_execz .LBB54_56
; %bb.55:                               ;   in Loop: Header=BB54_12 Depth=1
	global_load_u16 v17, v[8:9], off offset:320
.LBB54_56:                              ;   in Loop: Header=BB54_12 Depth=1
	s_or_b32 exec_lo, exec_lo, s28
	s_and_saveexec_b32 s28, s18
	s_cbranch_execz .LBB54_58
; %bb.57:                               ;   in Loop: Header=BB54_12 Depth=1
	global_load_u16 v15, v[8:9], off offset:384
.LBB54_58:                              ;   in Loop: Header=BB54_12 Depth=1
	s_or_b32 exec_lo, exec_lo, s28
	v_dual_mov_b32 v90, 0 :: v_dual_mov_b32 v91, 0
	s_and_saveexec_b32 s28, s19
	s_cbranch_execz .LBB54_60
; %bb.59:                               ;   in Loop: Header=BB54_12 Depth=1
	global_load_u16 v91, v[8:9], off offset:448
.LBB54_60:                              ;   in Loop: Header=BB54_12 Depth=1
	s_or_b32 exec_lo, exec_lo, s28
	s_and_saveexec_b32 s28, s20
	s_cbranch_execz .LBB54_62
; %bb.61:                               ;   in Loop: Header=BB54_12 Depth=1
	global_load_u16 v90, v[8:9], off offset:512
.LBB54_62:                              ;   in Loop: Header=BB54_12 Depth=1
	s_or_b32 exec_lo, exec_lo, s28
	v_dual_mov_b32 v92, 0 :: v_dual_mov_b32 v93, 0
	;; [unrolled: 13-line block ×4, first 2 shown]
	s_and_saveexec_b32 s28, s25
	s_cbranch_execnz .LBB54_218
; %bb.71:                               ;   in Loop: Header=BB54_12 Depth=1
	s_or_b32 exec_lo, exec_lo, s28
	s_and_saveexec_b32 s28, s26
	s_cbranch_execnz .LBB54_219
.LBB54_72:                              ;   in Loop: Header=BB54_12 Depth=1
	s_or_b32 exec_lo, exec_lo, s28
	v_mov_b32_e32 v98, 0
	s_and_saveexec_b32 s28, s27
	s_cbranch_execz .LBB54_74
.LBB54_73:                              ;   in Loop: Header=BB54_12 Depth=1
	global_load_u16 v98, v[8:9], off offset:960
.LBB54_74:                              ;   in Loop: Header=BB54_12 Depth=1
	s_or_b32 exec_lo, exec_lo, s28
	s_waitcnt vmcnt(0)
	ds_store_b16 v37, v10
	ds_store_b16 v37, v12 offset:64
	ds_store_b16 v38, v11 offset:128
	;; [unrolled: 1-line block ×15, first 2 shown]
	; wave barrier
	ds_load_b128 v[12:15], v52
	ds_load_b128 v[8:11], v52 offset:16
	s_waitcnt lgkmcnt(1)
	v_lshlrev_b32_e32 v17, 16, v12
	s_delay_alu instid0(VALU_DEP_1) | instskip(NEXT) | instid1(VALU_DEP_1)
	v_add_f32_e32 v90, s66, v17
	v_cmp_ge_f32_e32 vcc_lo, 0x41a00000, v90
	s_and_b32 s28, s79, vcc_lo
	s_delay_alu instid0(SALU_CYCLE_1)
	s_and_saveexec_b32 s29, s28
	s_cbranch_execz .LBB54_76
; %bb.75:                               ;   in Loop: Header=BB54_12 Depth=1
	v_mul_f32_e32 v17, 0x3fb8aa3b, v90
	v_cmp_ngt_f32_e32 vcc_lo, 0xc2ce8ed0, v90
	s_delay_alu instid0(VALU_DEP_2) | instskip(SKIP_1) | instid1(VALU_DEP_1)
	v_rndne_f32_e32 v91, v17
	v_fma_f32 v92, 0x3fb8aa3b, v90, -v17
	v_dual_sub_f32 v17, v17, v91 :: v_dual_fmac_f32 v92, 0x32a5705f, v90
	v_cvt_i32_f32_e32 v91, v91
	s_delay_alu instid0(VALU_DEP_2) | instskip(NEXT) | instid1(VALU_DEP_1)
	v_add_f32_e32 v17, v17, v92
	v_exp_f32_e32 v17, v17
	s_waitcnt_depctr 0xfff
	v_ldexp_f32 v17, v17, v91
	s_delay_alu instid0(VALU_DEP_1) | instskip(SKIP_1) | instid1(VALU_DEP_2)
	v_cndmask_b32_e32 v17, 0, v17, vcc_lo
	v_cmp_nlt_f32_e32 vcc_lo, 0x42b17218, v90
	v_cndmask_b32_e32 v17, 0x7f800000, v17, vcc_lo
	s_delay_alu instid0(VALU_DEP_1) | instskip(NEXT) | instid1(VALU_DEP_1)
	v_add_f32_e32 v92, 1.0, v17
	v_cvt_f64_f32_e32 v[90:91], v92
	s_delay_alu instid0(VALU_DEP_1) | instskip(SKIP_1) | instid1(VALU_DEP_1)
	v_frexp_exp_i32_f64_e32 v90, v[90:91]
	v_frexp_mant_f32_e32 v91, v92
	v_cmp_gt_f32_e32 vcc_lo, 0x3f2aaaab, v91
	v_add_f32_e32 v91, -1.0, v92
	s_delay_alu instid0(VALU_DEP_1) | instskip(NEXT) | instid1(VALU_DEP_1)
	v_dual_sub_f32 v94, v91, v92 :: v_dual_sub_f32 v91, v17, v91
	v_add_f32_e32 v94, 1.0, v94
	v_subrev_co_ci_u32_e32 v90, vcc_lo, 0, v90, vcc_lo
	s_delay_alu instid0(VALU_DEP_1) | instskip(SKIP_1) | instid1(VALU_DEP_2)
	v_sub_nc_u32_e32 v93, 0, v90
	v_cvt_f32_i32_e32 v90, v90
	v_ldexp_f32 v92, v92, v93
	v_add_f32_e32 v91, v91, v94
	s_delay_alu instid0(VALU_DEP_1) | instskip(NEXT) | instid1(VALU_DEP_3)
	v_ldexp_f32 v91, v91, v93
	v_add_f32_e32 v95, 1.0, v92
	s_delay_alu instid0(VALU_DEP_1) | instskip(NEXT) | instid1(VALU_DEP_1)
	v_add_f32_e32 v94, -1.0, v95
	v_sub_f32_e32 v94, v92, v94
	v_cmp_eq_f32_e32 vcc_lo, 0x7f800000, v17
	v_cmp_gt_f32_e64 s28, 0x33800000, v17
	s_delay_alu instid0(VALU_DEP_3) | instskip(NEXT) | instid1(VALU_DEP_2)
	v_dual_add_f32 v94, v91, v94 :: v_dual_add_f32 v93, -1.0, v92
	s_or_b32 vcc_lo, s28, vcc_lo
	s_delay_alu instid0(VALU_DEP_1) | instskip(NEXT) | instid1(VALU_DEP_1)
	v_add_f32_e32 v96, 1.0, v93
	v_sub_f32_e32 v92, v92, v96
	s_delay_alu instid0(VALU_DEP_3) | instskip(NEXT) | instid1(VALU_DEP_1)
	v_add_f32_e32 v96, v95, v94
	v_sub_f32_e32 v95, v95, v96
	s_delay_alu instid0(VALU_DEP_3) | instskip(SKIP_1) | instid1(VALU_DEP_2)
	v_add_f32_e32 v91, v91, v92
	v_rcp_f32_e32 v92, v96
	v_add_f32_e32 v94, v94, v95
	s_delay_alu instid0(VALU_DEP_2) | instskip(NEXT) | instid1(VALU_DEP_1)
	v_add_f32_e32 v97, v93, v91
	v_sub_f32_e32 v93, v93, v97
	s_waitcnt_depctr 0xfff
	v_dual_mul_f32 v98, v97, v92 :: v_dual_add_f32 v91, v91, v93
	s_delay_alu instid0(VALU_DEP_1) | instskip(NEXT) | instid1(VALU_DEP_1)
	v_mul_f32_e32 v99, v96, v98
	v_fma_f32 v95, v98, v96, -v99
	s_delay_alu instid0(VALU_DEP_1) | instskip(NEXT) | instid1(VALU_DEP_1)
	v_fmac_f32_e32 v95, v98, v94
	v_add_f32_e32 v100, v99, v95
	s_delay_alu instid0(VALU_DEP_1) | instskip(NEXT) | instid1(VALU_DEP_1)
	v_sub_f32_e32 v101, v97, v100
	v_sub_f32_e32 v97, v97, v101
	;; [unrolled: 1-line block ×3, first 2 shown]
	s_delay_alu instid0(VALU_DEP_2) | instskip(NEXT) | instid1(VALU_DEP_2)
	v_sub_f32_e32 v97, v97, v100
	v_sub_f32_e32 v93, v93, v95
	s_delay_alu instid0(VALU_DEP_2) | instskip(NEXT) | instid1(VALU_DEP_1)
	v_add_f32_e32 v91, v91, v97
	v_add_f32_e32 v91, v93, v91
	s_delay_alu instid0(VALU_DEP_1) | instskip(NEXT) | instid1(VALU_DEP_1)
	v_add_f32_e32 v93, v101, v91
	v_mul_f32_e32 v95, v92, v93
	s_delay_alu instid0(VALU_DEP_1) | instskip(NEXT) | instid1(VALU_DEP_1)
	v_dual_sub_f32 v100, v101, v93 :: v_dual_mul_f32 v97, v96, v95
	v_add_f32_e32 v91, v91, v100
	s_delay_alu instid0(VALU_DEP_2) | instskip(NEXT) | instid1(VALU_DEP_1)
	v_fma_f32 v96, v95, v96, -v97
	v_fmac_f32_e32 v96, v95, v94
	s_delay_alu instid0(VALU_DEP_1) | instskip(NEXT) | instid1(VALU_DEP_1)
	v_add_f32_e32 v94, v97, v96
	v_sub_f32_e32 v99, v93, v94
	v_sub_f32_e32 v97, v94, v97
	s_delay_alu instid0(VALU_DEP_2) | instskip(NEXT) | instid1(VALU_DEP_1)
	v_sub_f32_e32 v93, v93, v99
	v_sub_f32_e32 v93, v93, v94
	s_delay_alu instid0(VALU_DEP_1) | instskip(SKIP_1) | instid1(VALU_DEP_1)
	v_dual_sub_f32 v94, v97, v96 :: v_dual_add_f32 v91, v91, v93
	v_add_f32_e32 v93, v98, v95
	v_dual_add_f32 v91, v94, v91 :: v_dual_sub_f32 v94, v93, v98
	s_delay_alu instid0(VALU_DEP_1) | instskip(NEXT) | instid1(VALU_DEP_1)
	v_add_f32_e32 v91, v99, v91
	v_dual_sub_f32 v94, v95, v94 :: v_dual_mul_f32 v91, v92, v91
	s_delay_alu instid0(VALU_DEP_1) | instskip(NEXT) | instid1(VALU_DEP_1)
	v_add_f32_e32 v91, v94, v91
	v_add_f32_e32 v92, v93, v91
	s_delay_alu instid0(VALU_DEP_1) | instskip(NEXT) | instid1(VALU_DEP_1)
	v_mul_f32_e32 v94, v92, v92
	v_fmaak_f32 v95, s83, v94, 0x3ecc95a3
	v_mul_f32_e32 v96, v92, v94
	s_delay_alu instid0(VALU_DEP_2) | instskip(SKIP_2) | instid1(VALU_DEP_3)
	v_fmaak_f32 v94, v94, v95, 0x3f2aaada
	v_ldexp_f32 v95, v92, 1
	v_sub_f32_e32 v92, v92, v93
	v_mul_f32_e32 v94, v96, v94
	s_delay_alu instid0(VALU_DEP_2) | instskip(NEXT) | instid1(VALU_DEP_2)
	v_dual_mul_f32 v96, 0x3f317218, v90 :: v_dual_sub_f32 v91, v91, v92
	v_add_f32_e32 v93, v95, v94
	s_delay_alu instid0(VALU_DEP_2) | instskip(NEXT) | instid1(VALU_DEP_2)
	v_ldexp_f32 v91, v91, 1
	v_sub_f32_e32 v92, v93, v95
	s_delay_alu instid0(VALU_DEP_4) | instskip(NEXT) | instid1(VALU_DEP_1)
	v_fma_f32 v95, 0x3f317218, v90, -v96
	v_dual_sub_f32 v92, v94, v92 :: v_dual_fmac_f32 v95, 0xb102e308, v90
	s_delay_alu instid0(VALU_DEP_1) | instskip(NEXT) | instid1(VALU_DEP_1)
	v_dual_add_f32 v90, v91, v92 :: v_dual_add_f32 v91, v96, v95
	v_add_f32_e32 v92, v93, v90
	s_delay_alu instid0(VALU_DEP_2) | instskip(NEXT) | instid1(VALU_DEP_2)
	v_sub_f32_e32 v96, v91, v96
	v_dual_add_f32 v94, v91, v92 :: v_dual_sub_f32 v93, v92, v93
	s_delay_alu instid0(VALU_DEP_2) | instskip(NEXT) | instid1(VALU_DEP_2)
	v_sub_f32_e32 v95, v95, v96
	v_sub_f32_e32 v97, v94, v91
	s_delay_alu instid0(VALU_DEP_3) | instskip(NEXT) | instid1(VALU_DEP_2)
	v_sub_f32_e32 v90, v90, v93
	v_sub_f32_e32 v98, v94, v97
	s_delay_alu instid0(VALU_DEP_2) | instskip(NEXT) | instid1(VALU_DEP_2)
	v_dual_sub_f32 v92, v92, v97 :: v_dual_add_f32 v93, v95, v90
	v_sub_f32_e32 v91, v91, v98
	s_delay_alu instid0(VALU_DEP_1) | instskip(NEXT) | instid1(VALU_DEP_3)
	v_add_f32_e32 v91, v92, v91
	v_sub_f32_e32 v92, v93, v95
	s_delay_alu instid0(VALU_DEP_2) | instskip(NEXT) | instid1(VALU_DEP_2)
	v_add_f32_e32 v91, v93, v91
	v_sub_f32_e32 v93, v93, v92
	v_sub_f32_e32 v90, v90, v92
	s_delay_alu instid0(VALU_DEP_2) | instskip(NEXT) | instid1(VALU_DEP_1)
	v_dual_add_f32 v96, v94, v91 :: v_dual_sub_f32 v93, v95, v93
	v_sub_f32_e32 v92, v96, v94
	s_delay_alu instid0(VALU_DEP_1) | instskip(NEXT) | instid1(VALU_DEP_1)
	v_dual_add_f32 v90, v90, v93 :: v_dual_sub_f32 v91, v91, v92
	v_add_f32_e32 v90, v90, v91
	s_delay_alu instid0(VALU_DEP_1) | instskip(NEXT) | instid1(VALU_DEP_1)
	v_add_f32_e32 v90, v96, v90
	v_cndmask_b32_e32 v90, v90, v17, vcc_lo
.LBB54_76:                              ;   in Loop: Header=BB54_12 Depth=1
	s_or_b32 exec_lo, exec_lo, s29
	v_and_b32_e32 v12, 0xffff0000, v12
	s_delay_alu instid0(VALU_DEP_1) | instskip(NEXT) | instid1(VALU_DEP_1)
	v_add_f32_e32 v91, s66, v12
	v_cmp_ge_f32_e32 vcc_lo, 0x41a00000, v91
	s_and_b32 s28, s79, vcc_lo
	s_delay_alu instid0(SALU_CYCLE_1)
	s_and_saveexec_b32 s29, s28
	s_cbranch_execz .LBB54_78
; %bb.77:                               ;   in Loop: Header=BB54_12 Depth=1
	v_mul_f32_e32 v12, 0x3fb8aa3b, v91
	v_cmp_ngt_f32_e32 vcc_lo, 0xc2ce8ed0, v91
	s_delay_alu instid0(VALU_DEP_2) | instskip(SKIP_1) | instid1(VALU_DEP_2)
	v_rndne_f32_e32 v17, v12
	v_fma_f32 v92, 0x3fb8aa3b, v91, -v12
	v_sub_f32_e32 v12, v12, v17
	s_delay_alu instid0(VALU_DEP_2) | instskip(SKIP_1) | instid1(VALU_DEP_2)
	v_fmac_f32_e32 v92, 0x32a5705f, v91
	v_cvt_i32_f32_e32 v17, v17
	v_add_f32_e32 v12, v12, v92
	s_delay_alu instid0(VALU_DEP_1) | instskip(SKIP_2) | instid1(VALU_DEP_1)
	v_exp_f32_e32 v12, v12
	s_waitcnt_depctr 0xfff
	v_ldexp_f32 v12, v12, v17
	v_cndmask_b32_e32 v12, 0, v12, vcc_lo
	v_cmp_nlt_f32_e32 vcc_lo, 0x42b17218, v91
	s_delay_alu instid0(VALU_DEP_2) | instskip(NEXT) | instid1(VALU_DEP_1)
	v_cndmask_b32_e32 v12, 0x7f800000, v12, vcc_lo
	v_add_f32_e32 v17, 1.0, v12
	s_delay_alu instid0(VALU_DEP_1) | instskip(NEXT) | instid1(VALU_DEP_1)
	v_cvt_f64_f32_e32 v[91:92], v17
	v_frexp_exp_i32_f64_e32 v91, v[91:92]
	v_frexp_mant_f32_e32 v92, v17
	s_delay_alu instid0(VALU_DEP_1) | instskip(SKIP_1) | instid1(VALU_DEP_1)
	v_cmp_gt_f32_e32 vcc_lo, 0x3f2aaaab, v92
	v_add_f32_e32 v92, -1.0, v17
	v_sub_f32_e32 v94, v92, v17
	v_sub_f32_e32 v92, v12, v92
	s_delay_alu instid0(VALU_DEP_2) | instskip(NEXT) | instid1(VALU_DEP_1)
	v_add_f32_e32 v94, 1.0, v94
	v_add_f32_e32 v92, v92, v94
	v_subrev_co_ci_u32_e32 v91, vcc_lo, 0, v91, vcc_lo
	s_delay_alu instid0(VALU_DEP_1) | instskip(SKIP_1) | instid1(VALU_DEP_2)
	v_sub_nc_u32_e32 v93, 0, v91
	v_cvt_f32_i32_e32 v91, v91
	v_ldexp_f32 v17, v17, v93
	v_ldexp_f32 v92, v92, v93
	s_delay_alu instid0(VALU_DEP_2) | instskip(NEXT) | instid1(VALU_DEP_1)
	v_add_f32_e32 v95, 1.0, v17
	v_dual_add_f32 v93, -1.0, v17 :: v_dual_add_f32 v94, -1.0, v95
	s_delay_alu instid0(VALU_DEP_1) | instskip(NEXT) | instid1(VALU_DEP_2)
	v_add_f32_e32 v96, 1.0, v93
	v_sub_f32_e32 v94, v17, v94
	s_delay_alu instid0(VALU_DEP_2) | instskip(NEXT) | instid1(VALU_DEP_1)
	v_sub_f32_e32 v17, v17, v96
	v_add_f32_e32 v17, v92, v17
	s_delay_alu instid0(VALU_DEP_1) | instskip(SKIP_2) | instid1(VALU_DEP_3)
	v_add_f32_e32 v97, v93, v17
	v_cmp_eq_f32_e32 vcc_lo, 0x7f800000, v12
	v_cmp_gt_f32_e64 s28, 0x33800000, v12
	v_dual_sub_f32 v93, v93, v97 :: v_dual_add_f32 v94, v92, v94
	s_delay_alu instid0(VALU_DEP_2) | instskip(NEXT) | instid1(VALU_DEP_1)
	s_or_b32 vcc_lo, s28, vcc_lo
	v_dual_add_f32 v17, v17, v93 :: v_dual_add_f32 v96, v95, v94
	s_delay_alu instid0(VALU_DEP_1) | instskip(SKIP_1) | instid1(VALU_DEP_1)
	v_rcp_f32_e32 v92, v96
	v_sub_f32_e32 v95, v95, v96
	v_add_f32_e32 v94, v94, v95
	s_waitcnt_depctr 0xfff
	v_mul_f32_e32 v98, v97, v92
	s_delay_alu instid0(VALU_DEP_1) | instskip(NEXT) | instid1(VALU_DEP_1)
	v_mul_f32_e32 v99, v96, v98
	v_fma_f32 v95, v98, v96, -v99
	s_delay_alu instid0(VALU_DEP_1) | instskip(NEXT) | instid1(VALU_DEP_1)
	v_fmac_f32_e32 v95, v98, v94
	v_add_f32_e32 v100, v99, v95
	s_delay_alu instid0(VALU_DEP_1) | instskip(SKIP_1) | instid1(VALU_DEP_2)
	v_sub_f32_e32 v101, v97, v100
	v_sub_f32_e32 v93, v100, v99
	v_sub_f32_e32 v97, v97, v101
	s_delay_alu instid0(VALU_DEP_2) | instskip(NEXT) | instid1(VALU_DEP_2)
	v_sub_f32_e32 v93, v93, v95
	v_sub_f32_e32 v97, v97, v100
	s_delay_alu instid0(VALU_DEP_1) | instskip(NEXT) | instid1(VALU_DEP_1)
	v_add_f32_e32 v17, v17, v97
	v_add_f32_e32 v17, v93, v17
	s_delay_alu instid0(VALU_DEP_1) | instskip(NEXT) | instid1(VALU_DEP_1)
	v_add_f32_e32 v93, v101, v17
	v_mul_f32_e32 v95, v92, v93
	s_delay_alu instid0(VALU_DEP_1) | instskip(NEXT) | instid1(VALU_DEP_1)
	v_mul_f32_e32 v97, v96, v95
	v_fma_f32 v96, v95, v96, -v97
	s_delay_alu instid0(VALU_DEP_1) | instskip(SKIP_1) | instid1(VALU_DEP_2)
	v_fmac_f32_e32 v96, v95, v94
	v_sub_f32_e32 v100, v101, v93
	v_add_f32_e32 v94, v97, v96
	s_delay_alu instid0(VALU_DEP_2) | instskip(NEXT) | instid1(VALU_DEP_2)
	v_add_f32_e32 v17, v17, v100
	v_sub_f32_e32 v99, v93, v94
	s_delay_alu instid0(VALU_DEP_1) | instskip(NEXT) | instid1(VALU_DEP_1)
	v_sub_f32_e32 v93, v93, v99
	v_sub_f32_e32 v93, v93, v94
	s_delay_alu instid0(VALU_DEP_1) | instskip(SKIP_2) | instid1(VALU_DEP_1)
	v_add_f32_e32 v17, v17, v93
	v_add_f32_e32 v93, v98, v95
	v_sub_f32_e32 v97, v94, v97
	v_sub_f32_e32 v94, v97, v96
	s_delay_alu instid0(VALU_DEP_1) | instskip(NEXT) | instid1(VALU_DEP_1)
	v_dual_add_f32 v17, v94, v17 :: v_dual_sub_f32 v94, v93, v98
	v_add_f32_e32 v17, v99, v17
	s_delay_alu instid0(VALU_DEP_1) | instskip(NEXT) | instid1(VALU_DEP_1)
	v_dual_sub_f32 v94, v95, v94 :: v_dual_mul_f32 v17, v92, v17
	v_add_f32_e32 v17, v94, v17
	s_delay_alu instid0(VALU_DEP_1) | instskip(NEXT) | instid1(VALU_DEP_1)
	v_add_f32_e32 v92, v93, v17
	v_mul_f32_e32 v94, v92, v92
	s_delay_alu instid0(VALU_DEP_1) | instskip(SKIP_1) | instid1(VALU_DEP_2)
	v_fmaak_f32 v95, s83, v94, 0x3ecc95a3
	v_mul_f32_e32 v96, v92, v94
	v_fmaak_f32 v94, v94, v95, 0x3f2aaada
	v_ldexp_f32 v95, v92, 1
	s_delay_alu instid0(VALU_DEP_2) | instskip(SKIP_1) | instid1(VALU_DEP_2)
	v_mul_f32_e32 v94, v96, v94
	v_sub_f32_e32 v92, v92, v93
	v_dual_mul_f32 v96, 0x3f317218, v91 :: v_dual_add_f32 v93, v95, v94
	s_delay_alu instid0(VALU_DEP_2) | instskip(NEXT) | instid1(VALU_DEP_2)
	v_sub_f32_e32 v17, v17, v92
	v_sub_f32_e32 v92, v93, v95
	s_delay_alu instid0(VALU_DEP_3) | instskip(NEXT) | instid1(VALU_DEP_3)
	v_fma_f32 v95, 0x3f317218, v91, -v96
	v_ldexp_f32 v17, v17, 1
	s_delay_alu instid0(VALU_DEP_2) | instskip(NEXT) | instid1(VALU_DEP_1)
	v_dual_sub_f32 v92, v94, v92 :: v_dual_fmac_f32 v95, 0xb102e308, v91
	v_add_f32_e32 v17, v17, v92
	s_delay_alu instid0(VALU_DEP_1) | instskip(NEXT) | instid1(VALU_DEP_1)
	v_dual_add_f32 v91, v96, v95 :: v_dual_add_f32 v92, v93, v17
	v_sub_f32_e32 v96, v91, v96
	s_delay_alu instid0(VALU_DEP_2) | instskip(NEXT) | instid1(VALU_DEP_2)
	v_dual_add_f32 v94, v91, v92 :: v_dual_sub_f32 v93, v92, v93
	v_sub_f32_e32 v95, v95, v96
	s_delay_alu instid0(VALU_DEP_2) | instskip(NEXT) | instid1(VALU_DEP_1)
	v_sub_f32_e32 v97, v94, v91
	v_sub_f32_e32 v98, v94, v97
	;; [unrolled: 1-line block ×4, first 2 shown]
	s_delay_alu instid0(VALU_DEP_1) | instskip(NEXT) | instid1(VALU_DEP_4)
	v_add_f32_e32 v93, v95, v17
	v_sub_f32_e32 v91, v91, v98
	s_delay_alu instid0(VALU_DEP_1) | instskip(NEXT) | instid1(VALU_DEP_3)
	v_add_f32_e32 v91, v92, v91
	v_sub_f32_e32 v92, v93, v95
	s_delay_alu instid0(VALU_DEP_2) | instskip(NEXT) | instid1(VALU_DEP_2)
	v_add_f32_e32 v91, v93, v91
	v_sub_f32_e32 v93, v93, v92
	s_delay_alu instid0(VALU_DEP_2) | instskip(NEXT) | instid1(VALU_DEP_1)
	v_dual_sub_f32 v17, v17, v92 :: v_dual_add_f32 v96, v94, v91
	v_dual_sub_f32 v92, v96, v94 :: v_dual_sub_f32 v93, v95, v93
	s_delay_alu instid0(VALU_DEP_1) | instskip(NEXT) | instid1(VALU_DEP_2)
	v_sub_f32_e32 v91, v91, v92
	v_add_f32_e32 v17, v17, v93
	s_delay_alu instid0(VALU_DEP_1) | instskip(NEXT) | instid1(VALU_DEP_1)
	v_add_f32_e32 v17, v17, v91
	v_add_f32_e32 v17, v96, v17
	s_delay_alu instid0(VALU_DEP_1)
	v_cndmask_b32_e32 v91, v17, v12, vcc_lo
.LBB54_78:                              ;   in Loop: Header=BB54_12 Depth=1
	s_or_b32 exec_lo, exec_lo, s29
	v_lshlrev_b32_e32 v12, 16, v13
	s_delay_alu instid0(VALU_DEP_1) | instskip(NEXT) | instid1(VALU_DEP_1)
	v_add_f32_e32 v92, s66, v12
	v_cmp_ge_f32_e32 vcc_lo, 0x41a00000, v92
	s_and_b32 s28, s79, vcc_lo
	s_delay_alu instid0(SALU_CYCLE_1)
	s_and_saveexec_b32 s29, s28
	s_cbranch_execz .LBB54_80
; %bb.79:                               ;   in Loop: Header=BB54_12 Depth=1
	v_mul_f32_e32 v12, 0x3fb8aa3b, v92
	v_cmp_ngt_f32_e32 vcc_lo, 0xc2ce8ed0, v92
	s_delay_alu instid0(VALU_DEP_2) | instskip(SKIP_1) | instid1(VALU_DEP_1)
	v_rndne_f32_e32 v17, v12
	v_fma_f32 v93, 0x3fb8aa3b, v92, -v12
	v_dual_sub_f32 v12, v12, v17 :: v_dual_fmac_f32 v93, 0x32a5705f, v92
	v_cvt_i32_f32_e32 v17, v17
	s_delay_alu instid0(VALU_DEP_2) | instskip(NEXT) | instid1(VALU_DEP_1)
	v_add_f32_e32 v12, v12, v93
	v_exp_f32_e32 v12, v12
	s_waitcnt_depctr 0xfff
	v_ldexp_f32 v12, v12, v17
	s_delay_alu instid0(VALU_DEP_1) | instskip(SKIP_1) | instid1(VALU_DEP_2)
	v_cndmask_b32_e32 v12, 0, v12, vcc_lo
	v_cmp_nlt_f32_e32 vcc_lo, 0x42b17218, v92
	v_cndmask_b32_e32 v12, 0x7f800000, v12, vcc_lo
	s_delay_alu instid0(VALU_DEP_1) | instskip(NEXT) | instid1(VALU_DEP_1)
	v_add_f32_e32 v17, 1.0, v12
	v_cvt_f64_f32_e32 v[92:93], v17
	s_delay_alu instid0(VALU_DEP_1) | instskip(SKIP_1) | instid1(VALU_DEP_1)
	v_frexp_exp_i32_f64_e32 v92, v[92:93]
	v_frexp_mant_f32_e32 v93, v17
	v_cmp_gt_f32_e32 vcc_lo, 0x3f2aaaab, v93
	v_add_f32_e32 v93, -1.0, v17
	s_delay_alu instid0(VALU_DEP_1) | instskip(SKIP_1) | instid1(VALU_DEP_2)
	v_sub_f32_e32 v95, v93, v17
	v_sub_f32_e32 v93, v12, v93
	v_add_f32_e32 v95, 1.0, v95
	s_delay_alu instid0(VALU_DEP_1) | instskip(SKIP_3) | instid1(VALU_DEP_2)
	v_add_f32_e32 v93, v93, v95
	v_cmp_gt_f32_e64 s28, 0x33800000, v12
	v_subrev_co_ci_u32_e32 v92, vcc_lo, 0, v92, vcc_lo
	v_cmp_eq_f32_e32 vcc_lo, 0x7f800000, v12
	v_sub_nc_u32_e32 v94, 0, v92
	v_cvt_f32_i32_e32 v92, v92
	s_or_b32 vcc_lo, s28, vcc_lo
	s_delay_alu instid0(VALU_DEP_2) | instskip(SKIP_1) | instid1(VALU_DEP_2)
	v_ldexp_f32 v17, v17, v94
	v_ldexp_f32 v93, v93, v94
	v_add_f32_e32 v96, 1.0, v17
	s_delay_alu instid0(VALU_DEP_1) | instskip(NEXT) | instid1(VALU_DEP_1)
	v_dual_add_f32 v94, -1.0, v17 :: v_dual_add_f32 v95, -1.0, v96
	v_add_f32_e32 v97, 1.0, v94
	s_delay_alu instid0(VALU_DEP_2) | instskip(NEXT) | instid1(VALU_DEP_2)
	v_sub_f32_e32 v95, v17, v95
	v_sub_f32_e32 v17, v17, v97
	s_delay_alu instid0(VALU_DEP_1) | instskip(NEXT) | instid1(VALU_DEP_1)
	v_add_f32_e32 v17, v93, v17
	v_dual_add_f32 v98, v94, v17 :: v_dual_add_f32 v95, v93, v95
	s_delay_alu instid0(VALU_DEP_1) | instskip(NEXT) | instid1(VALU_DEP_1)
	v_dual_sub_f32 v94, v94, v98 :: v_dual_add_f32 v97, v96, v95
	v_rcp_f32_e32 v93, v97
	v_sub_f32_e32 v96, v96, v97
	s_delay_alu instid0(VALU_DEP_1) | instskip(SKIP_2) | instid1(VALU_DEP_1)
	v_add_f32_e32 v95, v95, v96
	s_waitcnt_depctr 0xfff
	v_mul_f32_e32 v99, v98, v93
	v_mul_f32_e32 v100, v97, v99
	s_delay_alu instid0(VALU_DEP_1) | instskip(NEXT) | instid1(VALU_DEP_1)
	v_fma_f32 v96, v99, v97, -v100
	v_fmac_f32_e32 v96, v99, v95
	s_delay_alu instid0(VALU_DEP_1) | instskip(NEXT) | instid1(VALU_DEP_1)
	v_add_f32_e32 v101, v100, v96
	v_sub_f32_e32 v102, v98, v101
	s_delay_alu instid0(VALU_DEP_1) | instskip(SKIP_2) | instid1(VALU_DEP_3)
	v_sub_f32_e32 v98, v98, v102
	v_add_f32_e32 v17, v17, v94
	v_sub_f32_e32 v94, v101, v100
	v_sub_f32_e32 v98, v98, v101
	s_delay_alu instid0(VALU_DEP_1) | instskip(NEXT) | instid1(VALU_DEP_1)
	v_dual_sub_f32 v94, v94, v96 :: v_dual_add_f32 v17, v17, v98
	v_add_f32_e32 v17, v94, v17
	s_delay_alu instid0(VALU_DEP_1) | instskip(NEXT) | instid1(VALU_DEP_1)
	v_add_f32_e32 v94, v102, v17
	v_mul_f32_e32 v96, v93, v94
	s_delay_alu instid0(VALU_DEP_1) | instskip(NEXT) | instid1(VALU_DEP_1)
	v_dual_sub_f32 v101, v102, v94 :: v_dual_mul_f32 v98, v97, v96
	v_add_f32_e32 v17, v17, v101
	s_delay_alu instid0(VALU_DEP_2) | instskip(NEXT) | instid1(VALU_DEP_1)
	v_fma_f32 v97, v96, v97, -v98
	v_fmac_f32_e32 v97, v96, v95
	s_delay_alu instid0(VALU_DEP_1) | instskip(NEXT) | instid1(VALU_DEP_1)
	v_add_f32_e32 v95, v98, v97
	v_sub_f32_e32 v100, v94, v95
	s_delay_alu instid0(VALU_DEP_1) | instskip(NEXT) | instid1(VALU_DEP_1)
	v_sub_f32_e32 v94, v94, v100
	v_sub_f32_e32 v94, v94, v95
	s_delay_alu instid0(VALU_DEP_1) | instskip(SKIP_1) | instid1(VALU_DEP_1)
	v_dual_add_f32 v17, v17, v94 :: v_dual_add_f32 v94, v99, v96
	v_sub_f32_e32 v98, v95, v98
	v_sub_f32_e32 v95, v98, v97
	s_delay_alu instid0(VALU_DEP_1) | instskip(NEXT) | instid1(VALU_DEP_4)
	v_add_f32_e32 v17, v95, v17
	v_sub_f32_e32 v95, v94, v99
	s_delay_alu instid0(VALU_DEP_2) | instskip(NEXT) | instid1(VALU_DEP_2)
	v_add_f32_e32 v17, v100, v17
	v_sub_f32_e32 v95, v96, v95
	s_delay_alu instid0(VALU_DEP_2) | instskip(NEXT) | instid1(VALU_DEP_1)
	v_mul_f32_e32 v17, v93, v17
	v_add_f32_e32 v17, v95, v17
	s_delay_alu instid0(VALU_DEP_1) | instskip(NEXT) | instid1(VALU_DEP_1)
	v_add_f32_e32 v93, v94, v17
	v_mul_f32_e32 v95, v93, v93
	s_delay_alu instid0(VALU_DEP_1) | instskip(SKIP_1) | instid1(VALU_DEP_2)
	v_fmaak_f32 v96, s83, v95, 0x3ecc95a3
	v_mul_f32_e32 v97, v93, v95
	v_fmaak_f32 v95, v95, v96, 0x3f2aaada
	v_ldexp_f32 v96, v93, 1
	v_sub_f32_e32 v93, v93, v94
	s_delay_alu instid0(VALU_DEP_3) | instskip(SKIP_1) | instid1(VALU_DEP_2)
	v_mul_f32_e32 v95, v97, v95
	v_mul_f32_e32 v97, 0x3f317218, v92
	v_dual_sub_f32 v17, v17, v93 :: v_dual_add_f32 v94, v96, v95
	s_delay_alu instid0(VALU_DEP_1) | instskip(NEXT) | instid1(VALU_DEP_2)
	v_ldexp_f32 v17, v17, 1
	v_sub_f32_e32 v93, v94, v96
	s_delay_alu instid0(VALU_DEP_4) | instskip(NEXT) | instid1(VALU_DEP_1)
	v_fma_f32 v96, 0x3f317218, v92, -v97
	v_dual_sub_f32 v93, v95, v93 :: v_dual_fmac_f32 v96, 0xb102e308, v92
	s_delay_alu instid0(VALU_DEP_1) | instskip(NEXT) | instid1(VALU_DEP_1)
	v_add_f32_e32 v17, v17, v93
	v_dual_add_f32 v92, v97, v96 :: v_dual_add_f32 v93, v94, v17
	s_delay_alu instid0(VALU_DEP_1) | instskip(NEXT) | instid1(VALU_DEP_2)
	v_sub_f32_e32 v97, v92, v97
	v_dual_add_f32 v95, v92, v93 :: v_dual_sub_f32 v94, v93, v94
	s_delay_alu instid0(VALU_DEP_2) | instskip(NEXT) | instid1(VALU_DEP_2)
	v_sub_f32_e32 v96, v96, v97
	v_dual_sub_f32 v98, v95, v92 :: v_dual_sub_f32 v17, v17, v94
	s_delay_alu instid0(VALU_DEP_1) | instskip(NEXT) | instid1(VALU_DEP_2)
	v_sub_f32_e32 v99, v95, v98
	v_dual_sub_f32 v93, v93, v98 :: v_dual_add_f32 v94, v96, v17
	s_delay_alu instid0(VALU_DEP_2) | instskip(NEXT) | instid1(VALU_DEP_1)
	v_sub_f32_e32 v92, v92, v99
	v_add_f32_e32 v92, v93, v92
	s_delay_alu instid0(VALU_DEP_3) | instskip(NEXT) | instid1(VALU_DEP_2)
	v_sub_f32_e32 v93, v94, v96
	v_add_f32_e32 v92, v94, v92
	s_delay_alu instid0(VALU_DEP_2) | instskip(SKIP_1) | instid1(VALU_DEP_2)
	v_sub_f32_e32 v94, v94, v93
	v_sub_f32_e32 v17, v17, v93
	v_dual_add_f32 v97, v95, v92 :: v_dual_sub_f32 v94, v96, v94
	s_delay_alu instid0(VALU_DEP_1) | instskip(NEXT) | instid1(VALU_DEP_1)
	v_sub_f32_e32 v93, v97, v95
	v_dual_add_f32 v17, v17, v94 :: v_dual_sub_f32 v92, v92, v93
	s_delay_alu instid0(VALU_DEP_1) | instskip(NEXT) | instid1(VALU_DEP_1)
	v_add_f32_e32 v17, v17, v92
	v_add_f32_e32 v17, v97, v17
	s_delay_alu instid0(VALU_DEP_1)
	v_cndmask_b32_e32 v92, v17, v12, vcc_lo
.LBB54_80:                              ;   in Loop: Header=BB54_12 Depth=1
	s_or_b32 exec_lo, exec_lo, s29
	v_and_b32_e32 v12, 0xffff0000, v13
	s_delay_alu instid0(VALU_DEP_1) | instskip(NEXT) | instid1(VALU_DEP_1)
	v_add_f32_e32 v93, s66, v12
	v_cmp_ge_f32_e32 vcc_lo, 0x41a00000, v93
	s_and_b32 s28, s79, vcc_lo
	s_delay_alu instid0(SALU_CYCLE_1)
	s_and_saveexec_b32 s29, s28
	s_cbranch_execz .LBB54_82
; %bb.81:                               ;   in Loop: Header=BB54_12 Depth=1
	v_mul_f32_e32 v12, 0x3fb8aa3b, v93
	v_cmp_ngt_f32_e32 vcc_lo, 0xc2ce8ed0, v93
	s_delay_alu instid0(VALU_DEP_2) | instskip(SKIP_1) | instid1(VALU_DEP_2)
	v_rndne_f32_e32 v13, v12
	v_fma_f32 v17, 0x3fb8aa3b, v93, -v12
	v_sub_f32_e32 v12, v12, v13
	s_delay_alu instid0(VALU_DEP_2) | instskip(SKIP_1) | instid1(VALU_DEP_2)
	v_fmac_f32_e32 v17, 0x32a5705f, v93
	v_cvt_i32_f32_e32 v13, v13
	v_add_f32_e32 v12, v12, v17
	s_delay_alu instid0(VALU_DEP_1) | instskip(SKIP_2) | instid1(VALU_DEP_1)
	v_exp_f32_e32 v12, v12
	s_waitcnt_depctr 0xfff
	v_ldexp_f32 v12, v12, v13
	v_cndmask_b32_e32 v12, 0, v12, vcc_lo
	v_cmp_nlt_f32_e32 vcc_lo, 0x42b17218, v93
	s_delay_alu instid0(VALU_DEP_2) | instskip(NEXT) | instid1(VALU_DEP_1)
	v_cndmask_b32_e32 v17, 0x7f800000, v12, vcc_lo
	v_add_f32_e32 v93, 1.0, v17
	s_delay_alu instid0(VALU_DEP_1) | instskip(NEXT) | instid1(VALU_DEP_1)
	v_cvt_f64_f32_e32 v[12:13], v93
	v_frexp_exp_i32_f64_e32 v12, v[12:13]
	v_frexp_mant_f32_e32 v13, v93
	s_delay_alu instid0(VALU_DEP_1) | instskip(SKIP_1) | instid1(VALU_DEP_1)
	v_cmp_gt_f32_e32 vcc_lo, 0x3f2aaaab, v13
	v_add_f32_e32 v13, -1.0, v93
	v_sub_f32_e32 v95, v13, v93
	s_delay_alu instid0(VALU_DEP_1) | instskip(SKIP_1) | instid1(VALU_DEP_1)
	v_add_f32_e32 v95, 1.0, v95
	v_subrev_co_ci_u32_e32 v12, vcc_lo, 0, v12, vcc_lo
	v_sub_nc_u32_e32 v94, 0, v12
	v_cvt_f32_i32_e32 v12, v12
	s_delay_alu instid0(VALU_DEP_2) | instskip(NEXT) | instid1(VALU_DEP_1)
	v_ldexp_f32 v93, v93, v94
	v_add_f32_e32 v96, 1.0, v93
	v_sub_f32_e32 v13, v17, v13
	v_cmp_eq_f32_e32 vcc_lo, 0x7f800000, v17
	v_cmp_gt_f32_e64 s28, 0x33800000, v17
	s_delay_alu instid0(VALU_DEP_3) | instskip(SKIP_1) | instid1(VALU_DEP_3)
	v_add_f32_e32 v13, v13, v95
	v_add_f32_e32 v95, -1.0, v96
	s_or_b32 vcc_lo, s28, vcc_lo
	s_delay_alu instid0(VALU_DEP_2) | instskip(NEXT) | instid1(VALU_DEP_2)
	v_ldexp_f32 v13, v13, v94
	v_dual_add_f32 v94, -1.0, v93 :: v_dual_sub_f32 v95, v93, v95
	s_delay_alu instid0(VALU_DEP_1) | instskip(NEXT) | instid1(VALU_DEP_2)
	v_add_f32_e32 v97, 1.0, v94
	v_add_f32_e32 v95, v13, v95
	s_delay_alu instid0(VALU_DEP_2) | instskip(NEXT) | instid1(VALU_DEP_1)
	v_sub_f32_e32 v93, v93, v97
	v_add_f32_e32 v13, v13, v93
	s_delay_alu instid0(VALU_DEP_1) | instskip(NEXT) | instid1(VALU_DEP_1)
	v_dual_add_f32 v98, v94, v13 :: v_dual_add_f32 v97, v96, v95
	v_sub_f32_e32 v94, v94, v98
	s_delay_alu instid0(VALU_DEP_2) | instskip(NEXT) | instid1(VALU_DEP_1)
	v_rcp_f32_e32 v93, v97
	v_dual_sub_f32 v96, v96, v97 :: v_dual_add_f32 v13, v13, v94
	s_delay_alu instid0(VALU_DEP_1) | instskip(SKIP_2) | instid1(VALU_DEP_1)
	v_add_f32_e32 v95, v95, v96
	s_waitcnt_depctr 0xfff
	v_mul_f32_e32 v99, v98, v93
	v_mul_f32_e32 v100, v97, v99
	s_delay_alu instid0(VALU_DEP_1) | instskip(NEXT) | instid1(VALU_DEP_1)
	v_fma_f32 v96, v99, v97, -v100
	v_fmac_f32_e32 v96, v99, v95
	s_delay_alu instid0(VALU_DEP_1) | instskip(NEXT) | instid1(VALU_DEP_1)
	v_add_f32_e32 v101, v100, v96
	v_sub_f32_e32 v102, v98, v101
	v_sub_f32_e32 v94, v101, v100
	s_delay_alu instid0(VALU_DEP_2) | instskip(NEXT) | instid1(VALU_DEP_2)
	v_sub_f32_e32 v98, v98, v102
	v_sub_f32_e32 v94, v94, v96
	s_delay_alu instid0(VALU_DEP_2) | instskip(NEXT) | instid1(VALU_DEP_1)
	v_sub_f32_e32 v98, v98, v101
	v_add_f32_e32 v13, v13, v98
	s_delay_alu instid0(VALU_DEP_1) | instskip(NEXT) | instid1(VALU_DEP_1)
	v_add_f32_e32 v13, v94, v13
	v_add_f32_e32 v94, v102, v13
	s_delay_alu instid0(VALU_DEP_1) | instskip(NEXT) | instid1(VALU_DEP_1)
	v_mul_f32_e32 v96, v93, v94
	v_dual_sub_f32 v101, v102, v94 :: v_dual_mul_f32 v98, v97, v96
	s_delay_alu instid0(VALU_DEP_1) | instskip(NEXT) | instid1(VALU_DEP_1)
	v_fma_f32 v97, v96, v97, -v98
	v_fmac_f32_e32 v97, v96, v95
	s_delay_alu instid0(VALU_DEP_1) | instskip(NEXT) | instid1(VALU_DEP_1)
	v_add_f32_e32 v95, v98, v97
	v_dual_add_f32 v13, v13, v101 :: v_dual_sub_f32 v100, v94, v95
	s_delay_alu instid0(VALU_DEP_1) | instskip(NEXT) | instid1(VALU_DEP_1)
	v_sub_f32_e32 v94, v94, v100
	v_sub_f32_e32 v94, v94, v95
	s_delay_alu instid0(VALU_DEP_1) | instskip(SKIP_1) | instid1(VALU_DEP_1)
	v_dual_add_f32 v13, v13, v94 :: v_dual_add_f32 v94, v99, v96
	v_sub_f32_e32 v98, v95, v98
	v_sub_f32_e32 v95, v98, v97
	s_delay_alu instid0(VALU_DEP_1) | instskip(NEXT) | instid1(VALU_DEP_4)
	v_add_f32_e32 v13, v95, v13
	v_sub_f32_e32 v95, v94, v99
	s_delay_alu instid0(VALU_DEP_2) | instskip(NEXT) | instid1(VALU_DEP_2)
	v_add_f32_e32 v13, v100, v13
	v_sub_f32_e32 v95, v96, v95
	s_delay_alu instid0(VALU_DEP_2) | instskip(NEXT) | instid1(VALU_DEP_1)
	v_mul_f32_e32 v13, v93, v13
	v_add_f32_e32 v13, v95, v13
	s_delay_alu instid0(VALU_DEP_1) | instskip(NEXT) | instid1(VALU_DEP_1)
	v_add_f32_e32 v93, v94, v13
	v_mul_f32_e32 v95, v93, v93
	s_delay_alu instid0(VALU_DEP_1) | instskip(SKIP_1) | instid1(VALU_DEP_2)
	v_fmaak_f32 v96, s83, v95, 0x3ecc95a3
	v_mul_f32_e32 v97, v93, v95
	v_fmaak_f32 v95, v95, v96, 0x3f2aaada
	v_ldexp_f32 v96, v93, 1
	v_sub_f32_e32 v93, v93, v94
	s_delay_alu instid0(VALU_DEP_3) | instskip(SKIP_1) | instid1(VALU_DEP_2)
	v_mul_f32_e32 v95, v97, v95
	v_mul_f32_e32 v97, 0x3f317218, v12
	v_dual_sub_f32 v13, v13, v93 :: v_dual_add_f32 v94, v96, v95
	s_delay_alu instid0(VALU_DEP_1) | instskip(NEXT) | instid1(VALU_DEP_2)
	v_ldexp_f32 v13, v13, 1
	v_sub_f32_e32 v93, v94, v96
	s_delay_alu instid0(VALU_DEP_4) | instskip(NEXT) | instid1(VALU_DEP_1)
	v_fma_f32 v96, 0x3f317218, v12, -v97
	v_dual_sub_f32 v93, v95, v93 :: v_dual_fmac_f32 v96, 0xb102e308, v12
	s_delay_alu instid0(VALU_DEP_1) | instskip(NEXT) | instid1(VALU_DEP_2)
	v_add_f32_e32 v12, v13, v93
	v_add_f32_e32 v13, v97, v96
	s_delay_alu instid0(VALU_DEP_2) | instskip(NEXT) | instid1(VALU_DEP_2)
	v_add_f32_e32 v93, v94, v12
	v_sub_f32_e32 v97, v13, v97
	s_delay_alu instid0(VALU_DEP_2) | instskip(SKIP_1) | instid1(VALU_DEP_3)
	v_add_f32_e32 v95, v13, v93
	v_sub_f32_e32 v94, v93, v94
	v_sub_f32_e32 v96, v96, v97
	s_delay_alu instid0(VALU_DEP_3) | instskip(NEXT) | instid1(VALU_DEP_3)
	v_sub_f32_e32 v98, v95, v13
	v_sub_f32_e32 v12, v12, v94
	s_delay_alu instid0(VALU_DEP_2) | instskip(NEXT) | instid1(VALU_DEP_2)
	v_sub_f32_e32 v99, v95, v98
	v_dual_sub_f32 v93, v93, v98 :: v_dual_add_f32 v94, v96, v12
	s_delay_alu instid0(VALU_DEP_2) | instskip(NEXT) | instid1(VALU_DEP_1)
	v_sub_f32_e32 v13, v13, v99
	v_add_f32_e32 v13, v93, v13
	s_delay_alu instid0(VALU_DEP_3) | instskip(NEXT) | instid1(VALU_DEP_2)
	v_sub_f32_e32 v93, v94, v96
	v_add_f32_e32 v13, v94, v13
	s_delay_alu instid0(VALU_DEP_2) | instskip(SKIP_1) | instid1(VALU_DEP_1)
	v_sub_f32_e32 v12, v12, v93
	v_sub_f32_e32 v94, v94, v93
	v_dual_add_f32 v97, v95, v13 :: v_dual_sub_f32 v94, v96, v94
	s_delay_alu instid0(VALU_DEP_1) | instskip(NEXT) | instid1(VALU_DEP_1)
	v_dual_sub_f32 v93, v97, v95 :: v_dual_add_f32 v12, v12, v94
	v_sub_f32_e32 v13, v13, v93
	s_delay_alu instid0(VALU_DEP_1) | instskip(NEXT) | instid1(VALU_DEP_1)
	v_add_f32_e32 v12, v12, v13
	v_add_f32_e32 v12, v97, v12
	s_delay_alu instid0(VALU_DEP_1)
	v_cndmask_b32_e32 v93, v12, v17, vcc_lo
.LBB54_82:                              ;   in Loop: Header=BB54_12 Depth=1
	s_or_b32 exec_lo, exec_lo, s29
	v_lshlrev_b32_e32 v12, 16, v14
	s_delay_alu instid0(VALU_DEP_1) | instskip(NEXT) | instid1(VALU_DEP_1)
	v_add_f32_e32 v94, s66, v12
	v_cmp_ge_f32_e32 vcc_lo, 0x41a00000, v94
	s_and_b32 s28, s79, vcc_lo
	s_delay_alu instid0(SALU_CYCLE_1)
	s_and_saveexec_b32 s29, s28
	s_cbranch_execz .LBB54_84
; %bb.83:                               ;   in Loop: Header=BB54_12 Depth=1
	v_mul_f32_e32 v12, 0x3fb8aa3b, v94
	v_cmp_ngt_f32_e32 vcc_lo, 0xc2ce8ed0, v94
	s_delay_alu instid0(VALU_DEP_2) | instskip(SKIP_1) | instid1(VALU_DEP_1)
	v_rndne_f32_e32 v13, v12
	v_fma_f32 v17, 0x3fb8aa3b, v94, -v12
	v_dual_sub_f32 v12, v12, v13 :: v_dual_fmac_f32 v17, 0x32a5705f, v94
	v_cvt_i32_f32_e32 v13, v13
	s_delay_alu instid0(VALU_DEP_2) | instskip(NEXT) | instid1(VALU_DEP_1)
	v_add_f32_e32 v12, v12, v17
	v_exp_f32_e32 v12, v12
	s_waitcnt_depctr 0xfff
	v_ldexp_f32 v12, v12, v13
	s_delay_alu instid0(VALU_DEP_1) | instskip(SKIP_1) | instid1(VALU_DEP_2)
	v_cndmask_b32_e32 v12, 0, v12, vcc_lo
	v_cmp_nlt_f32_e32 vcc_lo, 0x42b17218, v94
	v_cndmask_b32_e32 v17, 0x7f800000, v12, vcc_lo
	s_delay_alu instid0(VALU_DEP_1) | instskip(NEXT) | instid1(VALU_DEP_1)
	v_add_f32_e32 v94, 1.0, v17
	v_cvt_f64_f32_e32 v[12:13], v94
	s_delay_alu instid0(VALU_DEP_1) | instskip(SKIP_1) | instid1(VALU_DEP_1)
	v_frexp_exp_i32_f64_e32 v12, v[12:13]
	v_frexp_mant_f32_e32 v13, v94
	v_cmp_gt_f32_e32 vcc_lo, 0x3f2aaaab, v13
	v_add_f32_e32 v13, -1.0, v94
	s_delay_alu instid0(VALU_DEP_1) | instskip(SKIP_2) | instid1(VALU_DEP_3)
	v_sub_f32_e32 v96, v13, v94
	v_sub_f32_e32 v13, v17, v13
	v_cmp_gt_f32_e64 s28, 0x33800000, v17
	v_add_f32_e32 v96, 1.0, v96
	s_delay_alu instid0(VALU_DEP_1) | instskip(SKIP_2) | instid1(VALU_DEP_2)
	v_add_f32_e32 v13, v13, v96
	v_subrev_co_ci_u32_e32 v12, vcc_lo, 0, v12, vcc_lo
	v_cmp_eq_f32_e32 vcc_lo, 0x7f800000, v17
	v_sub_nc_u32_e32 v95, 0, v12
	v_cvt_f32_i32_e32 v12, v12
	s_or_b32 vcc_lo, s28, vcc_lo
	s_delay_alu instid0(VALU_DEP_2) | instskip(SKIP_1) | instid1(VALU_DEP_2)
	v_ldexp_f32 v94, v94, v95
	v_ldexp_f32 v13, v13, v95
	v_add_f32_e32 v95, -1.0, v94
	s_delay_alu instid0(VALU_DEP_1) | instskip(NEXT) | instid1(VALU_DEP_1)
	v_dual_add_f32 v97, 1.0, v94 :: v_dual_add_f32 v98, 1.0, v95
	v_add_f32_e32 v96, -1.0, v97
	s_delay_alu instid0(VALU_DEP_1) | instskip(NEXT) | instid1(VALU_DEP_3)
	v_sub_f32_e32 v96, v94, v96
	v_sub_f32_e32 v94, v94, v98
	s_delay_alu instid0(VALU_DEP_2) | instskip(NEXT) | instid1(VALU_DEP_2)
	v_add_f32_e32 v96, v13, v96
	v_add_f32_e32 v13, v13, v94
	s_delay_alu instid0(VALU_DEP_1) | instskip(NEXT) | instid1(VALU_DEP_1)
	v_dual_add_f32 v99, v95, v13 :: v_dual_add_f32 v98, v97, v96
	v_sub_f32_e32 v95, v95, v99
	s_delay_alu instid0(VALU_DEP_2) | instskip(SKIP_1) | instid1(VALU_DEP_1)
	v_rcp_f32_e32 v94, v98
	v_sub_f32_e32 v97, v97, v98
	v_dual_add_f32 v13, v13, v95 :: v_dual_add_f32 v96, v96, v97
	s_waitcnt_depctr 0xfff
	v_mul_f32_e32 v100, v99, v94
	s_delay_alu instid0(VALU_DEP_1) | instskip(NEXT) | instid1(VALU_DEP_1)
	v_mul_f32_e32 v101, v98, v100
	v_fma_f32 v97, v100, v98, -v101
	s_delay_alu instid0(VALU_DEP_1) | instskip(NEXT) | instid1(VALU_DEP_1)
	v_fmac_f32_e32 v97, v100, v96
	v_add_f32_e32 v102, v101, v97
	s_delay_alu instid0(VALU_DEP_1) | instskip(SKIP_1) | instid1(VALU_DEP_2)
	v_sub_f32_e32 v103, v99, v102
	v_sub_f32_e32 v95, v102, v101
	;; [unrolled: 1-line block ×3, first 2 shown]
	s_delay_alu instid0(VALU_DEP_2) | instskip(NEXT) | instid1(VALU_DEP_2)
	v_sub_f32_e32 v95, v95, v97
	v_sub_f32_e32 v99, v99, v102
	s_delay_alu instid0(VALU_DEP_1) | instskip(NEXT) | instid1(VALU_DEP_1)
	v_add_f32_e32 v13, v13, v99
	v_add_f32_e32 v13, v95, v13
	s_delay_alu instid0(VALU_DEP_1) | instskip(NEXT) | instid1(VALU_DEP_1)
	v_add_f32_e32 v95, v103, v13
	v_mul_f32_e32 v97, v94, v95
	s_delay_alu instid0(VALU_DEP_1) | instskip(NEXT) | instid1(VALU_DEP_1)
	v_dual_sub_f32 v102, v103, v95 :: v_dual_mul_f32 v99, v98, v97
	v_add_f32_e32 v13, v13, v102
	s_delay_alu instid0(VALU_DEP_2) | instskip(NEXT) | instid1(VALU_DEP_1)
	v_fma_f32 v98, v97, v98, -v99
	v_fmac_f32_e32 v98, v97, v96
	s_delay_alu instid0(VALU_DEP_1) | instskip(NEXT) | instid1(VALU_DEP_1)
	v_add_f32_e32 v96, v99, v98
	v_sub_f32_e32 v101, v95, v96
	s_delay_alu instid0(VALU_DEP_1) | instskip(NEXT) | instid1(VALU_DEP_1)
	v_sub_f32_e32 v95, v95, v101
	v_sub_f32_e32 v95, v95, v96
	s_delay_alu instid0(VALU_DEP_1) | instskip(SKIP_2) | instid1(VALU_DEP_1)
	v_add_f32_e32 v13, v13, v95
	v_add_f32_e32 v95, v100, v97
	v_sub_f32_e32 v99, v96, v99
	v_sub_f32_e32 v96, v99, v98
	s_delay_alu instid0(VALU_DEP_1) | instskip(NEXT) | instid1(VALU_DEP_1)
	v_dual_add_f32 v13, v96, v13 :: v_dual_sub_f32 v96, v95, v100
	v_add_f32_e32 v13, v101, v13
	s_delay_alu instid0(VALU_DEP_1) | instskip(NEXT) | instid1(VALU_DEP_1)
	v_dual_sub_f32 v96, v97, v96 :: v_dual_mul_f32 v13, v94, v13
	v_add_f32_e32 v13, v96, v13
	s_delay_alu instid0(VALU_DEP_1) | instskip(NEXT) | instid1(VALU_DEP_1)
	v_add_f32_e32 v94, v95, v13
	v_mul_f32_e32 v96, v94, v94
	s_delay_alu instid0(VALU_DEP_1) | instskip(SKIP_1) | instid1(VALU_DEP_2)
	v_fmaak_f32 v97, s83, v96, 0x3ecc95a3
	v_mul_f32_e32 v98, v94, v96
	v_fmaak_f32 v96, v96, v97, 0x3f2aaada
	v_ldexp_f32 v97, v94, 1
	v_sub_f32_e32 v94, v94, v95
	s_delay_alu instid0(VALU_DEP_3) | instskip(NEXT) | instid1(VALU_DEP_2)
	v_mul_f32_e32 v96, v98, v96
	v_dual_mul_f32 v98, 0x3f317218, v12 :: v_dual_sub_f32 v13, v13, v94
	s_delay_alu instid0(VALU_DEP_2) | instskip(NEXT) | instid1(VALU_DEP_2)
	v_add_f32_e32 v95, v97, v96
	v_ldexp_f32 v13, v13, 1
	s_delay_alu instid0(VALU_DEP_2) | instskip(NEXT) | instid1(VALU_DEP_4)
	v_sub_f32_e32 v94, v95, v97
	v_fma_f32 v97, 0x3f317218, v12, -v98
	s_delay_alu instid0(VALU_DEP_1) | instskip(NEXT) | instid1(VALU_DEP_1)
	v_dual_sub_f32 v94, v96, v94 :: v_dual_fmac_f32 v97, 0xb102e308, v12
	v_add_f32_e32 v12, v13, v94
	s_delay_alu instid0(VALU_DEP_1) | instskip(NEXT) | instid1(VALU_DEP_1)
	v_add_f32_e32 v94, v95, v12
	v_sub_f32_e32 v95, v94, v95
	s_delay_alu instid0(VALU_DEP_1) | instskip(NEXT) | instid1(VALU_DEP_1)
	v_dual_sub_f32 v12, v12, v95 :: v_dual_add_f32 v13, v98, v97
	v_add_f32_e32 v96, v13, v94
	s_delay_alu instid0(VALU_DEP_1) | instskip(NEXT) | instid1(VALU_DEP_1)
	v_dual_sub_f32 v98, v13, v98 :: v_dual_sub_f32 v99, v96, v13
	v_dual_sub_f32 v97, v97, v98 :: v_dual_sub_f32 v100, v96, v99
	s_delay_alu instid0(VALU_DEP_1) | instskip(NEXT) | instid1(VALU_DEP_2)
	v_dual_sub_f32 v94, v94, v99 :: v_dual_add_f32 v95, v97, v12
	v_sub_f32_e32 v13, v13, v100
	s_delay_alu instid0(VALU_DEP_1) | instskip(NEXT) | instid1(VALU_DEP_3)
	v_add_f32_e32 v13, v94, v13
	v_sub_f32_e32 v94, v95, v97
	s_delay_alu instid0(VALU_DEP_2) | instskip(NEXT) | instid1(VALU_DEP_2)
	v_add_f32_e32 v13, v95, v13
	v_sub_f32_e32 v95, v95, v94
	v_sub_f32_e32 v12, v12, v94
	s_delay_alu instid0(VALU_DEP_2) | instskip(NEXT) | instid1(VALU_DEP_1)
	v_dual_add_f32 v98, v96, v13 :: v_dual_sub_f32 v95, v97, v95
	v_sub_f32_e32 v94, v98, v96
	s_delay_alu instid0(VALU_DEP_1) | instskip(NEXT) | instid1(VALU_DEP_1)
	v_dual_add_f32 v12, v12, v95 :: v_dual_sub_f32 v13, v13, v94
	v_add_f32_e32 v12, v12, v13
	s_delay_alu instid0(VALU_DEP_1) | instskip(NEXT) | instid1(VALU_DEP_1)
	v_add_f32_e32 v12, v98, v12
	v_cndmask_b32_e32 v94, v12, v17, vcc_lo
.LBB54_84:                              ;   in Loop: Header=BB54_12 Depth=1
	s_or_b32 exec_lo, exec_lo, s29
	v_and_b32_e32 v12, 0xffff0000, v14
	s_delay_alu instid0(VALU_DEP_1) | instskip(NEXT) | instid1(VALU_DEP_1)
	v_add_f32_e32 v95, s66, v12
	v_cmp_ge_f32_e32 vcc_lo, 0x41a00000, v95
	s_and_b32 s28, s79, vcc_lo
	s_delay_alu instid0(SALU_CYCLE_1)
	s_and_saveexec_b32 s29, s28
	s_cbranch_execz .LBB54_86
; %bb.85:                               ;   in Loop: Header=BB54_12 Depth=1
	v_mul_f32_e32 v12, 0x3fb8aa3b, v95
	v_cmp_ngt_f32_e32 vcc_lo, 0xc2ce8ed0, v95
	s_delay_alu instid0(VALU_DEP_2) | instskip(SKIP_1) | instid1(VALU_DEP_2)
	v_rndne_f32_e32 v13, v12
	v_fma_f32 v14, 0x3fb8aa3b, v95, -v12
	v_sub_f32_e32 v12, v12, v13
	s_delay_alu instid0(VALU_DEP_2) | instskip(SKIP_1) | instid1(VALU_DEP_2)
	v_fmac_f32_e32 v14, 0x32a5705f, v95
	v_cvt_i32_f32_e32 v13, v13
	v_add_f32_e32 v12, v12, v14
	s_delay_alu instid0(VALU_DEP_1) | instskip(SKIP_2) | instid1(VALU_DEP_1)
	v_exp_f32_e32 v12, v12
	s_waitcnt_depctr 0xfff
	v_ldexp_f32 v12, v12, v13
	v_cndmask_b32_e32 v12, 0, v12, vcc_lo
	v_cmp_nlt_f32_e32 vcc_lo, 0x42b17218, v95
	s_delay_alu instid0(VALU_DEP_2) | instskip(NEXT) | instid1(VALU_DEP_1)
	v_cndmask_b32_e32 v14, 0x7f800000, v12, vcc_lo
	v_add_f32_e32 v17, 1.0, v14
	s_delay_alu instid0(VALU_DEP_1) | instskip(NEXT) | instid1(VALU_DEP_1)
	v_cvt_f64_f32_e32 v[12:13], v17
	v_frexp_exp_i32_f64_e32 v12, v[12:13]
	v_frexp_mant_f32_e32 v13, v17
	s_delay_alu instid0(VALU_DEP_1) | instskip(SKIP_1) | instid1(VALU_DEP_1)
	v_cmp_gt_f32_e32 vcc_lo, 0x3f2aaaab, v13
	v_add_f32_e32 v13, -1.0, v17
	v_sub_f32_e32 v96, v13, v17
	v_sub_f32_e32 v13, v14, v13
	v_subrev_co_ci_u32_e32 v12, vcc_lo, 0, v12, vcc_lo
	s_delay_alu instid0(VALU_DEP_1) | instskip(SKIP_1) | instid1(VALU_DEP_2)
	v_sub_nc_u32_e32 v95, 0, v12
	v_cvt_f32_i32_e32 v12, v12
	v_ldexp_f32 v17, v17, v95
	s_delay_alu instid0(VALU_DEP_1) | instskip(NEXT) | instid1(VALU_DEP_1)
	v_dual_add_f32 v96, 1.0, v96 :: v_dual_add_f32 v97, 1.0, v17
	v_dual_add_f32 v13, v13, v96 :: v_dual_add_f32 v96, -1.0, v97
	s_delay_alu instid0(VALU_DEP_1) | instskip(SKIP_4) | instid1(VALU_DEP_4)
	v_ldexp_f32 v13, v13, v95
	v_add_f32_e32 v95, -1.0, v17
	v_cmp_eq_f32_e32 vcc_lo, 0x7f800000, v14
	v_cmp_gt_f32_e64 s28, 0x33800000, v14
	v_sub_f32_e32 v96, v17, v96
	v_add_f32_e32 v98, 1.0, v95
	s_delay_alu instid0(VALU_DEP_3) | instskip(NEXT) | instid1(VALU_DEP_2)
	s_or_b32 vcc_lo, s28, vcc_lo
	v_add_f32_e32 v96, v13, v96
	s_delay_alu instid0(VALU_DEP_2) | instskip(NEXT) | instid1(VALU_DEP_1)
	v_sub_f32_e32 v17, v17, v98
	v_add_f32_e32 v13, v13, v17
	s_delay_alu instid0(VALU_DEP_1) | instskip(NEXT) | instid1(VALU_DEP_1)
	v_dual_add_f32 v99, v95, v13 :: v_dual_add_f32 v98, v97, v96
	v_sub_f32_e32 v95, v95, v99
	s_delay_alu instid0(VALU_DEP_2) | instskip(SKIP_1) | instid1(VALU_DEP_1)
	v_rcp_f32_e32 v17, v98
	v_sub_f32_e32 v97, v97, v98
	v_dual_add_f32 v13, v13, v95 :: v_dual_add_f32 v96, v96, v97
	s_waitcnt_depctr 0xfff
	v_mul_f32_e32 v100, v99, v17
	s_delay_alu instid0(VALU_DEP_1) | instskip(NEXT) | instid1(VALU_DEP_1)
	v_mul_f32_e32 v101, v98, v100
	v_fma_f32 v97, v100, v98, -v101
	s_delay_alu instid0(VALU_DEP_1) | instskip(NEXT) | instid1(VALU_DEP_1)
	v_fmac_f32_e32 v97, v100, v96
	v_add_f32_e32 v102, v101, v97
	s_delay_alu instid0(VALU_DEP_1) | instskip(NEXT) | instid1(VALU_DEP_1)
	v_sub_f32_e32 v103, v99, v102
	v_sub_f32_e32 v99, v99, v103
	;; [unrolled: 1-line block ×3, first 2 shown]
	s_delay_alu instid0(VALU_DEP_2) | instskip(NEXT) | instid1(VALU_DEP_2)
	v_sub_f32_e32 v99, v99, v102
	v_sub_f32_e32 v95, v95, v97
	s_delay_alu instid0(VALU_DEP_2) | instskip(NEXT) | instid1(VALU_DEP_1)
	v_add_f32_e32 v13, v13, v99
	v_add_f32_e32 v13, v95, v13
	s_delay_alu instid0(VALU_DEP_1) | instskip(NEXT) | instid1(VALU_DEP_1)
	v_add_f32_e32 v95, v103, v13
	v_mul_f32_e32 v97, v17, v95
	s_delay_alu instid0(VALU_DEP_1) | instskip(NEXT) | instid1(VALU_DEP_1)
	v_dual_sub_f32 v102, v103, v95 :: v_dual_mul_f32 v99, v98, v97
	v_add_f32_e32 v13, v13, v102
	s_delay_alu instid0(VALU_DEP_2) | instskip(NEXT) | instid1(VALU_DEP_1)
	v_fma_f32 v98, v97, v98, -v99
	v_fmac_f32_e32 v98, v97, v96
	s_delay_alu instid0(VALU_DEP_1) | instskip(NEXT) | instid1(VALU_DEP_1)
	v_add_f32_e32 v96, v99, v98
	v_sub_f32_e32 v101, v95, v96
	v_sub_f32_e32 v99, v96, v99
	s_delay_alu instid0(VALU_DEP_2) | instskip(NEXT) | instid1(VALU_DEP_1)
	v_sub_f32_e32 v95, v95, v101
	v_sub_f32_e32 v95, v95, v96
	s_delay_alu instid0(VALU_DEP_1) | instskip(SKIP_1) | instid1(VALU_DEP_1)
	v_dual_sub_f32 v96, v99, v98 :: v_dual_add_f32 v13, v13, v95
	v_add_f32_e32 v95, v100, v97
	v_dual_add_f32 v13, v96, v13 :: v_dual_sub_f32 v96, v95, v100
	s_delay_alu instid0(VALU_DEP_1) | instskip(NEXT) | instid1(VALU_DEP_2)
	v_add_f32_e32 v13, v101, v13
	v_sub_f32_e32 v96, v97, v96
	s_delay_alu instid0(VALU_DEP_2) | instskip(NEXT) | instid1(VALU_DEP_1)
	v_mul_f32_e32 v13, v17, v13
	v_add_f32_e32 v13, v96, v13
	s_delay_alu instid0(VALU_DEP_1) | instskip(NEXT) | instid1(VALU_DEP_1)
	v_add_f32_e32 v17, v95, v13
	v_mul_f32_e32 v96, v17, v17
	s_delay_alu instid0(VALU_DEP_1) | instskip(SKIP_1) | instid1(VALU_DEP_2)
	v_fmaak_f32 v97, s83, v96, 0x3ecc95a3
	v_mul_f32_e32 v98, v17, v96
	v_fmaak_f32 v96, v96, v97, 0x3f2aaada
	v_ldexp_f32 v97, v17, 1
	s_delay_alu instid0(VALU_DEP_2) | instskip(NEXT) | instid1(VALU_DEP_1)
	v_dual_sub_f32 v17, v17, v95 :: v_dual_mul_f32 v96, v98, v96
	v_dual_mul_f32 v98, 0x3f317218, v12 :: v_dual_sub_f32 v13, v13, v17
	s_delay_alu instid0(VALU_DEP_2) | instskip(NEXT) | instid1(VALU_DEP_2)
	v_add_f32_e32 v95, v97, v96
	v_ldexp_f32 v13, v13, 1
	s_delay_alu instid0(VALU_DEP_2) | instskip(NEXT) | instid1(VALU_DEP_4)
	v_sub_f32_e32 v17, v95, v97
	v_fma_f32 v97, 0x3f317218, v12, -v98
	s_delay_alu instid0(VALU_DEP_2) | instskip(NEXT) | instid1(VALU_DEP_1)
	v_sub_f32_e32 v17, v96, v17
	v_dual_fmac_f32 v97, 0xb102e308, v12 :: v_dual_add_f32 v12, v13, v17
	s_delay_alu instid0(VALU_DEP_1) | instskip(NEXT) | instid1(VALU_DEP_1)
	v_add_f32_e32 v13, v98, v97
	v_dual_add_f32 v17, v95, v12 :: v_dual_sub_f32 v98, v13, v98
	s_delay_alu instid0(VALU_DEP_1) | instskip(SKIP_1) | instid1(VALU_DEP_3)
	v_add_f32_e32 v96, v13, v17
	v_sub_f32_e32 v95, v17, v95
	v_sub_f32_e32 v97, v97, v98
	s_delay_alu instid0(VALU_DEP_3) | instskip(NEXT) | instid1(VALU_DEP_3)
	v_sub_f32_e32 v99, v96, v13
	v_sub_f32_e32 v12, v12, v95
	s_delay_alu instid0(VALU_DEP_2) | instskip(SKIP_1) | instid1(VALU_DEP_3)
	v_sub_f32_e32 v100, v96, v99
	v_sub_f32_e32 v17, v17, v99
	v_add_f32_e32 v95, v97, v12
	s_delay_alu instid0(VALU_DEP_3) | instskip(NEXT) | instid1(VALU_DEP_1)
	v_sub_f32_e32 v13, v13, v100
	v_add_f32_e32 v13, v17, v13
	s_delay_alu instid0(VALU_DEP_3) | instskip(NEXT) | instid1(VALU_DEP_2)
	v_sub_f32_e32 v17, v95, v97
	v_add_f32_e32 v13, v95, v13
	s_delay_alu instid0(VALU_DEP_2) | instskip(SKIP_1) | instid1(VALU_DEP_2)
	v_sub_f32_e32 v95, v95, v17
	v_sub_f32_e32 v12, v12, v17
	v_dual_add_f32 v98, v96, v13 :: v_dual_sub_f32 v95, v97, v95
	s_delay_alu instid0(VALU_DEP_1) | instskip(NEXT) | instid1(VALU_DEP_1)
	v_dual_sub_f32 v17, v98, v96 :: v_dual_add_f32 v12, v12, v95
	v_sub_f32_e32 v13, v13, v17
	s_delay_alu instid0(VALU_DEP_1) | instskip(NEXT) | instid1(VALU_DEP_1)
	v_add_f32_e32 v12, v12, v13
	v_add_f32_e32 v12, v98, v12
	s_delay_alu instid0(VALU_DEP_1)
	v_cndmask_b32_e32 v95, v12, v14, vcc_lo
.LBB54_86:                              ;   in Loop: Header=BB54_12 Depth=1
	s_or_b32 exec_lo, exec_lo, s29
	v_lshlrev_b32_e32 v12, 16, v15
	s_delay_alu instid0(VALU_DEP_1) | instskip(NEXT) | instid1(VALU_DEP_1)
	v_add_f32_e32 v96, s66, v12
	v_cmp_ge_f32_e32 vcc_lo, 0x41a00000, v96
	s_and_b32 s28, s79, vcc_lo
	s_delay_alu instid0(SALU_CYCLE_1)
	s_and_saveexec_b32 s29, s28
	s_cbranch_execz .LBB54_88
; %bb.87:                               ;   in Loop: Header=BB54_12 Depth=1
	v_mul_f32_e32 v12, 0x3fb8aa3b, v96
	v_cmp_ngt_f32_e32 vcc_lo, 0xc2ce8ed0, v96
	s_delay_alu instid0(VALU_DEP_2) | instskip(SKIP_1) | instid1(VALU_DEP_2)
	v_rndne_f32_e32 v13, v12
	v_fma_f32 v14, 0x3fb8aa3b, v96, -v12
	v_sub_f32_e32 v12, v12, v13
	s_delay_alu instid0(VALU_DEP_2) | instskip(SKIP_1) | instid1(VALU_DEP_2)
	v_fmac_f32_e32 v14, 0x32a5705f, v96
	v_cvt_i32_f32_e32 v13, v13
	v_add_f32_e32 v12, v12, v14
	s_delay_alu instid0(VALU_DEP_1) | instskip(SKIP_2) | instid1(VALU_DEP_1)
	v_exp_f32_e32 v12, v12
	s_waitcnt_depctr 0xfff
	v_ldexp_f32 v12, v12, v13
	v_cndmask_b32_e32 v12, 0, v12, vcc_lo
	v_cmp_nlt_f32_e32 vcc_lo, 0x42b17218, v96
	s_delay_alu instid0(VALU_DEP_2) | instskip(NEXT) | instid1(VALU_DEP_1)
	v_cndmask_b32_e32 v14, 0x7f800000, v12, vcc_lo
	v_add_f32_e32 v17, 1.0, v14
	s_delay_alu instid0(VALU_DEP_1) | instskip(NEXT) | instid1(VALU_DEP_1)
	v_cvt_f64_f32_e32 v[12:13], v17
	v_frexp_exp_i32_f64_e32 v12, v[12:13]
	v_frexp_mant_f32_e32 v13, v17
	s_delay_alu instid0(VALU_DEP_1) | instskip(SKIP_1) | instid1(VALU_DEP_1)
	v_cmp_gt_f32_e32 vcc_lo, 0x3f2aaaab, v13
	v_add_f32_e32 v13, -1.0, v17
	v_sub_f32_e32 v97, v13, v17
	s_delay_alu instid0(VALU_DEP_1) | instskip(SKIP_2) | instid1(VALU_DEP_2)
	v_add_f32_e32 v97, 1.0, v97
	v_sub_f32_e32 v13, v14, v13
	v_cmp_gt_f32_e64 s28, 0x33800000, v14
	v_add_f32_e32 v13, v13, v97
	v_subrev_co_ci_u32_e32 v12, vcc_lo, 0, v12, vcc_lo
	v_cmp_eq_f32_e32 vcc_lo, 0x7f800000, v14
	s_delay_alu instid0(VALU_DEP_2) | instskip(SKIP_2) | instid1(VALU_DEP_2)
	v_sub_nc_u32_e32 v96, 0, v12
	v_cvt_f32_i32_e32 v12, v12
	s_or_b32 vcc_lo, s28, vcc_lo
	v_ldexp_f32 v17, v17, v96
	v_ldexp_f32 v13, v13, v96
	s_delay_alu instid0(VALU_DEP_2) | instskip(NEXT) | instid1(VALU_DEP_1)
	v_add_f32_e32 v96, -1.0, v17
	v_dual_add_f32 v98, 1.0, v17 :: v_dual_add_f32 v99, 1.0, v96
	s_delay_alu instid0(VALU_DEP_1) | instskip(NEXT) | instid1(VALU_DEP_1)
	v_add_f32_e32 v97, -1.0, v98
	v_sub_f32_e32 v97, v17, v97
	s_delay_alu instid0(VALU_DEP_3) | instskip(NEXT) | instid1(VALU_DEP_2)
	v_sub_f32_e32 v17, v17, v99
	v_add_f32_e32 v97, v13, v97
	s_delay_alu instid0(VALU_DEP_2) | instskip(NEXT) | instid1(VALU_DEP_1)
	v_add_f32_e32 v13, v13, v17
	v_add_f32_e32 v100, v96, v13
	s_delay_alu instid0(VALU_DEP_1) | instskip(NEXT) | instid1(VALU_DEP_1)
	v_dual_sub_f32 v96, v96, v100 :: v_dual_add_f32 v99, v98, v97
	v_add_f32_e32 v13, v13, v96
	s_delay_alu instid0(VALU_DEP_2) | instskip(SKIP_1) | instid1(VALU_DEP_1)
	v_rcp_f32_e32 v17, v99
	v_sub_f32_e32 v98, v98, v99
	v_add_f32_e32 v97, v97, v98
	s_waitcnt_depctr 0xfff
	v_mul_f32_e32 v101, v100, v17
	s_delay_alu instid0(VALU_DEP_1) | instskip(NEXT) | instid1(VALU_DEP_1)
	v_mul_f32_e32 v102, v99, v101
	v_fma_f32 v98, v101, v99, -v102
	s_delay_alu instid0(VALU_DEP_1) | instskip(NEXT) | instid1(VALU_DEP_1)
	v_fmac_f32_e32 v98, v101, v97
	v_add_f32_e32 v103, v102, v98
	s_delay_alu instid0(VALU_DEP_1) | instskip(SKIP_1) | instid1(VALU_DEP_2)
	v_sub_f32_e32 v104, v100, v103
	v_sub_f32_e32 v96, v103, v102
	;; [unrolled: 1-line block ×3, first 2 shown]
	s_delay_alu instid0(VALU_DEP_1) | instskip(NEXT) | instid1(VALU_DEP_1)
	v_sub_f32_e32 v100, v100, v103
	v_dual_sub_f32 v96, v96, v98 :: v_dual_add_f32 v13, v13, v100
	s_delay_alu instid0(VALU_DEP_1) | instskip(NEXT) | instid1(VALU_DEP_1)
	v_add_f32_e32 v13, v96, v13
	v_add_f32_e32 v96, v104, v13
	s_delay_alu instid0(VALU_DEP_1) | instskip(NEXT) | instid1(VALU_DEP_1)
	v_mul_f32_e32 v98, v17, v96
	v_dual_sub_f32 v103, v104, v96 :: v_dual_mul_f32 v100, v99, v98
	s_delay_alu instid0(VALU_DEP_1) | instskip(NEXT) | instid1(VALU_DEP_2)
	v_add_f32_e32 v13, v13, v103
	v_fma_f32 v99, v98, v99, -v100
	s_delay_alu instid0(VALU_DEP_1) | instskip(NEXT) | instid1(VALU_DEP_1)
	v_fmac_f32_e32 v99, v98, v97
	v_add_f32_e32 v97, v100, v99
	s_delay_alu instid0(VALU_DEP_1) | instskip(NEXT) | instid1(VALU_DEP_1)
	v_sub_f32_e32 v102, v96, v97
	v_sub_f32_e32 v96, v96, v102
	s_delay_alu instid0(VALU_DEP_1) | instskip(NEXT) | instid1(VALU_DEP_1)
	v_sub_f32_e32 v96, v96, v97
	v_add_f32_e32 v13, v13, v96
	v_add_f32_e32 v96, v101, v98
	v_sub_f32_e32 v100, v97, v100
	s_delay_alu instid0(VALU_DEP_1) | instskip(NEXT) | instid1(VALU_DEP_1)
	v_sub_f32_e32 v97, v100, v99
	v_add_f32_e32 v13, v97, v13
	s_delay_alu instid0(VALU_DEP_4) | instskip(NEXT) | instid1(VALU_DEP_2)
	v_sub_f32_e32 v97, v96, v101
	v_add_f32_e32 v13, v102, v13
	s_delay_alu instid0(VALU_DEP_2) | instskip(NEXT) | instid1(VALU_DEP_2)
	v_sub_f32_e32 v97, v98, v97
	v_mul_f32_e32 v13, v17, v13
	s_delay_alu instid0(VALU_DEP_1) | instskip(NEXT) | instid1(VALU_DEP_1)
	v_add_f32_e32 v13, v97, v13
	v_add_f32_e32 v17, v96, v13
	s_delay_alu instid0(VALU_DEP_1) | instskip(NEXT) | instid1(VALU_DEP_1)
	v_mul_f32_e32 v97, v17, v17
	v_fmaak_f32 v98, s83, v97, 0x3ecc95a3
	v_mul_f32_e32 v99, v17, v97
	s_delay_alu instid0(VALU_DEP_2) | instskip(SKIP_1) | instid1(VALU_DEP_2)
	v_fmaak_f32 v97, v97, v98, 0x3f2aaada
	v_ldexp_f32 v98, v17, 1
	v_mul_f32_e32 v97, v99, v97
	s_delay_alu instid0(VALU_DEP_1) | instskip(NEXT) | instid1(VALU_DEP_1)
	v_dual_sub_f32 v17, v17, v96 :: v_dual_add_f32 v96, v98, v97
	v_sub_f32_e32 v13, v13, v17
	s_delay_alu instid0(VALU_DEP_2) | instskip(NEXT) | instid1(VALU_DEP_2)
	v_sub_f32_e32 v17, v96, v98
	v_ldexp_f32 v13, v13, 1
	s_delay_alu instid0(VALU_DEP_2) | instskip(SKIP_1) | instid1(VALU_DEP_1)
	v_sub_f32_e32 v17, v97, v17
	v_mul_f32_e32 v99, 0x3f317218, v12
	v_fma_f32 v98, 0x3f317218, v12, -v99
	s_delay_alu instid0(VALU_DEP_1) | instskip(NEXT) | instid1(VALU_DEP_1)
	v_fmac_f32_e32 v98, 0xb102e308, v12
	v_dual_add_f32 v12, v13, v17 :: v_dual_add_f32 v13, v99, v98
	s_delay_alu instid0(VALU_DEP_1) | instskip(NEXT) | instid1(VALU_DEP_1)
	v_add_f32_e32 v17, v96, v12
	v_add_f32_e32 v97, v13, v17
	v_sub_f32_e32 v96, v17, v96
	s_delay_alu instid0(VALU_DEP_2) | instskip(NEXT) | instid1(VALU_DEP_2)
	v_sub_f32_e32 v100, v97, v13
	v_dual_sub_f32 v12, v12, v96 :: v_dual_sub_f32 v99, v13, v99
	s_delay_alu instid0(VALU_DEP_2) | instskip(NEXT) | instid1(VALU_DEP_2)
	v_sub_f32_e32 v101, v97, v100
	v_dual_sub_f32 v17, v17, v100 :: v_dual_sub_f32 v98, v98, v99
	s_delay_alu instid0(VALU_DEP_1) | instskip(NEXT) | instid1(VALU_DEP_1)
	v_dual_sub_f32 v13, v13, v101 :: v_dual_add_f32 v96, v98, v12
	v_add_f32_e32 v13, v17, v13
	s_delay_alu instid0(VALU_DEP_2) | instskip(NEXT) | instid1(VALU_DEP_2)
	v_sub_f32_e32 v17, v96, v98
	v_add_f32_e32 v13, v96, v13
	s_delay_alu instid0(VALU_DEP_2) | instskip(SKIP_1) | instid1(VALU_DEP_2)
	v_sub_f32_e32 v96, v96, v17
	v_sub_f32_e32 v12, v12, v17
	v_dual_add_f32 v99, v97, v13 :: v_dual_sub_f32 v96, v98, v96
	s_delay_alu instid0(VALU_DEP_1) | instskip(NEXT) | instid1(VALU_DEP_1)
	v_dual_sub_f32 v17, v99, v97 :: v_dual_add_f32 v12, v12, v96
	v_sub_f32_e32 v13, v13, v17
	s_delay_alu instid0(VALU_DEP_1) | instskip(NEXT) | instid1(VALU_DEP_1)
	v_add_f32_e32 v12, v12, v13
	v_add_f32_e32 v12, v99, v12
	s_delay_alu instid0(VALU_DEP_1)
	v_cndmask_b32_e32 v96, v12, v14, vcc_lo
.LBB54_88:                              ;   in Loop: Header=BB54_12 Depth=1
	s_or_b32 exec_lo, exec_lo, s29
	v_and_b32_e32 v12, 0xffff0000, v15
	s_delay_alu instid0(VALU_DEP_1) | instskip(NEXT) | instid1(VALU_DEP_1)
	v_add_f32_e32 v97, s66, v12
	v_cmp_ge_f32_e32 vcc_lo, 0x41a00000, v97
	s_and_b32 s28, s79, vcc_lo
	s_delay_alu instid0(SALU_CYCLE_1)
	s_and_saveexec_b32 s29, s28
	s_cbranch_execz .LBB54_90
; %bb.89:                               ;   in Loop: Header=BB54_12 Depth=1
	v_mul_f32_e32 v12, 0x3fb8aa3b, v97
	v_cmp_ngt_f32_e32 vcc_lo, 0xc2ce8ed0, v97
	s_delay_alu instid0(VALU_DEP_2) | instskip(SKIP_1) | instid1(VALU_DEP_2)
	v_rndne_f32_e32 v13, v12
	v_fma_f32 v14, 0x3fb8aa3b, v97, -v12
	v_sub_f32_e32 v12, v12, v13
	s_delay_alu instid0(VALU_DEP_2) | instskip(SKIP_1) | instid1(VALU_DEP_2)
	v_fmac_f32_e32 v14, 0x32a5705f, v97
	v_cvt_i32_f32_e32 v13, v13
	v_add_f32_e32 v12, v12, v14
	s_delay_alu instid0(VALU_DEP_1) | instskip(SKIP_2) | instid1(VALU_DEP_1)
	v_exp_f32_e32 v12, v12
	s_waitcnt_depctr 0xfff
	v_ldexp_f32 v12, v12, v13
	v_cndmask_b32_e32 v12, 0, v12, vcc_lo
	v_cmp_nlt_f32_e32 vcc_lo, 0x42b17218, v97
	s_delay_alu instid0(VALU_DEP_2) | instskip(NEXT) | instid1(VALU_DEP_1)
	v_cndmask_b32_e32 v14, 0x7f800000, v12, vcc_lo
	v_add_f32_e32 v15, 1.0, v14
	s_delay_alu instid0(VALU_DEP_1) | instskip(NEXT) | instid1(VALU_DEP_1)
	v_cvt_f64_f32_e32 v[12:13], v15
	v_frexp_exp_i32_f64_e32 v12, v[12:13]
	v_frexp_mant_f32_e32 v13, v15
	s_delay_alu instid0(VALU_DEP_1) | instskip(SKIP_1) | instid1(VALU_DEP_1)
	v_cmp_gt_f32_e32 vcc_lo, 0x3f2aaaab, v13
	v_add_f32_e32 v13, -1.0, v15
	v_sub_f32_e32 v97, v13, v15
	v_sub_f32_e32 v13, v14, v13
	s_delay_alu instid0(VALU_DEP_2) | instskip(NEXT) | instid1(VALU_DEP_1)
	v_add_f32_e32 v97, 1.0, v97
	v_add_f32_e32 v13, v13, v97
	v_cmp_gt_f32_e64 s28, 0x33800000, v14
	v_subrev_co_ci_u32_e32 v12, vcc_lo, 0, v12, vcc_lo
	v_cmp_eq_f32_e32 vcc_lo, 0x7f800000, v14
	s_delay_alu instid0(VALU_DEP_2) | instskip(SKIP_2) | instid1(VALU_DEP_2)
	v_sub_nc_u32_e32 v17, 0, v12
	v_cvt_f32_i32_e32 v12, v12
	s_or_b32 vcc_lo, s28, vcc_lo
	v_ldexp_f32 v15, v15, v17
	v_ldexp_f32 v13, v13, v17
	s_delay_alu instid0(VALU_DEP_2) | instskip(SKIP_1) | instid1(VALU_DEP_2)
	v_add_f32_e32 v98, 1.0, v15
	v_add_f32_e32 v17, -1.0, v15
	v_add_f32_e32 v97, -1.0, v98
	s_delay_alu instid0(VALU_DEP_2) | instskip(NEXT) | instid1(VALU_DEP_2)
	v_add_f32_e32 v99, 1.0, v17
	v_sub_f32_e32 v97, v15, v97
	s_delay_alu instid0(VALU_DEP_2) | instskip(NEXT) | instid1(VALU_DEP_2)
	v_sub_f32_e32 v15, v15, v99
	v_add_f32_e32 v97, v13, v97
	s_delay_alu instid0(VALU_DEP_2) | instskip(NEXT) | instid1(VALU_DEP_1)
	v_add_f32_e32 v13, v13, v15
	v_add_f32_e32 v100, v17, v13
	s_delay_alu instid0(VALU_DEP_3) | instskip(NEXT) | instid1(VALU_DEP_1)
	v_add_f32_e32 v99, v98, v97
	v_rcp_f32_e32 v15, v99
	v_sub_f32_e32 v98, v98, v99
	s_delay_alu instid0(VALU_DEP_1) | instskip(SKIP_2) | instid1(VALU_DEP_1)
	v_add_f32_e32 v97, v97, v98
	s_waitcnt_depctr 0xfff
	v_mul_f32_e32 v101, v100, v15
	v_dual_mul_f32 v102, v99, v101 :: v_dual_sub_f32 v17, v17, v100
	s_delay_alu instid0(VALU_DEP_1) | instskip(NEXT) | instid1(VALU_DEP_2)
	v_fma_f32 v98, v101, v99, -v102
	v_add_f32_e32 v13, v13, v17
	s_delay_alu instid0(VALU_DEP_2) | instskip(NEXT) | instid1(VALU_DEP_1)
	v_fmac_f32_e32 v98, v101, v97
	v_add_f32_e32 v103, v102, v98
	s_delay_alu instid0(VALU_DEP_1) | instskip(NEXT) | instid1(VALU_DEP_1)
	v_dual_sub_f32 v104, v100, v103 :: v_dual_sub_f32 v17, v103, v102
	v_dual_sub_f32 v100, v100, v104 :: v_dual_sub_f32 v17, v17, v98
	s_delay_alu instid0(VALU_DEP_1) | instskip(NEXT) | instid1(VALU_DEP_1)
	v_sub_f32_e32 v100, v100, v103
	v_add_f32_e32 v13, v13, v100
	s_delay_alu instid0(VALU_DEP_1) | instskip(NEXT) | instid1(VALU_DEP_1)
	v_add_f32_e32 v13, v17, v13
	v_add_f32_e32 v17, v104, v13
	s_delay_alu instid0(VALU_DEP_1) | instskip(NEXT) | instid1(VALU_DEP_1)
	v_mul_f32_e32 v98, v15, v17
	v_dual_sub_f32 v103, v104, v17 :: v_dual_mul_f32 v100, v99, v98
	s_delay_alu instid0(VALU_DEP_1) | instskip(NEXT) | instid1(VALU_DEP_2)
	v_add_f32_e32 v13, v13, v103
	v_fma_f32 v99, v98, v99, -v100
	s_delay_alu instid0(VALU_DEP_1) | instskip(NEXT) | instid1(VALU_DEP_1)
	v_fmac_f32_e32 v99, v98, v97
	v_add_f32_e32 v97, v100, v99
	s_delay_alu instid0(VALU_DEP_1) | instskip(SKIP_1) | instid1(VALU_DEP_2)
	v_sub_f32_e32 v102, v17, v97
	v_sub_f32_e32 v100, v97, v100
	;; [unrolled: 1-line block ×3, first 2 shown]
	s_delay_alu instid0(VALU_DEP_1) | instskip(NEXT) | instid1(VALU_DEP_3)
	v_sub_f32_e32 v17, v17, v97
	v_sub_f32_e32 v97, v100, v99
	s_delay_alu instid0(VALU_DEP_2) | instskip(SKIP_1) | instid1(VALU_DEP_2)
	v_add_f32_e32 v13, v13, v17
	v_add_f32_e32 v17, v101, v98
	;; [unrolled: 1-line block ×3, first 2 shown]
	s_delay_alu instid0(VALU_DEP_2) | instskip(NEXT) | instid1(VALU_DEP_2)
	v_sub_f32_e32 v97, v17, v101
	v_add_f32_e32 v13, v102, v13
	s_delay_alu instid0(VALU_DEP_2) | instskip(NEXT) | instid1(VALU_DEP_2)
	v_sub_f32_e32 v97, v98, v97
	v_mul_f32_e32 v13, v15, v13
	s_delay_alu instid0(VALU_DEP_1) | instskip(NEXT) | instid1(VALU_DEP_1)
	v_add_f32_e32 v13, v97, v13
	v_add_f32_e32 v15, v17, v13
	s_delay_alu instid0(VALU_DEP_1) | instskip(NEXT) | instid1(VALU_DEP_1)
	v_mul_f32_e32 v97, v15, v15
	v_fmaak_f32 v98, s83, v97, 0x3ecc95a3
	v_mul_f32_e32 v99, v15, v97
	s_delay_alu instid0(VALU_DEP_2) | instskip(SKIP_2) | instid1(VALU_DEP_3)
	v_fmaak_f32 v97, v97, v98, 0x3f2aaada
	v_ldexp_f32 v98, v15, 1
	v_sub_f32_e32 v15, v15, v17
	v_mul_f32_e32 v97, v99, v97
	v_mul_f32_e32 v99, 0x3f317218, v12
	s_delay_alu instid0(VALU_DEP_3) | instskip(NEXT) | instid1(VALU_DEP_3)
	v_sub_f32_e32 v13, v13, v15
	v_add_f32_e32 v17, v98, v97
	s_delay_alu instid0(VALU_DEP_2) | instskip(NEXT) | instid1(VALU_DEP_2)
	v_ldexp_f32 v13, v13, 1
	v_sub_f32_e32 v15, v17, v98
	v_fma_f32 v98, 0x3f317218, v12, -v99
	s_delay_alu instid0(VALU_DEP_1) | instskip(NEXT) | instid1(VALU_DEP_1)
	v_dual_sub_f32 v15, v97, v15 :: v_dual_fmac_f32 v98, 0xb102e308, v12
	v_dual_add_f32 v12, v13, v15 :: v_dual_add_f32 v13, v99, v98
	s_delay_alu instid0(VALU_DEP_1) | instskip(NEXT) | instid1(VALU_DEP_1)
	v_add_f32_e32 v15, v17, v12
	v_add_f32_e32 v97, v13, v15
	v_sub_f32_e32 v17, v15, v17
	s_delay_alu instid0(VALU_DEP_2) | instskip(NEXT) | instid1(VALU_DEP_2)
	v_sub_f32_e32 v100, v97, v13
	v_dual_sub_f32 v99, v13, v99 :: v_dual_sub_f32 v12, v12, v17
	s_delay_alu instid0(VALU_DEP_1) | instskip(SKIP_1) | instid1(VALU_DEP_2)
	v_dual_sub_f32 v101, v97, v100 :: v_dual_sub_f32 v98, v98, v99
	v_sub_f32_e32 v15, v15, v100
	v_sub_f32_e32 v13, v13, v101
	s_delay_alu instid0(VALU_DEP_3) | instskip(NEXT) | instid1(VALU_DEP_2)
	v_add_f32_e32 v17, v98, v12
	v_add_f32_e32 v13, v15, v13
	s_delay_alu instid0(VALU_DEP_2) | instskip(NEXT) | instid1(VALU_DEP_2)
	v_sub_f32_e32 v15, v17, v98
	v_add_f32_e32 v13, v17, v13
	s_delay_alu instid0(VALU_DEP_2) | instskip(NEXT) | instid1(VALU_DEP_2)
	v_sub_f32_e32 v17, v17, v15
	v_dual_sub_f32 v12, v12, v15 :: v_dual_add_f32 v99, v97, v13
	s_delay_alu instid0(VALU_DEP_2) | instskip(NEXT) | instid1(VALU_DEP_2)
	v_sub_f32_e32 v17, v98, v17
	v_sub_f32_e32 v15, v99, v97
	s_delay_alu instid0(VALU_DEP_1) | instskip(NEXT) | instid1(VALU_DEP_1)
	v_dual_add_f32 v12, v12, v17 :: v_dual_sub_f32 v13, v13, v15
	v_add_f32_e32 v12, v12, v13
	s_delay_alu instid0(VALU_DEP_1) | instskip(NEXT) | instid1(VALU_DEP_1)
	v_add_f32_e32 v12, v99, v12
	v_cndmask_b32_e32 v97, v12, v14, vcc_lo
.LBB54_90:                              ;   in Loop: Header=BB54_12 Depth=1
	s_or_b32 exec_lo, exec_lo, s29
	s_waitcnt lgkmcnt(0)
	v_lshlrev_b32_e32 v12, 16, v8
	s_delay_alu instid0(VALU_DEP_1) | instskip(NEXT) | instid1(VALU_DEP_1)
	v_add_f32_e32 v98, s66, v12
	v_cmp_ge_f32_e32 vcc_lo, 0x41a00000, v98
	s_and_b32 s28, s79, vcc_lo
	s_delay_alu instid0(SALU_CYCLE_1)
	s_and_saveexec_b32 s29, s28
	s_cbranch_execz .LBB54_92
; %bb.91:                               ;   in Loop: Header=BB54_12 Depth=1
	v_mul_f32_e32 v12, 0x3fb8aa3b, v98
	v_cmp_ngt_f32_e32 vcc_lo, 0xc2ce8ed0, v98
	s_delay_alu instid0(VALU_DEP_2) | instskip(SKIP_1) | instid1(VALU_DEP_2)
	v_rndne_f32_e32 v13, v12
	v_fma_f32 v14, 0x3fb8aa3b, v98, -v12
	v_sub_f32_e32 v12, v12, v13
	s_delay_alu instid0(VALU_DEP_2) | instskip(SKIP_1) | instid1(VALU_DEP_2)
	v_fmac_f32_e32 v14, 0x32a5705f, v98
	v_cvt_i32_f32_e32 v13, v13
	v_add_f32_e32 v12, v12, v14
	s_delay_alu instid0(VALU_DEP_1) | instskip(SKIP_2) | instid1(VALU_DEP_1)
	v_exp_f32_e32 v12, v12
	s_waitcnt_depctr 0xfff
	v_ldexp_f32 v12, v12, v13
	v_cndmask_b32_e32 v12, 0, v12, vcc_lo
	v_cmp_nlt_f32_e32 vcc_lo, 0x42b17218, v98
	s_delay_alu instid0(VALU_DEP_2) | instskip(NEXT) | instid1(VALU_DEP_1)
	v_cndmask_b32_e32 v14, 0x7f800000, v12, vcc_lo
	v_add_f32_e32 v15, 1.0, v14
	s_delay_alu instid0(VALU_DEP_1) | instskip(NEXT) | instid1(VALU_DEP_1)
	v_cvt_f64_f32_e32 v[12:13], v15
	v_frexp_exp_i32_f64_e32 v12, v[12:13]
	v_frexp_mant_f32_e32 v13, v15
	s_delay_alu instid0(VALU_DEP_1) | instskip(SKIP_1) | instid1(VALU_DEP_1)
	v_cmp_gt_f32_e32 vcc_lo, 0x3f2aaaab, v13
	v_add_f32_e32 v13, -1.0, v15
	v_dual_sub_f32 v98, v13, v15 :: v_dual_sub_f32 v13, v14, v13
	s_delay_alu instid0(VALU_DEP_1) | instskip(NEXT) | instid1(VALU_DEP_1)
	v_add_f32_e32 v98, 1.0, v98
	v_add_f32_e32 v13, v13, v98
	v_subrev_co_ci_u32_e32 v12, vcc_lo, 0, v12, vcc_lo
	s_delay_alu instid0(VALU_DEP_1) | instskip(SKIP_1) | instid1(VALU_DEP_2)
	v_sub_nc_u32_e32 v17, 0, v12
	v_cvt_f32_i32_e32 v12, v12
	v_ldexp_f32 v15, v15, v17
	v_ldexp_f32 v13, v13, v17
	s_delay_alu instid0(VALU_DEP_2) | instskip(SKIP_3) | instid1(VALU_DEP_4)
	v_add_f32_e32 v99, 1.0, v15
	v_add_f32_e32 v17, -1.0, v15
	v_cmp_eq_f32_e32 vcc_lo, 0x7f800000, v14
	v_cmp_gt_f32_e64 s28, 0x33800000, v14
	v_add_f32_e32 v98, -1.0, v99
	s_delay_alu instid0(VALU_DEP_4) | instskip(NEXT) | instid1(VALU_DEP_3)
	v_add_f32_e32 v100, 1.0, v17
	s_or_b32 vcc_lo, s28, vcc_lo
	s_delay_alu instid0(VALU_DEP_2) | instskip(NEXT) | instid1(VALU_DEP_1)
	v_sub_f32_e32 v98, v15, v98
	v_dual_sub_f32 v15, v15, v100 :: v_dual_add_f32 v98, v13, v98
	s_delay_alu instid0(VALU_DEP_1) | instskip(NEXT) | instid1(VALU_DEP_1)
	v_add_f32_e32 v13, v13, v15
	v_dual_add_f32 v101, v17, v13 :: v_dual_add_f32 v100, v99, v98
	s_delay_alu instid0(VALU_DEP_1) | instskip(NEXT) | instid1(VALU_DEP_2)
	v_sub_f32_e32 v17, v17, v101
	v_rcp_f32_e32 v15, v100
	v_sub_f32_e32 v99, v99, v100
	s_delay_alu instid0(VALU_DEP_1) | instskip(SKIP_2) | instid1(VALU_DEP_1)
	v_dual_add_f32 v98, v98, v99 :: v_dual_add_f32 v13, v13, v17
	s_waitcnt_depctr 0xfff
	v_mul_f32_e32 v102, v101, v15
	v_mul_f32_e32 v103, v100, v102
	s_delay_alu instid0(VALU_DEP_1) | instskip(NEXT) | instid1(VALU_DEP_1)
	v_fma_f32 v99, v102, v100, -v103
	v_fmac_f32_e32 v99, v102, v98
	s_delay_alu instid0(VALU_DEP_1) | instskip(NEXT) | instid1(VALU_DEP_1)
	v_add_f32_e32 v104, v103, v99
	v_sub_f32_e32 v105, v101, v104
	s_delay_alu instid0(VALU_DEP_1) | instskip(SKIP_1) | instid1(VALU_DEP_2)
	v_sub_f32_e32 v101, v101, v105
	v_sub_f32_e32 v17, v104, v103
	;; [unrolled: 1-line block ×3, first 2 shown]
	s_delay_alu instid0(VALU_DEP_2) | instskip(NEXT) | instid1(VALU_DEP_2)
	v_sub_f32_e32 v17, v17, v99
	v_add_f32_e32 v13, v13, v101
	s_delay_alu instid0(VALU_DEP_1) | instskip(NEXT) | instid1(VALU_DEP_1)
	v_add_f32_e32 v13, v17, v13
	v_add_f32_e32 v17, v105, v13
	s_delay_alu instid0(VALU_DEP_1) | instskip(NEXT) | instid1(VALU_DEP_1)
	v_mul_f32_e32 v99, v15, v17
	v_dual_sub_f32 v104, v105, v17 :: v_dual_mul_f32 v101, v100, v99
	s_delay_alu instid0(VALU_DEP_1) | instskip(NEXT) | instid1(VALU_DEP_2)
	v_add_f32_e32 v13, v13, v104
	v_fma_f32 v100, v99, v100, -v101
	s_delay_alu instid0(VALU_DEP_1) | instskip(NEXT) | instid1(VALU_DEP_1)
	v_fmac_f32_e32 v100, v99, v98
	v_add_f32_e32 v98, v101, v100
	s_delay_alu instid0(VALU_DEP_1) | instskip(NEXT) | instid1(VALU_DEP_1)
	v_sub_f32_e32 v103, v17, v98
	v_sub_f32_e32 v17, v17, v103
	s_delay_alu instid0(VALU_DEP_1) | instskip(NEXT) | instid1(VALU_DEP_1)
	v_sub_f32_e32 v17, v17, v98
	v_add_f32_e32 v13, v13, v17
	v_add_f32_e32 v17, v102, v99
	v_sub_f32_e32 v101, v98, v101
	s_delay_alu instid0(VALU_DEP_1) | instskip(NEXT) | instid1(VALU_DEP_1)
	v_sub_f32_e32 v98, v101, v100
	v_dual_add_f32 v13, v98, v13 :: v_dual_sub_f32 v98, v17, v102
	s_delay_alu instid0(VALU_DEP_1) | instskip(NEXT) | instid1(VALU_DEP_2)
	v_add_f32_e32 v13, v103, v13
	v_sub_f32_e32 v98, v99, v98
	s_delay_alu instid0(VALU_DEP_2) | instskip(NEXT) | instid1(VALU_DEP_1)
	v_mul_f32_e32 v13, v15, v13
	v_add_f32_e32 v13, v98, v13
	s_delay_alu instid0(VALU_DEP_1) | instskip(NEXT) | instid1(VALU_DEP_1)
	v_add_f32_e32 v15, v17, v13
	v_mul_f32_e32 v98, v15, v15
	s_delay_alu instid0(VALU_DEP_1) | instskip(SKIP_1) | instid1(VALU_DEP_2)
	v_fmaak_f32 v99, s83, v98, 0x3ecc95a3
	v_mul_f32_e32 v100, v15, v98
	v_fmaak_f32 v98, v98, v99, 0x3f2aaada
	v_ldexp_f32 v99, v15, 1
	s_delay_alu instid0(VALU_DEP_2) | instskip(NEXT) | instid1(VALU_DEP_1)
	v_dual_sub_f32 v15, v15, v17 :: v_dual_mul_f32 v98, v100, v98
	v_dual_mul_f32 v100, 0x3f317218, v12 :: v_dual_sub_f32 v13, v13, v15
	s_delay_alu instid0(VALU_DEP_2) | instskip(NEXT) | instid1(VALU_DEP_2)
	v_add_f32_e32 v17, v99, v98
	v_ldexp_f32 v13, v13, 1
	s_delay_alu instid0(VALU_DEP_2) | instskip(NEXT) | instid1(VALU_DEP_4)
	v_sub_f32_e32 v15, v17, v99
	v_fma_f32 v99, 0x3f317218, v12, -v100
	s_delay_alu instid0(VALU_DEP_2) | instskip(NEXT) | instid1(VALU_DEP_1)
	v_sub_f32_e32 v15, v98, v15
	v_dual_fmac_f32 v99, 0xb102e308, v12 :: v_dual_add_f32 v12, v13, v15
	s_delay_alu instid0(VALU_DEP_1) | instskip(NEXT) | instid1(VALU_DEP_2)
	v_add_f32_e32 v13, v100, v99
	v_add_f32_e32 v15, v17, v12
	s_delay_alu instid0(VALU_DEP_2) | instskip(NEXT) | instid1(VALU_DEP_2)
	v_sub_f32_e32 v100, v13, v100
	v_dual_add_f32 v98, v13, v15 :: v_dual_sub_f32 v17, v15, v17
	s_delay_alu instid0(VALU_DEP_2) | instskip(NEXT) | instid1(VALU_DEP_2)
	v_sub_f32_e32 v99, v99, v100
	v_sub_f32_e32 v101, v98, v13
	s_delay_alu instid0(VALU_DEP_3) | instskip(NEXT) | instid1(VALU_DEP_2)
	v_sub_f32_e32 v12, v12, v17
	v_sub_f32_e32 v102, v98, v101
	v_sub_f32_e32 v15, v15, v101
	s_delay_alu instid0(VALU_DEP_3) | instskip(NEXT) | instid1(VALU_DEP_3)
	v_add_f32_e32 v17, v99, v12
	v_sub_f32_e32 v13, v13, v102
	s_delay_alu instid0(VALU_DEP_1) | instskip(NEXT) | instid1(VALU_DEP_3)
	v_add_f32_e32 v13, v15, v13
	v_sub_f32_e32 v15, v17, v99
	s_delay_alu instid0(VALU_DEP_2) | instskip(NEXT) | instid1(VALU_DEP_2)
	v_add_f32_e32 v13, v17, v13
	v_sub_f32_e32 v17, v17, v15
	v_sub_f32_e32 v12, v12, v15
	s_delay_alu instid0(VALU_DEP_3) | instskip(NEXT) | instid1(VALU_DEP_3)
	v_add_f32_e32 v100, v98, v13
	v_sub_f32_e32 v17, v99, v17
	s_delay_alu instid0(VALU_DEP_2) | instskip(NEXT) | instid1(VALU_DEP_1)
	v_sub_f32_e32 v15, v100, v98
	v_dual_add_f32 v12, v12, v17 :: v_dual_sub_f32 v13, v13, v15
	s_delay_alu instid0(VALU_DEP_1) | instskip(NEXT) | instid1(VALU_DEP_1)
	v_add_f32_e32 v12, v12, v13
	v_add_f32_e32 v12, v100, v12
	s_delay_alu instid0(VALU_DEP_1)
	v_cndmask_b32_e32 v98, v12, v14, vcc_lo
.LBB54_92:                              ;   in Loop: Header=BB54_12 Depth=1
	s_or_b32 exec_lo, exec_lo, s29
	v_and_b32_e32 v8, 0xffff0000, v8
	s_delay_alu instid0(VALU_DEP_1) | instskip(NEXT) | instid1(VALU_DEP_1)
	v_add_f32_e32 v99, s66, v8
	v_cmp_ge_f32_e32 vcc_lo, 0x41a00000, v99
	s_and_b32 s28, s79, vcc_lo
	s_delay_alu instid0(SALU_CYCLE_1)
	s_and_saveexec_b32 s29, s28
	s_cbranch_execz .LBB54_94
; %bb.93:                               ;   in Loop: Header=BB54_12 Depth=1
	v_mul_f32_e32 v8, 0x3fb8aa3b, v99
	v_cmp_ngt_f32_e32 vcc_lo, 0xc2ce8ed0, v99
	s_delay_alu instid0(VALU_DEP_2) | instskip(SKIP_1) | instid1(VALU_DEP_1)
	v_rndne_f32_e32 v12, v8
	v_fma_f32 v13, 0x3fb8aa3b, v99, -v8
	v_dual_sub_f32 v8, v8, v12 :: v_dual_fmac_f32 v13, 0x32a5705f, v99
	v_cvt_i32_f32_e32 v12, v12
	s_delay_alu instid0(VALU_DEP_2) | instskip(NEXT) | instid1(VALU_DEP_1)
	v_add_f32_e32 v8, v8, v13
	v_exp_f32_e32 v8, v8
	s_waitcnt_depctr 0xfff
	v_ldexp_f32 v8, v8, v12
	s_delay_alu instid0(VALU_DEP_1) | instskip(SKIP_1) | instid1(VALU_DEP_2)
	v_cndmask_b32_e32 v8, 0, v8, vcc_lo
	v_cmp_nlt_f32_e32 vcc_lo, 0x42b17218, v99
	v_cndmask_b32_e32 v8, 0x7f800000, v8, vcc_lo
	s_delay_alu instid0(VALU_DEP_1) | instskip(NEXT) | instid1(VALU_DEP_1)
	v_add_f32_e32 v14, 1.0, v8
	v_cvt_f64_f32_e32 v[12:13], v14
	s_delay_alu instid0(VALU_DEP_1) | instskip(SKIP_1) | instid1(VALU_DEP_1)
	v_frexp_exp_i32_f64_e32 v12, v[12:13]
	v_frexp_mant_f32_e32 v13, v14
	v_cmp_gt_f32_e32 vcc_lo, 0x3f2aaaab, v13
	v_add_f32_e32 v13, -1.0, v14
	s_delay_alu instid0(VALU_DEP_1) | instskip(NEXT) | instid1(VALU_DEP_1)
	v_sub_f32_e32 v17, v13, v14
	v_add_f32_e32 v17, 1.0, v17
	v_subrev_co_ci_u32_e32 v12, vcc_lo, 0, v12, vcc_lo
	s_delay_alu instid0(VALU_DEP_1) | instskip(SKIP_1) | instid1(VALU_DEP_2)
	v_sub_nc_u32_e32 v15, 0, v12
	v_cvt_f32_i32_e32 v12, v12
	v_ldexp_f32 v14, v14, v15
	s_delay_alu instid0(VALU_DEP_1) | instskip(SKIP_3) | instid1(VALU_DEP_3)
	v_add_f32_e32 v99, 1.0, v14
	v_sub_f32_e32 v13, v8, v13
	v_cmp_eq_f32_e32 vcc_lo, 0x7f800000, v8
	v_cmp_gt_f32_e64 s28, 0x33800000, v8
	v_add_f32_e32 v13, v13, v17
	s_delay_alu instid0(VALU_DEP_2) | instskip(NEXT) | instid1(VALU_DEP_1)
	s_or_b32 vcc_lo, s28, vcc_lo
	v_ldexp_f32 v13, v13, v15
	v_add_f32_e32 v15, -1.0, v14
	s_delay_alu instid0(VALU_DEP_1) | instskip(SKIP_1) | instid1(VALU_DEP_1)
	v_add_f32_e32 v100, 1.0, v15
	v_add_f32_e32 v17, -1.0, v99
	v_sub_f32_e32 v17, v14, v17
	s_delay_alu instid0(VALU_DEP_1) | instskip(NEXT) | instid1(VALU_DEP_1)
	v_dual_sub_f32 v14, v14, v100 :: v_dual_add_f32 v17, v13, v17
	v_add_f32_e32 v100, v99, v17
	s_delay_alu instid0(VALU_DEP_1) | instskip(NEXT) | instid1(VALU_DEP_1)
	v_sub_f32_e32 v99, v99, v100
	v_add_f32_e32 v17, v17, v99
	s_delay_alu instid0(VALU_DEP_4) | instskip(SKIP_1) | instid1(VALU_DEP_1)
	v_add_f32_e32 v13, v13, v14
	v_rcp_f32_e32 v14, v100
	v_add_f32_e32 v101, v15, v13
	s_waitcnt_depctr 0xfff
	v_dual_sub_f32 v15, v15, v101 :: v_dual_mul_f32 v102, v101, v14
	s_delay_alu instid0(VALU_DEP_1) | instskip(NEXT) | instid1(VALU_DEP_2)
	v_add_f32_e32 v13, v13, v15
	v_mul_f32_e32 v103, v100, v102
	s_delay_alu instid0(VALU_DEP_1) | instskip(NEXT) | instid1(VALU_DEP_1)
	v_fma_f32 v99, v102, v100, -v103
	v_fmac_f32_e32 v99, v102, v17
	s_delay_alu instid0(VALU_DEP_1) | instskip(NEXT) | instid1(VALU_DEP_1)
	v_add_f32_e32 v104, v103, v99
	v_sub_f32_e32 v105, v101, v104
	v_sub_f32_e32 v15, v104, v103
	s_delay_alu instid0(VALU_DEP_2) | instskip(NEXT) | instid1(VALU_DEP_2)
	v_sub_f32_e32 v101, v101, v105
	v_sub_f32_e32 v15, v15, v99
	s_delay_alu instid0(VALU_DEP_2) | instskip(NEXT) | instid1(VALU_DEP_1)
	v_sub_f32_e32 v101, v101, v104
	v_add_f32_e32 v13, v13, v101
	s_delay_alu instid0(VALU_DEP_1) | instskip(NEXT) | instid1(VALU_DEP_1)
	v_add_f32_e32 v13, v15, v13
	v_add_f32_e32 v15, v105, v13
	s_delay_alu instid0(VALU_DEP_1) | instskip(SKIP_1) | instid1(VALU_DEP_2)
	v_mul_f32_e32 v99, v14, v15
	v_sub_f32_e32 v104, v105, v15
	v_mul_f32_e32 v101, v100, v99
	s_delay_alu instid0(VALU_DEP_2) | instskip(NEXT) | instid1(VALU_DEP_2)
	v_add_f32_e32 v13, v13, v104
	v_fma_f32 v100, v99, v100, -v101
	s_delay_alu instid0(VALU_DEP_1) | instskip(NEXT) | instid1(VALU_DEP_1)
	v_fmac_f32_e32 v100, v99, v17
	v_add_f32_e32 v17, v101, v100
	s_delay_alu instid0(VALU_DEP_1) | instskip(SKIP_1) | instid1(VALU_DEP_2)
	v_sub_f32_e32 v103, v15, v17
	v_sub_f32_e32 v101, v17, v101
	;; [unrolled: 1-line block ×3, first 2 shown]
	s_delay_alu instid0(VALU_DEP_1) | instskip(NEXT) | instid1(VALU_DEP_3)
	v_sub_f32_e32 v15, v15, v17
	v_sub_f32_e32 v17, v101, v100
	s_delay_alu instid0(VALU_DEP_2) | instskip(SKIP_1) | instid1(VALU_DEP_2)
	v_add_f32_e32 v13, v13, v15
	v_add_f32_e32 v15, v102, v99
	;; [unrolled: 1-line block ×3, first 2 shown]
	s_delay_alu instid0(VALU_DEP_2) | instskip(NEXT) | instid1(VALU_DEP_2)
	v_sub_f32_e32 v17, v15, v102
	v_add_f32_e32 v13, v103, v13
	s_delay_alu instid0(VALU_DEP_2) | instskip(NEXT) | instid1(VALU_DEP_2)
	v_sub_f32_e32 v17, v99, v17
	v_mul_f32_e32 v13, v14, v13
	s_delay_alu instid0(VALU_DEP_1) | instskip(NEXT) | instid1(VALU_DEP_1)
	v_add_f32_e32 v13, v17, v13
	v_add_f32_e32 v14, v15, v13
	s_delay_alu instid0(VALU_DEP_1) | instskip(NEXT) | instid1(VALU_DEP_1)
	v_mul_f32_e32 v17, v14, v14
	v_fmaak_f32 v99, s83, v17, 0x3ecc95a3
	s_delay_alu instid0(VALU_DEP_1) | instskip(SKIP_1) | instid1(VALU_DEP_2)
	v_dual_mul_f32 v100, v14, v17 :: v_dual_fmaak_f32 v17, v17, v99, 0x3f2aaada
	v_ldexp_f32 v99, v14, 1
	v_dual_sub_f32 v14, v14, v15 :: v_dual_mul_f32 v17, v100, v17
	s_delay_alu instid0(VALU_DEP_1) | instskip(NEXT) | instid1(VALU_DEP_2)
	v_dual_mul_f32 v100, 0x3f317218, v12 :: v_dual_sub_f32 v13, v13, v14
	v_add_f32_e32 v15, v99, v17
	s_delay_alu instid0(VALU_DEP_2) | instskip(NEXT) | instid1(VALU_DEP_2)
	v_ldexp_f32 v13, v13, 1
	v_sub_f32_e32 v14, v15, v99
	s_delay_alu instid0(VALU_DEP_4) | instskip(NEXT) | instid1(VALU_DEP_1)
	v_fma_f32 v99, 0x3f317218, v12, -v100
	v_dual_sub_f32 v14, v17, v14 :: v_dual_fmac_f32 v99, 0xb102e308, v12
	s_delay_alu instid0(VALU_DEP_1) | instskip(NEXT) | instid1(VALU_DEP_1)
	v_dual_add_f32 v12, v13, v14 :: v_dual_add_f32 v13, v100, v99
	v_add_f32_e32 v14, v15, v12
	s_delay_alu instid0(VALU_DEP_2) | instskip(NEXT) | instid1(VALU_DEP_2)
	v_sub_f32_e32 v100, v13, v100
	v_add_f32_e32 v17, v13, v14
	v_sub_f32_e32 v15, v14, v15
	s_delay_alu instid0(VALU_DEP_3) | instskip(NEXT) | instid1(VALU_DEP_2)
	v_sub_f32_e32 v99, v99, v100
	v_dual_sub_f32 v101, v17, v13 :: v_dual_sub_f32 v12, v12, v15
	s_delay_alu instid0(VALU_DEP_1) | instskip(NEXT) | instid1(VALU_DEP_2)
	v_sub_f32_e32 v102, v17, v101
	v_dual_sub_f32 v14, v14, v101 :: v_dual_add_f32 v15, v99, v12
	s_delay_alu instid0(VALU_DEP_2) | instskip(NEXT) | instid1(VALU_DEP_1)
	v_sub_f32_e32 v13, v13, v102
	v_dual_add_f32 v13, v14, v13 :: v_dual_sub_f32 v14, v15, v99
	s_delay_alu instid0(VALU_DEP_1) | instskip(NEXT) | instid1(VALU_DEP_2)
	v_add_f32_e32 v13, v15, v13
	v_sub_f32_e32 v15, v15, v14
	v_sub_f32_e32 v12, v12, v14
	s_delay_alu instid0(VALU_DEP_2) | instskip(NEXT) | instid1(VALU_DEP_1)
	v_dual_add_f32 v100, v17, v13 :: v_dual_sub_f32 v15, v99, v15
	v_sub_f32_e32 v14, v100, v17
	s_delay_alu instid0(VALU_DEP_1) | instskip(NEXT) | instid1(VALU_DEP_1)
	v_dual_add_f32 v12, v12, v15 :: v_dual_sub_f32 v13, v13, v14
	v_add_f32_e32 v12, v12, v13
	s_delay_alu instid0(VALU_DEP_1) | instskip(NEXT) | instid1(VALU_DEP_1)
	v_add_f32_e32 v12, v100, v12
	v_cndmask_b32_e32 v99, v12, v8, vcc_lo
.LBB54_94:                              ;   in Loop: Header=BB54_12 Depth=1
	s_or_b32 exec_lo, exec_lo, s29
	v_lshlrev_b32_e32 v8, 16, v9
	s_delay_alu instid0(VALU_DEP_1) | instskip(NEXT) | instid1(VALU_DEP_1)
	v_add_f32_e32 v100, s66, v8
	v_cmp_ge_f32_e32 vcc_lo, 0x41a00000, v100
	s_and_b32 s28, s79, vcc_lo
	s_delay_alu instid0(SALU_CYCLE_1)
	s_and_saveexec_b32 s29, s28
	s_cbranch_execz .LBB54_96
; %bb.95:                               ;   in Loop: Header=BB54_12 Depth=1
	v_mul_f32_e32 v8, 0x3fb8aa3b, v100
	v_cmp_ngt_f32_e32 vcc_lo, 0xc2ce8ed0, v100
	s_delay_alu instid0(VALU_DEP_2) | instskip(SKIP_1) | instid1(VALU_DEP_2)
	v_rndne_f32_e32 v12, v8
	v_fma_f32 v13, 0x3fb8aa3b, v100, -v8
	v_sub_f32_e32 v8, v8, v12
	s_delay_alu instid0(VALU_DEP_2) | instskip(SKIP_1) | instid1(VALU_DEP_2)
	v_fmac_f32_e32 v13, 0x32a5705f, v100
	v_cvt_i32_f32_e32 v12, v12
	v_add_f32_e32 v8, v8, v13
	s_delay_alu instid0(VALU_DEP_1) | instskip(SKIP_2) | instid1(VALU_DEP_1)
	v_exp_f32_e32 v8, v8
	s_waitcnt_depctr 0xfff
	v_ldexp_f32 v8, v8, v12
	v_cndmask_b32_e32 v8, 0, v8, vcc_lo
	v_cmp_nlt_f32_e32 vcc_lo, 0x42b17218, v100
	s_delay_alu instid0(VALU_DEP_2) | instskip(NEXT) | instid1(VALU_DEP_1)
	v_cndmask_b32_e32 v8, 0x7f800000, v8, vcc_lo
	v_add_f32_e32 v14, 1.0, v8
	s_delay_alu instid0(VALU_DEP_1) | instskip(NEXT) | instid1(VALU_DEP_1)
	v_cvt_f64_f32_e32 v[12:13], v14
	v_frexp_exp_i32_f64_e32 v12, v[12:13]
	v_frexp_mant_f32_e32 v13, v14
	s_delay_alu instid0(VALU_DEP_1) | instskip(SKIP_1) | instid1(VALU_DEP_1)
	v_cmp_gt_f32_e32 vcc_lo, 0x3f2aaaab, v13
	v_add_f32_e32 v13, -1.0, v14
	v_sub_f32_e32 v17, v13, v14
	v_sub_f32_e32 v13, v8, v13
	s_delay_alu instid0(VALU_DEP_2) | instskip(NEXT) | instid1(VALU_DEP_1)
	v_add_f32_e32 v17, 1.0, v17
	v_add_f32_e32 v13, v13, v17
	v_cmp_gt_f32_e64 s28, 0x33800000, v8
	v_subrev_co_ci_u32_e32 v12, vcc_lo, 0, v12, vcc_lo
	v_cmp_eq_f32_e32 vcc_lo, 0x7f800000, v8
	s_delay_alu instid0(VALU_DEP_2) | instskip(SKIP_2) | instid1(VALU_DEP_2)
	v_sub_nc_u32_e32 v15, 0, v12
	v_cvt_f32_i32_e32 v12, v12
	s_or_b32 vcc_lo, s28, vcc_lo
	v_ldexp_f32 v14, v14, v15
	v_ldexp_f32 v13, v13, v15
	s_delay_alu instid0(VALU_DEP_2) | instskip(SKIP_1) | instid1(VALU_DEP_2)
	v_add_f32_e32 v100, 1.0, v14
	v_add_f32_e32 v15, -1.0, v14
	v_add_f32_e32 v17, -1.0, v100
	s_delay_alu instid0(VALU_DEP_2) | instskip(NEXT) | instid1(VALU_DEP_2)
	v_add_f32_e32 v101, 1.0, v15
	v_sub_f32_e32 v17, v14, v17
	s_delay_alu instid0(VALU_DEP_2) | instskip(NEXT) | instid1(VALU_DEP_2)
	v_sub_f32_e32 v14, v14, v101
	v_add_f32_e32 v17, v13, v17
	s_delay_alu instid0(VALU_DEP_1) | instskip(NEXT) | instid1(VALU_DEP_1)
	v_add_f32_e32 v101, v100, v17
	v_dual_add_f32 v13, v13, v14 :: v_dual_sub_f32 v100, v100, v101
	v_rcp_f32_e32 v14, v101
	s_delay_alu instid0(VALU_DEP_1) | instskip(NEXT) | instid1(VALU_DEP_1)
	v_dual_add_f32 v102, v15, v13 :: v_dual_add_f32 v17, v17, v100
	v_sub_f32_e32 v15, v15, v102
	s_waitcnt_depctr 0xfff
	v_mul_f32_e32 v103, v102, v14
	v_add_f32_e32 v13, v13, v15
	s_delay_alu instid0(VALU_DEP_2) | instskip(NEXT) | instid1(VALU_DEP_1)
	v_mul_f32_e32 v104, v101, v103
	v_fma_f32 v100, v103, v101, -v104
	s_delay_alu instid0(VALU_DEP_1) | instskip(NEXT) | instid1(VALU_DEP_1)
	v_fmac_f32_e32 v100, v103, v17
	v_add_f32_e32 v105, v104, v100
	s_delay_alu instid0(VALU_DEP_1) | instskip(NEXT) | instid1(VALU_DEP_1)
	v_dual_sub_f32 v106, v102, v105 :: v_dual_sub_f32 v15, v105, v104
	v_dual_sub_f32 v102, v102, v106 :: v_dual_sub_f32 v15, v15, v100
	s_delay_alu instid0(VALU_DEP_1) | instskip(NEXT) | instid1(VALU_DEP_1)
	v_sub_f32_e32 v102, v102, v105
	v_add_f32_e32 v13, v13, v102
	s_delay_alu instid0(VALU_DEP_1) | instskip(NEXT) | instid1(VALU_DEP_1)
	v_add_f32_e32 v13, v15, v13
	v_add_f32_e32 v15, v106, v13
	s_delay_alu instid0(VALU_DEP_1) | instskip(NEXT) | instid1(VALU_DEP_1)
	v_mul_f32_e32 v100, v14, v15
	v_dual_sub_f32 v105, v106, v15 :: v_dual_mul_f32 v102, v101, v100
	s_delay_alu instid0(VALU_DEP_1) | instskip(NEXT) | instid1(VALU_DEP_2)
	v_add_f32_e32 v13, v13, v105
	v_fma_f32 v101, v100, v101, -v102
	s_delay_alu instid0(VALU_DEP_1) | instskip(NEXT) | instid1(VALU_DEP_1)
	v_fmac_f32_e32 v101, v100, v17
	v_add_f32_e32 v17, v102, v101
	s_delay_alu instid0(VALU_DEP_1) | instskip(NEXT) | instid1(VALU_DEP_1)
	v_sub_f32_e32 v104, v15, v17
	v_dual_sub_f32 v102, v17, v102 :: v_dual_sub_f32 v15, v15, v104
	s_delay_alu instid0(VALU_DEP_1) | instskip(NEXT) | instid1(VALU_DEP_2)
	v_sub_f32_e32 v15, v15, v17
	v_sub_f32_e32 v17, v102, v101
	s_delay_alu instid0(VALU_DEP_2) | instskip(SKIP_1) | instid1(VALU_DEP_2)
	v_add_f32_e32 v13, v13, v15
	v_add_f32_e32 v15, v103, v100
	;; [unrolled: 1-line block ×3, first 2 shown]
	s_delay_alu instid0(VALU_DEP_2) | instskip(NEXT) | instid1(VALU_DEP_2)
	v_sub_f32_e32 v17, v15, v103
	v_add_f32_e32 v13, v104, v13
	s_delay_alu instid0(VALU_DEP_2) | instskip(NEXT) | instid1(VALU_DEP_2)
	v_sub_f32_e32 v17, v100, v17
	v_mul_f32_e32 v13, v14, v13
	s_delay_alu instid0(VALU_DEP_1) | instskip(NEXT) | instid1(VALU_DEP_1)
	v_add_f32_e32 v13, v17, v13
	v_add_f32_e32 v14, v15, v13
	s_delay_alu instid0(VALU_DEP_1) | instskip(NEXT) | instid1(VALU_DEP_1)
	v_mul_f32_e32 v17, v14, v14
	v_fmaak_f32 v100, s83, v17, 0x3ecc95a3
	v_mul_f32_e32 v101, v14, v17
	s_delay_alu instid0(VALU_DEP_2) | instskip(SKIP_1) | instid1(VALU_DEP_2)
	v_fmaak_f32 v17, v17, v100, 0x3f2aaada
	v_ldexp_f32 v100, v14, 1
	v_dual_sub_f32 v14, v14, v15 :: v_dual_mul_f32 v17, v101, v17
	v_mul_f32_e32 v101, 0x3f317218, v12
	s_delay_alu instid0(VALU_DEP_2) | instskip(NEXT) | instid1(VALU_DEP_3)
	v_sub_f32_e32 v13, v13, v14
	v_add_f32_e32 v15, v100, v17
	s_delay_alu instid0(VALU_DEP_2) | instskip(NEXT) | instid1(VALU_DEP_2)
	v_ldexp_f32 v13, v13, 1
	v_sub_f32_e32 v14, v15, v100
	v_fma_f32 v100, 0x3f317218, v12, -v101
	s_delay_alu instid0(VALU_DEP_2) | instskip(NEXT) | instid1(VALU_DEP_2)
	v_sub_f32_e32 v14, v17, v14
	v_fmac_f32_e32 v100, 0xb102e308, v12
	s_delay_alu instid0(VALU_DEP_2) | instskip(NEXT) | instid1(VALU_DEP_2)
	v_add_f32_e32 v12, v13, v14
	v_add_f32_e32 v13, v101, v100
	s_delay_alu instid0(VALU_DEP_1) | instskip(NEXT) | instid1(VALU_DEP_1)
	v_dual_add_f32 v14, v15, v12 :: v_dual_sub_f32 v101, v13, v101
	v_add_f32_e32 v17, v13, v14
	s_delay_alu instid0(VALU_DEP_2) | instskip(NEXT) | instid1(VALU_DEP_2)
	v_dual_sub_f32 v15, v14, v15 :: v_dual_sub_f32 v100, v100, v101
	v_sub_f32_e32 v102, v17, v13
	s_delay_alu instid0(VALU_DEP_1) | instskip(NEXT) | instid1(VALU_DEP_1)
	v_dual_sub_f32 v12, v12, v15 :: v_dual_sub_f32 v103, v17, v102
	v_dual_sub_f32 v14, v14, v102 :: v_dual_add_f32 v15, v100, v12
	s_delay_alu instid0(VALU_DEP_2) | instskip(NEXT) | instid1(VALU_DEP_1)
	v_sub_f32_e32 v13, v13, v103
	v_dual_add_f32 v13, v14, v13 :: v_dual_sub_f32 v14, v15, v100
	s_delay_alu instid0(VALU_DEP_1) | instskip(NEXT) | instid1(VALU_DEP_2)
	v_add_f32_e32 v13, v15, v13
	v_sub_f32_e32 v15, v15, v14
	s_delay_alu instid0(VALU_DEP_2) | instskip(NEXT) | instid1(VALU_DEP_1)
	v_dual_sub_f32 v12, v12, v14 :: v_dual_add_f32 v101, v17, v13
	v_dual_sub_f32 v15, v100, v15 :: v_dual_sub_f32 v14, v101, v17
	s_delay_alu instid0(VALU_DEP_1) | instskip(NEXT) | instid1(VALU_DEP_1)
	v_dual_add_f32 v12, v12, v15 :: v_dual_sub_f32 v13, v13, v14
	v_add_f32_e32 v12, v12, v13
	s_delay_alu instid0(VALU_DEP_1) | instskip(NEXT) | instid1(VALU_DEP_1)
	v_add_f32_e32 v12, v101, v12
	v_cndmask_b32_e32 v100, v12, v8, vcc_lo
.LBB54_96:                              ;   in Loop: Header=BB54_12 Depth=1
	s_or_b32 exec_lo, exec_lo, s29
	v_and_b32_e32 v8, 0xffff0000, v9
	s_delay_alu instid0(VALU_DEP_1) | instskip(NEXT) | instid1(VALU_DEP_1)
	v_add_f32_e32 v101, s66, v8
	v_cmp_ge_f32_e32 vcc_lo, 0x41a00000, v101
	s_and_b32 s28, s79, vcc_lo
	s_delay_alu instid0(SALU_CYCLE_1)
	s_and_saveexec_b32 s29, s28
	s_cbranch_execz .LBB54_98
; %bb.97:                               ;   in Loop: Header=BB54_12 Depth=1
	v_mul_f32_e32 v8, 0x3fb8aa3b, v101
	v_cmp_ngt_f32_e32 vcc_lo, 0xc2ce8ed0, v101
	s_delay_alu instid0(VALU_DEP_2) | instskip(SKIP_1) | instid1(VALU_DEP_2)
	v_rndne_f32_e32 v9, v8
	v_fma_f32 v12, 0x3fb8aa3b, v101, -v8
	v_sub_f32_e32 v8, v8, v9
	s_delay_alu instid0(VALU_DEP_2) | instskip(SKIP_1) | instid1(VALU_DEP_2)
	v_fmac_f32_e32 v12, 0x32a5705f, v101
	v_cvt_i32_f32_e32 v9, v9
	v_add_f32_e32 v8, v8, v12
	s_delay_alu instid0(VALU_DEP_1) | instskip(SKIP_2) | instid1(VALU_DEP_1)
	v_exp_f32_e32 v8, v8
	s_waitcnt_depctr 0xfff
	v_ldexp_f32 v8, v8, v9
	v_cndmask_b32_e32 v8, 0, v8, vcc_lo
	v_cmp_nlt_f32_e32 vcc_lo, 0x42b17218, v101
	s_delay_alu instid0(VALU_DEP_2) | instskip(NEXT) | instid1(VALU_DEP_1)
	v_cndmask_b32_e32 v12, 0x7f800000, v8, vcc_lo
	v_add_f32_e32 v13, 1.0, v12
	s_delay_alu instid0(VALU_DEP_1) | instskip(NEXT) | instid1(VALU_DEP_1)
	v_cvt_f64_f32_e32 v[8:9], v13
	v_frexp_exp_i32_f64_e32 v8, v[8:9]
	v_frexp_mant_f32_e32 v9, v13
	s_delay_alu instid0(VALU_DEP_1) | instskip(SKIP_1) | instid1(VALU_DEP_1)
	v_cmp_gt_f32_e32 vcc_lo, 0x3f2aaaab, v9
	v_add_f32_e32 v9, -1.0, v13
	v_sub_f32_e32 v15, v9, v13
	s_delay_alu instid0(VALU_DEP_1) | instskip(SKIP_1) | instid1(VALU_DEP_1)
	v_add_f32_e32 v15, 1.0, v15
	v_subrev_co_ci_u32_e32 v8, vcc_lo, 0, v8, vcc_lo
	v_sub_nc_u32_e32 v14, 0, v8
	v_cvt_f32_i32_e32 v8, v8
	s_delay_alu instid0(VALU_DEP_2) | instskip(NEXT) | instid1(VALU_DEP_1)
	v_ldexp_f32 v13, v13, v14
	v_add_f32_e32 v17, 1.0, v13
	v_sub_f32_e32 v9, v12, v9
	v_cmp_eq_f32_e32 vcc_lo, 0x7f800000, v12
	v_cmp_gt_f32_e64 s28, 0x33800000, v12
	s_delay_alu instid0(VALU_DEP_3) | instskip(NEXT) | instid1(VALU_DEP_2)
	v_add_f32_e32 v9, v9, v15
	s_or_b32 vcc_lo, s28, vcc_lo
	s_delay_alu instid0(VALU_DEP_1) | instskip(SKIP_2) | instid1(VALU_DEP_1)
	v_ldexp_f32 v9, v9, v14
	v_add_f32_e32 v14, -1.0, v13
	v_add_f32_e32 v15, -1.0, v17
	v_sub_f32_e32 v15, v13, v15
	s_delay_alu instid0(VALU_DEP_3) | instskip(NEXT) | instid1(VALU_DEP_2)
	v_add_f32_e32 v101, 1.0, v14
	v_add_f32_e32 v15, v9, v15
	s_delay_alu instid0(VALU_DEP_2) | instskip(NEXT) | instid1(VALU_DEP_2)
	v_sub_f32_e32 v13, v13, v101
	v_add_f32_e32 v101, v17, v15
	s_delay_alu instid0(VALU_DEP_2) | instskip(NEXT) | instid1(VALU_DEP_2)
	v_add_f32_e32 v9, v9, v13
	v_rcp_f32_e32 v13, v101
	s_delay_alu instid0(VALU_DEP_1) | instskip(NEXT) | instid1(VALU_DEP_1)
	v_add_f32_e32 v102, v14, v9
	v_dual_sub_f32 v17, v17, v101 :: v_dual_sub_f32 v14, v14, v102
	s_delay_alu instid0(VALU_DEP_1) | instskip(SKIP_2) | instid1(VALU_DEP_1)
	v_add_f32_e32 v15, v15, v17
	s_waitcnt_depctr 0xfff
	v_mul_f32_e32 v103, v102, v13
	v_mul_f32_e32 v104, v101, v103
	s_delay_alu instid0(VALU_DEP_1) | instskip(NEXT) | instid1(VALU_DEP_1)
	v_fma_f32 v17, v103, v101, -v104
	v_fmac_f32_e32 v17, v103, v15
	v_add_f32_e32 v9, v9, v14
	s_delay_alu instid0(VALU_DEP_2) | instskip(NEXT) | instid1(VALU_DEP_1)
	v_add_f32_e32 v105, v104, v17
	v_sub_f32_e32 v106, v102, v105
	v_sub_f32_e32 v14, v105, v104
	s_delay_alu instid0(VALU_DEP_2) | instskip(NEXT) | instid1(VALU_DEP_2)
	v_sub_f32_e32 v102, v102, v106
	v_sub_f32_e32 v14, v14, v17
	s_delay_alu instid0(VALU_DEP_2) | instskip(NEXT) | instid1(VALU_DEP_1)
	v_sub_f32_e32 v102, v102, v105
	v_add_f32_e32 v9, v9, v102
	s_delay_alu instid0(VALU_DEP_1) | instskip(NEXT) | instid1(VALU_DEP_1)
	v_add_f32_e32 v9, v14, v9
	v_add_f32_e32 v14, v106, v9
	s_delay_alu instid0(VALU_DEP_1) | instskip(NEXT) | instid1(VALU_DEP_1)
	v_mul_f32_e32 v17, v13, v14
	v_dual_sub_f32 v105, v106, v14 :: v_dual_mul_f32 v102, v101, v17
	s_delay_alu instid0(VALU_DEP_1) | instskip(NEXT) | instid1(VALU_DEP_2)
	v_add_f32_e32 v9, v9, v105
	v_fma_f32 v101, v17, v101, -v102
	s_delay_alu instid0(VALU_DEP_1) | instskip(NEXT) | instid1(VALU_DEP_1)
	v_fmac_f32_e32 v101, v17, v15
	v_add_f32_e32 v15, v102, v101
	s_delay_alu instid0(VALU_DEP_1) | instskip(SKIP_1) | instid1(VALU_DEP_2)
	v_sub_f32_e32 v104, v14, v15
	v_sub_f32_e32 v102, v15, v102
	;; [unrolled: 1-line block ×3, first 2 shown]
	s_delay_alu instid0(VALU_DEP_1) | instskip(NEXT) | instid1(VALU_DEP_1)
	v_sub_f32_e32 v14, v14, v15
	v_dual_add_f32 v9, v9, v14 :: v_dual_add_f32 v14, v103, v17
	s_delay_alu instid0(VALU_DEP_4) | instskip(NEXT) | instid1(VALU_DEP_1)
	v_sub_f32_e32 v15, v102, v101
	v_add_f32_e32 v9, v15, v9
	s_delay_alu instid0(VALU_DEP_3) | instskip(NEXT) | instid1(VALU_DEP_2)
	v_sub_f32_e32 v15, v14, v103
	v_add_f32_e32 v9, v104, v9
	s_delay_alu instid0(VALU_DEP_2) | instskip(NEXT) | instid1(VALU_DEP_2)
	v_sub_f32_e32 v15, v17, v15
	v_mul_f32_e32 v9, v13, v9
	s_delay_alu instid0(VALU_DEP_1) | instskip(NEXT) | instid1(VALU_DEP_1)
	v_add_f32_e32 v9, v15, v9
	v_add_f32_e32 v13, v14, v9
	s_delay_alu instid0(VALU_DEP_1) | instskip(NEXT) | instid1(VALU_DEP_1)
	v_mul_f32_e32 v15, v13, v13
	v_fmaak_f32 v17, s83, v15, 0x3ecc95a3
	v_mul_f32_e32 v101, v13, v15
	s_delay_alu instid0(VALU_DEP_2) | instskip(SKIP_2) | instid1(VALU_DEP_3)
	v_fmaak_f32 v15, v15, v17, 0x3f2aaada
	v_ldexp_f32 v17, v13, 1
	v_sub_f32_e32 v13, v13, v14
	v_mul_f32_e32 v15, v101, v15
	v_mul_f32_e32 v101, 0x3f317218, v8
	s_delay_alu instid0(VALU_DEP_3) | instskip(NEXT) | instid1(VALU_DEP_3)
	v_sub_f32_e32 v9, v9, v13
	v_add_f32_e32 v14, v17, v15
	s_delay_alu instid0(VALU_DEP_2) | instskip(NEXT) | instid1(VALU_DEP_2)
	v_ldexp_f32 v9, v9, 1
	v_sub_f32_e32 v13, v14, v17
	v_fma_f32 v17, 0x3f317218, v8, -v101
	s_delay_alu instid0(VALU_DEP_2) | instskip(NEXT) | instid1(VALU_DEP_1)
	v_sub_f32_e32 v13, v15, v13
	v_dual_fmac_f32 v17, 0xb102e308, v8 :: v_dual_add_f32 v8, v9, v13
	s_delay_alu instid0(VALU_DEP_1) | instskip(NEXT) | instid1(VALU_DEP_2)
	v_add_f32_e32 v9, v101, v17
	v_add_f32_e32 v13, v14, v8
	s_delay_alu instid0(VALU_DEP_2) | instskip(NEXT) | instid1(VALU_DEP_2)
	v_sub_f32_e32 v101, v9, v101
	v_add_f32_e32 v15, v9, v13
	v_sub_f32_e32 v14, v13, v14
	s_delay_alu instid0(VALU_DEP_3) | instskip(NEXT) | instid1(VALU_DEP_3)
	v_sub_f32_e32 v17, v17, v101
	v_sub_f32_e32 v102, v15, v9
	s_delay_alu instid0(VALU_DEP_3) | instskip(NEXT) | instid1(VALU_DEP_2)
	v_sub_f32_e32 v8, v8, v14
	v_sub_f32_e32 v103, v15, v102
	;; [unrolled: 1-line block ×3, first 2 shown]
	s_delay_alu instid0(VALU_DEP_3) | instskip(NEXT) | instid1(VALU_DEP_3)
	v_add_f32_e32 v14, v17, v8
	v_sub_f32_e32 v9, v9, v103
	s_delay_alu instid0(VALU_DEP_1) | instskip(NEXT) | instid1(VALU_DEP_3)
	v_add_f32_e32 v9, v13, v9
	v_sub_f32_e32 v13, v14, v17
	s_delay_alu instid0(VALU_DEP_2) | instskip(NEXT) | instid1(VALU_DEP_2)
	v_add_f32_e32 v9, v14, v9
	v_sub_f32_e32 v14, v14, v13
	v_sub_f32_e32 v8, v8, v13
	s_delay_alu instid0(VALU_DEP_2) | instskip(NEXT) | instid1(VALU_DEP_1)
	v_dual_add_f32 v101, v15, v9 :: v_dual_sub_f32 v14, v17, v14
	v_dual_sub_f32 v13, v101, v15 :: v_dual_add_f32 v8, v8, v14
	s_delay_alu instid0(VALU_DEP_1) | instskip(NEXT) | instid1(VALU_DEP_1)
	v_sub_f32_e32 v9, v9, v13
	v_add_f32_e32 v8, v8, v9
	s_delay_alu instid0(VALU_DEP_1) | instskip(NEXT) | instid1(VALU_DEP_1)
	v_add_f32_e32 v8, v101, v8
	v_cndmask_b32_e32 v101, v8, v12, vcc_lo
.LBB54_98:                              ;   in Loop: Header=BB54_12 Depth=1
	s_or_b32 exec_lo, exec_lo, s29
	v_lshlrev_b32_e32 v8, 16, v10
	s_delay_alu instid0(VALU_DEP_1) | instskip(NEXT) | instid1(VALU_DEP_1)
	v_add_f32_e32 v102, s66, v8
	v_cmp_ge_f32_e32 vcc_lo, 0x41a00000, v102
	s_and_b32 s28, s79, vcc_lo
	s_delay_alu instid0(SALU_CYCLE_1)
	s_and_saveexec_b32 s29, s28
	s_cbranch_execz .LBB54_100
; %bb.99:                               ;   in Loop: Header=BB54_12 Depth=1
	v_mul_f32_e32 v8, 0x3fb8aa3b, v102
	v_cmp_ngt_f32_e32 vcc_lo, 0xc2ce8ed0, v102
	s_delay_alu instid0(VALU_DEP_2) | instskip(SKIP_1) | instid1(VALU_DEP_2)
	v_rndne_f32_e32 v9, v8
	v_fma_f32 v12, 0x3fb8aa3b, v102, -v8
	v_sub_f32_e32 v8, v8, v9
	s_delay_alu instid0(VALU_DEP_2) | instskip(SKIP_1) | instid1(VALU_DEP_2)
	v_fmac_f32_e32 v12, 0x32a5705f, v102
	v_cvt_i32_f32_e32 v9, v9
	v_add_f32_e32 v8, v8, v12
	s_delay_alu instid0(VALU_DEP_1) | instskip(SKIP_2) | instid1(VALU_DEP_1)
	v_exp_f32_e32 v8, v8
	s_waitcnt_depctr 0xfff
	v_ldexp_f32 v8, v8, v9
	v_cndmask_b32_e32 v8, 0, v8, vcc_lo
	v_cmp_nlt_f32_e32 vcc_lo, 0x42b17218, v102
	s_delay_alu instid0(VALU_DEP_2) | instskip(NEXT) | instid1(VALU_DEP_1)
	v_cndmask_b32_e32 v12, 0x7f800000, v8, vcc_lo
	v_add_f32_e32 v13, 1.0, v12
	s_delay_alu instid0(VALU_DEP_1) | instskip(NEXT) | instid1(VALU_DEP_1)
	v_cvt_f64_f32_e32 v[8:9], v13
	v_frexp_exp_i32_f64_e32 v8, v[8:9]
	v_frexp_mant_f32_e32 v9, v13
	s_delay_alu instid0(VALU_DEP_1) | instskip(SKIP_1) | instid1(VALU_DEP_1)
	v_cmp_gt_f32_e32 vcc_lo, 0x3f2aaaab, v9
	v_add_f32_e32 v9, -1.0, v13
	v_sub_f32_e32 v15, v9, v13
	s_delay_alu instid0(VALU_DEP_1) | instskip(SKIP_1) | instid1(VALU_DEP_1)
	v_add_f32_e32 v15, 1.0, v15
	v_subrev_co_ci_u32_e32 v8, vcc_lo, 0, v8, vcc_lo
	v_sub_nc_u32_e32 v14, 0, v8
	v_cvt_f32_i32_e32 v8, v8
	s_delay_alu instid0(VALU_DEP_2) | instskip(NEXT) | instid1(VALU_DEP_1)
	v_ldexp_f32 v13, v13, v14
	v_add_f32_e32 v17, 1.0, v13
	v_sub_f32_e32 v9, v12, v9
	v_cmp_eq_f32_e32 vcc_lo, 0x7f800000, v12
	v_cmp_gt_f32_e64 s28, 0x33800000, v12
	s_delay_alu instid0(VALU_DEP_3) | instskip(NEXT) | instid1(VALU_DEP_2)
	v_add_f32_e32 v9, v9, v15
	s_or_b32 vcc_lo, s28, vcc_lo
	s_delay_alu instid0(VALU_DEP_1) | instskip(SKIP_1) | instid1(VALU_DEP_1)
	v_ldexp_f32 v9, v9, v14
	v_add_f32_e32 v14, -1.0, v13
	v_dual_add_f32 v15, -1.0, v17 :: v_dual_add_f32 v102, 1.0, v14
	s_delay_alu instid0(VALU_DEP_1) | instskip(NEXT) | instid1(VALU_DEP_2)
	v_sub_f32_e32 v15, v13, v15
	v_sub_f32_e32 v13, v13, v102
	s_delay_alu instid0(VALU_DEP_2) | instskip(NEXT) | instid1(VALU_DEP_2)
	v_add_f32_e32 v15, v9, v15
	v_add_f32_e32 v9, v9, v13
	s_delay_alu instid0(VALU_DEP_1) | instskip(NEXT) | instid1(VALU_DEP_1)
	v_dual_add_f32 v102, v17, v15 :: v_dual_add_f32 v103, v14, v9
	v_rcp_f32_e32 v13, v102
	s_delay_alu instid0(VALU_DEP_1) | instskip(NEXT) | instid1(VALU_DEP_1)
	v_dual_sub_f32 v17, v17, v102 :: v_dual_sub_f32 v14, v14, v103
	v_add_f32_e32 v15, v15, v17
	s_waitcnt_depctr 0xfff
	v_dual_add_f32 v9, v9, v14 :: v_dual_mul_f32 v104, v103, v13
	s_delay_alu instid0(VALU_DEP_1) | instskip(NEXT) | instid1(VALU_DEP_1)
	v_mul_f32_e32 v105, v102, v104
	v_fma_f32 v17, v104, v102, -v105
	s_delay_alu instid0(VALU_DEP_1) | instskip(NEXT) | instid1(VALU_DEP_1)
	v_fmac_f32_e32 v17, v104, v15
	v_add_f32_e32 v106, v105, v17
	s_delay_alu instid0(VALU_DEP_1) | instskip(NEXT) | instid1(VALU_DEP_1)
	v_sub_f32_e32 v107, v103, v106
	v_dual_sub_f32 v103, v103, v107 :: v_dual_sub_f32 v14, v106, v105
	s_delay_alu instid0(VALU_DEP_1) | instskip(NEXT) | instid1(VALU_DEP_1)
	v_dual_sub_f32 v103, v103, v106 :: v_dual_sub_f32 v14, v14, v17
	v_add_f32_e32 v9, v9, v103
	s_delay_alu instid0(VALU_DEP_1) | instskip(NEXT) | instid1(VALU_DEP_1)
	v_add_f32_e32 v9, v14, v9
	v_add_f32_e32 v14, v107, v9
	s_delay_alu instid0(VALU_DEP_1) | instskip(NEXT) | instid1(VALU_DEP_1)
	v_mul_f32_e32 v17, v13, v14
	v_dual_sub_f32 v106, v107, v14 :: v_dual_mul_f32 v103, v102, v17
	s_delay_alu instid0(VALU_DEP_1) | instskip(NEXT) | instid1(VALU_DEP_2)
	v_add_f32_e32 v9, v9, v106
	v_fma_f32 v102, v17, v102, -v103
	s_delay_alu instid0(VALU_DEP_1) | instskip(NEXT) | instid1(VALU_DEP_1)
	v_fmac_f32_e32 v102, v17, v15
	v_add_f32_e32 v15, v103, v102
	s_delay_alu instid0(VALU_DEP_1) | instskip(NEXT) | instid1(VALU_DEP_1)
	v_sub_f32_e32 v105, v14, v15
	v_dual_sub_f32 v103, v15, v103 :: v_dual_sub_f32 v14, v14, v105
	s_delay_alu instid0(VALU_DEP_1) | instskip(NEXT) | instid1(VALU_DEP_1)
	v_dual_sub_f32 v14, v14, v15 :: v_dual_sub_f32 v15, v103, v102
	v_dual_add_f32 v9, v9, v14 :: v_dual_add_f32 v14, v104, v17
	s_delay_alu instid0(VALU_DEP_1) | instskip(NEXT) | instid1(VALU_DEP_2)
	v_add_f32_e32 v9, v15, v9
	v_sub_f32_e32 v15, v14, v104
	s_delay_alu instid0(VALU_DEP_2) | instskip(NEXT) | instid1(VALU_DEP_2)
	v_add_f32_e32 v9, v105, v9
	v_sub_f32_e32 v15, v17, v15
	s_delay_alu instid0(VALU_DEP_2) | instskip(NEXT) | instid1(VALU_DEP_1)
	v_mul_f32_e32 v9, v13, v9
	v_add_f32_e32 v9, v15, v9
	s_delay_alu instid0(VALU_DEP_1) | instskip(NEXT) | instid1(VALU_DEP_1)
	v_add_f32_e32 v13, v14, v9
	v_mul_f32_e32 v15, v13, v13
	s_delay_alu instid0(VALU_DEP_1) | instskip(NEXT) | instid1(VALU_DEP_1)
	v_fmaak_f32 v17, s83, v15, 0x3ecc95a3
	v_dual_mul_f32 v102, v13, v15 :: v_dual_fmaak_f32 v15, v15, v17, 0x3f2aaada
	v_ldexp_f32 v17, v13, 1
	v_sub_f32_e32 v13, v13, v14
	s_delay_alu instid0(VALU_DEP_3) | instskip(NEXT) | instid1(VALU_DEP_2)
	v_dual_mul_f32 v15, v102, v15 :: v_dual_mul_f32 v102, 0x3f317218, v8
	v_sub_f32_e32 v9, v9, v13
	s_delay_alu instid0(VALU_DEP_2) | instskip(NEXT) | instid1(VALU_DEP_2)
	v_add_f32_e32 v14, v17, v15
	v_ldexp_f32 v9, v9, 1
	s_delay_alu instid0(VALU_DEP_2) | instskip(SKIP_1) | instid1(VALU_DEP_2)
	v_sub_f32_e32 v13, v14, v17
	v_fma_f32 v17, 0x3f317218, v8, -v102
	v_sub_f32_e32 v13, v15, v13
	s_delay_alu instid0(VALU_DEP_1) | instskip(NEXT) | instid1(VALU_DEP_1)
	v_dual_fmac_f32 v17, 0xb102e308, v8 :: v_dual_add_f32 v8, v9, v13
	v_add_f32_e32 v9, v102, v17
	s_delay_alu instid0(VALU_DEP_1) | instskip(NEXT) | instid1(VALU_DEP_1)
	v_dual_add_f32 v13, v14, v8 :: v_dual_sub_f32 v102, v9, v102
	v_add_f32_e32 v15, v9, v13
	v_sub_f32_e32 v14, v13, v14
	s_delay_alu instid0(VALU_DEP_3) | instskip(NEXT) | instid1(VALU_DEP_2)
	v_sub_f32_e32 v17, v17, v102
	v_dual_sub_f32 v103, v15, v9 :: v_dual_sub_f32 v8, v8, v14
	s_delay_alu instid0(VALU_DEP_1) | instskip(SKIP_1) | instid1(VALU_DEP_3)
	v_sub_f32_e32 v104, v15, v103
	v_sub_f32_e32 v13, v13, v103
	v_add_f32_e32 v14, v17, v8
	s_delay_alu instid0(VALU_DEP_3) | instskip(NEXT) | instid1(VALU_DEP_1)
	v_sub_f32_e32 v9, v9, v104
	v_add_f32_e32 v9, v13, v9
	s_delay_alu instid0(VALU_DEP_3) | instskip(NEXT) | instid1(VALU_DEP_2)
	v_sub_f32_e32 v13, v14, v17
	v_add_f32_e32 v9, v14, v9
	s_delay_alu instid0(VALU_DEP_2) | instskip(SKIP_1) | instid1(VALU_DEP_3)
	v_sub_f32_e32 v14, v14, v13
	v_sub_f32_e32 v8, v8, v13
	v_add_f32_e32 v102, v15, v9
	s_delay_alu instid0(VALU_DEP_1) | instskip(NEXT) | instid1(VALU_DEP_1)
	v_dual_sub_f32 v14, v17, v14 :: v_dual_sub_f32 v13, v102, v15
	v_dual_add_f32 v8, v8, v14 :: v_dual_sub_f32 v9, v9, v13
	s_delay_alu instid0(VALU_DEP_1) | instskip(NEXT) | instid1(VALU_DEP_1)
	v_add_f32_e32 v8, v8, v9
	v_add_f32_e32 v8, v102, v8
	s_delay_alu instid0(VALU_DEP_1)
	v_cndmask_b32_e32 v102, v8, v12, vcc_lo
.LBB54_100:                             ;   in Loop: Header=BB54_12 Depth=1
	s_or_b32 exec_lo, exec_lo, s29
	v_and_b32_e32 v8, 0xffff0000, v10
	s_delay_alu instid0(VALU_DEP_1) | instskip(NEXT) | instid1(VALU_DEP_1)
	v_add_f32_e32 v103, s66, v8
	v_cmp_ge_f32_e32 vcc_lo, 0x41a00000, v103
	s_and_b32 s28, s79, vcc_lo
	s_delay_alu instid0(SALU_CYCLE_1)
	s_and_saveexec_b32 s29, s28
	s_cbranch_execz .LBB54_102
; %bb.101:                              ;   in Loop: Header=BB54_12 Depth=1
	v_mul_f32_e32 v8, 0x3fb8aa3b, v103
	v_cmp_ngt_f32_e32 vcc_lo, 0xc2ce8ed0, v103
	s_delay_alu instid0(VALU_DEP_2) | instskip(SKIP_1) | instid1(VALU_DEP_2)
	v_rndne_f32_e32 v9, v8
	v_fma_f32 v10, 0x3fb8aa3b, v103, -v8
	v_sub_f32_e32 v8, v8, v9
	s_delay_alu instid0(VALU_DEP_2) | instskip(SKIP_1) | instid1(VALU_DEP_2)
	v_fmac_f32_e32 v10, 0x32a5705f, v103
	v_cvt_i32_f32_e32 v9, v9
	v_add_f32_e32 v8, v8, v10
	s_delay_alu instid0(VALU_DEP_1) | instskip(SKIP_2) | instid1(VALU_DEP_1)
	v_exp_f32_e32 v8, v8
	s_waitcnt_depctr 0xfff
	v_ldexp_f32 v8, v8, v9
	v_cndmask_b32_e32 v8, 0, v8, vcc_lo
	v_cmp_nlt_f32_e32 vcc_lo, 0x42b17218, v103
	s_delay_alu instid0(VALU_DEP_2) | instskip(NEXT) | instid1(VALU_DEP_1)
	v_cndmask_b32_e32 v10, 0x7f800000, v8, vcc_lo
	v_add_f32_e32 v12, 1.0, v10
	s_delay_alu instid0(VALU_DEP_1) | instskip(NEXT) | instid1(VALU_DEP_1)
	v_cvt_f64_f32_e32 v[8:9], v12
	v_frexp_exp_i32_f64_e32 v8, v[8:9]
	v_frexp_mant_f32_e32 v9, v12
	s_delay_alu instid0(VALU_DEP_1) | instskip(SKIP_1) | instid1(VALU_DEP_1)
	v_cmp_gt_f32_e32 vcc_lo, 0x3f2aaaab, v9
	v_add_f32_e32 v9, -1.0, v12
	v_dual_sub_f32 v14, v9, v12 :: v_dual_sub_f32 v9, v10, v9
	v_subrev_co_ci_u32_e32 v8, vcc_lo, 0, v8, vcc_lo
	s_delay_alu instid0(VALU_DEP_1) | instskip(SKIP_1) | instid1(VALU_DEP_2)
	v_sub_nc_u32_e32 v13, 0, v8
	v_cvt_f32_i32_e32 v8, v8
	v_ldexp_f32 v12, v12, v13
	s_delay_alu instid0(VALU_DEP_1) | instskip(NEXT) | instid1(VALU_DEP_1)
	v_dual_add_f32 v14, 1.0, v14 :: v_dual_add_f32 v15, 1.0, v12
	v_add_f32_e32 v9, v9, v14
	s_delay_alu instid0(VALU_DEP_1) | instskip(NEXT) | instid1(VALU_DEP_3)
	v_ldexp_f32 v9, v9, v13
	v_dual_add_f32 v13, -1.0, v12 :: v_dual_add_f32 v14, -1.0, v15
	s_delay_alu instid0(VALU_DEP_1) | instskip(NEXT) | instid1(VALU_DEP_1)
	v_dual_add_f32 v17, 1.0, v13 :: v_dual_sub_f32 v14, v12, v14
	v_sub_f32_e32 v12, v12, v17
	s_delay_alu instid0(VALU_DEP_2) | instskip(NEXT) | instid1(VALU_DEP_2)
	v_add_f32_e32 v14, v9, v14
	v_add_f32_e32 v9, v9, v12
	s_delay_alu instid0(VALU_DEP_2) | instskip(SKIP_2) | instid1(VALU_DEP_4)
	v_add_f32_e32 v17, v15, v14
	v_cmp_eq_f32_e32 vcc_lo, 0x7f800000, v10
	v_cmp_gt_f32_e64 s28, 0x33800000, v10
	v_add_f32_e32 v103, v13, v9
	s_delay_alu instid0(VALU_DEP_4) | instskip(SKIP_1) | instid1(VALU_DEP_3)
	v_rcp_f32_e32 v12, v17
	v_sub_f32_e32 v15, v15, v17
	s_or_b32 vcc_lo, s28, vcc_lo
	s_delay_alu instid0(VALU_DEP_2) | instskip(NEXT) | instid1(VALU_DEP_1)
	v_sub_f32_e32 v13, v13, v103
	v_dual_add_f32 v14, v14, v15 :: v_dual_add_f32 v9, v9, v13
	s_waitcnt_depctr 0xfff
	v_mul_f32_e32 v104, v103, v12
	s_delay_alu instid0(VALU_DEP_1) | instskip(NEXT) | instid1(VALU_DEP_1)
	v_mul_f32_e32 v105, v17, v104
	v_fma_f32 v15, v104, v17, -v105
	s_delay_alu instid0(VALU_DEP_1) | instskip(NEXT) | instid1(VALU_DEP_1)
	v_fmac_f32_e32 v15, v104, v14
	v_add_f32_e32 v106, v105, v15
	s_delay_alu instid0(VALU_DEP_1) | instskip(SKIP_1) | instid1(VALU_DEP_2)
	v_sub_f32_e32 v107, v103, v106
	v_sub_f32_e32 v13, v106, v105
	;; [unrolled: 1-line block ×3, first 2 shown]
	s_delay_alu instid0(VALU_DEP_2) | instskip(NEXT) | instid1(VALU_DEP_2)
	v_sub_f32_e32 v13, v13, v15
	v_sub_f32_e32 v103, v103, v106
	s_delay_alu instid0(VALU_DEP_1) | instskip(NEXT) | instid1(VALU_DEP_1)
	v_add_f32_e32 v9, v9, v103
	v_add_f32_e32 v9, v13, v9
	s_delay_alu instid0(VALU_DEP_1) | instskip(NEXT) | instid1(VALU_DEP_1)
	v_add_f32_e32 v13, v107, v9
	v_mul_f32_e32 v15, v12, v13
	s_delay_alu instid0(VALU_DEP_1) | instskip(NEXT) | instid1(VALU_DEP_1)
	v_dual_sub_f32 v106, v107, v13 :: v_dual_mul_f32 v103, v17, v15
	v_add_f32_e32 v9, v9, v106
	s_delay_alu instid0(VALU_DEP_2) | instskip(NEXT) | instid1(VALU_DEP_1)
	v_fma_f32 v17, v15, v17, -v103
	v_fmac_f32_e32 v17, v15, v14
	s_delay_alu instid0(VALU_DEP_1) | instskip(NEXT) | instid1(VALU_DEP_1)
	v_add_f32_e32 v14, v103, v17
	v_sub_f32_e32 v105, v13, v14
	v_sub_f32_e32 v103, v14, v103
	s_delay_alu instid0(VALU_DEP_2) | instskip(NEXT) | instid1(VALU_DEP_1)
	v_sub_f32_e32 v13, v13, v105
	v_dual_sub_f32 v13, v13, v14 :: v_dual_sub_f32 v14, v103, v17
	s_delay_alu instid0(VALU_DEP_1) | instskip(SKIP_1) | instid1(VALU_DEP_1)
	v_add_f32_e32 v9, v9, v13
	v_add_f32_e32 v13, v104, v15
	v_dual_add_f32 v9, v14, v9 :: v_dual_sub_f32 v14, v13, v104
	s_delay_alu instid0(VALU_DEP_1) | instskip(NEXT) | instid1(VALU_DEP_1)
	v_dual_add_f32 v9, v105, v9 :: v_dual_sub_f32 v14, v15, v14
	v_mul_f32_e32 v9, v12, v9
	s_delay_alu instid0(VALU_DEP_1) | instskip(NEXT) | instid1(VALU_DEP_1)
	v_add_f32_e32 v9, v14, v9
	v_add_f32_e32 v12, v13, v9
	s_delay_alu instid0(VALU_DEP_1) | instskip(NEXT) | instid1(VALU_DEP_1)
	v_mul_f32_e32 v14, v12, v12
	v_fmaak_f32 v15, s83, v14, 0x3ecc95a3
	s_delay_alu instid0(VALU_DEP_1) | instskip(SKIP_2) | instid1(VALU_DEP_3)
	v_dual_mul_f32 v17, v12, v14 :: v_dual_fmaak_f32 v14, v14, v15, 0x3f2aaada
	v_ldexp_f32 v15, v12, 1
	v_sub_f32_e32 v12, v12, v13
	v_dual_mul_f32 v14, v17, v14 :: v_dual_mul_f32 v17, 0x3f317218, v8
	s_delay_alu instid0(VALU_DEP_2) | instskip(NEXT) | instid1(VALU_DEP_2)
	v_sub_f32_e32 v9, v9, v12
	v_add_f32_e32 v13, v15, v14
	s_delay_alu instid0(VALU_DEP_2) | instskip(NEXT) | instid1(VALU_DEP_2)
	v_ldexp_f32 v9, v9, 1
	v_sub_f32_e32 v12, v13, v15
	v_fma_f32 v15, 0x3f317218, v8, -v17
	s_delay_alu instid0(VALU_DEP_2) | instskip(NEXT) | instid1(VALU_DEP_2)
	v_sub_f32_e32 v12, v14, v12
	v_fmac_f32_e32 v15, 0xb102e308, v8
	s_delay_alu instid0(VALU_DEP_2) | instskip(NEXT) | instid1(VALU_DEP_2)
	v_add_f32_e32 v8, v9, v12
	v_add_f32_e32 v9, v17, v15
	s_delay_alu instid0(VALU_DEP_2) | instskip(NEXT) | instid1(VALU_DEP_2)
	v_add_f32_e32 v12, v13, v8
	v_sub_f32_e32 v17, v9, v17
	s_delay_alu instid0(VALU_DEP_2) | instskip(NEXT) | instid1(VALU_DEP_2)
	v_dual_add_f32 v14, v9, v12 :: v_dual_sub_f32 v13, v12, v13
	v_sub_f32_e32 v15, v15, v17
	s_delay_alu instid0(VALU_DEP_2) | instskip(NEXT) | instid1(VALU_DEP_3)
	v_sub_f32_e32 v103, v14, v9
	v_sub_f32_e32 v8, v8, v13
	s_delay_alu instid0(VALU_DEP_2) | instskip(NEXT) | instid1(VALU_DEP_2)
	v_sub_f32_e32 v104, v14, v103
	v_dual_sub_f32 v12, v12, v103 :: v_dual_add_f32 v13, v15, v8
	s_delay_alu instid0(VALU_DEP_2) | instskip(NEXT) | instid1(VALU_DEP_1)
	v_sub_f32_e32 v9, v9, v104
	v_dual_add_f32 v9, v12, v9 :: v_dual_sub_f32 v12, v13, v15
	s_delay_alu instid0(VALU_DEP_1) | instskip(NEXT) | instid1(VALU_DEP_2)
	v_add_f32_e32 v9, v13, v9
	v_sub_f32_e32 v13, v13, v12
	s_delay_alu instid0(VALU_DEP_2) | instskip(NEXT) | instid1(VALU_DEP_1)
	v_dual_sub_f32 v8, v8, v12 :: v_dual_add_f32 v17, v14, v9
	v_dual_sub_f32 v13, v15, v13 :: v_dual_sub_f32 v12, v17, v14
	s_delay_alu instid0(VALU_DEP_1) | instskip(NEXT) | instid1(VALU_DEP_1)
	v_dual_add_f32 v8, v8, v13 :: v_dual_sub_f32 v9, v9, v12
	v_add_f32_e32 v8, v8, v9
	s_delay_alu instid0(VALU_DEP_1) | instskip(NEXT) | instid1(VALU_DEP_1)
	v_add_f32_e32 v8, v17, v8
	v_cndmask_b32_e32 v103, v8, v10, vcc_lo
.LBB54_102:                             ;   in Loop: Header=BB54_12 Depth=1
	s_or_b32 exec_lo, exec_lo, s29
	v_lshlrev_b32_e32 v8, 16, v11
	s_delay_alu instid0(VALU_DEP_1) | instskip(NEXT) | instid1(VALU_DEP_1)
	v_add_f32_e32 v104, s66, v8
	v_cmp_ge_f32_e32 vcc_lo, 0x41a00000, v104
	s_and_b32 s28, s79, vcc_lo
	s_delay_alu instid0(SALU_CYCLE_1)
	s_and_saveexec_b32 s29, s28
	s_cbranch_execz .LBB54_104
; %bb.103:                              ;   in Loop: Header=BB54_12 Depth=1
	v_mul_f32_e32 v8, 0x3fb8aa3b, v104
	v_cmp_ngt_f32_e32 vcc_lo, 0xc2ce8ed0, v104
	s_delay_alu instid0(VALU_DEP_2) | instskip(SKIP_1) | instid1(VALU_DEP_2)
	v_rndne_f32_e32 v9, v8
	v_fma_f32 v10, 0x3fb8aa3b, v104, -v8
	v_sub_f32_e32 v8, v8, v9
	s_delay_alu instid0(VALU_DEP_2) | instskip(SKIP_1) | instid1(VALU_DEP_2)
	v_fmac_f32_e32 v10, 0x32a5705f, v104
	v_cvt_i32_f32_e32 v9, v9
	v_add_f32_e32 v8, v8, v10
	s_delay_alu instid0(VALU_DEP_1) | instskip(SKIP_2) | instid1(VALU_DEP_1)
	v_exp_f32_e32 v8, v8
	s_waitcnt_depctr 0xfff
	v_ldexp_f32 v8, v8, v9
	v_cndmask_b32_e32 v8, 0, v8, vcc_lo
	v_cmp_nlt_f32_e32 vcc_lo, 0x42b17218, v104
	s_delay_alu instid0(VALU_DEP_2) | instskip(NEXT) | instid1(VALU_DEP_1)
	v_cndmask_b32_e32 v10, 0x7f800000, v8, vcc_lo
	v_add_f32_e32 v12, 1.0, v10
	s_delay_alu instid0(VALU_DEP_1) | instskip(NEXT) | instid1(VALU_DEP_1)
	v_cvt_f64_f32_e32 v[8:9], v12
	v_frexp_exp_i32_f64_e32 v8, v[8:9]
	v_frexp_mant_f32_e32 v9, v12
	s_delay_alu instid0(VALU_DEP_1) | instskip(SKIP_1) | instid1(VALU_DEP_1)
	v_cmp_gt_f32_e32 vcc_lo, 0x3f2aaaab, v9
	v_add_f32_e32 v9, -1.0, v12
	v_dual_sub_f32 v14, v9, v12 :: v_dual_sub_f32 v9, v10, v9
	v_subrev_co_ci_u32_e32 v8, vcc_lo, 0, v8, vcc_lo
	s_delay_alu instid0(VALU_DEP_1) | instskip(SKIP_1) | instid1(VALU_DEP_2)
	v_sub_nc_u32_e32 v13, 0, v8
	v_cvt_f32_i32_e32 v8, v8
	v_ldexp_f32 v12, v12, v13
	s_delay_alu instid0(VALU_DEP_1) | instskip(NEXT) | instid1(VALU_DEP_1)
	v_dual_add_f32 v14, 1.0, v14 :: v_dual_add_f32 v15, 1.0, v12
	v_add_f32_e32 v9, v9, v14
	s_delay_alu instid0(VALU_DEP_1) | instskip(NEXT) | instid1(VALU_DEP_3)
	v_ldexp_f32 v9, v9, v13
	v_dual_add_f32 v13, -1.0, v12 :: v_dual_add_f32 v14, -1.0, v15
	s_delay_alu instid0(VALU_DEP_1) | instskip(NEXT) | instid1(VALU_DEP_1)
	v_dual_add_f32 v17, 1.0, v13 :: v_dual_sub_f32 v14, v12, v14
	v_sub_f32_e32 v12, v12, v17
	s_delay_alu instid0(VALU_DEP_2) | instskip(NEXT) | instid1(VALU_DEP_2)
	v_add_f32_e32 v14, v9, v14
	v_add_f32_e32 v9, v9, v12
	s_delay_alu instid0(VALU_DEP_2) | instskip(SKIP_2) | instid1(VALU_DEP_4)
	v_add_f32_e32 v17, v15, v14
	v_cmp_eq_f32_e32 vcc_lo, 0x7f800000, v10
	v_cmp_gt_f32_e64 s28, 0x33800000, v10
	v_add_f32_e32 v104, v13, v9
	s_delay_alu instid0(VALU_DEP_4) | instskip(SKIP_1) | instid1(VALU_DEP_3)
	v_rcp_f32_e32 v12, v17
	v_sub_f32_e32 v15, v15, v17
	s_or_b32 vcc_lo, s28, vcc_lo
	s_delay_alu instid0(VALU_DEP_2) | instskip(NEXT) | instid1(VALU_DEP_1)
	v_sub_f32_e32 v13, v13, v104
	v_add_f32_e32 v9, v9, v13
	s_waitcnt_depctr 0xfff
	v_dual_mul_f32 v105, v104, v12 :: v_dual_add_f32 v14, v14, v15
	s_delay_alu instid0(VALU_DEP_1) | instskip(NEXT) | instid1(VALU_DEP_1)
	v_mul_f32_e32 v106, v17, v105
	v_fma_f32 v15, v105, v17, -v106
	s_delay_alu instid0(VALU_DEP_1) | instskip(NEXT) | instid1(VALU_DEP_1)
	v_fmac_f32_e32 v15, v105, v14
	v_add_f32_e32 v107, v106, v15
	s_delay_alu instid0(VALU_DEP_1) | instskip(NEXT) | instid1(VALU_DEP_1)
	v_dual_sub_f32 v13, v107, v106 :: v_dual_sub_f32 v108, v104, v107
	v_dual_sub_f32 v13, v13, v15 :: v_dual_sub_f32 v104, v104, v108
	s_delay_alu instid0(VALU_DEP_1) | instskip(NEXT) | instid1(VALU_DEP_1)
	v_sub_f32_e32 v104, v104, v107
	v_add_f32_e32 v9, v9, v104
	s_delay_alu instid0(VALU_DEP_1) | instskip(NEXT) | instid1(VALU_DEP_1)
	v_add_f32_e32 v9, v13, v9
	v_add_f32_e32 v13, v108, v9
	s_delay_alu instid0(VALU_DEP_1) | instskip(NEXT) | instid1(VALU_DEP_1)
	v_mul_f32_e32 v15, v12, v13
	v_mul_f32_e32 v104, v17, v15
	s_delay_alu instid0(VALU_DEP_1) | instskip(NEXT) | instid1(VALU_DEP_1)
	v_fma_f32 v17, v15, v17, -v104
	v_fmac_f32_e32 v17, v15, v14
	s_delay_alu instid0(VALU_DEP_1) | instskip(NEXT) | instid1(VALU_DEP_1)
	v_add_f32_e32 v14, v104, v17
	v_dual_sub_f32 v107, v108, v13 :: v_dual_sub_f32 v106, v13, v14
	s_delay_alu instid0(VALU_DEP_1) | instskip(NEXT) | instid1(VALU_DEP_2)
	v_dual_sub_f32 v13, v13, v106 :: v_dual_sub_f32 v104, v14, v104
	v_add_f32_e32 v9, v9, v107
	s_delay_alu instid0(VALU_DEP_2) | instskip(NEXT) | instid1(VALU_DEP_1)
	v_dual_sub_f32 v13, v13, v14 :: v_dual_sub_f32 v14, v104, v17
	v_add_f32_e32 v9, v9, v13
	v_add_f32_e32 v13, v105, v15
	s_delay_alu instid0(VALU_DEP_2) | instskip(NEXT) | instid1(VALU_DEP_2)
	v_add_f32_e32 v9, v14, v9
	v_sub_f32_e32 v14, v13, v105
	s_delay_alu instid0(VALU_DEP_1) | instskip(NEXT) | instid1(VALU_DEP_1)
	v_dual_add_f32 v9, v106, v9 :: v_dual_sub_f32 v14, v15, v14
	v_mul_f32_e32 v9, v12, v9
	s_delay_alu instid0(VALU_DEP_1) | instskip(NEXT) | instid1(VALU_DEP_1)
	v_add_f32_e32 v9, v14, v9
	v_add_f32_e32 v12, v13, v9
	s_delay_alu instid0(VALU_DEP_1) | instskip(NEXT) | instid1(VALU_DEP_1)
	v_mul_f32_e32 v14, v12, v12
	v_fmaak_f32 v15, s83, v14, 0x3ecc95a3
	s_delay_alu instid0(VALU_DEP_1) | instskip(SKIP_1) | instid1(VALU_DEP_2)
	v_dual_mul_f32 v17, v12, v14 :: v_dual_fmaak_f32 v14, v14, v15, 0x3f2aaada
	v_ldexp_f32 v15, v12, 1
	v_mul_f32_e32 v14, v17, v14
	v_dual_sub_f32 v12, v12, v13 :: v_dual_mul_f32 v17, 0x3f317218, v8
	s_delay_alu instid0(VALU_DEP_2) | instskip(NEXT) | instid1(VALU_DEP_2)
	v_add_f32_e32 v13, v15, v14
	v_sub_f32_e32 v9, v9, v12
	s_delay_alu instid0(VALU_DEP_2) | instskip(NEXT) | instid1(VALU_DEP_4)
	v_sub_f32_e32 v12, v13, v15
	v_fma_f32 v15, 0x3f317218, v8, -v17
	s_delay_alu instid0(VALU_DEP_3) | instskip(NEXT) | instid1(VALU_DEP_3)
	v_ldexp_f32 v9, v9, 1
	v_sub_f32_e32 v12, v14, v12
	s_delay_alu instid0(VALU_DEP_3) | instskip(NEXT) | instid1(VALU_DEP_2)
	v_fmac_f32_e32 v15, 0xb102e308, v8
	v_add_f32_e32 v8, v9, v12
	s_delay_alu instid0(VALU_DEP_1) | instskip(NEXT) | instid1(VALU_DEP_3)
	v_add_f32_e32 v12, v13, v8
	v_add_f32_e32 v9, v17, v15
	s_delay_alu instid0(VALU_DEP_1) | instskip(NEXT) | instid1(VALU_DEP_1)
	v_dual_sub_f32 v13, v12, v13 :: v_dual_add_f32 v14, v9, v12
	v_sub_f32_e32 v8, v8, v13
	s_delay_alu instid0(VALU_DEP_2) | instskip(NEXT) | instid1(VALU_DEP_1)
	v_sub_f32_e32 v104, v14, v9
	v_dual_sub_f32 v12, v12, v104 :: v_dual_sub_f32 v17, v9, v17
	s_delay_alu instid0(VALU_DEP_1) | instskip(NEXT) | instid1(VALU_DEP_1)
	v_sub_f32_e32 v15, v15, v17
	v_add_f32_e32 v13, v15, v8
	v_sub_f32_e32 v105, v14, v104
	s_delay_alu instid0(VALU_DEP_1) | instskip(NEXT) | instid1(VALU_DEP_1)
	v_sub_f32_e32 v9, v9, v105
	v_dual_add_f32 v9, v12, v9 :: v_dual_sub_f32 v12, v13, v15
	s_delay_alu instid0(VALU_DEP_1) | instskip(NEXT) | instid1(VALU_DEP_2)
	v_add_f32_e32 v9, v13, v9
	v_sub_f32_e32 v13, v13, v12
	s_delay_alu instid0(VALU_DEP_2) | instskip(NEXT) | instid1(VALU_DEP_1)
	v_dual_sub_f32 v8, v8, v12 :: v_dual_add_f32 v17, v14, v9
	v_dual_sub_f32 v12, v17, v14 :: v_dual_sub_f32 v13, v15, v13
	s_delay_alu instid0(VALU_DEP_1) | instskip(NEXT) | instid1(VALU_DEP_1)
	v_dual_sub_f32 v9, v9, v12 :: v_dual_add_f32 v8, v8, v13
	v_add_f32_e32 v8, v8, v9
	s_delay_alu instid0(VALU_DEP_1) | instskip(NEXT) | instid1(VALU_DEP_1)
	v_add_f32_e32 v8, v17, v8
	v_cndmask_b32_e32 v104, v8, v10, vcc_lo
.LBB54_104:                             ;   in Loop: Header=BB54_12 Depth=1
	s_or_b32 exec_lo, exec_lo, s29
	v_and_b32_e32 v8, 0xffff0000, v11
	s_delay_alu instid0(VALU_DEP_1) | instskip(NEXT) | instid1(VALU_DEP_1)
	v_add_f32_e32 v121, s66, v8
	v_cmp_ge_f32_e32 vcc_lo, 0x41a00000, v121
	s_and_b32 s28, s79, vcc_lo
	s_delay_alu instid0(SALU_CYCLE_1)
	s_and_saveexec_b32 s29, s28
	s_cbranch_execz .LBB54_106
; %bb.105:                              ;   in Loop: Header=BB54_12 Depth=1
	v_mul_f32_e32 v8, 0x3fb8aa3b, v121
	v_cmp_ngt_f32_e32 vcc_lo, 0xc2ce8ed0, v121
	s_delay_alu instid0(VALU_DEP_2) | instskip(SKIP_1) | instid1(VALU_DEP_2)
	v_rndne_f32_e32 v9, v8
	v_fma_f32 v10, 0x3fb8aa3b, v121, -v8
	v_sub_f32_e32 v8, v8, v9
	s_delay_alu instid0(VALU_DEP_2) | instskip(SKIP_1) | instid1(VALU_DEP_2)
	v_fmac_f32_e32 v10, 0x32a5705f, v121
	v_cvt_i32_f32_e32 v9, v9
	v_add_f32_e32 v8, v8, v10
	s_delay_alu instid0(VALU_DEP_1) | instskip(SKIP_2) | instid1(VALU_DEP_1)
	v_exp_f32_e32 v8, v8
	s_waitcnt_depctr 0xfff
	v_ldexp_f32 v8, v8, v9
	v_cndmask_b32_e32 v8, 0, v8, vcc_lo
	v_cmp_nlt_f32_e32 vcc_lo, 0x42b17218, v121
	s_delay_alu instid0(VALU_DEP_2) | instskip(NEXT) | instid1(VALU_DEP_1)
	v_cndmask_b32_e32 v10, 0x7f800000, v8, vcc_lo
	v_add_f32_e32 v11, 1.0, v10
	s_delay_alu instid0(VALU_DEP_1) | instskip(NEXT) | instid1(VALU_DEP_1)
	v_cvt_f64_f32_e32 v[8:9], v11
	v_frexp_exp_i32_f64_e32 v8, v[8:9]
	v_frexp_mant_f32_e32 v9, v11
	s_delay_alu instid0(VALU_DEP_1) | instskip(SKIP_1) | instid1(VALU_DEP_1)
	v_cmp_gt_f32_e32 vcc_lo, 0x3f2aaaab, v9
	v_add_f32_e32 v9, -1.0, v11
	v_sub_f32_e32 v13, v9, v11
	v_sub_f32_e32 v9, v10, v9
	s_delay_alu instid0(VALU_DEP_2) | instskip(NEXT) | instid1(VALU_DEP_1)
	v_add_f32_e32 v13, 1.0, v13
	v_add_f32_e32 v9, v9, v13
	v_cmp_gt_f32_e64 s28, 0x33800000, v10
	v_subrev_co_ci_u32_e32 v8, vcc_lo, 0, v8, vcc_lo
	v_cmp_eq_f32_e32 vcc_lo, 0x7f800000, v10
	s_delay_alu instid0(VALU_DEP_2) | instskip(SKIP_2) | instid1(VALU_DEP_2)
	v_sub_nc_u32_e32 v12, 0, v8
	v_cvt_f32_i32_e32 v8, v8
	s_or_b32 vcc_lo, s28, vcc_lo
	v_ldexp_f32 v11, v11, v12
	v_ldexp_f32 v9, v9, v12
	s_delay_alu instid0(VALU_DEP_2) | instskip(NEXT) | instid1(VALU_DEP_1)
	v_add_f32_e32 v14, 1.0, v11
	v_dual_add_f32 v12, -1.0, v11 :: v_dual_add_f32 v13, -1.0, v14
	s_delay_alu instid0(VALU_DEP_1) | instskip(NEXT) | instid1(VALU_DEP_2)
	v_add_f32_e32 v15, 1.0, v12
	v_sub_f32_e32 v13, v11, v13
	s_delay_alu instid0(VALU_DEP_2) | instskip(NEXT) | instid1(VALU_DEP_2)
	v_sub_f32_e32 v11, v11, v15
	v_add_f32_e32 v13, v9, v13
	s_delay_alu instid0(VALU_DEP_2) | instskip(NEXT) | instid1(VALU_DEP_1)
	v_add_f32_e32 v9, v9, v11
	v_add_f32_e32 v17, v12, v9
	s_delay_alu instid0(VALU_DEP_3) | instskip(NEXT) | instid1(VALU_DEP_2)
	v_add_f32_e32 v15, v14, v13
	v_sub_f32_e32 v12, v12, v17
	s_delay_alu instid0(VALU_DEP_2) | instskip(SKIP_1) | instid1(VALU_DEP_1)
	v_rcp_f32_e32 v11, v15
	v_sub_f32_e32 v14, v14, v15
	v_add_f32_e32 v13, v13, v14
	s_waitcnt_depctr 0xfff
	v_mul_f32_e32 v105, v17, v11
	s_delay_alu instid0(VALU_DEP_1) | instskip(NEXT) | instid1(VALU_DEP_1)
	v_dual_mul_f32 v106, v15, v105 :: v_dual_add_f32 v9, v9, v12
	v_fma_f32 v14, v105, v15, -v106
	s_delay_alu instid0(VALU_DEP_1) | instskip(NEXT) | instid1(VALU_DEP_1)
	v_fmac_f32_e32 v14, v105, v13
	v_add_f32_e32 v107, v106, v14
	s_delay_alu instid0(VALU_DEP_1) | instskip(SKIP_1) | instid1(VALU_DEP_1)
	v_sub_f32_e32 v12, v107, v106
	v_sub_f32_e32 v108, v17, v107
	v_dual_sub_f32 v12, v12, v14 :: v_dual_sub_f32 v17, v17, v108
	s_delay_alu instid0(VALU_DEP_1) | instskip(NEXT) | instid1(VALU_DEP_1)
	v_sub_f32_e32 v17, v17, v107
	v_add_f32_e32 v9, v9, v17
	s_delay_alu instid0(VALU_DEP_1) | instskip(NEXT) | instid1(VALU_DEP_1)
	v_add_f32_e32 v9, v12, v9
	v_add_f32_e32 v12, v108, v9
	s_delay_alu instid0(VALU_DEP_1) | instskip(SKIP_1) | instid1(VALU_DEP_2)
	v_mul_f32_e32 v14, v11, v12
	v_sub_f32_e32 v107, v108, v12
	v_mul_f32_e32 v17, v15, v14
	s_delay_alu instid0(VALU_DEP_2) | instskip(NEXT) | instid1(VALU_DEP_2)
	v_add_f32_e32 v9, v9, v107
	v_fma_f32 v15, v14, v15, -v17
	s_delay_alu instid0(VALU_DEP_1) | instskip(NEXT) | instid1(VALU_DEP_1)
	v_fmac_f32_e32 v15, v14, v13
	v_add_f32_e32 v13, v17, v15
	s_delay_alu instid0(VALU_DEP_1) | instskip(NEXT) | instid1(VALU_DEP_1)
	v_sub_f32_e32 v106, v12, v13
	v_dual_sub_f32 v17, v13, v17 :: v_dual_sub_f32 v12, v12, v106
	s_delay_alu instid0(VALU_DEP_1) | instskip(NEXT) | instid1(VALU_DEP_1)
	v_dual_sub_f32 v12, v12, v13 :: v_dual_sub_f32 v13, v17, v15
	v_add_f32_e32 v9, v9, v12
	v_add_f32_e32 v12, v105, v14
	s_delay_alu instid0(VALU_DEP_2) | instskip(NEXT) | instid1(VALU_DEP_2)
	v_add_f32_e32 v9, v13, v9
	v_sub_f32_e32 v13, v12, v105
	s_delay_alu instid0(VALU_DEP_2) | instskip(NEXT) | instid1(VALU_DEP_2)
	v_add_f32_e32 v9, v106, v9
	v_sub_f32_e32 v13, v14, v13
	s_delay_alu instid0(VALU_DEP_2) | instskip(NEXT) | instid1(VALU_DEP_1)
	v_mul_f32_e32 v9, v11, v9
	v_add_f32_e32 v9, v13, v9
	s_delay_alu instid0(VALU_DEP_1) | instskip(NEXT) | instid1(VALU_DEP_1)
	v_add_f32_e32 v11, v12, v9
	v_mul_f32_e32 v13, v11, v11
	s_delay_alu instid0(VALU_DEP_1) | instskip(SKIP_1) | instid1(VALU_DEP_2)
	v_fmaak_f32 v14, s83, v13, 0x3ecc95a3
	v_mul_f32_e32 v15, v11, v13
	v_fmaak_f32 v13, v13, v14, 0x3f2aaada
	v_ldexp_f32 v14, v11, 1
	v_sub_f32_e32 v11, v11, v12
	s_delay_alu instid0(VALU_DEP_3) | instskip(SKIP_1) | instid1(VALU_DEP_2)
	v_mul_f32_e32 v13, v15, v13
	v_mul_f32_e32 v15, 0x3f317218, v8
	v_dual_sub_f32 v9, v9, v11 :: v_dual_add_f32 v12, v14, v13
	s_delay_alu instid0(VALU_DEP_1) | instskip(NEXT) | instid1(VALU_DEP_2)
	v_ldexp_f32 v9, v9, 1
	v_sub_f32_e32 v11, v12, v14
	s_delay_alu instid0(VALU_DEP_4) | instskip(NEXT) | instid1(VALU_DEP_1)
	v_fma_f32 v14, 0x3f317218, v8, -v15
	v_dual_sub_f32 v11, v13, v11 :: v_dual_fmac_f32 v14, 0xb102e308, v8
	s_delay_alu instid0(VALU_DEP_1) | instskip(NEXT) | instid1(VALU_DEP_1)
	v_dual_add_f32 v8, v9, v11 :: v_dual_add_f32 v9, v15, v14
	v_add_f32_e32 v11, v12, v8
	s_delay_alu instid0(VALU_DEP_2) | instskip(NEXT) | instid1(VALU_DEP_2)
	v_sub_f32_e32 v15, v9, v15
	v_dual_add_f32 v13, v9, v11 :: v_dual_sub_f32 v12, v11, v12
	s_delay_alu instid0(VALU_DEP_1) | instskip(NEXT) | instid1(VALU_DEP_1)
	v_dual_sub_f32 v14, v14, v15 :: v_dual_sub_f32 v17, v13, v9
	v_dual_sub_f32 v8, v8, v12 :: v_dual_sub_f32 v105, v13, v17
	s_delay_alu instid0(VALU_DEP_1) | instskip(NEXT) | instid1(VALU_DEP_2)
	v_dual_sub_f32 v11, v11, v17 :: v_dual_add_f32 v12, v14, v8
	v_sub_f32_e32 v9, v9, v105
	s_delay_alu instid0(VALU_DEP_1) | instskip(NEXT) | instid1(VALU_DEP_3)
	v_add_f32_e32 v9, v11, v9
	v_sub_f32_e32 v11, v12, v14
	s_delay_alu instid0(VALU_DEP_2) | instskip(NEXT) | instid1(VALU_DEP_2)
	v_add_f32_e32 v9, v12, v9
	v_sub_f32_e32 v12, v12, v11
	s_delay_alu instid0(VALU_DEP_2) | instskip(NEXT) | instid1(VALU_DEP_1)
	v_dual_sub_f32 v8, v8, v11 :: v_dual_add_f32 v15, v13, v9
	v_dual_sub_f32 v12, v14, v12 :: v_dual_sub_f32 v11, v15, v13
	s_delay_alu instid0(VALU_DEP_1) | instskip(NEXT) | instid1(VALU_DEP_1)
	v_dual_add_f32 v8, v8, v12 :: v_dual_sub_f32 v9, v9, v11
	v_add_f32_e32 v8, v8, v9
	s_delay_alu instid0(VALU_DEP_1) | instskip(NEXT) | instid1(VALU_DEP_1)
	v_add_f32_e32 v8, v15, v8
	v_cndmask_b32_e32 v121, v8, v10, vcc_lo
.LBB54_106:                             ;   in Loop: Header=BB54_12 Depth=1
	s_or_b32 exec_lo, exec_lo, s29
	v_and_b32_e32 v11, 0xffff0000, v3
	v_and_b32_e32 v9, 0xffff0000, v6
	v_lshlrev_b32_e32 v6, 16, v6
	v_and_b32_e32 v15, 0xffff0000, v0
	v_lshlrev_b32_e32 v8, 16, v7
	v_mul_f32_e32 v115, s67, v11
	v_mul_f32_e32 v105, s67, v9
	v_dual_mul_f32 v107, s67, v6 :: v_dual_and_b32 v10, 0xffff0000, v5
	v_and_b32_e32 v14, 0xffff0000, v7
	v_and_b32_e32 v7, 0xffff0000, v4
	v_lshlrev_b32_e32 v5, 16, v5
	s_delay_alu instid0(VALU_DEP_4) | instskip(NEXT) | instid1(VALU_DEP_4)
	v_dual_mul_f32 v109, s67, v10 :: v_dual_lshlrev_b32 v0, 16, v0
	v_mul_f32_e32 v111, s67, v14
	v_and_b32_e32 v13, 0xffff0000, v1
	v_lshlrev_b32_e32 v3, 16, v3
	v_mul_f32_e32 v108, s67, v7
	v_mul_f32_e32 v120, s67, v0
	s_delay_alu instid0(VALU_DEP_4) | instskip(SKIP_3) | instid1(VALU_DEP_4)
	v_dual_mul_f32 v113, s67, v13 :: v_dual_and_b32 v12, 0xffff0000, v2
	v_lshlrev_b32_e32 v1, 16, v1
	v_mul_f32_e32 v110, s67, v5
	v_mul_f32_e32 v106, s67, v8
	;; [unrolled: 1-line block ×5, first 2 shown]
	v_dual_mul_f32 v119, s67, v15 :: v_dual_lshlrev_b32 v2, 16, v2
	v_lshlrev_b32_e32 v4, 16, v4
	s_and_b32 vcc_lo, exec_lo, s80
	s_delay_alu instid0(VALU_DEP_2) | instskip(SKIP_1) | instid1(VALU_DEP_2)
	v_mul_f32_e32 v117, s67, v2
	s_barrier
	v_mul_f32_e32 v112, s67, v4
	buffer_gl0_inv
	s_cbranch_vccz .LBB54_202
; %bb.107:                              ;   in Loop: Header=BB54_12 Depth=1
	v_dual_mul_f32 v122, v121, v14 :: v_dual_mul_f32 v127, v104, v8
	v_add_co_u32 v14, s28, s53, v16
	s_delay_alu instid0(VALU_DEP_1) | instskip(SKIP_1) | instid1(VALU_DEP_1)
	v_add_co_ci_u32_e64 v17, null, s73, 0, s28
	v_add_co_u32 v16, s28, s57, v16
	v_add_co_ci_u32_e64 v126, null, s74, 0, s28
	s_delay_alu instid0(VALU_DEP_4) | instskip(NEXT) | instid1(VALU_DEP_4)
	v_add_co_u32 v123, vcc_lo, v14, v89
	v_add_co_ci_u32_e32 v124, vcc_lo, 0, v17, vcc_lo
	s_delay_alu instid0(VALU_DEP_4) | instskip(NEXT) | instid1(VALU_DEP_4)
	v_add_co_u32 v125, vcc_lo, v16, v89
	v_add_co_ci_u32_e32 v126, vcc_lo, 0, v126, vcc_lo
	v_cmp_gt_u32_e32 vcc_lo, s40, v18
	s_cmp_lg_u32 s85, 0
	v_cmp_gt_u32_e64 s30, s40, v75
	s_cselect_b32 s51, -1, 0
	s_cmp_eq_u32 s85, s82
	v_cmp_gt_u32_e64 s31, s40, v76
	s_cselect_b32 s86, -1, 0
	s_or_b32 s28, s81, vcc_lo
	v_cmp_gt_u32_e32 vcc_lo, s40, v74
	v_cmp_gt_u32_e64 s33, s40, v77
	v_cmp_gt_u32_e64 s34, s40, v78
	;; [unrolled: 1-line block ×4, first 2 shown]
	s_or_b32 s29, s81, vcc_lo
	v_cmp_gt_u32_e32 vcc_lo, s40, v79
	v_cmp_gt_u32_e64 s38, s40, v82
	v_cmp_gt_u32_e64 s39, s40, v83
	;; [unrolled: 1-line block ×4, first 2 shown]
	s_or_b32 s35, s81, vcc_lo
	v_cmp_gt_u32_e32 vcc_lo, s40, v84
	v_cmp_gt_u32_e64 s43, s40, v87
	v_cmp_gt_u32_e64 s44, s40, v88
	v_dual_mul_f32 v128, v103, v9 :: v_dual_mul_f32 v129, v102, v6
	v_dual_mul_f32 v130, v101, v10 :: v_dual_mul_f32 v131, v100, v5
	;; [unrolled: 1-line block ×7, first 2 shown]
	s_mov_b32 s64, 0
	s_or_b32 s30, s81, s30
	s_or_b32 s31, s81, s31
	;; [unrolled: 1-line block ×8, first 2 shown]
	s_or_b32 s40, s81, vcc_lo
	s_or_b32 s41, s81, s41
	s_or_b32 s42, s81, s42
	;; [unrolled: 1-line block ×4, first 2 shown]
	s_mov_b32 s54, s64
	s_mov_b32 s58, s64
	s_mov_b32 s60, s64
	s_mov_b32 s87, s77
	s_mov_b32 s88, s84
	s_branch .LBB54_109
.LBB54_108:                             ;   in Loop: Header=BB54_109 Depth=2
	s_or_b32 exec_lo, exec_lo, s45
	v_cndmask_b32_e64 v9, v171, v11, s11
	v_cndmask_b32_e64 v10, v170, v10, s11
	s_add_i32 s87, s87, -1
	s_add_i32 s88, s88, 8
	s_add_i32 s60, s60, s62
	v_fma_f32 v9, v9, v145, v144
	v_mul_f32_e32 v10, v10, v145
	s_add_i32 s58, s58, s56
	s_add_i32 s54, s54, s52
	s_add_i32 s64, s64, s49
	v_cndmask_b32_e64 v9, v9, v144, s10
	v_cndmask_b32_e64 v10, v10, v145, s10
	s_cmp_eq_u32 s87, 0
	s_waitcnt lgkmcnt(0)
	s_delay_alu instid0(VALU_DEP_1) | instskip(NEXT) | instid1(VALU_DEP_1)
	v_dual_fmac_f32 v9, v8, v10 :: v_dual_and_b32 v10, 0xffff0000, v5
	v_dual_fmac_f32 v12, v9, v147 :: v_dual_lshlrev_b32 v5, 16, v5
	s_delay_alu instid0(VALU_DEP_1) | instskip(NEXT) | instid1(VALU_DEP_1)
	v_fmac_f32_e32 v13, v12, v148
	v_dual_fmac_f32 v118, v13, v5 :: v_dual_and_b32 v17, 0xffff0000, v0
	v_fmac_f32_e32 v14, v13, v150
	s_delay_alu instid0(VALU_DEP_1) | instskip(NEXT) | instid1(VALU_DEP_1)
	v_fmac_f32_e32 v15, v14, v153
	v_fmac_f32_e32 v142, v15, v154
	s_delay_alu instid0(VALU_DEP_1) | instskip(NEXT) | instid1(VALU_DEP_1)
	v_fmac_f32_e32 v143, v142, v155
	v_fmac_f32_e32 v146, v143, v156
	s_delay_alu instid0(VALU_DEP_1) | instskip(SKIP_1) | instid1(VALU_DEP_2)
	v_dual_fmac_f32 v149, v146, v158 :: v_dual_and_b32 v8, 0xffff0000, v4
	v_lshlrev_b32_e32 v4, 16, v4
	v_dual_fmac_f32 v119, v12, v8 :: v_dual_and_b32 v16, 0xffff0000, v7
	s_delay_alu instid0(VALU_DEP_3) | instskip(SKIP_1) | instid1(VALU_DEP_4)
	v_fmac_f32_e32 v151, v149, v159
	v_and_b32_e32 v11, 0xffff0000, v6
	v_dual_fmac_f32 v120, v9, v4 :: v_dual_lshlrev_b32 v7, 16, v7
	s_delay_alu instid0(VALU_DEP_4) | instskip(NEXT) | instid1(VALU_DEP_4)
	v_fmac_f32_e32 v115, v146, v16
	v_fmac_f32_e32 v152, v151, v160
	s_delay_alu instid0(VALU_DEP_4) | instskip(NEXT) | instid1(VALU_DEP_2)
	v_fmac_f32_e32 v114, v142, v11
	v_dual_fmac_f32 v108, v151, v17 :: v_dual_fmac_f32 v157, v152, v168
	v_lshlrev_b32_e32 v6, 16, v6
	v_dual_fmac_f32 v113, v14, v10 :: v_dual_lshlrev_b32 v0, 16, v0
	v_and_b32_e32 v147, 0xffff0000, v3
	s_delay_alu instid0(VALU_DEP_4) | instskip(SKIP_3) | instid1(VALU_DEP_4)
	v_fmac_f32_e32 v161, v157, v163
	v_and_b32_e32 v145, 0xffff0000, v2
	v_lshlrev_b32_e32 v2, 16, v2
	v_dual_fmac_f32 v117, v15, v6 :: v_dual_and_b32 v144, 0xffff0000, v1
	v_fmac_f32_e32 v162, v161, v165
	v_lshlrev_b32_e32 v1, 16, v1
	v_lshlrev_b32_e32 v3, 16, v3
	v_dual_fmac_f32 v107, v161, v2 :: v_dual_fmac_f32 v116, v143, v7
	s_delay_alu instid0(VALU_DEP_4) | instskip(SKIP_1) | instid1(VALU_DEP_2)
	v_dual_fmac_f32 v109, v157, v144 :: v_dual_fmac_f32 v164, v162, v167
	v_dual_fmac_f32 v112, v149, v0 :: v_dual_fmac_f32 v105, v162, v145
	v_fmac_f32_e32 v106, v164, v3
	v_fmac_f32_e32 v166, v164, v169
	s_delay_alu instid0(VALU_DEP_1)
	v_dual_fmac_f32 v110, v152, v1 :: v_dual_fmac_f32 v111, v166, v147
	s_cbranch_scc1 .LBB54_202
.LBB54_109:                             ;   Parent Loop BB54_12 Depth=1
                                        ; =>  This Inner Loop Header: Depth=2
	s_lshl_b64 s[90:91], s[64:65], 2
	s_mov_b32 s55, s65
	s_add_u32 s90, s72, s90
	s_addc_u32 s91, s63, s91
	v_dual_mov_b32 v2, 0 :: v_dual_mov_b32 v3, 0
	global_load_b32 v142, v21, s[90:91]
	s_lshl_b64 s[90:91], s[54:55], 1
	s_delay_alu instid0(SALU_CYCLE_1)
	v_add_co_u32 v0, vcc_lo, v123, s90
	v_add_co_ci_u32_e32 v1, vcc_lo, s91, v124, vcc_lo
	s_and_saveexec_b32 s45, s12
	s_cbranch_execz .LBB54_111
; %bb.110:                              ;   in Loop: Header=BB54_109 Depth=2
	global_load_u16 v3, v[0:1], off
.LBB54_111:                             ;   in Loop: Header=BB54_109 Depth=2
	s_or_b32 exec_lo, exec_lo, s45
	s_and_saveexec_b32 s45, s13
	s_cbranch_execz .LBB54_113
; %bb.112:                              ;   in Loop: Header=BB54_109 Depth=2
	global_load_u16 v2, v[0:1], off offset:64
.LBB54_113:                             ;   in Loop: Header=BB54_109 Depth=2
	s_or_b32 exec_lo, exec_lo, s45
	v_dual_mov_b32 v4, 0 :: v_dual_mov_b32 v5, 0
	s_and_saveexec_b32 s45, s14
	s_cbranch_execz .LBB54_115
; %bb.114:                              ;   in Loop: Header=BB54_109 Depth=2
	global_load_u16 v5, v[0:1], off offset:128
.LBB54_115:                             ;   in Loop: Header=BB54_109 Depth=2
	s_or_b32 exec_lo, exec_lo, s45
	s_and_saveexec_b32 s45, s15
	s_cbranch_execz .LBB54_117
; %bb.116:                              ;   in Loop: Header=BB54_109 Depth=2
	global_load_u16 v4, v[0:1], off offset:192
.LBB54_117:                             ;   in Loop: Header=BB54_109 Depth=2
	s_or_b32 exec_lo, exec_lo, s45
	v_dual_mov_b32 v6, 0 :: v_dual_mov_b32 v7, 0
	s_and_saveexec_b32 s45, s16
	s_cbranch_execz .LBB54_119
; %bb.118:                              ;   in Loop: Header=BB54_109 Depth=2
	global_load_u16 v7, v[0:1], off offset:256
.LBB54_119:                             ;   in Loop: Header=BB54_109 Depth=2
	;; [unrolled: 13-line block ×7, first 2 shown]
	s_or_b32 exec_lo, exec_lo, s45
	s_and_saveexec_b32 s45, s27
	s_cbranch_execz .LBB54_141
; %bb.140:                              ;   in Loop: Header=BB54_109 Depth=2
	global_load_u16 v16, v[0:1], off offset:960
.LBB54_141:                             ;   in Loop: Header=BB54_109 Depth=2
	s_or_b32 exec_lo, exec_lo, s45
	s_waitcnt vmcnt(0)
	ds_store_b16 v37, v3
	ds_store_b16 v37, v2 offset:64
	ds_store_b16 v38, v5 offset:128
	;; [unrolled: 1-line block ×15, first 2 shown]
	; wave barrier
	ds_load_b128 v[12:15], v52
	ds_load_b128 v[8:11], v52 offset:16
	s_mov_b32 s59, s65
	v_dual_mov_b32 v2, 0 :: v_dual_mov_b32 v3, 0
	s_lshl_b64 s[90:91], s[58:59], 1
	s_delay_alu instid0(SALU_CYCLE_1)
	v_add_co_u32 v0, vcc_lo, v125, s90
	v_add_co_ci_u32_e32 v1, vcc_lo, s91, v126, vcc_lo
	s_and_saveexec_b32 s45, s12
	s_cbranch_execz .LBB54_143
; %bb.142:                              ;   in Loop: Header=BB54_109 Depth=2
	global_load_u16 v3, v[0:1], off
.LBB54_143:                             ;   in Loop: Header=BB54_109 Depth=2
	s_or_b32 exec_lo, exec_lo, s45
	s_and_saveexec_b32 s45, s13
	s_cbranch_execz .LBB54_145
; %bb.144:                              ;   in Loop: Header=BB54_109 Depth=2
	global_load_u16 v2, v[0:1], off offset:64
.LBB54_145:                             ;   in Loop: Header=BB54_109 Depth=2
	s_or_b32 exec_lo, exec_lo, s45
	v_dual_mov_b32 v4, 0 :: v_dual_mov_b32 v5, 0
	s_and_saveexec_b32 s45, s14
	s_cbranch_execz .LBB54_147
; %bb.146:                              ;   in Loop: Header=BB54_109 Depth=2
	global_load_u16 v5, v[0:1], off offset:128
.LBB54_147:                             ;   in Loop: Header=BB54_109 Depth=2
	s_or_b32 exec_lo, exec_lo, s45
	s_and_saveexec_b32 s45, s15
	s_cbranch_execz .LBB54_149
; %bb.148:                              ;   in Loop: Header=BB54_109 Depth=2
	global_load_u16 v4, v[0:1], off offset:192
.LBB54_149:                             ;   in Loop: Header=BB54_109 Depth=2
	s_or_b32 exec_lo, exec_lo, s45
	v_dual_mov_b32 v6, 0 :: v_dual_mov_b32 v7, 0
	s_and_saveexec_b32 s45, s16
	s_cbranch_execz .LBB54_151
; %bb.150:                              ;   in Loop: Header=BB54_109 Depth=2
	global_load_u16 v7, v[0:1], off offset:256
.LBB54_151:                             ;   in Loop: Header=BB54_109 Depth=2
	;; [unrolled: 13-line block ×7, first 2 shown]
	s_or_b32 exec_lo, exec_lo, s45
	s_and_saveexec_b32 s45, s27
	s_cbranch_execz .LBB54_173
; %bb.172:                              ;   in Loop: Header=BB54_109 Depth=2
	global_load_u16 v149, v[0:1], off offset:960
.LBB54_173:                             ;   in Loop: Header=BB54_109 Depth=2
	s_or_b32 exec_lo, exec_lo, s45
	s_waitcnt vmcnt(0)
	ds_store_b16 v37, v3 offset:2112
	ds_store_b16 v53, v2 offset:64
	;; [unrolled: 1-line block ×16, first 2 shown]
	; wave barrier
	ds_load_b128 v[4:7], v52 offset:2112
	ds_load_b128 v[0:3], v68 offset:16
	s_and_not1_b32 vcc_lo, exec_lo, s51
	s_cbranch_vccnz .LBB54_175
; %bb.174:                              ;   in Loop: Header=BB54_109 Depth=2
	v_mov_b32_e32 v16, s88
	ds_load_b64 v[16:17], v16
	s_cbranch_execz .LBB54_176
	s_branch .LBB54_179
.LBB54_175:                             ;   in Loop: Header=BB54_109 Depth=2
                                        ; implicit-def: $vgpr16
.LBB54_176:                             ;   in Loop: Header=BB54_109 Depth=2
	s_waitcnt lgkmcnt(0)
	v_mov_b32_e32 v17, 0
	s_and_not1_b32 vcc_lo, exec_lo, s47
	s_cbranch_vccnz .LBB54_178
; %bb.177:                              ;   in Loop: Header=BB54_109 Depth=2
	s_mov_b32 s61, s65
	s_delay_alu instid0(SALU_CYCLE_1) | instskip(NEXT) | instid1(SALU_CYCLE_1)
	s_lshl_b64 s[90:91], s[60:61], 2
	s_add_u32 s90, s75, s90
	s_addc_u32 s91, s76, s91
	global_load_b32 v17, v21, s[90:91]
.LBB54_178:                             ;   in Loop: Header=BB54_109 Depth=2
	v_mov_b32_e32 v16, 1.0
.LBB54_179:                             ;   in Loop: Header=BB54_109 Depth=2
	s_waitcnt lgkmcnt(19)
	v_dual_mul_f32 v164, 0x3fb8aa3b, v142 :: v_dual_lshlrev_b32 v143, 16, v12
	v_and_b32_e32 v12, 0xffff0000, v12
	v_lshlrev_b32_e32 v142, 16, v13
	v_and_b32_e32 v146, 0xffff0000, v13
	v_lshlrev_b32_e32 v149, 16, v14
	v_mul_f32_e32 v13, v164, v90
	v_dual_mul_f32 v14, v164, v91 :: v_dual_and_b32 v151, 0xffff0000, v14
	v_dual_mul_f32 v145, v164, v93 :: v_dual_lshlrev_b32 v152, 16, v15
	s_delay_alu instid0(VALU_DEP_3) | instskip(SKIP_1) | instid1(VALU_DEP_4)
	v_cmp_gt_f32_e32 vcc_lo, 0xc2fc0000, v13
	v_dual_mul_f32 v12, v140, v12 :: v_dual_and_b32 v155, 0xffff0000, v15
	v_cmp_gt_f32_e64 s45, 0xc2fc0000, v14
	v_mul_f32_e32 v15, v164, v92
	v_cndmask_b32_e64 v13, 0, 0x42800000, vcc_lo
	v_cndmask_b32_e64 v144, 1.0, 0x1f800000, vcc_lo
	s_waitcnt lgkmcnt(18)
	v_lshlrev_b32_e32 v161, 16, v10
	v_cndmask_b32_e64 v14, 0, 0x42800000, s45
	v_mul_f32_e32 v143, v141, v143
	v_fmac_f32_e32 v13, v164, v90
	v_dual_mul_f32 v142, v139, v142 :: v_dual_lshlrev_b32 v157, 16, v8
	v_and_b32_e32 v8, 0xffff0000, v8
	v_fmac_f32_e32 v14, v164, v91
	s_delay_alu instid0(VALU_DEP_4) | instskip(SKIP_2) | instid1(VALU_DEP_3)
	v_exp_f32_e32 v13, v13
	v_cmp_gt_f32_e32 vcc_lo, 0xc2fc0000, v15
	v_dual_mul_f32 v151, v136, v151 :: v_dual_and_b32 v10, 0xffff0000, v10
	v_exp_f32_e32 v14, v14
	v_dual_mul_f32 v157, v133, v157 :: v_dual_mul_f32 v8, v132, v8
	v_cndmask_b32_e64 v15, 0, 0x42800000, vcc_lo
	v_lshlrev_b32_e32 v166, 16, v11
	v_and_b32_e32 v11, 0xffff0000, v11
	s_delay_alu instid0(TRANS32_DEP_2)
	v_mul_f32_e32 v13, v13, v144
	v_cndmask_b32_e64 v144, 0, v143, s28
	v_cndmask_b32_e64 v143, 1.0, 0x1f800000, s45
	v_cmp_gt_f32_e64 s45, 0xc2fc0000, v145
	v_fmac_f32_e32 v15, v164, v92
	v_cndmask_b32_e64 v145, 1.0, v13, s28
	v_cndmask_b32_e64 v12, 0, v12, s29
	v_mul_f32_e32 v13, v14, v143
	v_cndmask_b32_e64 v147, 0, 0x42800000, s45
	v_exp_f32_e32 v14, v15
	v_cndmask_b32_e64 v143, 1.0, 0x1f800000, vcc_lo
	v_lshlrev_b32_e32 v159, 16, v9
	v_mul_f32_e32 v15, v164, v94
	v_fmac_f32_e32 v147, v164, v93
	v_and_b32_e32 v9, 0xffff0000, v9
	v_mul_f32_e32 v167, v164, v103
	v_mul_f32_e32 v169, v164, v121
	v_cmp_gt_f32_e32 vcc_lo, 0xc2fc0000, v15
	v_exp_f32_e32 v150, v147
	v_mul_f32_e32 v14, v14, v143
	v_cndmask_b32_e64 v143, 1.0, 0x1f800000, s45
	v_mul_f32_e32 v153, v164, v97
	v_cndmask_b32_e64 v15, 0, 0x42800000, vcc_lo
	v_mul_f32_e32 v156, v164, v98
	v_cndmask_b32_e64 v148, 1.0, v14, s30
	v_mul_f32_e32 v14, v138, v146
	v_mul_f32_e32 v146, v164, v96
	v_fmac_f32_e32 v15, v164, v94
	v_mul_f32_e32 v143, v150, v143
	v_cmp_gt_f32_e64 s46, 0xc2fc0000, v153
	v_cndmask_b32_e64 v14, 0, v14, s31
	v_mul_f32_e32 v158, v164, v100
	v_exp_f32_e32 v15, v15
	v_cndmask_b32_e64 v150, 1.0, v143, s31
	v_cndmask_b32_e64 v143, 1.0, 0x1f800000, vcc_lo
	v_cmp_gt_f32_e32 vcc_lo, 0xc2fc0000, v146
	v_mul_f32_e32 v166, v127, v166
	v_dual_mul_f32 v10, v128, v10 :: v_dual_mul_f32 v11, v122, v11
	v_cndmask_b32_e64 v146, 0, 0x42800000, vcc_lo
	s_delay_alu instid0(TRANS32_DEP_1) | instskip(SKIP_2) | instid1(VALU_DEP_4)
	v_mul_f32_e32 v143, v15, v143
	v_mul_f32_e32 v15, v137, v149
	v_cndmask_b32_e64 v149, 0, 0x42800000, s46
	v_fmac_f32_e32 v146, v164, v96
	v_cndmask_b32_e64 v147, 1.0, v13, s29
	v_cndmask_b32_e64 v13, 0, v142, s30
	v_mul_f32_e32 v142, v164, v95
	v_cndmask_b32_e64 v153, 1.0, v143, s33
	v_exp_f32_e32 v146, v146
	v_fma_f32 v165, v147, v144, v12
	v_cndmask_b32_e64 v15, 0, v15, s33
	v_cmp_gt_f32_e64 s45, 0xc2fc0000, v142
	s_delay_alu instid0(VALU_DEP_1) | instskip(SKIP_1) | instid1(VALU_DEP_2)
	v_cndmask_b32_e64 v142, 0, 0x42800000, s45
	v_cndmask_b32_e64 v154, 1.0, 0x1f800000, s45
	v_fmac_f32_e32 v142, v164, v95
	s_delay_alu instid0(VALU_DEP_1)
	v_exp_f32_e32 v142, v142
	s_waitcnt_depctr 0xfff
	v_mul_f32_e32 v143, v142, v154
	v_cndmask_b32_e64 v142, 0, v151, s34
	v_cndmask_b32_e64 v151, 1.0, 0x1f800000, vcc_lo
	v_cmp_gt_f32_e32 vcc_lo, 0xc2fc0000, v156
	v_mul_f32_e32 v156, v134, v155
	v_cndmask_b32_e64 v154, 1.0, v143, s34
	s_delay_alu instid0(VALU_DEP_4)
	v_dual_mul_f32 v143, v135, v152 :: v_dual_mul_f32 v146, v146, v151
	v_cndmask_b32_e64 v151, 1.0, 0x1f800000, s46
	v_cmp_gt_f32_e64 s46, 0xc2fc0000, v158
	v_mul_f32_e32 v158, v164, v101
	v_cndmask_b32_e64 v152, 0, 0x42800000, vcc_lo
	v_cndmask_b32_e64 v160, 1.0, 0x1f800000, vcc_lo
	v_cndmask_b32_e64 v155, 1.0, v146, s35
	v_cndmask_b32_e64 v146, 0, v156, s36
	v_cmp_gt_f32_e32 vcc_lo, 0xc2fc0000, v158
	v_fmac_f32_e32 v152, v164, v98
	v_cndmask_b32_e64 v143, 0, v143, s35
	v_cndmask_b32_e64 v162, 0, 0x42800000, vcc_lo
	v_cndmask_b32_e64 v163, 1.0, 0x1f800000, vcc_lo
	s_delay_alu instid0(VALU_DEP_2) | instskip(NEXT) | instid1(VALU_DEP_1)
	v_fmac_f32_e32 v162, v164, v101
	v_exp_f32_e32 v162, v162
	v_fmac_f32_e32 v149, v164, v97
	s_delay_alu instid0(VALU_DEP_1) | instskip(SKIP_3) | instid1(VALU_DEP_2)
	v_exp_f32_e32 v149, v149
	s_waitcnt_depctr 0xfff
	v_mul_f32_e32 v149, v149, v151
	v_mul_f32_e32 v151, v164, v99
	v_cndmask_b32_e64 v156, 1.0, v149, s36
	s_delay_alu instid0(VALU_DEP_2) | instskip(SKIP_2) | instid1(VALU_DEP_2)
	v_cmp_gt_f32_e64 s45, 0xc2fc0000, v151
	v_exp_f32_e32 v149, v152
	v_cndmask_b32_e64 v152, 0, 0x42800000, s46
	v_cndmask_b32_e64 v151, 0, 0x42800000, s45
	s_delay_alu instid0(VALU_DEP_2)
	v_fmac_f32_e32 v152, v164, v100
	s_waitcnt_depctr 0xfff
	v_dual_fmac_f32 v151, v164, v99 :: v_dual_mul_f32 v158, v149, v160
	v_cndmask_b32_e64 v149, 0, v157, s37
	v_exp_f32_e32 v152, v152
	v_cndmask_b32_e64 v157, 1.0, 0x1f800000, s45
	s_delay_alu instid0(VALU_DEP_3) | instskip(SKIP_3) | instid1(VALU_DEP_2)
	v_exp_f32_e32 v151, v151
	v_cndmask_b32_e64 v160, 1.0, 0x1f800000, s46
	v_cmp_gt_f32_e64 s45, 0xc2fc0000, v167
	v_cndmask_b32_e64 v158, 1.0, v158, s37
	v_cndmask_b32_e64 v167, 1.0, 0x1f800000, s45
	s_waitcnt_depctr 0xfff
	v_dual_mul_f32 v160, v152, v160 :: v_dual_mul_f32 v157, v151, v157
	v_cndmask_b32_e64 v151, 0, v8, s38
	v_mul_f32_e32 v8, v131, v159
	s_delay_alu instid0(VALU_DEP_3) | instskip(NEXT) | instid1(VALU_DEP_4)
	v_cndmask_b32_e64 v160, 1.0, v160, s39
	v_cndmask_b32_e64 v159, 1.0, v157, s38
	v_mul_f32_e32 v157, v164, v102
	s_delay_alu instid0(VALU_DEP_4) | instskip(SKIP_1) | instid1(VALU_DEP_3)
	v_cndmask_b32_e64 v152, 0, v8, s39
	v_dual_mul_f32 v8, v162, v163 :: v_dual_mul_f32 v163, v147, v145
	v_cmp_gt_f32_e32 vcc_lo, 0xc2fc0000, v157
	s_delay_alu instid0(VALU_DEP_2) | instskip(SKIP_3) | instid1(VALU_DEP_3)
	v_cndmask_b32_e64 v168, 1.0, v8, s40
	v_cndmask_b32_e64 v162, 0, 0x42800000, vcc_lo
	v_mul_f32_e32 v9, v130, v9
	v_cndmask_b32_e64 v8, 1.0, 0x1f800000, vcc_lo
	v_fmac_f32_e32 v162, v164, v102
	s_delay_alu instid0(VALU_DEP_3)
	v_cndmask_b32_e64 v157, 0, v9, s40
	v_mul_f32_e32 v9, v163, v148
	v_fma_f32 v163, v165, v148, v13
	v_cndmask_b32_e64 v165, 0, 0x42800000, s45
	v_exp_f32_e32 v162, v162
	v_cmp_gt_f32_e64 s45, 0xc2fc0000, v169
	v_mul_f32_e32 v9, v9, v150
	v_fma_f32 v163, v163, v150, v14
	v_fmac_f32_e32 v165, v164, v103
	s_delay_alu instid0(VALU_DEP_3) | instskip(NEXT) | instid1(VALU_DEP_3)
	v_mul_f32_e32 v9, v9, v153
	v_fma_f32 v163, v163, v153, v15
	s_delay_alu instid0(VALU_DEP_3)
	v_exp_f32_e32 v165, v165
	s_delay_alu instid0(TRANS32_DEP_2) | instid1(VALU_DEP_2)
	v_dual_mul_f32 v8, v162, v8 :: v_dual_mul_f32 v9, v9, v154
	s_delay_alu instid0(VALU_DEP_2) | instskip(NEXT) | instid1(VALU_DEP_2)
	v_fma_f32 v162, v163, v154, v142
	v_cndmask_b32_e64 v163, 1.0, v8, s41
	s_delay_alu instid0(VALU_DEP_3) | instskip(NEXT) | instid1(VALU_DEP_3)
	v_mul_f32_e32 v8, v9, v155
	v_fma_f32 v9, v162, v155, v143
	v_mul_f32_e32 v162, v164, v104
	s_delay_alu instid0(VALU_DEP_3) | instskip(NEXT) | instid1(VALU_DEP_3)
	v_mul_f32_e32 v8, v8, v156
	v_fma_f32 v9, v9, v156, v146
	s_delay_alu instid0(VALU_DEP_3)
	v_cmp_gt_f32_e32 vcc_lo, 0xc2fc0000, v162
	v_mul_f32_e32 v161, v129, v161
	v_cndmask_b32_e64 v162, 0, v10, s42
	v_mul_f32_e32 v8, v8, v158
	v_fma_f32 v9, v9, v158, v149
	v_cndmask_b32_e64 v10, 0, 0x42800000, s45
	v_mul_f32_e32 v165, v165, v167
	v_cndmask_b32_e64 v167, 0, 0x42800000, vcc_lo
	v_mul_f32_e32 v8, v8, v159
	v_fma_f32 v9, v9, v159, v151
	v_fmac_f32_e32 v10, v164, v121
	v_cndmask_b32_e64 v161, 0, v161, s41
	v_fmac_f32_e32 v167, v164, v104
	v_mul_f32_e32 v8, v8, v160
	v_fma_f32 v9, v9, v160, v152
	v_cndmask_b32_e64 v164, 1.0, 0x1f800000, vcc_lo
	v_exp_f32_e32 v10, v10
	v_exp_f32_e32 v167, v167
	v_mul_f32_e32 v8, v8, v168
	v_fma_f32 v9, v9, v168, v157
	v_cndmask_b32_e64 v165, 1.0, v165, s42
	s_delay_alu instid0(VALU_DEP_3) | instskip(NEXT) | instid1(VALU_DEP_3)
	v_mul_f32_e32 v8, v8, v163
	v_fma_f32 v9, v9, v163, v161
	s_waitcnt_depctr 0xfff
	v_mul_f32_e32 v167, v167, v164
	v_cndmask_b32_e64 v164, 0, v166, s43
	v_cndmask_b32_e64 v166, 1.0, 0x1f800000, s45
	v_mul_f32_e32 v8, v8, v165
	v_fma_f32 v9, v9, v165, v162
	v_cndmask_b32_e64 v167, 1.0, v167, s43
	s_delay_alu instid0(VALU_DEP_4) | instskip(SKIP_1) | instid1(VALU_DEP_3)
	v_mul_f32_e32 v10, v10, v166
	v_cndmask_b32_e64 v166, 0, v11, s44
	v_mul_f32_e32 v8, v8, v167
	v_fma_f32 v9, v9, v167, v164
	s_delay_alu instid0(VALU_DEP_4) | instskip(NEXT) | instid1(VALU_DEP_1)
	v_cndmask_b32_e64 v169, 1.0, v10, s44
	v_mul_f32_e32 v8, v8, v169
	s_delay_alu instid0(VALU_DEP_3) | instskip(NEXT) | instid1(VALU_DEP_2)
	v_fma_f32 v9, v9, v169, v166
	v_mov_b32_dpp v11, v8 row_shr:1 row_mask:0xf bank_mask:0xf
	s_delay_alu instid0(VALU_DEP_2)
	v_mov_b32_dpp v10, v9 row_shr:1 row_mask:0xf bank_mask:0xf
	s_and_saveexec_b32 s45, s0
; %bb.180:                              ;   in Loop: Header=BB54_109 Depth=2
	s_delay_alu instid0(VALU_DEP_2) | instskip(NEXT) | instid1(VALU_DEP_1)
	v_mul_f32_e32 v11, v8, v11
	v_dual_fmac_f32 v9, v8, v10 :: v_dual_mov_b32 v8, v11
; %bb.181:                              ;   in Loop: Header=BB54_109 Depth=2
	s_or_b32 exec_lo, exec_lo, s45
	s_delay_alu instid0(VALU_DEP_1) | instskip(NEXT) | instid1(VALU_DEP_2)
	v_mov_b32_dpp v10, v8 row_shr:2 row_mask:0xf bank_mask:0xf
	v_mov_b32_dpp v11, v9 row_shr:2 row_mask:0xf bank_mask:0xf
	s_and_saveexec_b32 s45, s1
; %bb.182:                              ;   in Loop: Header=BB54_109 Depth=2
	s_delay_alu instid0(VALU_DEP_1) | instskip(NEXT) | instid1(VALU_DEP_3)
	v_fmac_f32_e32 v9, v8, v11
	v_mul_f32_e32 v8, v8, v10
; %bb.183:                              ;   in Loop: Header=BB54_109 Depth=2
	s_or_b32 exec_lo, exec_lo, s45
	s_delay_alu instid0(VALU_DEP_1) | instskip(NEXT) | instid1(VALU_DEP_3)
	v_mov_b32_dpp v10, v8 row_shr:4 row_mask:0xf bank_mask:0xf
	v_mov_b32_dpp v11, v9 row_shr:4 row_mask:0xf bank_mask:0xf
	s_and_saveexec_b32 s45, s2
; %bb.184:                              ;   in Loop: Header=BB54_109 Depth=2
	s_delay_alu instid0(VALU_DEP_1) | instskip(NEXT) | instid1(VALU_DEP_3)
	v_fmac_f32_e32 v9, v8, v11
	v_mul_f32_e32 v8, v8, v10
; %bb.185:                              ;   in Loop: Header=BB54_109 Depth=2
	s_or_b32 exec_lo, exec_lo, s45
	s_delay_alu instid0(VALU_DEP_1) | instskip(NEXT) | instid1(VALU_DEP_3)
	v_mov_b32_dpp v10, v8 row_shr:8 row_mask:0xf bank_mask:0xf
	v_mov_b32_dpp v11, v9 row_shr:8 row_mask:0xf bank_mask:0xf
	s_and_saveexec_b32 s45, s3
; %bb.186:                              ;   in Loop: Header=BB54_109 Depth=2
	s_delay_alu instid0(VALU_DEP_1) | instskip(NEXT) | instid1(VALU_DEP_3)
	v_fmac_f32_e32 v9, v8, v11
	v_mul_f32_e32 v8, v8, v10
; %bb.187:                              ;   in Loop: Header=BB54_109 Depth=2
	s_or_b32 exec_lo, exec_lo, s45
	ds_swizzle_b32 v11, v8 offset:swizzle(BROADCAST,32,15)
	ds_swizzle_b32 v10, v9 offset:swizzle(BROADCAST,32,15)
	s_and_saveexec_b32 s45, s4
	s_cbranch_execz .LBB54_189
; %bb.188:                              ;   in Loop: Header=BB54_109 Depth=2
	s_waitcnt lgkmcnt(1)
	v_mul_f32_e32 v11, v8, v11
	s_waitcnt lgkmcnt(0)
	s_delay_alu instid0(VALU_DEP_1)
	v_dual_fmac_f32 v9, v8, v10 :: v_dual_mov_b32 v8, v11
.LBB54_189:                             ;   in Loop: Header=BB54_109 Depth=2
	s_or_b32 exec_lo, exec_lo, s45
	s_and_saveexec_b32 s45, s5
	s_cbranch_execz .LBB54_191
; %bb.190:                              ;   in Loop: Header=BB54_109 Depth=2
	ds_store_b64 v69, v[8:9] offset:4224
.LBB54_191:                             ;   in Loop: Header=BB54_109 Depth=2
	s_or_b32 exec_lo, exec_lo, s45
	s_waitcnt vmcnt(0) lgkmcnt(0)
	s_waitcnt_vscnt null, 0x0
	s_barrier
	buffer_gl0_inv
	s_and_saveexec_b32 s45, s6
	s_cbranch_execz .LBB54_193
; %bb.192:                              ;   in Loop: Header=BB54_109 Depth=2
	ds_load_b64 v[10:11], v70 offset:4224
	s_waitcnt lgkmcnt(0)
	v_mov_b32_dpp v170, v10 row_shr:1 row_mask:0xf bank_mask:0xf
	v_mov_b32_dpp v171, v11 row_shr:1 row_mask:0xf bank_mask:0xf
	s_delay_alu instid0(VALU_DEP_2) | instskip(NEXT) | instid1(VALU_DEP_2)
	v_mul_f32_e32 v170, v10, v170
	v_fma_f32 v171, v10, v171, v11
	s_delay_alu instid0(VALU_DEP_2) | instskip(NEXT) | instid1(VALU_DEP_2)
	v_cndmask_b32_e64 v10, v170, v10, s7
	v_cndmask_b32_e64 v11, v171, v11, s7
	ds_store_b64 v70, v[10:11] offset:4224
.LBB54_193:                             ;   in Loop: Header=BB54_109 Depth=2
	s_or_b32 exec_lo, exec_lo, s45
	s_waitcnt lgkmcnt(0)
	s_barrier
	buffer_gl0_inv
                                        ; implicit-def: $vgpr11
	s_and_saveexec_b32 s45, s9
	s_cbranch_execz .LBB54_195
; %bb.194:                              ;   in Loop: Header=BB54_109 Depth=2
	ds_load_b64 v[10:11], v69 offset:4216
	s_waitcnt lgkmcnt(0)
	v_mul_f32_e32 v170, v8, v10
	s_delay_alu instid0(VALU_DEP_1)
	v_dual_fmac_f32 v9, v8, v11 :: v_dual_mov_b32 v8, v170
.LBB54_195:                             ;   in Loop: Header=BB54_109 Depth=2
	s_or_b32 exec_lo, exec_lo, s45
	ds_bpermute_b32 v170, v71, v8
	ds_bpermute_b32 v171, v71, v9
	s_and_saveexec_b32 s45, s8
	s_cbranch_execz .LBB54_199
; %bb.196:                              ;   in Loop: Header=BB54_109 Depth=2
	ds_load_b64 v[8:9], v21 offset:4232
	s_and_saveexec_b32 s46, s10
	s_cbranch_execz .LBB54_198
; %bb.197:                              ;   in Loop: Header=BB54_109 Depth=2
	ds_store_b64 v21, v[16:17] offset:4232
.LBB54_198:                             ;   in Loop: Header=BB54_109 Depth=2
	s_or_b32 exec_lo, exec_lo, s46
	s_waitcnt lgkmcnt(0)
	v_fmac_f32_e32 v9, v17, v8
	s_delay_alu instid0(VALU_DEP_1)
	v_dual_mul_f32 v16, v16, v8 :: v_dual_mov_b32 v17, v9
.LBB54_199:                             ;   in Loop: Header=BB54_109 Depth=2
	s_or_b32 exec_lo, exec_lo, s45
	s_waitcnt lgkmcnt(0)
	s_barrier
	buffer_gl0_inv
	ds_load_b32 v8, v21 offset:4236
	s_and_saveexec_b32 s45, s10
	s_cbranch_execz .LBB54_108
; %bb.200:                              ;   in Loop: Header=BB54_109 Depth=2
	v_mov_b32_e32 v9, s88
	s_and_not1_b32 vcc_lo, exec_lo, s86
	ds_store_b64 v9, v[16:17]
	s_cbranch_vccnz .LBB54_108
; %bb.201:                              ;   in Loop: Header=BB54_109 Depth=2
	s_mov_b32 s61, s65
	s_delay_alu instid0(SALU_CYCLE_1) | instskip(NEXT) | instid1(SALU_CYCLE_1)
	s_lshl_b64 s[90:91], s[60:61], 2
	s_add_u32 s90, s75, s90
	s_addc_u32 s91, s76, s91
	global_store_b32 v21, v17, s[90:91]
	s_branch .LBB54_108
.LBB54_202:                             ;   in Loop: Header=BB54_12 Depth=1
	v_bfe_u32 v0, v120, 16, 1
	v_bfe_u32 v1, v119, 16, 1
	v_cmp_o_f32_e32 vcc_lo, v120, v120
	v_bfe_u32 v2, v118, 16, 1
	v_bfe_u32 v4, v114, 16, 1
	v_add3_u32 v0, v120, v0, 0x7fff
	v_add3_u32 v1, v119, v1, 0x7fff
	v_bfe_u32 v7, v116, 16, 1
	v_add3_u32 v2, v118, v2, 0x7fff
	v_bfe_u32 v6, v115, 16, 1
	v_lshrrev_b32_e32 v0, 16, v0
	v_lshrrev_b32_e32 v1, 16, v1
	v_add3_u32 v4, v114, v4, 0x7fff
	v_lshrrev_b32_e32 v2, 16, v2
	v_add3_u32 v7, v116, v7, 0x7fff
	v_cndmask_b32_e32 v0, 0x7fc0, v0, vcc_lo
	v_cmp_o_f32_e32 vcc_lo, v119, v119
	v_add3_u32 v6, v115, v6, 0x7fff
	v_bfe_u32 v3, v113, 16, 1
	v_bfe_u32 v10, v109, 16, 1
	;; [unrolled: 1-line block ×3, first 2 shown]
	v_cndmask_b32_e32 v5, 0x7fc0, v1, vcc_lo
	v_bfe_u32 v1, v117, 16, 1
	v_cmp_o_f32_e32 vcc_lo, v118, v118
	v_lshrrev_b32_e32 v6, 16, v6
	v_add3_u32 v3, v113, v3, 0x7fff
	v_bfe_u32 v12, v111, 16, 1
	v_add3_u32 v1, v117, v1, 0x7fff
	v_cndmask_b32_e32 v8, 0x7fc0, v2, vcc_lo
	v_cmp_o_f32_e32 vcc_lo, v117, v117
	v_lshrrev_b32_e32 v2, 16, v4
	v_lshrrev_b32_e32 v4, 16, v7
	;; [unrolled: 1-line block ×4, first 2 shown]
	v_bfe_u32 v7, v112, 16, 1
	v_add3_u32 v11, v106, v11, 0x7fff
	v_perm_b32 v0, v5, v0, 0x5040100
	v_cndmask_b32_e32 v1, 0x7fc0, v1, vcc_lo
	v_cmp_o_f32_e32 vcc_lo, v116, v116
	s_waitcnt_vscnt null, 0x0
	s_barrier
	buffer_gl0_inv
	s_mov_b32 s51, s65
	v_cndmask_b32_e32 v4, 0x7fc0, v4, vcc_lo
	v_cmp_o_f32_e32 vcc_lo, v115, v115
	s_lshl_b64 s[28:29], s[50:51], 1
	v_cndmask_b32_e32 v6, 0x7fc0, v6, vcc_lo
	v_cmp_o_f32_e32 vcc_lo, v114, v114
	v_cndmask_b32_e32 v2, 0x7fc0, v2, vcc_lo
	v_cmp_o_f32_e32 vcc_lo, v113, v113
	s_delay_alu instid0(VALU_DEP_2)
	v_perm_b32 v2, v2, v1, 0x5040100
	v_cndmask_b32_e32 v9, 0x7fc0, v3, vcc_lo
	v_perm_b32 v3, v6, v4, 0x5040100
	v_add3_u32 v6, v112, v7, 0x7fff
	v_bfe_u32 v7, v110, 16, 1
	v_cmp_o_f32_e32 vcc_lo, v112, v112
	v_perm_b32 v1, v9, v8, 0x5040100
	v_add3_u32 v8, v109, v10, 0x7fff
	v_lshrrev_b32_e32 v6, 16, v6
	v_add3_u32 v7, v110, v7, 0x7fff
	v_bfe_u32 v10, v105, 16, 1
	v_bfe_u32 v4, v108, 16, 1
	s_delay_alu instid0(VALU_DEP_4) | instskip(NEXT) | instid1(VALU_DEP_4)
	v_cndmask_b32_e32 v9, 0x7fc0, v6, vcc_lo
	v_lshrrev_b32_e32 v6, 16, v7
	v_lshrrev_b32_e32 v7, 16, v8
	v_bfe_u32 v8, v107, 16, 1
	v_cmp_o_f32_e32 vcc_lo, v110, v110
	v_add3_u32 v4, v108, v4, 0x7fff
	s_delay_alu instid0(VALU_DEP_3)
	v_add3_u32 v8, v107, v8, 0x7fff
	v_cndmask_b32_e32 v13, 0x7fc0, v6, vcc_lo
	v_cmp_o_f32_e32 vcc_lo, v109, v109
	v_add3_u32 v6, v105, v10, 0x7fff
	v_add3_u32 v10, v111, v12, 0x7fff
	v_lshrrev_b32_e32 v4, 16, v4
	v_cndmask_b32_e32 v12, 0x7fc0, v7, vcc_lo
	v_lshrrev_b32_e32 v7, 16, v8
	v_cmp_o_f32_e32 vcc_lo, v107, v107
	v_lshrrev_b32_e32 v8, 16, v11
	v_lshrrev_b32_e32 v10, 16, v10
	;; [unrolled: 1-line block ×3, first 2 shown]
	v_perm_b32 v5, v12, v13, 0x5040100
	v_cndmask_b32_e32 v11, 0x7fc0, v7, vcc_lo
	v_cmp_o_f32_e32 vcc_lo, v106, v106
	v_cndmask_b32_e32 v7, 0x7fc0, v8, vcc_lo
	v_cmp_o_f32_e32 vcc_lo, v111, v111
	;; [unrolled: 2-line block ×3, first 2 shown]
	s_delay_alu instid0(VALU_DEP_2) | instskip(SKIP_2) | instid1(VALU_DEP_2)
	v_perm_b32 v7, v8, v7, 0x5040100
	v_cndmask_b32_e32 v6, 0x7fc0, v6, vcc_lo
	v_cmp_o_f32_e32 vcc_lo, v108, v108
	v_perm_b32 v6, v6, v11, 0x5040100
	v_cndmask_b32_e32 v4, 0x7fc0, v4, vcc_lo
	s_delay_alu instid0(VALU_DEP_1)
	v_perm_b32 v4, v4, v9, 0x5040100
	ds_store_b128 v52, v[0:3]
	ds_store_b128 v52, v[4:7] offset:16
	; wave barrier
	ds_load_u16 v16, v37 offset:64
	ds_load_u16 v15, v38 offset:128
	ds_load_u16 v14, v39 offset:192
	ds_load_u16 v13, v40 offset:256
	ds_load_u16 v12, v41 offset:320
	ds_load_u16 v11, v42 offset:384
	ds_load_u16 v10, v43 offset:448
	ds_load_u16 v9, v44 offset:512
	ds_load_u16 v8, v45 offset:576
	ds_load_u16 v7, v46 offset:640
	ds_load_u16 v6, v47 offset:704
	ds_load_u16 v5, v48 offset:768
	ds_load_u16 v4, v49 offset:832
	ds_load_u16 v3, v50 offset:896
	ds_load_u16 v2, v51 offset:960
	v_add_co_u32 v0, vcc_lo, v72, s28
	v_add_co_ci_u32_e32 v1, vcc_lo, s29, v73, vcc_lo
	s_and_saveexec_b32 s28, s12
	s_cbranch_execnz .LBB54_220
; %bb.203:                              ;   in Loop: Header=BB54_12 Depth=1
	s_or_b32 exec_lo, exec_lo, s28
	s_and_saveexec_b32 s12, s13
	s_cbranch_execnz .LBB54_221
.LBB54_204:                             ;   in Loop: Header=BB54_12 Depth=1
	s_or_b32 exec_lo, exec_lo, s12
	s_and_saveexec_b32 s12, s14
	s_cbranch_execnz .LBB54_222
.LBB54_205:                             ;   in Loop: Header=BB54_12 Depth=1
	s_or_b32 exec_lo, exec_lo, s12
	s_and_saveexec_b32 s12, s15
	s_cbranch_execnz .LBB54_223
.LBB54_206:                             ;   in Loop: Header=BB54_12 Depth=1
	s_or_b32 exec_lo, exec_lo, s12
	s_and_saveexec_b32 s12, s16
	s_cbranch_execnz .LBB54_224
.LBB54_207:                             ;   in Loop: Header=BB54_12 Depth=1
	s_or_b32 exec_lo, exec_lo, s12
	s_and_saveexec_b32 s12, s17
	s_cbranch_execnz .LBB54_225
.LBB54_208:                             ;   in Loop: Header=BB54_12 Depth=1
	s_or_b32 exec_lo, exec_lo, s12
	s_and_saveexec_b32 s12, s18
	s_cbranch_execnz .LBB54_226
.LBB54_209:                             ;   in Loop: Header=BB54_12 Depth=1
	s_or_b32 exec_lo, exec_lo, s12
	s_and_saveexec_b32 s12, s19
	s_cbranch_execnz .LBB54_227
.LBB54_210:                             ;   in Loop: Header=BB54_12 Depth=1
	s_or_b32 exec_lo, exec_lo, s12
	s_and_saveexec_b32 s12, s20
	s_cbranch_execnz .LBB54_228
.LBB54_211:                             ;   in Loop: Header=BB54_12 Depth=1
	s_or_b32 exec_lo, exec_lo, s12
	s_and_saveexec_b32 s12, s21
	s_cbranch_execnz .LBB54_229
.LBB54_212:                             ;   in Loop: Header=BB54_12 Depth=1
	s_or_b32 exec_lo, exec_lo, s12
	s_and_saveexec_b32 s12, s22
	s_cbranch_execnz .LBB54_230
.LBB54_213:                             ;   in Loop: Header=BB54_12 Depth=1
	s_or_b32 exec_lo, exec_lo, s12
	s_and_saveexec_b32 s12, s23
	s_cbranch_execnz .LBB54_231
.LBB54_214:                             ;   in Loop: Header=BB54_12 Depth=1
	s_or_b32 exec_lo, exec_lo, s12
	s_and_saveexec_b32 s12, s24
	s_cbranch_execnz .LBB54_232
.LBB54_215:                             ;   in Loop: Header=BB54_12 Depth=1
	s_or_b32 exec_lo, exec_lo, s12
	s_and_saveexec_b32 s12, s25
	s_cbranch_execnz .LBB54_233
.LBB54_216:                             ;   in Loop: Header=BB54_12 Depth=1
	s_or_b32 exec_lo, exec_lo, s12
	s_and_saveexec_b32 s12, s26
	s_cbranch_execnz .LBB54_234
.LBB54_217:                             ;   in Loop: Header=BB54_12 Depth=1
	s_or_b32 exec_lo, exec_lo, s12
	s_and_saveexec_b32 s12, s27
	s_cbranch_execz .LBB54_11
	s_branch .LBB54_235
.LBB54_218:                             ;   in Loop: Header=BB54_12 Depth=1
	global_load_u16 v97, v[8:9], off offset:832
	s_or_b32 exec_lo, exec_lo, s28
	s_and_saveexec_b32 s28, s26
	s_cbranch_execz .LBB54_72
.LBB54_219:                             ;   in Loop: Header=BB54_12 Depth=1
	global_load_u16 v96, v[8:9], off offset:896
	s_or_b32 exec_lo, exec_lo, s28
	v_mov_b32_e32 v98, 0
	s_and_saveexec_b32 s28, s27
	s_cbranch_execnz .LBB54_73
	s_branch .LBB54_74
.LBB54_220:                             ;   in Loop: Header=BB54_12 Depth=1
	ds_load_u16 v17, v37
	s_waitcnt lgkmcnt(0)
	global_store_b16 v[0:1], v17, off
	s_or_b32 exec_lo, exec_lo, s28
	s_and_saveexec_b32 s12, s13
	s_cbranch_execz .LBB54_204
.LBB54_221:                             ;   in Loop: Header=BB54_12 Depth=1
	s_waitcnt lgkmcnt(14)
	global_store_b16 v[0:1], v16, off offset:64
	s_or_b32 exec_lo, exec_lo, s12
	s_and_saveexec_b32 s12, s14
	s_cbranch_execz .LBB54_205
.LBB54_222:                             ;   in Loop: Header=BB54_12 Depth=1
	s_waitcnt lgkmcnt(13)
	global_store_b16 v[0:1], v15, off offset:128
	s_or_b32 exec_lo, exec_lo, s12
	s_and_saveexec_b32 s12, s15
	s_cbranch_execz .LBB54_206
.LBB54_223:                             ;   in Loop: Header=BB54_12 Depth=1
	s_waitcnt lgkmcnt(12)
	global_store_b16 v[0:1], v14, off offset:192
	s_or_b32 exec_lo, exec_lo, s12
	s_and_saveexec_b32 s12, s16
	s_cbranch_execz .LBB54_207
.LBB54_224:                             ;   in Loop: Header=BB54_12 Depth=1
	s_waitcnt lgkmcnt(11)
	global_store_b16 v[0:1], v13, off offset:256
	s_or_b32 exec_lo, exec_lo, s12
	s_and_saveexec_b32 s12, s17
	s_cbranch_execz .LBB54_208
.LBB54_225:                             ;   in Loop: Header=BB54_12 Depth=1
	s_waitcnt lgkmcnt(10)
	global_store_b16 v[0:1], v12, off offset:320
	s_or_b32 exec_lo, exec_lo, s12
	s_and_saveexec_b32 s12, s18
	s_cbranch_execz .LBB54_209
.LBB54_226:                             ;   in Loop: Header=BB54_12 Depth=1
	s_waitcnt lgkmcnt(9)
	global_store_b16 v[0:1], v11, off offset:384
	s_or_b32 exec_lo, exec_lo, s12
	s_and_saveexec_b32 s12, s19
	s_cbranch_execz .LBB54_210
.LBB54_227:                             ;   in Loop: Header=BB54_12 Depth=1
	s_waitcnt lgkmcnt(8)
	global_store_b16 v[0:1], v10, off offset:448
	s_or_b32 exec_lo, exec_lo, s12
	s_and_saveexec_b32 s12, s20
	s_cbranch_execz .LBB54_211
.LBB54_228:                             ;   in Loop: Header=BB54_12 Depth=1
	s_waitcnt lgkmcnt(7)
	global_store_b16 v[0:1], v9, off offset:512
	s_or_b32 exec_lo, exec_lo, s12
	s_and_saveexec_b32 s12, s21
	s_cbranch_execz .LBB54_212
.LBB54_229:                             ;   in Loop: Header=BB54_12 Depth=1
	s_waitcnt lgkmcnt(6)
	global_store_b16 v[0:1], v8, off offset:576
	s_or_b32 exec_lo, exec_lo, s12
	s_and_saveexec_b32 s12, s22
	s_cbranch_execz .LBB54_213
.LBB54_230:                             ;   in Loop: Header=BB54_12 Depth=1
	s_waitcnt lgkmcnt(5)
	global_store_b16 v[0:1], v7, off offset:640
	s_or_b32 exec_lo, exec_lo, s12
	s_and_saveexec_b32 s12, s23
	s_cbranch_execz .LBB54_214
.LBB54_231:                             ;   in Loop: Header=BB54_12 Depth=1
	s_waitcnt lgkmcnt(4)
	global_store_b16 v[0:1], v6, off offset:704
	s_or_b32 exec_lo, exec_lo, s12
	s_and_saveexec_b32 s12, s24
	s_cbranch_execz .LBB54_215
.LBB54_232:                             ;   in Loop: Header=BB54_12 Depth=1
	s_waitcnt lgkmcnt(3)
	global_store_b16 v[0:1], v5, off offset:768
	s_or_b32 exec_lo, exec_lo, s12
	s_and_saveexec_b32 s12, s25
	s_cbranch_execz .LBB54_216
.LBB54_233:                             ;   in Loop: Header=BB54_12 Depth=1
	s_waitcnt lgkmcnt(2)
	global_store_b16 v[0:1], v4, off offset:832
	s_or_b32 exec_lo, exec_lo, s12
	s_and_saveexec_b32 s12, s26
	s_cbranch_execz .LBB54_217
.LBB54_234:                             ;   in Loop: Header=BB54_12 Depth=1
	s_waitcnt lgkmcnt(1)
	global_store_b16 v[0:1], v3, off offset:896
	s_or_b32 exec_lo, exec_lo, s12
	s_and_saveexec_b32 s12, s27
	s_cbranch_execz .LBB54_11
.LBB54_235:                             ;   in Loop: Header=BB54_12 Depth=1
	s_waitcnt lgkmcnt(0)
	global_store_b16 v[0:1], v2, off offset:960
	s_branch .LBB54_11
.LBB54_236:
	s_nop 0
	s_sendmsg sendmsg(MSG_DEALLOC_VGPRS)
	s_endpgm
	.section	.rodata,"a",@progbits
	.p2align	6, 0x0
	.amdhsa_kernel _Z25selective_scan_fwd_kernelI32Selective_Scan_fwd_kernel_traitsILi64ELi16ELi1ELb0ELb1ELb1ELb0ELb1EN3c108BFloat16EffEEv13SSMParamsBase
		.amdhsa_group_segment_fixed_size 0
		.amdhsa_private_segment_fixed_size 0
		.amdhsa_kernarg_size 248
		.amdhsa_user_sgpr_count 14
		.amdhsa_user_sgpr_dispatch_ptr 0
		.amdhsa_user_sgpr_queue_ptr 0
		.amdhsa_user_sgpr_kernarg_segment_ptr 1
		.amdhsa_user_sgpr_dispatch_id 0
		.amdhsa_user_sgpr_private_segment_size 0
		.amdhsa_wavefront_size32 1
		.amdhsa_uses_dynamic_stack 0
		.amdhsa_enable_private_segment 0
		.amdhsa_system_sgpr_workgroup_id_x 1
		.amdhsa_system_sgpr_workgroup_id_y 1
		.amdhsa_system_sgpr_workgroup_id_z 0
		.amdhsa_system_sgpr_workgroup_info 0
		.amdhsa_system_vgpr_workitem_id 0
		.amdhsa_next_free_vgpr 172
		.amdhsa_next_free_sgpr 92
		.amdhsa_reserve_vcc 1
		.amdhsa_float_round_mode_32 0
		.amdhsa_float_round_mode_16_64 0
		.amdhsa_float_denorm_mode_32 3
		.amdhsa_float_denorm_mode_16_64 3
		.amdhsa_dx10_clamp 1
		.amdhsa_ieee_mode 1
		.amdhsa_fp16_overflow 0
		.amdhsa_workgroup_processor_mode 1
		.amdhsa_memory_ordered 1
		.amdhsa_forward_progress 0
		.amdhsa_shared_vgpr_count 0
		.amdhsa_exception_fp_ieee_invalid_op 0
		.amdhsa_exception_fp_denorm_src 0
		.amdhsa_exception_fp_ieee_div_zero 0
		.amdhsa_exception_fp_ieee_overflow 0
		.amdhsa_exception_fp_ieee_underflow 0
		.amdhsa_exception_fp_ieee_inexact 0
		.amdhsa_exception_int_div_zero 0
	.end_amdhsa_kernel
	.section	.text._Z25selective_scan_fwd_kernelI32Selective_Scan_fwd_kernel_traitsILi64ELi16ELi1ELb0ELb1ELb1ELb0ELb1EN3c108BFloat16EffEEv13SSMParamsBase,"axG",@progbits,_Z25selective_scan_fwd_kernelI32Selective_Scan_fwd_kernel_traitsILi64ELi16ELi1ELb0ELb1ELb1ELb0ELb1EN3c108BFloat16EffEEv13SSMParamsBase,comdat
.Lfunc_end54:
	.size	_Z25selective_scan_fwd_kernelI32Selective_Scan_fwd_kernel_traitsILi64ELi16ELi1ELb0ELb1ELb1ELb0ELb1EN3c108BFloat16EffEEv13SSMParamsBase, .Lfunc_end54-_Z25selective_scan_fwd_kernelI32Selective_Scan_fwd_kernel_traitsILi64ELi16ELi1ELb0ELb1ELb1ELb0ELb1EN3c108BFloat16EffEEv13SSMParamsBase
                                        ; -- End function
	.section	.AMDGPU.csdata,"",@progbits
; Kernel info:
; codeLenInByte = 21444
; NumSgprs: 94
; NumVgprs: 172
; ScratchSize: 0
; MemoryBound: 0
; FloatMode: 240
; IeeeMode: 1
; LDSByteSize: 0 bytes/workgroup (compile time only)
; SGPRBlocks: 11
; VGPRBlocks: 21
; NumSGPRsForWavesPerEU: 94
; NumVGPRsForWavesPerEU: 172
; Occupancy: 8
; WaveLimiterHint : 1
; COMPUTE_PGM_RSRC2:SCRATCH_EN: 0
; COMPUTE_PGM_RSRC2:USER_SGPR: 14
; COMPUTE_PGM_RSRC2:TRAP_HANDLER: 0
; COMPUTE_PGM_RSRC2:TGID_X_EN: 1
; COMPUTE_PGM_RSRC2:TGID_Y_EN: 1
; COMPUTE_PGM_RSRC2:TGID_Z_EN: 0
; COMPUTE_PGM_RSRC2:TIDIG_COMP_CNT: 0
	.section	.text._Z25selective_scan_fwd_kernelI32Selective_Scan_fwd_kernel_traitsILi64ELi16ELi1ELb0ELb1ELb1ELb0ELb0EN3c108BFloat16EffEEv13SSMParamsBase,"axG",@progbits,_Z25selective_scan_fwd_kernelI32Selective_Scan_fwd_kernel_traitsILi64ELi16ELi1ELb0ELb1ELb1ELb0ELb0EN3c108BFloat16EffEEv13SSMParamsBase,comdat
	.protected	_Z25selective_scan_fwd_kernelI32Selective_Scan_fwd_kernel_traitsILi64ELi16ELi1ELb0ELb1ELb1ELb0ELb0EN3c108BFloat16EffEEv13SSMParamsBase ; -- Begin function _Z25selective_scan_fwd_kernelI32Selective_Scan_fwd_kernel_traitsILi64ELi16ELi1ELb0ELb1ELb1ELb0ELb0EN3c108BFloat16EffEEv13SSMParamsBase
	.globl	_Z25selective_scan_fwd_kernelI32Selective_Scan_fwd_kernel_traitsILi64ELi16ELi1ELb0ELb1ELb1ELb0ELb0EN3c108BFloat16EffEEv13SSMParamsBase
	.p2align	8
	.type	_Z25selective_scan_fwd_kernelI32Selective_Scan_fwd_kernel_traitsILi64ELi16ELi1ELb0ELb1ELb1ELb0ELb0EN3c108BFloat16EffEEv13SSMParamsBase,@function
_Z25selective_scan_fwd_kernelI32Selective_Scan_fwd_kernel_traitsILi64ELi16ELi1ELb0ELb1ELb1ELb0ELb0EN3c108BFloat16EffEEv13SSMParamsBase: ; @_Z25selective_scan_fwd_kernelI32Selective_Scan_fwd_kernel_traitsILi64ELi16ELi1ELb0ELb1ELb1ELb0ELb0EN3c108BFloat16EffEEv13SSMParamsBase
; %bb.0:
	s_clause 0x1
	s_load_b32 s9, s[0:1], 0x18
	s_load_b128 s[4:7], s[0:1], 0xe8
	s_mov_b32 s12, s15
	s_mov_b32 s47, 0
	s_waitcnt lgkmcnt(0)
	s_abs_i32 s8, s9
	s_cmp_eq_u64 s[6:7], 0
	v_cvt_f32_u32_e32 v1, s8
	s_delay_alu instid0(VALU_DEP_1) | instskip(SKIP_2) | instid1(VALU_DEP_1)
	v_rcp_iflag_f32_e32 v1, v1
	s_waitcnt_depctr 0xfff
	v_mul_f32_e32 v1, 0x4f7ffffe, v1
	v_cvt_u32_f32_e32 v1, v1
	s_delay_alu instid0(VALU_DEP_1)
	v_readfirstlane_b32 s10, v1
	s_cbranch_scc1 .LBB55_2
; %bb.1:
	v_mov_b32_e32 v1, 0
	s_ashr_i32 s3, s14, 31
	s_add_u32 s2, s6, s14
	s_addc_u32 s3, s7, s3
	global_load_u8 v1, v1, s[2:3]
	s_waitcnt vmcnt(0)
	v_and_b32_e32 v1, 1, v1
	s_delay_alu instid0(VALU_DEP_1)
	v_cmp_eq_u32_e64 s47, 1, v1
.LBB55_2:
	s_load_b64 s[6:7], s[0:1], 0x20
	s_cmp_eq_u64 s[4:5], 0
	s_cbranch_scc1 .LBB55_4
; %bb.3:
	s_ashr_i32 s15, s14, 31
	s_delay_alu instid0(SALU_CYCLE_1) | instskip(NEXT) | instid1(SALU_CYCLE_1)
	s_lshl_b64 s[2:3], s[14:15], 2
	s_add_u32 s2, s4, s2
	s_addc_u32 s3, s5, s3
	s_load_b32 s2, s[2:3], 0x0
	s_waitcnt lgkmcnt(0)
	s_ashr_i32 s3, s2, 31
	s_delay_alu instid0(SALU_CYCLE_1)
	s_cmp_eq_u64 s[6:7], s[2:3]
	s_cbranch_scc0 .LBB55_5
	s_branch .LBB55_236
.LBB55_4:
	s_mov_b32 s2, s14
	s_delay_alu instid0(SALU_CYCLE_1)
	s_ashr_i32 s3, s2, 31
	s_waitcnt lgkmcnt(0)
	s_cmp_eq_u64 s[6:7], s[2:3]
	s_cbranch_scc1 .LBB55_236
.LBB55_5:
	s_clause 0x1
	s_load_b512 s[16:31], s[0:1], 0x88
	s_load_b64 s[64:65], s[0:1], 0x8
	s_mov_b32 s68, 0
	s_mov_b32 s69, 0
	s_waitcnt lgkmcnt(0)
	s_cmp_eq_u64 s[22:23], 0
	s_cbranch_scc1 .LBB55_7
; %bb.6:
	s_ashr_i32 s13, s12, 31
	s_delay_alu instid0(SALU_CYCLE_1) | instskip(NEXT) | instid1(SALU_CYCLE_1)
	s_lshl_b64 s[4:5], s[12:13], 2
	s_add_u32 s4, s22, s4
	s_addc_u32 s5, s23, s5
	s_load_b32 s69, s[4:5], 0x0
.LBB55_7:
	s_cmp_eq_u64 s[28:29], 0
	s_cbranch_scc1 .LBB55_9
; %bb.8:
	s_ashr_i32 s13, s12, 31
	s_delay_alu instid0(SALU_CYCLE_1) | instskip(NEXT) | instid1(SALU_CYCLE_1)
	s_lshl_b64 s[4:5], s[12:13], 2
	s_add_u32 s4, s28, s4
	s_addc_u32 s5, s29, s5
	s_load_b32 s68, s[4:5], 0x0
.LBB55_9:
	s_cmp_lt_i32 s64, 1
	s_cbranch_scc1 .LBB55_236
; %bb.10:
	s_sub_i32 s3, 0, s8
	s_clause 0x1
	s_load_b64 s[4:5], s[0:1], 0x5c
	s_load_b128 s[56:59], s[0:1], 0x4c
	s_mul_i32 s3, s3, s10
	s_abs_i32 s6, s12
	s_mul_hi_u32 s3, s10, s3
	s_ashr_i32 s9, s9, 31
	s_add_i32 s10, s10, s3
	s_ashr_i32 s3, s12, 31
	s_mul_hi_u32 s7, s6, s10
	s_xor_b32 s3, s3, s9
	s_mul_i32 s10, s7, s8
	s_add_i32 s9, s7, 1
	s_sub_i32 s6, s6, s10
	s_load_b256 s[48:55], s[0:1], 0x2c
	s_sub_i32 s10, s6, s8
	s_cmp_ge_u32 s6, s8
	s_mov_b32 s67, 0
	s_cselect_b32 s7, s9, s7
	s_cselect_b32 s6, s10, s6
	s_add_i32 s9, s7, 1
	s_cmp_ge_u32 s6, s8
	s_waitcnt lgkmcnt(0)
	s_mul_i32 s66, s58, s14
	s_cselect_b32 s6, s9, s7
	s_clause 0x1
	s_load_b128 s[60:63], s[0:1], 0x7c
	s_load_b64 s[10:11], s[0:1], 0x6c
	s_xor_b32 s8, s6, s3
	s_lshl_b64 s[6:7], s[66:67], 1
	s_sub_i32 s3, s8, s3
	s_mul_i32 s66, s59, s12
	s_add_u32 s8, s24, s6
	s_addc_u32 s9, s25, s7
	s_lshl_b64 s[6:7], s[66:67], 1
	s_mul_i32 s66, s4, s14
	s_add_u32 s70, s8, s6
	s_addc_u32 s71, s9, s7
	s_lshl_b64 s[6:7], s[66:67], 1
	;; [unrolled: 4-line block ×3, first 2 shown]
	v_dual_mov_b32 v21, 0 :: v_dual_lshlrev_b32 v18, 4, v0
	s_add_u32 s72, s6, s4
	s_mul_i32 s66, s48, s12
	s_addc_u32 s48, s7, s5
	s_load_b64 s[6:7], s[0:1], 0xc8
	s_lshl_b64 s[4:5], s[66:67], 2
	v_mbcnt_lo_u32_b32 v19, -1, 0
	v_and_b32_e32 v1, 0x200, v18
	s_mul_i32 s66, s50, s14
	s_add_u32 s73, s16, s4
	s_waitcnt lgkmcnt(0)
	s_addc_u32 s63, s17, s5
	s_lshl_b64 s[4:5], s[66:67], 1
	s_mul_i32 s66, s3, s53
	s_load_b32 s0, s[0:1], 0x28
	s_add_u32 s8, s18, s4
	v_or_b32_e32 v20, v19, v1
	s_addc_u32 s9, s19, s5
	s_lshl_b64 s[4:5], s[66:67], 1
	s_mul_i32 s66, s54, s14
	s_add_u32 s53, s8, s4
	s_addc_u32 s74, s9, s5
	s_lshl_b64 s[4:5], s[66:67], 1
	s_mul_i32 s66, s3, s57
	v_or_b32_e32 v24, 0x60, v20
	v_and_b32_e32 v14, 32, v0
	s_add_u32 s8, s20, s4
	s_addc_u32 s3, s21, s5
	s_lshl_b64 s[4:5], s[66:67], 1
	s_mul_i32 s66, s2, s60
	s_add_u32 s57, s8, s4
	s_addc_u32 s75, s3, s5
	s_lshl_b64 s[2:3], s[66:67], 2
	v_or_b32_e32 v26, 0xa0, v20
	v_or_b32_e32 v28, 0xe0, v20
	;; [unrolled: 1-line block ×5, first 2 shown]
	v_lshrrev_b32_e32 v2, 5, v24
	v_or_b32_e32 v36, 0x1e0, v20
	v_or_b32_e32 v16, v19, v14
	s_mul_i32 s66, s61, s12
	s_add_u32 s4, s6, s2
	s_addc_u32 s5, s7, s3
	s_lshl_b64 s[2:3], s[66:67], 2
	v_or_b32_e32 v23, 64, v20
	s_add_u32 s76, s4, s2
	v_or_b32_e32 v25, 0x80, v20
	v_or_b32_e32 v27, 0xc0, v20
	;; [unrolled: 1-line block ×6, first 2 shown]
	v_and_b32_e32 v2, 18, v2
	v_lshrrev_b32_e32 v5, 5, v26
	v_lshrrev_b32_e32 v8, 5, v28
	;; [unrolled: 1-line block ×6, first 2 shown]
	v_lshrrev_b16 v50, 1, v16
	s_addc_u32 s77, s5, s3
	s_add_i32 s2, s64, 0x7ff
	v_lshrrev_b32_e32 v3, 5, v1
	s_lshr_b32 s78, s2, 11
	s_waitcnt lgkmcnt(0)
	s_bitcmp1_b32 s0, 0
	v_lshrrev_b32_e32 v4, 5, v23
	v_lshrrev_b32_e32 v6, 5, v25
	v_add_lshl_u32 v2, v2, v20, 1
	v_and_b32_e32 v5, 20, v5
	v_lshrrev_b32_e32 v7, 5, v27
	v_and_b32_e32 v8, 22, v8
	v_lshrrev_b32_e32 v10, 5, v29
	;; [unrolled: 2-line block ×5, first 2 shown]
	v_and_b32_e32 v51, 30, v49
	v_lshlrev_b32_e32 v16, 4, v16
	v_and_b32_e32 v52, 30, v50
	s_cselect_b32 s79, -1, 0
	s_cmp_gt_i32 s65, 0
	v_add_lshl_u32 v3, v3, v20, 1
	s_cselect_b32 s80, -1, 0
	s_add_i32 s0, 0, 0x840
	v_add_lshl_u32 v4, v4, v20, 1
	v_add_lshl_u32 v6, v6, v20, 1
	v_add_nc_u32_e32 v39, 0, v2
	v_add_lshl_u32 v5, v5, v20, 1
	v_add_lshl_u32 v7, v7, v20, 1
	;; [unrolled: 1-line block ×12, first 2 shown]
	v_add_nc_u32_e32 v55, s0, v2
	v_and_b32_e32 v2, 15, v19
	s_and_b32 s1, s64, 0x3ff
	v_add_nc_u32_e32 v51, 0, v67
	v_add_nc_u32_e32 v53, s0, v3
	;; [unrolled: 1-line block ×15, first 2 shown]
	s_cmp_eq_u32 s1, 0
	v_add_nc_u32_e32 v68, s0, v16
	v_cmp_ne_u32_e64 s0, 0, v2
	v_cmp_lt_u32_e64 s1, 1, v2
	v_cmp_lt_u32_e64 s2, 3, v2
	;; [unrolled: 1-line block ×3, first 2 shown]
	v_add_nc_u32_e32 v2, -1, v19
	v_add_nc_u32_e32 v37, 0, v3
	v_lshrrev_b32_e32 v3, 2, v0
	v_add_nc_u32_e32 v41, 0, v5
	v_or_b32_e32 v5, 31, v14
	v_cmp_gt_i32_e32 vcc_lo, 0, v2
	s_mul_i32 s66, s10, s14
	v_and_b32_e32 v3, 8, v3
	s_cselect_b32 s81, -1, 0
	s_lshl_b64 s[14:15], s[66:67], 1
	v_cndmask_b32_e32 v2, v2, v19, vcc_lo
	s_add_i32 s82, s78, -1
	s_mul_i32 s66, s11, s12
	v_cmp_eq_u32_e64 s5, v5, v0
	v_cmp_gt_u32_e64 s6, 2, v0
	v_lshl_add_u32 v70, v0, 3, 0
	v_cmp_gt_u32_e64 s8, 32, v0
	v_cmp_lt_u32_e64 s9, 31, v0
	v_cmp_eq_u32_e64 s10, 0, v0
	s_add_u32 s14, s30, s14
	v_lshlrev_b32_e32 v0, 1, v19
	s_addc_u32 s11, s31, s15
	s_lshl_b64 s[12:13], s[66:67], 1
	v_add_nc_u32_e32 v69, 0, v3
	v_and_b32_e32 v3, 1, v19
	s_add_u32 s12, s14, s12
	v_lshlrev_b32_e32 v71, 2, v2
	s_addc_u32 s11, s11, s13
	v_lshlrev_b32_e32 v2, 1, v1
	v_add_co_u32 v0, s12, s12, v0
	v_add_nc_u32_e32 v38, 0, v4
	v_and_b32_e32 v4, 16, v19
	v_cmp_eq_u32_e64 s7, 0, v3
	v_add_co_ci_u32_e64 v3, null, s11, 0, s12
	v_add_co_u32 v72, vcc_lo, v0, v2
	v_or_b32_e32 v22, 32, v20
	v_add_nc_u32_e32 v40, 0, v6
	v_add_nc_u32_e32 v42, 0, v7
	;; [unrolled: 1-line block ×11, first 2 shown]
	v_cmp_ne_u32_e64 s4, 0, v4
	v_cmp_eq_u32_e64 s11, 0, v19
	v_add_co_ci_u32_e32 v73, vcc_lo, 0, v3, vcc_lo
	v_or_b32_e32 v74, 1, v18
	v_or_b32_e32 v75, 2, v18
	;; [unrolled: 1-line block ×15, first 2 shown]
	v_lshlrev_b32_e32 v89, 1, v1
	s_mov_b32 s83, 0x3e9b6dac
	s_add_i32 s84, 0, 0x1090
	s_mov_b32 s85, 0
	s_branch .LBB55_12
.LBB55_11:                              ;   in Loop: Header=BB55_12 Depth=1
	s_or_b32 exec_lo, exec_lo, s12
	s_add_u32 s72, s72, 0x800
	s_addc_u32 s48, s48, 0
	s_add_u32 s70, s70, 0x800
	s_addc_u32 s71, s71, 0
	;; [unrolled: 2-line block ×4, first 2 shown]
	s_add_i32 s85, s85, 1
	s_delay_alu instid0(SALU_CYCLE_1)
	s_cmp_eq_u32 s85, s78
	s_cbranch_scc1 .LBB55_236
.LBB55_12:                              ; =>This Loop Header: Depth=1
                                        ;     Child Loop BB55_109 Depth 2
	s_waitcnt lgkmcnt(14)
	v_lshlrev_b32_e32 v16, 1, v19
	s_lshl_b32 s50, s85, 10
	s_waitcnt lgkmcnt(0)
	v_mov_b32_e32 v2, 0
	s_sub_i32 s40, s64, s50
	v_add_co_u32 v0, s12, s70, v16
	s_delay_alu instid0(VALU_DEP_1) | instskip(SKIP_1) | instid1(VALU_DEP_3)
	v_add_co_ci_u32_e64 v1, null, s71, 0, s12
	v_cmp_gt_u32_e64 s12, s40, v20
	v_add_co_u32 v0, vcc_lo, v0, v89
	s_delay_alu instid0(VALU_DEP_3)
	v_add_co_ci_u32_e32 v1, vcc_lo, 0, v1, vcc_lo
	s_waitcnt_vscnt null, 0x0
	s_barrier
	buffer_gl0_inv
	s_and_saveexec_b32 s13, s12
	s_cbranch_execz .LBB55_14
; %bb.13:                               ;   in Loop: Header=BB55_12 Depth=1
	global_load_u16 v2, v[0:1], off
.LBB55_14:                              ;   in Loop: Header=BB55_12 Depth=1
	s_or_b32 exec_lo, exec_lo, s13
	v_cmp_gt_u32_e64 s13, s40, v22
	v_dual_mov_b32 v3, 0 :: v_dual_mov_b32 v4, 0
	s_delay_alu instid0(VALU_DEP_2)
	s_and_saveexec_b32 s14, s13
	s_cbranch_execz .LBB55_16
; %bb.15:                               ;   in Loop: Header=BB55_12 Depth=1
	global_load_u16 v4, v[0:1], off offset:64
.LBB55_16:                              ;   in Loop: Header=BB55_12 Depth=1
	s_or_b32 exec_lo, exec_lo, s14
	v_cmp_gt_u32_e64 s14, s40, v23
	s_delay_alu instid0(VALU_DEP_1)
	s_and_saveexec_b32 s15, s14
	s_cbranch_execz .LBB55_18
; %bb.17:                               ;   in Loop: Header=BB55_12 Depth=1
	global_load_u16 v3, v[0:1], off offset:128
.LBB55_18:                              ;   in Loop: Header=BB55_12 Depth=1
	s_or_b32 exec_lo, exec_lo, s15
	v_cmp_gt_u32_e64 s15, s40, v24
	v_dual_mov_b32 v5, 0 :: v_dual_mov_b32 v6, 0
	s_delay_alu instid0(VALU_DEP_2)
	s_and_saveexec_b32 s16, s15
	s_cbranch_execz .LBB55_20
; %bb.19:                               ;   in Loop: Header=BB55_12 Depth=1
	global_load_u16 v6, v[0:1], off offset:192
.LBB55_20:                              ;   in Loop: Header=BB55_12 Depth=1
	s_or_b32 exec_lo, exec_lo, s16
	v_cmp_gt_u32_e64 s16, s40, v25
	s_delay_alu instid0(VALU_DEP_1)
	s_and_saveexec_b32 s17, s16
	s_cbranch_execz .LBB55_22
; %bb.21:                               ;   in Loop: Header=BB55_12 Depth=1
	global_load_u16 v5, v[0:1], off offset:256
.LBB55_22:                              ;   in Loop: Header=BB55_12 Depth=1
	;; [unrolled: 17-line block ×3, first 2 shown]
	s_or_b32 exec_lo, exec_lo, s19
	v_cmp_gt_u32_e64 s19, s40, v28
	v_mov_b32_e32 v9, 0
	v_mov_b32_e32 v11, 0
	s_delay_alu instid0(VALU_DEP_3)
	s_and_saveexec_b32 s20, s19
	s_cbranch_execz .LBB55_28
; %bb.27:                               ;   in Loop: Header=BB55_12 Depth=1
	global_load_u16 v11, v[0:1], off offset:448
.LBB55_28:                              ;   in Loop: Header=BB55_12 Depth=1
	s_or_b32 exec_lo, exec_lo, s20
	v_cmp_gt_u32_e64 s20, s40, v29
	s_delay_alu instid0(VALU_DEP_1)
	s_and_saveexec_b32 s21, s20
	s_cbranch_execz .LBB55_30
; %bb.29:                               ;   in Loop: Header=BB55_12 Depth=1
	global_load_u16 v9, v[0:1], off offset:512
.LBB55_30:                              ;   in Loop: Header=BB55_12 Depth=1
	s_or_b32 exec_lo, exec_lo, s21
	v_cmp_gt_u32_e64 s21, s40, v30
	v_dual_mov_b32 v12, 0 :: v_dual_mov_b32 v13, 0
	s_delay_alu instid0(VALU_DEP_2)
	s_and_saveexec_b32 s22, s21
	s_cbranch_execz .LBB55_32
; %bb.31:                               ;   in Loop: Header=BB55_12 Depth=1
	global_load_u16 v13, v[0:1], off offset:576
.LBB55_32:                              ;   in Loop: Header=BB55_12 Depth=1
	s_or_b32 exec_lo, exec_lo, s22
	v_cmp_gt_u32_e64 s22, s40, v31
	s_delay_alu instid0(VALU_DEP_1)
	s_and_saveexec_b32 s23, s22
	s_cbranch_execz .LBB55_34
; %bb.33:                               ;   in Loop: Header=BB55_12 Depth=1
	global_load_u16 v12, v[0:1], off offset:640
.LBB55_34:                              ;   in Loop: Header=BB55_12 Depth=1
	s_or_b32 exec_lo, exec_lo, s23
	v_cmp_gt_u32_e64 s23, s40, v32
	v_dual_mov_b32 v14, 0 :: v_dual_mov_b32 v15, 0
	s_delay_alu instid0(VALU_DEP_2)
	;; [unrolled: 17-line block ×4, first 2 shown]
	s_and_saveexec_b32 s28, s27
	s_cbranch_execz .LBB55_44
; %bb.43:                               ;   in Loop: Header=BB55_12 Depth=1
	global_load_u16 v91, v[0:1], off offset:960
.LBB55_44:                              ;   in Loop: Header=BB55_12 Depth=1
	s_or_b32 exec_lo, exec_lo, s28
	s_waitcnt vmcnt(0)
	ds_store_b16 v37, v2
	ds_store_b16 v37, v4 offset:64
	ds_store_b16 v38, v3 offset:128
	;; [unrolled: 1-line block ×15, first 2 shown]
	; wave barrier
	ds_load_b128 v[0:3], v52
	ds_load_b128 v[4:7], v52 offset:16
	v_add_co_u32 v8, s28, s72, v16
	s_delay_alu instid0(VALU_DEP_1) | instskip(SKIP_1) | instid1(VALU_DEP_2)
	v_add_co_ci_u32_e64 v9, null, s48, 0, s28
	s_waitcnt lgkmcnt(0)
	v_add_co_u32 v8, vcc_lo, v8, v89
	s_delay_alu instid0(VALU_DEP_2)
	v_add_co_ci_u32_e32 v9, vcc_lo, 0, v9, vcc_lo
	s_barrier
	buffer_gl0_inv
	s_and_saveexec_b32 s28, s12
	s_cbranch_execz .LBB55_46
; %bb.45:                               ;   in Loop: Header=BB55_12 Depth=1
	global_load_u16 v10, v[8:9], off
.LBB55_46:                              ;   in Loop: Header=BB55_12 Depth=1
	s_or_b32 exec_lo, exec_lo, s28
	v_dual_mov_b32 v11, 0 :: v_dual_mov_b32 v12, 0
	s_and_saveexec_b32 s28, s13
	s_cbranch_execz .LBB55_48
; %bb.47:                               ;   in Loop: Header=BB55_12 Depth=1
	global_load_u16 v12, v[8:9], off offset:64
.LBB55_48:                              ;   in Loop: Header=BB55_12 Depth=1
	s_or_b32 exec_lo, exec_lo, s28
	s_and_saveexec_b32 s28, s14
	s_cbranch_execz .LBB55_50
; %bb.49:                               ;   in Loop: Header=BB55_12 Depth=1
	global_load_u16 v11, v[8:9], off offset:128
.LBB55_50:                              ;   in Loop: Header=BB55_12 Depth=1
	s_or_b32 exec_lo, exec_lo, s28
	v_dual_mov_b32 v13, 0 :: v_dual_mov_b32 v14, 0
	s_and_saveexec_b32 s28, s15
	s_cbranch_execz .LBB55_52
; %bb.51:                               ;   in Loop: Header=BB55_12 Depth=1
	global_load_u16 v14, v[8:9], off offset:192
.LBB55_52:                              ;   in Loop: Header=BB55_12 Depth=1
	s_or_b32 exec_lo, exec_lo, s28
	s_and_saveexec_b32 s28, s16
	s_cbranch_execz .LBB55_54
; %bb.53:                               ;   in Loop: Header=BB55_12 Depth=1
	global_load_u16 v13, v[8:9], off offset:256
.LBB55_54:                              ;   in Loop: Header=BB55_12 Depth=1
	s_or_b32 exec_lo, exec_lo, s28
	v_mov_b32_e32 v15, 0
	v_mov_b32_e32 v17, 0
	s_and_saveexec_b32 s28, s17
	s_cbranch_execz .LBB55_56
; %bb.55:                               ;   in Loop: Header=BB55_12 Depth=1
	global_load_u16 v17, v[8:9], off offset:320
.LBB55_56:                              ;   in Loop: Header=BB55_12 Depth=1
	s_or_b32 exec_lo, exec_lo, s28
	s_and_saveexec_b32 s28, s18
	s_cbranch_execz .LBB55_58
; %bb.57:                               ;   in Loop: Header=BB55_12 Depth=1
	global_load_u16 v15, v[8:9], off offset:384
.LBB55_58:                              ;   in Loop: Header=BB55_12 Depth=1
	s_or_b32 exec_lo, exec_lo, s28
	v_dual_mov_b32 v90, 0 :: v_dual_mov_b32 v91, 0
	s_and_saveexec_b32 s28, s19
	s_cbranch_execz .LBB55_60
; %bb.59:                               ;   in Loop: Header=BB55_12 Depth=1
	global_load_u16 v91, v[8:9], off offset:448
.LBB55_60:                              ;   in Loop: Header=BB55_12 Depth=1
	s_or_b32 exec_lo, exec_lo, s28
	s_and_saveexec_b32 s28, s20
	s_cbranch_execz .LBB55_62
; %bb.61:                               ;   in Loop: Header=BB55_12 Depth=1
	global_load_u16 v90, v[8:9], off offset:512
.LBB55_62:                              ;   in Loop: Header=BB55_12 Depth=1
	s_or_b32 exec_lo, exec_lo, s28
	v_dual_mov_b32 v92, 0 :: v_dual_mov_b32 v93, 0
	;; [unrolled: 13-line block ×4, first 2 shown]
	s_and_saveexec_b32 s28, s25
	s_cbranch_execnz .LBB55_218
; %bb.71:                               ;   in Loop: Header=BB55_12 Depth=1
	s_or_b32 exec_lo, exec_lo, s28
	s_and_saveexec_b32 s28, s26
	s_cbranch_execnz .LBB55_219
.LBB55_72:                              ;   in Loop: Header=BB55_12 Depth=1
	s_or_b32 exec_lo, exec_lo, s28
	v_mov_b32_e32 v98, 0
	s_and_saveexec_b32 s28, s27
	s_cbranch_execz .LBB55_74
.LBB55_73:                              ;   in Loop: Header=BB55_12 Depth=1
	global_load_u16 v98, v[8:9], off offset:960
.LBB55_74:                              ;   in Loop: Header=BB55_12 Depth=1
	s_or_b32 exec_lo, exec_lo, s28
	s_waitcnt vmcnt(0)
	ds_store_b16 v37, v10
	ds_store_b16 v37, v12 offset:64
	ds_store_b16 v38, v11 offset:128
	;; [unrolled: 1-line block ×15, first 2 shown]
	; wave barrier
	ds_load_b128 v[12:15], v52
	ds_load_b128 v[8:11], v52 offset:16
	s_waitcnt lgkmcnt(1)
	v_lshlrev_b32_e32 v17, 16, v12
	s_delay_alu instid0(VALU_DEP_1) | instskip(NEXT) | instid1(VALU_DEP_1)
	v_add_f32_e32 v90, s68, v17
	v_cmp_ge_f32_e32 vcc_lo, 0x41a00000, v90
	s_and_b32 s28, s79, vcc_lo
	s_delay_alu instid0(SALU_CYCLE_1)
	s_and_saveexec_b32 s29, s28
	s_cbranch_execz .LBB55_76
; %bb.75:                               ;   in Loop: Header=BB55_12 Depth=1
	v_mul_f32_e32 v17, 0x3fb8aa3b, v90
	v_cmp_ngt_f32_e32 vcc_lo, 0xc2ce8ed0, v90
	s_delay_alu instid0(VALU_DEP_2) | instskip(SKIP_1) | instid1(VALU_DEP_1)
	v_rndne_f32_e32 v91, v17
	v_fma_f32 v92, 0x3fb8aa3b, v90, -v17
	v_dual_sub_f32 v17, v17, v91 :: v_dual_fmac_f32 v92, 0x32a5705f, v90
	v_cvt_i32_f32_e32 v91, v91
	s_delay_alu instid0(VALU_DEP_2) | instskip(NEXT) | instid1(VALU_DEP_1)
	v_add_f32_e32 v17, v17, v92
	v_exp_f32_e32 v17, v17
	s_waitcnt_depctr 0xfff
	v_ldexp_f32 v17, v17, v91
	s_delay_alu instid0(VALU_DEP_1) | instskip(SKIP_1) | instid1(VALU_DEP_2)
	v_cndmask_b32_e32 v17, 0, v17, vcc_lo
	v_cmp_nlt_f32_e32 vcc_lo, 0x42b17218, v90
	v_cndmask_b32_e32 v17, 0x7f800000, v17, vcc_lo
	s_delay_alu instid0(VALU_DEP_1) | instskip(NEXT) | instid1(VALU_DEP_1)
	v_add_f32_e32 v92, 1.0, v17
	v_cvt_f64_f32_e32 v[90:91], v92
	s_delay_alu instid0(VALU_DEP_1) | instskip(SKIP_1) | instid1(VALU_DEP_1)
	v_frexp_exp_i32_f64_e32 v90, v[90:91]
	v_frexp_mant_f32_e32 v91, v92
	v_cmp_gt_f32_e32 vcc_lo, 0x3f2aaaab, v91
	v_add_f32_e32 v91, -1.0, v92
	s_delay_alu instid0(VALU_DEP_1) | instskip(NEXT) | instid1(VALU_DEP_1)
	v_dual_sub_f32 v94, v91, v92 :: v_dual_sub_f32 v91, v17, v91
	v_add_f32_e32 v94, 1.0, v94
	v_subrev_co_ci_u32_e32 v90, vcc_lo, 0, v90, vcc_lo
	s_delay_alu instid0(VALU_DEP_1) | instskip(SKIP_1) | instid1(VALU_DEP_2)
	v_sub_nc_u32_e32 v93, 0, v90
	v_cvt_f32_i32_e32 v90, v90
	v_ldexp_f32 v92, v92, v93
	v_add_f32_e32 v91, v91, v94
	s_delay_alu instid0(VALU_DEP_1) | instskip(NEXT) | instid1(VALU_DEP_3)
	v_ldexp_f32 v91, v91, v93
	v_add_f32_e32 v95, 1.0, v92
	s_delay_alu instid0(VALU_DEP_1) | instskip(NEXT) | instid1(VALU_DEP_1)
	v_add_f32_e32 v94, -1.0, v95
	v_sub_f32_e32 v94, v92, v94
	v_cmp_eq_f32_e32 vcc_lo, 0x7f800000, v17
	v_cmp_gt_f32_e64 s28, 0x33800000, v17
	s_delay_alu instid0(VALU_DEP_3) | instskip(NEXT) | instid1(VALU_DEP_2)
	v_dual_add_f32 v94, v91, v94 :: v_dual_add_f32 v93, -1.0, v92
	s_or_b32 vcc_lo, s28, vcc_lo
	s_delay_alu instid0(VALU_DEP_1) | instskip(NEXT) | instid1(VALU_DEP_1)
	v_add_f32_e32 v96, 1.0, v93
	v_sub_f32_e32 v92, v92, v96
	s_delay_alu instid0(VALU_DEP_3) | instskip(NEXT) | instid1(VALU_DEP_1)
	v_add_f32_e32 v96, v95, v94
	v_sub_f32_e32 v95, v95, v96
	s_delay_alu instid0(VALU_DEP_3) | instskip(SKIP_1) | instid1(VALU_DEP_2)
	v_add_f32_e32 v91, v91, v92
	v_rcp_f32_e32 v92, v96
	v_add_f32_e32 v94, v94, v95
	s_delay_alu instid0(VALU_DEP_2) | instskip(NEXT) | instid1(VALU_DEP_1)
	v_add_f32_e32 v97, v93, v91
	v_sub_f32_e32 v93, v93, v97
	s_waitcnt_depctr 0xfff
	v_dual_mul_f32 v98, v97, v92 :: v_dual_add_f32 v91, v91, v93
	s_delay_alu instid0(VALU_DEP_1) | instskip(NEXT) | instid1(VALU_DEP_1)
	v_mul_f32_e32 v99, v96, v98
	v_fma_f32 v95, v98, v96, -v99
	s_delay_alu instid0(VALU_DEP_1) | instskip(NEXT) | instid1(VALU_DEP_1)
	v_fmac_f32_e32 v95, v98, v94
	v_add_f32_e32 v100, v99, v95
	s_delay_alu instid0(VALU_DEP_1) | instskip(NEXT) | instid1(VALU_DEP_1)
	v_sub_f32_e32 v101, v97, v100
	v_sub_f32_e32 v97, v97, v101
	v_sub_f32_e32 v93, v100, v99
	s_delay_alu instid0(VALU_DEP_2) | instskip(NEXT) | instid1(VALU_DEP_2)
	v_sub_f32_e32 v97, v97, v100
	v_sub_f32_e32 v93, v93, v95
	s_delay_alu instid0(VALU_DEP_2) | instskip(NEXT) | instid1(VALU_DEP_1)
	v_add_f32_e32 v91, v91, v97
	v_add_f32_e32 v91, v93, v91
	s_delay_alu instid0(VALU_DEP_1) | instskip(NEXT) | instid1(VALU_DEP_1)
	v_add_f32_e32 v93, v101, v91
	v_mul_f32_e32 v95, v92, v93
	s_delay_alu instid0(VALU_DEP_1) | instskip(NEXT) | instid1(VALU_DEP_1)
	v_dual_sub_f32 v100, v101, v93 :: v_dual_mul_f32 v97, v96, v95
	v_add_f32_e32 v91, v91, v100
	s_delay_alu instid0(VALU_DEP_2) | instskip(NEXT) | instid1(VALU_DEP_1)
	v_fma_f32 v96, v95, v96, -v97
	v_fmac_f32_e32 v96, v95, v94
	s_delay_alu instid0(VALU_DEP_1) | instskip(NEXT) | instid1(VALU_DEP_1)
	v_add_f32_e32 v94, v97, v96
	v_sub_f32_e32 v99, v93, v94
	v_sub_f32_e32 v97, v94, v97
	s_delay_alu instid0(VALU_DEP_2) | instskip(NEXT) | instid1(VALU_DEP_1)
	v_sub_f32_e32 v93, v93, v99
	v_sub_f32_e32 v93, v93, v94
	s_delay_alu instid0(VALU_DEP_1) | instskip(SKIP_1) | instid1(VALU_DEP_1)
	v_dual_sub_f32 v94, v97, v96 :: v_dual_add_f32 v91, v91, v93
	v_add_f32_e32 v93, v98, v95
	v_dual_add_f32 v91, v94, v91 :: v_dual_sub_f32 v94, v93, v98
	s_delay_alu instid0(VALU_DEP_1) | instskip(NEXT) | instid1(VALU_DEP_1)
	v_add_f32_e32 v91, v99, v91
	v_dual_sub_f32 v94, v95, v94 :: v_dual_mul_f32 v91, v92, v91
	s_delay_alu instid0(VALU_DEP_1) | instskip(NEXT) | instid1(VALU_DEP_1)
	v_add_f32_e32 v91, v94, v91
	v_add_f32_e32 v92, v93, v91
	s_delay_alu instid0(VALU_DEP_1) | instskip(NEXT) | instid1(VALU_DEP_1)
	v_mul_f32_e32 v94, v92, v92
	v_fmaak_f32 v95, s83, v94, 0x3ecc95a3
	v_mul_f32_e32 v96, v92, v94
	s_delay_alu instid0(VALU_DEP_2) | instskip(SKIP_2) | instid1(VALU_DEP_3)
	v_fmaak_f32 v94, v94, v95, 0x3f2aaada
	v_ldexp_f32 v95, v92, 1
	v_sub_f32_e32 v92, v92, v93
	v_mul_f32_e32 v94, v96, v94
	s_delay_alu instid0(VALU_DEP_2) | instskip(NEXT) | instid1(VALU_DEP_2)
	v_dual_mul_f32 v96, 0x3f317218, v90 :: v_dual_sub_f32 v91, v91, v92
	v_add_f32_e32 v93, v95, v94
	s_delay_alu instid0(VALU_DEP_2) | instskip(NEXT) | instid1(VALU_DEP_2)
	v_ldexp_f32 v91, v91, 1
	v_sub_f32_e32 v92, v93, v95
	s_delay_alu instid0(VALU_DEP_4) | instskip(NEXT) | instid1(VALU_DEP_1)
	v_fma_f32 v95, 0x3f317218, v90, -v96
	v_dual_sub_f32 v92, v94, v92 :: v_dual_fmac_f32 v95, 0xb102e308, v90
	s_delay_alu instid0(VALU_DEP_1) | instskip(NEXT) | instid1(VALU_DEP_1)
	v_dual_add_f32 v90, v91, v92 :: v_dual_add_f32 v91, v96, v95
	v_add_f32_e32 v92, v93, v90
	s_delay_alu instid0(VALU_DEP_2) | instskip(NEXT) | instid1(VALU_DEP_2)
	v_sub_f32_e32 v96, v91, v96
	v_dual_add_f32 v94, v91, v92 :: v_dual_sub_f32 v93, v92, v93
	s_delay_alu instid0(VALU_DEP_2) | instskip(NEXT) | instid1(VALU_DEP_2)
	v_sub_f32_e32 v95, v95, v96
	v_sub_f32_e32 v97, v94, v91
	s_delay_alu instid0(VALU_DEP_3) | instskip(NEXT) | instid1(VALU_DEP_2)
	v_sub_f32_e32 v90, v90, v93
	v_sub_f32_e32 v98, v94, v97
	s_delay_alu instid0(VALU_DEP_2) | instskip(NEXT) | instid1(VALU_DEP_2)
	v_dual_sub_f32 v92, v92, v97 :: v_dual_add_f32 v93, v95, v90
	v_sub_f32_e32 v91, v91, v98
	s_delay_alu instid0(VALU_DEP_1) | instskip(NEXT) | instid1(VALU_DEP_3)
	v_add_f32_e32 v91, v92, v91
	v_sub_f32_e32 v92, v93, v95
	s_delay_alu instid0(VALU_DEP_2) | instskip(NEXT) | instid1(VALU_DEP_2)
	v_add_f32_e32 v91, v93, v91
	v_sub_f32_e32 v93, v93, v92
	v_sub_f32_e32 v90, v90, v92
	s_delay_alu instid0(VALU_DEP_2) | instskip(NEXT) | instid1(VALU_DEP_1)
	v_dual_add_f32 v96, v94, v91 :: v_dual_sub_f32 v93, v95, v93
	v_sub_f32_e32 v92, v96, v94
	s_delay_alu instid0(VALU_DEP_1) | instskip(NEXT) | instid1(VALU_DEP_1)
	v_dual_add_f32 v90, v90, v93 :: v_dual_sub_f32 v91, v91, v92
	v_add_f32_e32 v90, v90, v91
	s_delay_alu instid0(VALU_DEP_1) | instskip(NEXT) | instid1(VALU_DEP_1)
	v_add_f32_e32 v90, v96, v90
	v_cndmask_b32_e32 v90, v90, v17, vcc_lo
.LBB55_76:                              ;   in Loop: Header=BB55_12 Depth=1
	s_or_b32 exec_lo, exec_lo, s29
	v_and_b32_e32 v12, 0xffff0000, v12
	s_delay_alu instid0(VALU_DEP_1) | instskip(NEXT) | instid1(VALU_DEP_1)
	v_add_f32_e32 v91, s68, v12
	v_cmp_ge_f32_e32 vcc_lo, 0x41a00000, v91
	s_and_b32 s28, s79, vcc_lo
	s_delay_alu instid0(SALU_CYCLE_1)
	s_and_saveexec_b32 s29, s28
	s_cbranch_execz .LBB55_78
; %bb.77:                               ;   in Loop: Header=BB55_12 Depth=1
	v_mul_f32_e32 v12, 0x3fb8aa3b, v91
	v_cmp_ngt_f32_e32 vcc_lo, 0xc2ce8ed0, v91
	s_delay_alu instid0(VALU_DEP_2) | instskip(SKIP_1) | instid1(VALU_DEP_2)
	v_rndne_f32_e32 v17, v12
	v_fma_f32 v92, 0x3fb8aa3b, v91, -v12
	v_sub_f32_e32 v12, v12, v17
	s_delay_alu instid0(VALU_DEP_2) | instskip(SKIP_1) | instid1(VALU_DEP_2)
	v_fmac_f32_e32 v92, 0x32a5705f, v91
	v_cvt_i32_f32_e32 v17, v17
	v_add_f32_e32 v12, v12, v92
	s_delay_alu instid0(VALU_DEP_1) | instskip(SKIP_2) | instid1(VALU_DEP_1)
	v_exp_f32_e32 v12, v12
	s_waitcnt_depctr 0xfff
	v_ldexp_f32 v12, v12, v17
	v_cndmask_b32_e32 v12, 0, v12, vcc_lo
	v_cmp_nlt_f32_e32 vcc_lo, 0x42b17218, v91
	s_delay_alu instid0(VALU_DEP_2) | instskip(NEXT) | instid1(VALU_DEP_1)
	v_cndmask_b32_e32 v12, 0x7f800000, v12, vcc_lo
	v_add_f32_e32 v17, 1.0, v12
	s_delay_alu instid0(VALU_DEP_1) | instskip(NEXT) | instid1(VALU_DEP_1)
	v_cvt_f64_f32_e32 v[91:92], v17
	v_frexp_exp_i32_f64_e32 v91, v[91:92]
	v_frexp_mant_f32_e32 v92, v17
	s_delay_alu instid0(VALU_DEP_1) | instskip(SKIP_1) | instid1(VALU_DEP_1)
	v_cmp_gt_f32_e32 vcc_lo, 0x3f2aaaab, v92
	v_add_f32_e32 v92, -1.0, v17
	v_sub_f32_e32 v94, v92, v17
	v_sub_f32_e32 v92, v12, v92
	s_delay_alu instid0(VALU_DEP_2) | instskip(NEXT) | instid1(VALU_DEP_1)
	v_add_f32_e32 v94, 1.0, v94
	v_add_f32_e32 v92, v92, v94
	v_subrev_co_ci_u32_e32 v91, vcc_lo, 0, v91, vcc_lo
	s_delay_alu instid0(VALU_DEP_1) | instskip(SKIP_1) | instid1(VALU_DEP_2)
	v_sub_nc_u32_e32 v93, 0, v91
	v_cvt_f32_i32_e32 v91, v91
	v_ldexp_f32 v17, v17, v93
	v_ldexp_f32 v92, v92, v93
	s_delay_alu instid0(VALU_DEP_2) | instskip(NEXT) | instid1(VALU_DEP_1)
	v_add_f32_e32 v95, 1.0, v17
	v_dual_add_f32 v93, -1.0, v17 :: v_dual_add_f32 v94, -1.0, v95
	s_delay_alu instid0(VALU_DEP_1) | instskip(NEXT) | instid1(VALU_DEP_2)
	v_add_f32_e32 v96, 1.0, v93
	v_sub_f32_e32 v94, v17, v94
	s_delay_alu instid0(VALU_DEP_2) | instskip(NEXT) | instid1(VALU_DEP_1)
	v_sub_f32_e32 v17, v17, v96
	v_add_f32_e32 v17, v92, v17
	s_delay_alu instid0(VALU_DEP_1) | instskip(SKIP_2) | instid1(VALU_DEP_3)
	v_add_f32_e32 v97, v93, v17
	v_cmp_eq_f32_e32 vcc_lo, 0x7f800000, v12
	v_cmp_gt_f32_e64 s28, 0x33800000, v12
	v_dual_sub_f32 v93, v93, v97 :: v_dual_add_f32 v94, v92, v94
	s_delay_alu instid0(VALU_DEP_2) | instskip(NEXT) | instid1(VALU_DEP_1)
	s_or_b32 vcc_lo, s28, vcc_lo
	v_dual_add_f32 v17, v17, v93 :: v_dual_add_f32 v96, v95, v94
	s_delay_alu instid0(VALU_DEP_1) | instskip(SKIP_1) | instid1(VALU_DEP_1)
	v_rcp_f32_e32 v92, v96
	v_sub_f32_e32 v95, v95, v96
	v_add_f32_e32 v94, v94, v95
	s_waitcnt_depctr 0xfff
	v_mul_f32_e32 v98, v97, v92
	s_delay_alu instid0(VALU_DEP_1) | instskip(NEXT) | instid1(VALU_DEP_1)
	v_mul_f32_e32 v99, v96, v98
	v_fma_f32 v95, v98, v96, -v99
	s_delay_alu instid0(VALU_DEP_1) | instskip(NEXT) | instid1(VALU_DEP_1)
	v_fmac_f32_e32 v95, v98, v94
	v_add_f32_e32 v100, v99, v95
	s_delay_alu instid0(VALU_DEP_1) | instskip(SKIP_1) | instid1(VALU_DEP_2)
	v_sub_f32_e32 v101, v97, v100
	v_sub_f32_e32 v93, v100, v99
	v_sub_f32_e32 v97, v97, v101
	s_delay_alu instid0(VALU_DEP_2) | instskip(NEXT) | instid1(VALU_DEP_2)
	v_sub_f32_e32 v93, v93, v95
	v_sub_f32_e32 v97, v97, v100
	s_delay_alu instid0(VALU_DEP_1) | instskip(NEXT) | instid1(VALU_DEP_1)
	v_add_f32_e32 v17, v17, v97
	v_add_f32_e32 v17, v93, v17
	s_delay_alu instid0(VALU_DEP_1) | instskip(NEXT) | instid1(VALU_DEP_1)
	v_add_f32_e32 v93, v101, v17
	v_mul_f32_e32 v95, v92, v93
	s_delay_alu instid0(VALU_DEP_1) | instskip(NEXT) | instid1(VALU_DEP_1)
	v_mul_f32_e32 v97, v96, v95
	v_fma_f32 v96, v95, v96, -v97
	s_delay_alu instid0(VALU_DEP_1) | instskip(SKIP_1) | instid1(VALU_DEP_2)
	v_fmac_f32_e32 v96, v95, v94
	v_sub_f32_e32 v100, v101, v93
	v_add_f32_e32 v94, v97, v96
	s_delay_alu instid0(VALU_DEP_2) | instskip(NEXT) | instid1(VALU_DEP_2)
	v_add_f32_e32 v17, v17, v100
	v_sub_f32_e32 v99, v93, v94
	s_delay_alu instid0(VALU_DEP_1) | instskip(NEXT) | instid1(VALU_DEP_1)
	v_sub_f32_e32 v93, v93, v99
	v_sub_f32_e32 v93, v93, v94
	s_delay_alu instid0(VALU_DEP_1) | instskip(SKIP_2) | instid1(VALU_DEP_1)
	v_add_f32_e32 v17, v17, v93
	v_add_f32_e32 v93, v98, v95
	v_sub_f32_e32 v97, v94, v97
	v_sub_f32_e32 v94, v97, v96
	s_delay_alu instid0(VALU_DEP_1) | instskip(NEXT) | instid1(VALU_DEP_1)
	v_dual_add_f32 v17, v94, v17 :: v_dual_sub_f32 v94, v93, v98
	v_add_f32_e32 v17, v99, v17
	s_delay_alu instid0(VALU_DEP_1) | instskip(NEXT) | instid1(VALU_DEP_1)
	v_dual_sub_f32 v94, v95, v94 :: v_dual_mul_f32 v17, v92, v17
	v_add_f32_e32 v17, v94, v17
	s_delay_alu instid0(VALU_DEP_1) | instskip(NEXT) | instid1(VALU_DEP_1)
	v_add_f32_e32 v92, v93, v17
	v_mul_f32_e32 v94, v92, v92
	s_delay_alu instid0(VALU_DEP_1) | instskip(SKIP_1) | instid1(VALU_DEP_2)
	v_fmaak_f32 v95, s83, v94, 0x3ecc95a3
	v_mul_f32_e32 v96, v92, v94
	v_fmaak_f32 v94, v94, v95, 0x3f2aaada
	v_ldexp_f32 v95, v92, 1
	s_delay_alu instid0(VALU_DEP_2) | instskip(SKIP_1) | instid1(VALU_DEP_2)
	v_mul_f32_e32 v94, v96, v94
	v_sub_f32_e32 v92, v92, v93
	v_dual_mul_f32 v96, 0x3f317218, v91 :: v_dual_add_f32 v93, v95, v94
	s_delay_alu instid0(VALU_DEP_2) | instskip(NEXT) | instid1(VALU_DEP_2)
	v_sub_f32_e32 v17, v17, v92
	v_sub_f32_e32 v92, v93, v95
	s_delay_alu instid0(VALU_DEP_3) | instskip(NEXT) | instid1(VALU_DEP_3)
	v_fma_f32 v95, 0x3f317218, v91, -v96
	v_ldexp_f32 v17, v17, 1
	s_delay_alu instid0(VALU_DEP_2) | instskip(NEXT) | instid1(VALU_DEP_1)
	v_dual_sub_f32 v92, v94, v92 :: v_dual_fmac_f32 v95, 0xb102e308, v91
	v_add_f32_e32 v17, v17, v92
	s_delay_alu instid0(VALU_DEP_1) | instskip(NEXT) | instid1(VALU_DEP_1)
	v_dual_add_f32 v91, v96, v95 :: v_dual_add_f32 v92, v93, v17
	v_sub_f32_e32 v96, v91, v96
	s_delay_alu instid0(VALU_DEP_2) | instskip(NEXT) | instid1(VALU_DEP_2)
	v_dual_add_f32 v94, v91, v92 :: v_dual_sub_f32 v93, v92, v93
	v_sub_f32_e32 v95, v95, v96
	s_delay_alu instid0(VALU_DEP_2) | instskip(NEXT) | instid1(VALU_DEP_1)
	v_sub_f32_e32 v97, v94, v91
	v_sub_f32_e32 v98, v94, v97
	;; [unrolled: 1-line block ×4, first 2 shown]
	s_delay_alu instid0(VALU_DEP_1) | instskip(NEXT) | instid1(VALU_DEP_4)
	v_add_f32_e32 v93, v95, v17
	v_sub_f32_e32 v91, v91, v98
	s_delay_alu instid0(VALU_DEP_1) | instskip(NEXT) | instid1(VALU_DEP_3)
	v_add_f32_e32 v91, v92, v91
	v_sub_f32_e32 v92, v93, v95
	s_delay_alu instid0(VALU_DEP_2) | instskip(NEXT) | instid1(VALU_DEP_2)
	v_add_f32_e32 v91, v93, v91
	v_sub_f32_e32 v93, v93, v92
	s_delay_alu instid0(VALU_DEP_2) | instskip(NEXT) | instid1(VALU_DEP_1)
	v_dual_sub_f32 v17, v17, v92 :: v_dual_add_f32 v96, v94, v91
	v_dual_sub_f32 v92, v96, v94 :: v_dual_sub_f32 v93, v95, v93
	s_delay_alu instid0(VALU_DEP_1) | instskip(NEXT) | instid1(VALU_DEP_2)
	v_sub_f32_e32 v91, v91, v92
	v_add_f32_e32 v17, v17, v93
	s_delay_alu instid0(VALU_DEP_1) | instskip(NEXT) | instid1(VALU_DEP_1)
	v_add_f32_e32 v17, v17, v91
	v_add_f32_e32 v17, v96, v17
	s_delay_alu instid0(VALU_DEP_1)
	v_cndmask_b32_e32 v91, v17, v12, vcc_lo
.LBB55_78:                              ;   in Loop: Header=BB55_12 Depth=1
	s_or_b32 exec_lo, exec_lo, s29
	v_lshlrev_b32_e32 v12, 16, v13
	s_delay_alu instid0(VALU_DEP_1) | instskip(NEXT) | instid1(VALU_DEP_1)
	v_add_f32_e32 v92, s68, v12
	v_cmp_ge_f32_e32 vcc_lo, 0x41a00000, v92
	s_and_b32 s28, s79, vcc_lo
	s_delay_alu instid0(SALU_CYCLE_1)
	s_and_saveexec_b32 s29, s28
	s_cbranch_execz .LBB55_80
; %bb.79:                               ;   in Loop: Header=BB55_12 Depth=1
	v_mul_f32_e32 v12, 0x3fb8aa3b, v92
	v_cmp_ngt_f32_e32 vcc_lo, 0xc2ce8ed0, v92
	s_delay_alu instid0(VALU_DEP_2) | instskip(SKIP_1) | instid1(VALU_DEP_1)
	v_rndne_f32_e32 v17, v12
	v_fma_f32 v93, 0x3fb8aa3b, v92, -v12
	v_dual_sub_f32 v12, v12, v17 :: v_dual_fmac_f32 v93, 0x32a5705f, v92
	v_cvt_i32_f32_e32 v17, v17
	s_delay_alu instid0(VALU_DEP_2) | instskip(NEXT) | instid1(VALU_DEP_1)
	v_add_f32_e32 v12, v12, v93
	v_exp_f32_e32 v12, v12
	s_waitcnt_depctr 0xfff
	v_ldexp_f32 v12, v12, v17
	s_delay_alu instid0(VALU_DEP_1) | instskip(SKIP_1) | instid1(VALU_DEP_2)
	v_cndmask_b32_e32 v12, 0, v12, vcc_lo
	v_cmp_nlt_f32_e32 vcc_lo, 0x42b17218, v92
	v_cndmask_b32_e32 v12, 0x7f800000, v12, vcc_lo
	s_delay_alu instid0(VALU_DEP_1) | instskip(NEXT) | instid1(VALU_DEP_1)
	v_add_f32_e32 v17, 1.0, v12
	v_cvt_f64_f32_e32 v[92:93], v17
	s_delay_alu instid0(VALU_DEP_1) | instskip(SKIP_1) | instid1(VALU_DEP_1)
	v_frexp_exp_i32_f64_e32 v92, v[92:93]
	v_frexp_mant_f32_e32 v93, v17
	v_cmp_gt_f32_e32 vcc_lo, 0x3f2aaaab, v93
	v_add_f32_e32 v93, -1.0, v17
	s_delay_alu instid0(VALU_DEP_1) | instskip(SKIP_1) | instid1(VALU_DEP_2)
	v_sub_f32_e32 v95, v93, v17
	v_sub_f32_e32 v93, v12, v93
	v_add_f32_e32 v95, 1.0, v95
	s_delay_alu instid0(VALU_DEP_1) | instskip(SKIP_3) | instid1(VALU_DEP_2)
	v_add_f32_e32 v93, v93, v95
	v_cmp_gt_f32_e64 s28, 0x33800000, v12
	v_subrev_co_ci_u32_e32 v92, vcc_lo, 0, v92, vcc_lo
	v_cmp_eq_f32_e32 vcc_lo, 0x7f800000, v12
	v_sub_nc_u32_e32 v94, 0, v92
	v_cvt_f32_i32_e32 v92, v92
	s_or_b32 vcc_lo, s28, vcc_lo
	s_delay_alu instid0(VALU_DEP_2) | instskip(SKIP_1) | instid1(VALU_DEP_2)
	v_ldexp_f32 v17, v17, v94
	v_ldexp_f32 v93, v93, v94
	v_add_f32_e32 v96, 1.0, v17
	s_delay_alu instid0(VALU_DEP_1) | instskip(NEXT) | instid1(VALU_DEP_1)
	v_dual_add_f32 v94, -1.0, v17 :: v_dual_add_f32 v95, -1.0, v96
	v_add_f32_e32 v97, 1.0, v94
	s_delay_alu instid0(VALU_DEP_2) | instskip(NEXT) | instid1(VALU_DEP_2)
	v_sub_f32_e32 v95, v17, v95
	v_sub_f32_e32 v17, v17, v97
	s_delay_alu instid0(VALU_DEP_1) | instskip(NEXT) | instid1(VALU_DEP_1)
	v_add_f32_e32 v17, v93, v17
	v_dual_add_f32 v98, v94, v17 :: v_dual_add_f32 v95, v93, v95
	s_delay_alu instid0(VALU_DEP_1) | instskip(NEXT) | instid1(VALU_DEP_1)
	v_dual_sub_f32 v94, v94, v98 :: v_dual_add_f32 v97, v96, v95
	v_rcp_f32_e32 v93, v97
	v_sub_f32_e32 v96, v96, v97
	s_delay_alu instid0(VALU_DEP_1) | instskip(SKIP_2) | instid1(VALU_DEP_1)
	v_add_f32_e32 v95, v95, v96
	s_waitcnt_depctr 0xfff
	v_mul_f32_e32 v99, v98, v93
	v_mul_f32_e32 v100, v97, v99
	s_delay_alu instid0(VALU_DEP_1) | instskip(NEXT) | instid1(VALU_DEP_1)
	v_fma_f32 v96, v99, v97, -v100
	v_fmac_f32_e32 v96, v99, v95
	s_delay_alu instid0(VALU_DEP_1) | instskip(NEXT) | instid1(VALU_DEP_1)
	v_add_f32_e32 v101, v100, v96
	v_sub_f32_e32 v102, v98, v101
	s_delay_alu instid0(VALU_DEP_1) | instskip(SKIP_2) | instid1(VALU_DEP_3)
	v_sub_f32_e32 v98, v98, v102
	v_add_f32_e32 v17, v17, v94
	v_sub_f32_e32 v94, v101, v100
	v_sub_f32_e32 v98, v98, v101
	s_delay_alu instid0(VALU_DEP_1) | instskip(NEXT) | instid1(VALU_DEP_1)
	v_dual_sub_f32 v94, v94, v96 :: v_dual_add_f32 v17, v17, v98
	v_add_f32_e32 v17, v94, v17
	s_delay_alu instid0(VALU_DEP_1) | instskip(NEXT) | instid1(VALU_DEP_1)
	v_add_f32_e32 v94, v102, v17
	v_mul_f32_e32 v96, v93, v94
	s_delay_alu instid0(VALU_DEP_1) | instskip(NEXT) | instid1(VALU_DEP_1)
	v_dual_sub_f32 v101, v102, v94 :: v_dual_mul_f32 v98, v97, v96
	v_add_f32_e32 v17, v17, v101
	s_delay_alu instid0(VALU_DEP_2) | instskip(NEXT) | instid1(VALU_DEP_1)
	v_fma_f32 v97, v96, v97, -v98
	v_fmac_f32_e32 v97, v96, v95
	s_delay_alu instid0(VALU_DEP_1) | instskip(NEXT) | instid1(VALU_DEP_1)
	v_add_f32_e32 v95, v98, v97
	v_sub_f32_e32 v100, v94, v95
	s_delay_alu instid0(VALU_DEP_1) | instskip(NEXT) | instid1(VALU_DEP_1)
	v_sub_f32_e32 v94, v94, v100
	v_sub_f32_e32 v94, v94, v95
	s_delay_alu instid0(VALU_DEP_1) | instskip(SKIP_1) | instid1(VALU_DEP_1)
	v_dual_add_f32 v17, v17, v94 :: v_dual_add_f32 v94, v99, v96
	v_sub_f32_e32 v98, v95, v98
	v_sub_f32_e32 v95, v98, v97
	s_delay_alu instid0(VALU_DEP_1) | instskip(NEXT) | instid1(VALU_DEP_4)
	v_add_f32_e32 v17, v95, v17
	v_sub_f32_e32 v95, v94, v99
	s_delay_alu instid0(VALU_DEP_2) | instskip(NEXT) | instid1(VALU_DEP_2)
	v_add_f32_e32 v17, v100, v17
	v_sub_f32_e32 v95, v96, v95
	s_delay_alu instid0(VALU_DEP_2) | instskip(NEXT) | instid1(VALU_DEP_1)
	v_mul_f32_e32 v17, v93, v17
	v_add_f32_e32 v17, v95, v17
	s_delay_alu instid0(VALU_DEP_1) | instskip(NEXT) | instid1(VALU_DEP_1)
	v_add_f32_e32 v93, v94, v17
	v_mul_f32_e32 v95, v93, v93
	s_delay_alu instid0(VALU_DEP_1) | instskip(SKIP_1) | instid1(VALU_DEP_2)
	v_fmaak_f32 v96, s83, v95, 0x3ecc95a3
	v_mul_f32_e32 v97, v93, v95
	v_fmaak_f32 v95, v95, v96, 0x3f2aaada
	v_ldexp_f32 v96, v93, 1
	v_sub_f32_e32 v93, v93, v94
	s_delay_alu instid0(VALU_DEP_3) | instskip(SKIP_1) | instid1(VALU_DEP_2)
	v_mul_f32_e32 v95, v97, v95
	v_mul_f32_e32 v97, 0x3f317218, v92
	v_dual_sub_f32 v17, v17, v93 :: v_dual_add_f32 v94, v96, v95
	s_delay_alu instid0(VALU_DEP_1) | instskip(NEXT) | instid1(VALU_DEP_2)
	v_ldexp_f32 v17, v17, 1
	v_sub_f32_e32 v93, v94, v96
	s_delay_alu instid0(VALU_DEP_4) | instskip(NEXT) | instid1(VALU_DEP_1)
	v_fma_f32 v96, 0x3f317218, v92, -v97
	v_dual_sub_f32 v93, v95, v93 :: v_dual_fmac_f32 v96, 0xb102e308, v92
	s_delay_alu instid0(VALU_DEP_1) | instskip(NEXT) | instid1(VALU_DEP_1)
	v_add_f32_e32 v17, v17, v93
	v_dual_add_f32 v92, v97, v96 :: v_dual_add_f32 v93, v94, v17
	s_delay_alu instid0(VALU_DEP_1) | instskip(NEXT) | instid1(VALU_DEP_2)
	v_sub_f32_e32 v97, v92, v97
	v_dual_add_f32 v95, v92, v93 :: v_dual_sub_f32 v94, v93, v94
	s_delay_alu instid0(VALU_DEP_2) | instskip(NEXT) | instid1(VALU_DEP_2)
	v_sub_f32_e32 v96, v96, v97
	v_dual_sub_f32 v98, v95, v92 :: v_dual_sub_f32 v17, v17, v94
	s_delay_alu instid0(VALU_DEP_1) | instskip(NEXT) | instid1(VALU_DEP_2)
	v_sub_f32_e32 v99, v95, v98
	v_dual_sub_f32 v93, v93, v98 :: v_dual_add_f32 v94, v96, v17
	s_delay_alu instid0(VALU_DEP_2) | instskip(NEXT) | instid1(VALU_DEP_1)
	v_sub_f32_e32 v92, v92, v99
	v_add_f32_e32 v92, v93, v92
	s_delay_alu instid0(VALU_DEP_3) | instskip(NEXT) | instid1(VALU_DEP_2)
	v_sub_f32_e32 v93, v94, v96
	v_add_f32_e32 v92, v94, v92
	s_delay_alu instid0(VALU_DEP_2) | instskip(SKIP_1) | instid1(VALU_DEP_2)
	v_sub_f32_e32 v94, v94, v93
	v_sub_f32_e32 v17, v17, v93
	v_dual_add_f32 v97, v95, v92 :: v_dual_sub_f32 v94, v96, v94
	s_delay_alu instid0(VALU_DEP_1) | instskip(NEXT) | instid1(VALU_DEP_1)
	v_sub_f32_e32 v93, v97, v95
	v_dual_add_f32 v17, v17, v94 :: v_dual_sub_f32 v92, v92, v93
	s_delay_alu instid0(VALU_DEP_1) | instskip(NEXT) | instid1(VALU_DEP_1)
	v_add_f32_e32 v17, v17, v92
	v_add_f32_e32 v17, v97, v17
	s_delay_alu instid0(VALU_DEP_1)
	v_cndmask_b32_e32 v92, v17, v12, vcc_lo
.LBB55_80:                              ;   in Loop: Header=BB55_12 Depth=1
	s_or_b32 exec_lo, exec_lo, s29
	v_and_b32_e32 v12, 0xffff0000, v13
	s_delay_alu instid0(VALU_DEP_1) | instskip(NEXT) | instid1(VALU_DEP_1)
	v_add_f32_e32 v93, s68, v12
	v_cmp_ge_f32_e32 vcc_lo, 0x41a00000, v93
	s_and_b32 s28, s79, vcc_lo
	s_delay_alu instid0(SALU_CYCLE_1)
	s_and_saveexec_b32 s29, s28
	s_cbranch_execz .LBB55_82
; %bb.81:                               ;   in Loop: Header=BB55_12 Depth=1
	v_mul_f32_e32 v12, 0x3fb8aa3b, v93
	v_cmp_ngt_f32_e32 vcc_lo, 0xc2ce8ed0, v93
	s_delay_alu instid0(VALU_DEP_2) | instskip(SKIP_1) | instid1(VALU_DEP_2)
	v_rndne_f32_e32 v13, v12
	v_fma_f32 v17, 0x3fb8aa3b, v93, -v12
	v_sub_f32_e32 v12, v12, v13
	s_delay_alu instid0(VALU_DEP_2) | instskip(SKIP_1) | instid1(VALU_DEP_2)
	v_fmac_f32_e32 v17, 0x32a5705f, v93
	v_cvt_i32_f32_e32 v13, v13
	v_add_f32_e32 v12, v12, v17
	s_delay_alu instid0(VALU_DEP_1) | instskip(SKIP_2) | instid1(VALU_DEP_1)
	v_exp_f32_e32 v12, v12
	s_waitcnt_depctr 0xfff
	v_ldexp_f32 v12, v12, v13
	v_cndmask_b32_e32 v12, 0, v12, vcc_lo
	v_cmp_nlt_f32_e32 vcc_lo, 0x42b17218, v93
	s_delay_alu instid0(VALU_DEP_2) | instskip(NEXT) | instid1(VALU_DEP_1)
	v_cndmask_b32_e32 v17, 0x7f800000, v12, vcc_lo
	v_add_f32_e32 v93, 1.0, v17
	s_delay_alu instid0(VALU_DEP_1) | instskip(NEXT) | instid1(VALU_DEP_1)
	v_cvt_f64_f32_e32 v[12:13], v93
	v_frexp_exp_i32_f64_e32 v12, v[12:13]
	v_frexp_mant_f32_e32 v13, v93
	s_delay_alu instid0(VALU_DEP_1) | instskip(SKIP_1) | instid1(VALU_DEP_1)
	v_cmp_gt_f32_e32 vcc_lo, 0x3f2aaaab, v13
	v_add_f32_e32 v13, -1.0, v93
	v_sub_f32_e32 v95, v13, v93
	s_delay_alu instid0(VALU_DEP_1) | instskip(SKIP_1) | instid1(VALU_DEP_1)
	v_add_f32_e32 v95, 1.0, v95
	v_subrev_co_ci_u32_e32 v12, vcc_lo, 0, v12, vcc_lo
	v_sub_nc_u32_e32 v94, 0, v12
	v_cvt_f32_i32_e32 v12, v12
	s_delay_alu instid0(VALU_DEP_2) | instskip(NEXT) | instid1(VALU_DEP_1)
	v_ldexp_f32 v93, v93, v94
	v_add_f32_e32 v96, 1.0, v93
	v_sub_f32_e32 v13, v17, v13
	v_cmp_eq_f32_e32 vcc_lo, 0x7f800000, v17
	v_cmp_gt_f32_e64 s28, 0x33800000, v17
	s_delay_alu instid0(VALU_DEP_3) | instskip(SKIP_1) | instid1(VALU_DEP_3)
	v_add_f32_e32 v13, v13, v95
	v_add_f32_e32 v95, -1.0, v96
	s_or_b32 vcc_lo, s28, vcc_lo
	s_delay_alu instid0(VALU_DEP_2) | instskip(NEXT) | instid1(VALU_DEP_2)
	v_ldexp_f32 v13, v13, v94
	v_dual_add_f32 v94, -1.0, v93 :: v_dual_sub_f32 v95, v93, v95
	s_delay_alu instid0(VALU_DEP_1) | instskip(NEXT) | instid1(VALU_DEP_2)
	v_add_f32_e32 v97, 1.0, v94
	v_add_f32_e32 v95, v13, v95
	s_delay_alu instid0(VALU_DEP_2) | instskip(NEXT) | instid1(VALU_DEP_1)
	v_sub_f32_e32 v93, v93, v97
	v_add_f32_e32 v13, v13, v93
	s_delay_alu instid0(VALU_DEP_1) | instskip(NEXT) | instid1(VALU_DEP_1)
	v_dual_add_f32 v98, v94, v13 :: v_dual_add_f32 v97, v96, v95
	v_sub_f32_e32 v94, v94, v98
	s_delay_alu instid0(VALU_DEP_2) | instskip(NEXT) | instid1(VALU_DEP_1)
	v_rcp_f32_e32 v93, v97
	v_dual_sub_f32 v96, v96, v97 :: v_dual_add_f32 v13, v13, v94
	s_delay_alu instid0(VALU_DEP_1) | instskip(SKIP_2) | instid1(VALU_DEP_1)
	v_add_f32_e32 v95, v95, v96
	s_waitcnt_depctr 0xfff
	v_mul_f32_e32 v99, v98, v93
	v_mul_f32_e32 v100, v97, v99
	s_delay_alu instid0(VALU_DEP_1) | instskip(NEXT) | instid1(VALU_DEP_1)
	v_fma_f32 v96, v99, v97, -v100
	v_fmac_f32_e32 v96, v99, v95
	s_delay_alu instid0(VALU_DEP_1) | instskip(NEXT) | instid1(VALU_DEP_1)
	v_add_f32_e32 v101, v100, v96
	v_sub_f32_e32 v102, v98, v101
	v_sub_f32_e32 v94, v101, v100
	s_delay_alu instid0(VALU_DEP_2) | instskip(NEXT) | instid1(VALU_DEP_2)
	v_sub_f32_e32 v98, v98, v102
	v_sub_f32_e32 v94, v94, v96
	s_delay_alu instid0(VALU_DEP_2) | instskip(NEXT) | instid1(VALU_DEP_1)
	v_sub_f32_e32 v98, v98, v101
	v_add_f32_e32 v13, v13, v98
	s_delay_alu instid0(VALU_DEP_1) | instskip(NEXT) | instid1(VALU_DEP_1)
	v_add_f32_e32 v13, v94, v13
	v_add_f32_e32 v94, v102, v13
	s_delay_alu instid0(VALU_DEP_1) | instskip(NEXT) | instid1(VALU_DEP_1)
	v_mul_f32_e32 v96, v93, v94
	v_dual_sub_f32 v101, v102, v94 :: v_dual_mul_f32 v98, v97, v96
	s_delay_alu instid0(VALU_DEP_1) | instskip(NEXT) | instid1(VALU_DEP_1)
	v_fma_f32 v97, v96, v97, -v98
	v_fmac_f32_e32 v97, v96, v95
	s_delay_alu instid0(VALU_DEP_1) | instskip(NEXT) | instid1(VALU_DEP_1)
	v_add_f32_e32 v95, v98, v97
	v_dual_add_f32 v13, v13, v101 :: v_dual_sub_f32 v100, v94, v95
	s_delay_alu instid0(VALU_DEP_1) | instskip(NEXT) | instid1(VALU_DEP_1)
	v_sub_f32_e32 v94, v94, v100
	v_sub_f32_e32 v94, v94, v95
	s_delay_alu instid0(VALU_DEP_1) | instskip(SKIP_1) | instid1(VALU_DEP_1)
	v_dual_add_f32 v13, v13, v94 :: v_dual_add_f32 v94, v99, v96
	v_sub_f32_e32 v98, v95, v98
	v_sub_f32_e32 v95, v98, v97
	s_delay_alu instid0(VALU_DEP_1) | instskip(NEXT) | instid1(VALU_DEP_4)
	v_add_f32_e32 v13, v95, v13
	v_sub_f32_e32 v95, v94, v99
	s_delay_alu instid0(VALU_DEP_2) | instskip(NEXT) | instid1(VALU_DEP_2)
	v_add_f32_e32 v13, v100, v13
	v_sub_f32_e32 v95, v96, v95
	s_delay_alu instid0(VALU_DEP_2) | instskip(NEXT) | instid1(VALU_DEP_1)
	v_mul_f32_e32 v13, v93, v13
	v_add_f32_e32 v13, v95, v13
	s_delay_alu instid0(VALU_DEP_1) | instskip(NEXT) | instid1(VALU_DEP_1)
	v_add_f32_e32 v93, v94, v13
	v_mul_f32_e32 v95, v93, v93
	s_delay_alu instid0(VALU_DEP_1) | instskip(SKIP_1) | instid1(VALU_DEP_2)
	v_fmaak_f32 v96, s83, v95, 0x3ecc95a3
	v_mul_f32_e32 v97, v93, v95
	v_fmaak_f32 v95, v95, v96, 0x3f2aaada
	v_ldexp_f32 v96, v93, 1
	v_sub_f32_e32 v93, v93, v94
	s_delay_alu instid0(VALU_DEP_3) | instskip(SKIP_1) | instid1(VALU_DEP_2)
	v_mul_f32_e32 v95, v97, v95
	v_mul_f32_e32 v97, 0x3f317218, v12
	v_dual_sub_f32 v13, v13, v93 :: v_dual_add_f32 v94, v96, v95
	s_delay_alu instid0(VALU_DEP_1) | instskip(NEXT) | instid1(VALU_DEP_2)
	v_ldexp_f32 v13, v13, 1
	v_sub_f32_e32 v93, v94, v96
	s_delay_alu instid0(VALU_DEP_4) | instskip(NEXT) | instid1(VALU_DEP_1)
	v_fma_f32 v96, 0x3f317218, v12, -v97
	v_dual_sub_f32 v93, v95, v93 :: v_dual_fmac_f32 v96, 0xb102e308, v12
	s_delay_alu instid0(VALU_DEP_1) | instskip(NEXT) | instid1(VALU_DEP_2)
	v_add_f32_e32 v12, v13, v93
	v_add_f32_e32 v13, v97, v96
	s_delay_alu instid0(VALU_DEP_2) | instskip(NEXT) | instid1(VALU_DEP_2)
	v_add_f32_e32 v93, v94, v12
	v_sub_f32_e32 v97, v13, v97
	s_delay_alu instid0(VALU_DEP_2) | instskip(SKIP_1) | instid1(VALU_DEP_3)
	v_add_f32_e32 v95, v13, v93
	v_sub_f32_e32 v94, v93, v94
	v_sub_f32_e32 v96, v96, v97
	s_delay_alu instid0(VALU_DEP_3) | instskip(NEXT) | instid1(VALU_DEP_3)
	v_sub_f32_e32 v98, v95, v13
	v_sub_f32_e32 v12, v12, v94
	s_delay_alu instid0(VALU_DEP_2) | instskip(NEXT) | instid1(VALU_DEP_2)
	v_sub_f32_e32 v99, v95, v98
	v_dual_sub_f32 v93, v93, v98 :: v_dual_add_f32 v94, v96, v12
	s_delay_alu instid0(VALU_DEP_2) | instskip(NEXT) | instid1(VALU_DEP_1)
	v_sub_f32_e32 v13, v13, v99
	v_add_f32_e32 v13, v93, v13
	s_delay_alu instid0(VALU_DEP_3) | instskip(NEXT) | instid1(VALU_DEP_2)
	v_sub_f32_e32 v93, v94, v96
	v_add_f32_e32 v13, v94, v13
	s_delay_alu instid0(VALU_DEP_2) | instskip(SKIP_1) | instid1(VALU_DEP_1)
	v_sub_f32_e32 v12, v12, v93
	v_sub_f32_e32 v94, v94, v93
	v_dual_add_f32 v97, v95, v13 :: v_dual_sub_f32 v94, v96, v94
	s_delay_alu instid0(VALU_DEP_1) | instskip(NEXT) | instid1(VALU_DEP_1)
	v_dual_sub_f32 v93, v97, v95 :: v_dual_add_f32 v12, v12, v94
	v_sub_f32_e32 v13, v13, v93
	s_delay_alu instid0(VALU_DEP_1) | instskip(NEXT) | instid1(VALU_DEP_1)
	v_add_f32_e32 v12, v12, v13
	v_add_f32_e32 v12, v97, v12
	s_delay_alu instid0(VALU_DEP_1)
	v_cndmask_b32_e32 v93, v12, v17, vcc_lo
.LBB55_82:                              ;   in Loop: Header=BB55_12 Depth=1
	s_or_b32 exec_lo, exec_lo, s29
	v_lshlrev_b32_e32 v12, 16, v14
	s_delay_alu instid0(VALU_DEP_1) | instskip(NEXT) | instid1(VALU_DEP_1)
	v_add_f32_e32 v94, s68, v12
	v_cmp_ge_f32_e32 vcc_lo, 0x41a00000, v94
	s_and_b32 s28, s79, vcc_lo
	s_delay_alu instid0(SALU_CYCLE_1)
	s_and_saveexec_b32 s29, s28
	s_cbranch_execz .LBB55_84
; %bb.83:                               ;   in Loop: Header=BB55_12 Depth=1
	v_mul_f32_e32 v12, 0x3fb8aa3b, v94
	v_cmp_ngt_f32_e32 vcc_lo, 0xc2ce8ed0, v94
	s_delay_alu instid0(VALU_DEP_2) | instskip(SKIP_1) | instid1(VALU_DEP_1)
	v_rndne_f32_e32 v13, v12
	v_fma_f32 v17, 0x3fb8aa3b, v94, -v12
	v_dual_sub_f32 v12, v12, v13 :: v_dual_fmac_f32 v17, 0x32a5705f, v94
	v_cvt_i32_f32_e32 v13, v13
	s_delay_alu instid0(VALU_DEP_2) | instskip(NEXT) | instid1(VALU_DEP_1)
	v_add_f32_e32 v12, v12, v17
	v_exp_f32_e32 v12, v12
	s_waitcnt_depctr 0xfff
	v_ldexp_f32 v12, v12, v13
	s_delay_alu instid0(VALU_DEP_1) | instskip(SKIP_1) | instid1(VALU_DEP_2)
	v_cndmask_b32_e32 v12, 0, v12, vcc_lo
	v_cmp_nlt_f32_e32 vcc_lo, 0x42b17218, v94
	v_cndmask_b32_e32 v17, 0x7f800000, v12, vcc_lo
	s_delay_alu instid0(VALU_DEP_1) | instskip(NEXT) | instid1(VALU_DEP_1)
	v_add_f32_e32 v94, 1.0, v17
	v_cvt_f64_f32_e32 v[12:13], v94
	s_delay_alu instid0(VALU_DEP_1) | instskip(SKIP_1) | instid1(VALU_DEP_1)
	v_frexp_exp_i32_f64_e32 v12, v[12:13]
	v_frexp_mant_f32_e32 v13, v94
	v_cmp_gt_f32_e32 vcc_lo, 0x3f2aaaab, v13
	v_add_f32_e32 v13, -1.0, v94
	s_delay_alu instid0(VALU_DEP_1) | instskip(SKIP_2) | instid1(VALU_DEP_3)
	v_sub_f32_e32 v96, v13, v94
	v_sub_f32_e32 v13, v17, v13
	v_cmp_gt_f32_e64 s28, 0x33800000, v17
	v_add_f32_e32 v96, 1.0, v96
	s_delay_alu instid0(VALU_DEP_1) | instskip(SKIP_2) | instid1(VALU_DEP_2)
	v_add_f32_e32 v13, v13, v96
	v_subrev_co_ci_u32_e32 v12, vcc_lo, 0, v12, vcc_lo
	v_cmp_eq_f32_e32 vcc_lo, 0x7f800000, v17
	v_sub_nc_u32_e32 v95, 0, v12
	v_cvt_f32_i32_e32 v12, v12
	s_or_b32 vcc_lo, s28, vcc_lo
	s_delay_alu instid0(VALU_DEP_2) | instskip(SKIP_1) | instid1(VALU_DEP_2)
	v_ldexp_f32 v94, v94, v95
	v_ldexp_f32 v13, v13, v95
	v_add_f32_e32 v95, -1.0, v94
	s_delay_alu instid0(VALU_DEP_1) | instskip(NEXT) | instid1(VALU_DEP_1)
	v_dual_add_f32 v97, 1.0, v94 :: v_dual_add_f32 v98, 1.0, v95
	v_add_f32_e32 v96, -1.0, v97
	s_delay_alu instid0(VALU_DEP_1) | instskip(NEXT) | instid1(VALU_DEP_3)
	v_sub_f32_e32 v96, v94, v96
	v_sub_f32_e32 v94, v94, v98
	s_delay_alu instid0(VALU_DEP_2) | instskip(NEXT) | instid1(VALU_DEP_2)
	v_add_f32_e32 v96, v13, v96
	v_add_f32_e32 v13, v13, v94
	s_delay_alu instid0(VALU_DEP_1) | instskip(NEXT) | instid1(VALU_DEP_1)
	v_dual_add_f32 v99, v95, v13 :: v_dual_add_f32 v98, v97, v96
	v_sub_f32_e32 v95, v95, v99
	s_delay_alu instid0(VALU_DEP_2) | instskip(SKIP_1) | instid1(VALU_DEP_1)
	v_rcp_f32_e32 v94, v98
	v_sub_f32_e32 v97, v97, v98
	v_dual_add_f32 v13, v13, v95 :: v_dual_add_f32 v96, v96, v97
	s_waitcnt_depctr 0xfff
	v_mul_f32_e32 v100, v99, v94
	s_delay_alu instid0(VALU_DEP_1) | instskip(NEXT) | instid1(VALU_DEP_1)
	v_mul_f32_e32 v101, v98, v100
	v_fma_f32 v97, v100, v98, -v101
	s_delay_alu instid0(VALU_DEP_1) | instskip(NEXT) | instid1(VALU_DEP_1)
	v_fmac_f32_e32 v97, v100, v96
	v_add_f32_e32 v102, v101, v97
	s_delay_alu instid0(VALU_DEP_1) | instskip(SKIP_1) | instid1(VALU_DEP_2)
	v_sub_f32_e32 v103, v99, v102
	v_sub_f32_e32 v95, v102, v101
	;; [unrolled: 1-line block ×3, first 2 shown]
	s_delay_alu instid0(VALU_DEP_2) | instskip(NEXT) | instid1(VALU_DEP_2)
	v_sub_f32_e32 v95, v95, v97
	v_sub_f32_e32 v99, v99, v102
	s_delay_alu instid0(VALU_DEP_1) | instskip(NEXT) | instid1(VALU_DEP_1)
	v_add_f32_e32 v13, v13, v99
	v_add_f32_e32 v13, v95, v13
	s_delay_alu instid0(VALU_DEP_1) | instskip(NEXT) | instid1(VALU_DEP_1)
	v_add_f32_e32 v95, v103, v13
	v_mul_f32_e32 v97, v94, v95
	s_delay_alu instid0(VALU_DEP_1) | instskip(NEXT) | instid1(VALU_DEP_1)
	v_dual_sub_f32 v102, v103, v95 :: v_dual_mul_f32 v99, v98, v97
	v_add_f32_e32 v13, v13, v102
	s_delay_alu instid0(VALU_DEP_2) | instskip(NEXT) | instid1(VALU_DEP_1)
	v_fma_f32 v98, v97, v98, -v99
	v_fmac_f32_e32 v98, v97, v96
	s_delay_alu instid0(VALU_DEP_1) | instskip(NEXT) | instid1(VALU_DEP_1)
	v_add_f32_e32 v96, v99, v98
	v_sub_f32_e32 v101, v95, v96
	s_delay_alu instid0(VALU_DEP_1) | instskip(NEXT) | instid1(VALU_DEP_1)
	v_sub_f32_e32 v95, v95, v101
	v_sub_f32_e32 v95, v95, v96
	s_delay_alu instid0(VALU_DEP_1) | instskip(SKIP_2) | instid1(VALU_DEP_1)
	v_add_f32_e32 v13, v13, v95
	v_add_f32_e32 v95, v100, v97
	v_sub_f32_e32 v99, v96, v99
	v_sub_f32_e32 v96, v99, v98
	s_delay_alu instid0(VALU_DEP_1) | instskip(NEXT) | instid1(VALU_DEP_1)
	v_dual_add_f32 v13, v96, v13 :: v_dual_sub_f32 v96, v95, v100
	v_add_f32_e32 v13, v101, v13
	s_delay_alu instid0(VALU_DEP_1) | instskip(NEXT) | instid1(VALU_DEP_1)
	v_dual_sub_f32 v96, v97, v96 :: v_dual_mul_f32 v13, v94, v13
	v_add_f32_e32 v13, v96, v13
	s_delay_alu instid0(VALU_DEP_1) | instskip(NEXT) | instid1(VALU_DEP_1)
	v_add_f32_e32 v94, v95, v13
	v_mul_f32_e32 v96, v94, v94
	s_delay_alu instid0(VALU_DEP_1) | instskip(SKIP_1) | instid1(VALU_DEP_2)
	v_fmaak_f32 v97, s83, v96, 0x3ecc95a3
	v_mul_f32_e32 v98, v94, v96
	v_fmaak_f32 v96, v96, v97, 0x3f2aaada
	v_ldexp_f32 v97, v94, 1
	v_sub_f32_e32 v94, v94, v95
	s_delay_alu instid0(VALU_DEP_3) | instskip(NEXT) | instid1(VALU_DEP_2)
	v_mul_f32_e32 v96, v98, v96
	v_dual_mul_f32 v98, 0x3f317218, v12 :: v_dual_sub_f32 v13, v13, v94
	s_delay_alu instid0(VALU_DEP_2) | instskip(NEXT) | instid1(VALU_DEP_2)
	v_add_f32_e32 v95, v97, v96
	v_ldexp_f32 v13, v13, 1
	s_delay_alu instid0(VALU_DEP_2) | instskip(NEXT) | instid1(VALU_DEP_4)
	v_sub_f32_e32 v94, v95, v97
	v_fma_f32 v97, 0x3f317218, v12, -v98
	s_delay_alu instid0(VALU_DEP_1) | instskip(NEXT) | instid1(VALU_DEP_1)
	v_dual_sub_f32 v94, v96, v94 :: v_dual_fmac_f32 v97, 0xb102e308, v12
	v_add_f32_e32 v12, v13, v94
	s_delay_alu instid0(VALU_DEP_1) | instskip(NEXT) | instid1(VALU_DEP_1)
	v_add_f32_e32 v94, v95, v12
	v_sub_f32_e32 v95, v94, v95
	s_delay_alu instid0(VALU_DEP_1) | instskip(NEXT) | instid1(VALU_DEP_1)
	v_dual_sub_f32 v12, v12, v95 :: v_dual_add_f32 v13, v98, v97
	v_add_f32_e32 v96, v13, v94
	s_delay_alu instid0(VALU_DEP_1) | instskip(NEXT) | instid1(VALU_DEP_1)
	v_dual_sub_f32 v98, v13, v98 :: v_dual_sub_f32 v99, v96, v13
	v_dual_sub_f32 v97, v97, v98 :: v_dual_sub_f32 v100, v96, v99
	s_delay_alu instid0(VALU_DEP_1) | instskip(NEXT) | instid1(VALU_DEP_2)
	v_dual_sub_f32 v94, v94, v99 :: v_dual_add_f32 v95, v97, v12
	v_sub_f32_e32 v13, v13, v100
	s_delay_alu instid0(VALU_DEP_1) | instskip(NEXT) | instid1(VALU_DEP_3)
	v_add_f32_e32 v13, v94, v13
	v_sub_f32_e32 v94, v95, v97
	s_delay_alu instid0(VALU_DEP_2) | instskip(NEXT) | instid1(VALU_DEP_2)
	v_add_f32_e32 v13, v95, v13
	v_sub_f32_e32 v95, v95, v94
	v_sub_f32_e32 v12, v12, v94
	s_delay_alu instid0(VALU_DEP_2) | instskip(NEXT) | instid1(VALU_DEP_1)
	v_dual_add_f32 v98, v96, v13 :: v_dual_sub_f32 v95, v97, v95
	v_sub_f32_e32 v94, v98, v96
	s_delay_alu instid0(VALU_DEP_1) | instskip(NEXT) | instid1(VALU_DEP_1)
	v_dual_add_f32 v12, v12, v95 :: v_dual_sub_f32 v13, v13, v94
	v_add_f32_e32 v12, v12, v13
	s_delay_alu instid0(VALU_DEP_1) | instskip(NEXT) | instid1(VALU_DEP_1)
	v_add_f32_e32 v12, v98, v12
	v_cndmask_b32_e32 v94, v12, v17, vcc_lo
.LBB55_84:                              ;   in Loop: Header=BB55_12 Depth=1
	s_or_b32 exec_lo, exec_lo, s29
	v_and_b32_e32 v12, 0xffff0000, v14
	s_delay_alu instid0(VALU_DEP_1) | instskip(NEXT) | instid1(VALU_DEP_1)
	v_add_f32_e32 v95, s68, v12
	v_cmp_ge_f32_e32 vcc_lo, 0x41a00000, v95
	s_and_b32 s28, s79, vcc_lo
	s_delay_alu instid0(SALU_CYCLE_1)
	s_and_saveexec_b32 s29, s28
	s_cbranch_execz .LBB55_86
; %bb.85:                               ;   in Loop: Header=BB55_12 Depth=1
	v_mul_f32_e32 v12, 0x3fb8aa3b, v95
	v_cmp_ngt_f32_e32 vcc_lo, 0xc2ce8ed0, v95
	s_delay_alu instid0(VALU_DEP_2) | instskip(SKIP_1) | instid1(VALU_DEP_2)
	v_rndne_f32_e32 v13, v12
	v_fma_f32 v14, 0x3fb8aa3b, v95, -v12
	v_sub_f32_e32 v12, v12, v13
	s_delay_alu instid0(VALU_DEP_2) | instskip(SKIP_1) | instid1(VALU_DEP_2)
	v_fmac_f32_e32 v14, 0x32a5705f, v95
	v_cvt_i32_f32_e32 v13, v13
	v_add_f32_e32 v12, v12, v14
	s_delay_alu instid0(VALU_DEP_1) | instskip(SKIP_2) | instid1(VALU_DEP_1)
	v_exp_f32_e32 v12, v12
	s_waitcnt_depctr 0xfff
	v_ldexp_f32 v12, v12, v13
	v_cndmask_b32_e32 v12, 0, v12, vcc_lo
	v_cmp_nlt_f32_e32 vcc_lo, 0x42b17218, v95
	s_delay_alu instid0(VALU_DEP_2) | instskip(NEXT) | instid1(VALU_DEP_1)
	v_cndmask_b32_e32 v14, 0x7f800000, v12, vcc_lo
	v_add_f32_e32 v17, 1.0, v14
	s_delay_alu instid0(VALU_DEP_1) | instskip(NEXT) | instid1(VALU_DEP_1)
	v_cvt_f64_f32_e32 v[12:13], v17
	v_frexp_exp_i32_f64_e32 v12, v[12:13]
	v_frexp_mant_f32_e32 v13, v17
	s_delay_alu instid0(VALU_DEP_1) | instskip(SKIP_1) | instid1(VALU_DEP_1)
	v_cmp_gt_f32_e32 vcc_lo, 0x3f2aaaab, v13
	v_add_f32_e32 v13, -1.0, v17
	v_sub_f32_e32 v96, v13, v17
	v_sub_f32_e32 v13, v14, v13
	v_subrev_co_ci_u32_e32 v12, vcc_lo, 0, v12, vcc_lo
	s_delay_alu instid0(VALU_DEP_1) | instskip(SKIP_1) | instid1(VALU_DEP_2)
	v_sub_nc_u32_e32 v95, 0, v12
	v_cvt_f32_i32_e32 v12, v12
	v_ldexp_f32 v17, v17, v95
	s_delay_alu instid0(VALU_DEP_1) | instskip(NEXT) | instid1(VALU_DEP_1)
	v_dual_add_f32 v96, 1.0, v96 :: v_dual_add_f32 v97, 1.0, v17
	v_dual_add_f32 v13, v13, v96 :: v_dual_add_f32 v96, -1.0, v97
	s_delay_alu instid0(VALU_DEP_1) | instskip(SKIP_4) | instid1(VALU_DEP_4)
	v_ldexp_f32 v13, v13, v95
	v_add_f32_e32 v95, -1.0, v17
	v_cmp_eq_f32_e32 vcc_lo, 0x7f800000, v14
	v_cmp_gt_f32_e64 s28, 0x33800000, v14
	v_sub_f32_e32 v96, v17, v96
	v_add_f32_e32 v98, 1.0, v95
	s_delay_alu instid0(VALU_DEP_3) | instskip(NEXT) | instid1(VALU_DEP_2)
	s_or_b32 vcc_lo, s28, vcc_lo
	v_add_f32_e32 v96, v13, v96
	s_delay_alu instid0(VALU_DEP_2) | instskip(NEXT) | instid1(VALU_DEP_1)
	v_sub_f32_e32 v17, v17, v98
	v_add_f32_e32 v13, v13, v17
	s_delay_alu instid0(VALU_DEP_1) | instskip(NEXT) | instid1(VALU_DEP_1)
	v_dual_add_f32 v99, v95, v13 :: v_dual_add_f32 v98, v97, v96
	v_sub_f32_e32 v95, v95, v99
	s_delay_alu instid0(VALU_DEP_2) | instskip(SKIP_1) | instid1(VALU_DEP_1)
	v_rcp_f32_e32 v17, v98
	v_sub_f32_e32 v97, v97, v98
	v_dual_add_f32 v13, v13, v95 :: v_dual_add_f32 v96, v96, v97
	s_waitcnt_depctr 0xfff
	v_mul_f32_e32 v100, v99, v17
	s_delay_alu instid0(VALU_DEP_1) | instskip(NEXT) | instid1(VALU_DEP_1)
	v_mul_f32_e32 v101, v98, v100
	v_fma_f32 v97, v100, v98, -v101
	s_delay_alu instid0(VALU_DEP_1) | instskip(NEXT) | instid1(VALU_DEP_1)
	v_fmac_f32_e32 v97, v100, v96
	v_add_f32_e32 v102, v101, v97
	s_delay_alu instid0(VALU_DEP_1) | instskip(NEXT) | instid1(VALU_DEP_1)
	v_sub_f32_e32 v103, v99, v102
	v_sub_f32_e32 v99, v99, v103
	;; [unrolled: 1-line block ×3, first 2 shown]
	s_delay_alu instid0(VALU_DEP_2) | instskip(NEXT) | instid1(VALU_DEP_2)
	v_sub_f32_e32 v99, v99, v102
	v_sub_f32_e32 v95, v95, v97
	s_delay_alu instid0(VALU_DEP_2) | instskip(NEXT) | instid1(VALU_DEP_1)
	v_add_f32_e32 v13, v13, v99
	v_add_f32_e32 v13, v95, v13
	s_delay_alu instid0(VALU_DEP_1) | instskip(NEXT) | instid1(VALU_DEP_1)
	v_add_f32_e32 v95, v103, v13
	v_mul_f32_e32 v97, v17, v95
	s_delay_alu instid0(VALU_DEP_1) | instskip(NEXT) | instid1(VALU_DEP_1)
	v_dual_sub_f32 v102, v103, v95 :: v_dual_mul_f32 v99, v98, v97
	v_add_f32_e32 v13, v13, v102
	s_delay_alu instid0(VALU_DEP_2) | instskip(NEXT) | instid1(VALU_DEP_1)
	v_fma_f32 v98, v97, v98, -v99
	v_fmac_f32_e32 v98, v97, v96
	s_delay_alu instid0(VALU_DEP_1) | instskip(NEXT) | instid1(VALU_DEP_1)
	v_add_f32_e32 v96, v99, v98
	v_sub_f32_e32 v101, v95, v96
	v_sub_f32_e32 v99, v96, v99
	s_delay_alu instid0(VALU_DEP_2) | instskip(NEXT) | instid1(VALU_DEP_1)
	v_sub_f32_e32 v95, v95, v101
	v_sub_f32_e32 v95, v95, v96
	s_delay_alu instid0(VALU_DEP_1) | instskip(SKIP_1) | instid1(VALU_DEP_1)
	v_dual_sub_f32 v96, v99, v98 :: v_dual_add_f32 v13, v13, v95
	v_add_f32_e32 v95, v100, v97
	v_dual_add_f32 v13, v96, v13 :: v_dual_sub_f32 v96, v95, v100
	s_delay_alu instid0(VALU_DEP_1) | instskip(NEXT) | instid1(VALU_DEP_2)
	v_add_f32_e32 v13, v101, v13
	v_sub_f32_e32 v96, v97, v96
	s_delay_alu instid0(VALU_DEP_2) | instskip(NEXT) | instid1(VALU_DEP_1)
	v_mul_f32_e32 v13, v17, v13
	v_add_f32_e32 v13, v96, v13
	s_delay_alu instid0(VALU_DEP_1) | instskip(NEXT) | instid1(VALU_DEP_1)
	v_add_f32_e32 v17, v95, v13
	v_mul_f32_e32 v96, v17, v17
	s_delay_alu instid0(VALU_DEP_1) | instskip(SKIP_1) | instid1(VALU_DEP_2)
	v_fmaak_f32 v97, s83, v96, 0x3ecc95a3
	v_mul_f32_e32 v98, v17, v96
	v_fmaak_f32 v96, v96, v97, 0x3f2aaada
	v_ldexp_f32 v97, v17, 1
	s_delay_alu instid0(VALU_DEP_2) | instskip(NEXT) | instid1(VALU_DEP_1)
	v_dual_sub_f32 v17, v17, v95 :: v_dual_mul_f32 v96, v98, v96
	v_dual_mul_f32 v98, 0x3f317218, v12 :: v_dual_sub_f32 v13, v13, v17
	s_delay_alu instid0(VALU_DEP_2) | instskip(NEXT) | instid1(VALU_DEP_2)
	v_add_f32_e32 v95, v97, v96
	v_ldexp_f32 v13, v13, 1
	s_delay_alu instid0(VALU_DEP_2) | instskip(NEXT) | instid1(VALU_DEP_4)
	v_sub_f32_e32 v17, v95, v97
	v_fma_f32 v97, 0x3f317218, v12, -v98
	s_delay_alu instid0(VALU_DEP_2) | instskip(NEXT) | instid1(VALU_DEP_1)
	v_sub_f32_e32 v17, v96, v17
	v_dual_fmac_f32 v97, 0xb102e308, v12 :: v_dual_add_f32 v12, v13, v17
	s_delay_alu instid0(VALU_DEP_1) | instskip(NEXT) | instid1(VALU_DEP_1)
	v_add_f32_e32 v13, v98, v97
	v_dual_add_f32 v17, v95, v12 :: v_dual_sub_f32 v98, v13, v98
	s_delay_alu instid0(VALU_DEP_1) | instskip(SKIP_1) | instid1(VALU_DEP_3)
	v_add_f32_e32 v96, v13, v17
	v_sub_f32_e32 v95, v17, v95
	v_sub_f32_e32 v97, v97, v98
	s_delay_alu instid0(VALU_DEP_3) | instskip(NEXT) | instid1(VALU_DEP_3)
	v_sub_f32_e32 v99, v96, v13
	v_sub_f32_e32 v12, v12, v95
	s_delay_alu instid0(VALU_DEP_2) | instskip(SKIP_1) | instid1(VALU_DEP_3)
	v_sub_f32_e32 v100, v96, v99
	v_sub_f32_e32 v17, v17, v99
	v_add_f32_e32 v95, v97, v12
	s_delay_alu instid0(VALU_DEP_3) | instskip(NEXT) | instid1(VALU_DEP_1)
	v_sub_f32_e32 v13, v13, v100
	v_add_f32_e32 v13, v17, v13
	s_delay_alu instid0(VALU_DEP_3) | instskip(NEXT) | instid1(VALU_DEP_2)
	v_sub_f32_e32 v17, v95, v97
	v_add_f32_e32 v13, v95, v13
	s_delay_alu instid0(VALU_DEP_2) | instskip(SKIP_1) | instid1(VALU_DEP_2)
	v_sub_f32_e32 v95, v95, v17
	v_sub_f32_e32 v12, v12, v17
	v_dual_add_f32 v98, v96, v13 :: v_dual_sub_f32 v95, v97, v95
	s_delay_alu instid0(VALU_DEP_1) | instskip(NEXT) | instid1(VALU_DEP_1)
	v_dual_sub_f32 v17, v98, v96 :: v_dual_add_f32 v12, v12, v95
	v_sub_f32_e32 v13, v13, v17
	s_delay_alu instid0(VALU_DEP_1) | instskip(NEXT) | instid1(VALU_DEP_1)
	v_add_f32_e32 v12, v12, v13
	v_add_f32_e32 v12, v98, v12
	s_delay_alu instid0(VALU_DEP_1)
	v_cndmask_b32_e32 v95, v12, v14, vcc_lo
.LBB55_86:                              ;   in Loop: Header=BB55_12 Depth=1
	s_or_b32 exec_lo, exec_lo, s29
	v_lshlrev_b32_e32 v12, 16, v15
	s_delay_alu instid0(VALU_DEP_1) | instskip(NEXT) | instid1(VALU_DEP_1)
	v_add_f32_e32 v96, s68, v12
	v_cmp_ge_f32_e32 vcc_lo, 0x41a00000, v96
	s_and_b32 s28, s79, vcc_lo
	s_delay_alu instid0(SALU_CYCLE_1)
	s_and_saveexec_b32 s29, s28
	s_cbranch_execz .LBB55_88
; %bb.87:                               ;   in Loop: Header=BB55_12 Depth=1
	v_mul_f32_e32 v12, 0x3fb8aa3b, v96
	v_cmp_ngt_f32_e32 vcc_lo, 0xc2ce8ed0, v96
	s_delay_alu instid0(VALU_DEP_2) | instskip(SKIP_1) | instid1(VALU_DEP_2)
	v_rndne_f32_e32 v13, v12
	v_fma_f32 v14, 0x3fb8aa3b, v96, -v12
	v_sub_f32_e32 v12, v12, v13
	s_delay_alu instid0(VALU_DEP_2) | instskip(SKIP_1) | instid1(VALU_DEP_2)
	v_fmac_f32_e32 v14, 0x32a5705f, v96
	v_cvt_i32_f32_e32 v13, v13
	v_add_f32_e32 v12, v12, v14
	s_delay_alu instid0(VALU_DEP_1) | instskip(SKIP_2) | instid1(VALU_DEP_1)
	v_exp_f32_e32 v12, v12
	s_waitcnt_depctr 0xfff
	v_ldexp_f32 v12, v12, v13
	v_cndmask_b32_e32 v12, 0, v12, vcc_lo
	v_cmp_nlt_f32_e32 vcc_lo, 0x42b17218, v96
	s_delay_alu instid0(VALU_DEP_2) | instskip(NEXT) | instid1(VALU_DEP_1)
	v_cndmask_b32_e32 v14, 0x7f800000, v12, vcc_lo
	v_add_f32_e32 v17, 1.0, v14
	s_delay_alu instid0(VALU_DEP_1) | instskip(NEXT) | instid1(VALU_DEP_1)
	v_cvt_f64_f32_e32 v[12:13], v17
	v_frexp_exp_i32_f64_e32 v12, v[12:13]
	v_frexp_mant_f32_e32 v13, v17
	s_delay_alu instid0(VALU_DEP_1) | instskip(SKIP_1) | instid1(VALU_DEP_1)
	v_cmp_gt_f32_e32 vcc_lo, 0x3f2aaaab, v13
	v_add_f32_e32 v13, -1.0, v17
	v_sub_f32_e32 v97, v13, v17
	s_delay_alu instid0(VALU_DEP_1) | instskip(SKIP_2) | instid1(VALU_DEP_2)
	v_add_f32_e32 v97, 1.0, v97
	v_sub_f32_e32 v13, v14, v13
	v_cmp_gt_f32_e64 s28, 0x33800000, v14
	v_add_f32_e32 v13, v13, v97
	v_subrev_co_ci_u32_e32 v12, vcc_lo, 0, v12, vcc_lo
	v_cmp_eq_f32_e32 vcc_lo, 0x7f800000, v14
	s_delay_alu instid0(VALU_DEP_2) | instskip(SKIP_2) | instid1(VALU_DEP_2)
	v_sub_nc_u32_e32 v96, 0, v12
	v_cvt_f32_i32_e32 v12, v12
	s_or_b32 vcc_lo, s28, vcc_lo
	v_ldexp_f32 v17, v17, v96
	v_ldexp_f32 v13, v13, v96
	s_delay_alu instid0(VALU_DEP_2) | instskip(NEXT) | instid1(VALU_DEP_1)
	v_add_f32_e32 v96, -1.0, v17
	v_dual_add_f32 v98, 1.0, v17 :: v_dual_add_f32 v99, 1.0, v96
	s_delay_alu instid0(VALU_DEP_1) | instskip(NEXT) | instid1(VALU_DEP_1)
	v_add_f32_e32 v97, -1.0, v98
	v_sub_f32_e32 v97, v17, v97
	s_delay_alu instid0(VALU_DEP_3) | instskip(NEXT) | instid1(VALU_DEP_2)
	v_sub_f32_e32 v17, v17, v99
	v_add_f32_e32 v97, v13, v97
	s_delay_alu instid0(VALU_DEP_2) | instskip(NEXT) | instid1(VALU_DEP_1)
	v_add_f32_e32 v13, v13, v17
	v_add_f32_e32 v100, v96, v13
	s_delay_alu instid0(VALU_DEP_1) | instskip(NEXT) | instid1(VALU_DEP_1)
	v_dual_sub_f32 v96, v96, v100 :: v_dual_add_f32 v99, v98, v97
	v_add_f32_e32 v13, v13, v96
	s_delay_alu instid0(VALU_DEP_2) | instskip(SKIP_1) | instid1(VALU_DEP_1)
	v_rcp_f32_e32 v17, v99
	v_sub_f32_e32 v98, v98, v99
	v_add_f32_e32 v97, v97, v98
	s_waitcnt_depctr 0xfff
	v_mul_f32_e32 v101, v100, v17
	s_delay_alu instid0(VALU_DEP_1) | instskip(NEXT) | instid1(VALU_DEP_1)
	v_mul_f32_e32 v102, v99, v101
	v_fma_f32 v98, v101, v99, -v102
	s_delay_alu instid0(VALU_DEP_1) | instskip(NEXT) | instid1(VALU_DEP_1)
	v_fmac_f32_e32 v98, v101, v97
	v_add_f32_e32 v103, v102, v98
	s_delay_alu instid0(VALU_DEP_1) | instskip(SKIP_1) | instid1(VALU_DEP_2)
	v_sub_f32_e32 v104, v100, v103
	v_sub_f32_e32 v96, v103, v102
	;; [unrolled: 1-line block ×3, first 2 shown]
	s_delay_alu instid0(VALU_DEP_1) | instskip(NEXT) | instid1(VALU_DEP_1)
	v_sub_f32_e32 v100, v100, v103
	v_dual_sub_f32 v96, v96, v98 :: v_dual_add_f32 v13, v13, v100
	s_delay_alu instid0(VALU_DEP_1) | instskip(NEXT) | instid1(VALU_DEP_1)
	v_add_f32_e32 v13, v96, v13
	v_add_f32_e32 v96, v104, v13
	s_delay_alu instid0(VALU_DEP_1) | instskip(NEXT) | instid1(VALU_DEP_1)
	v_mul_f32_e32 v98, v17, v96
	v_dual_sub_f32 v103, v104, v96 :: v_dual_mul_f32 v100, v99, v98
	s_delay_alu instid0(VALU_DEP_1) | instskip(NEXT) | instid1(VALU_DEP_2)
	v_add_f32_e32 v13, v13, v103
	v_fma_f32 v99, v98, v99, -v100
	s_delay_alu instid0(VALU_DEP_1) | instskip(NEXT) | instid1(VALU_DEP_1)
	v_fmac_f32_e32 v99, v98, v97
	v_add_f32_e32 v97, v100, v99
	s_delay_alu instid0(VALU_DEP_1) | instskip(NEXT) | instid1(VALU_DEP_1)
	v_sub_f32_e32 v102, v96, v97
	v_sub_f32_e32 v96, v96, v102
	s_delay_alu instid0(VALU_DEP_1) | instskip(NEXT) | instid1(VALU_DEP_1)
	v_sub_f32_e32 v96, v96, v97
	v_add_f32_e32 v13, v13, v96
	v_add_f32_e32 v96, v101, v98
	v_sub_f32_e32 v100, v97, v100
	s_delay_alu instid0(VALU_DEP_1) | instskip(NEXT) | instid1(VALU_DEP_1)
	v_sub_f32_e32 v97, v100, v99
	v_add_f32_e32 v13, v97, v13
	s_delay_alu instid0(VALU_DEP_4) | instskip(NEXT) | instid1(VALU_DEP_2)
	v_sub_f32_e32 v97, v96, v101
	v_add_f32_e32 v13, v102, v13
	s_delay_alu instid0(VALU_DEP_2) | instskip(NEXT) | instid1(VALU_DEP_2)
	v_sub_f32_e32 v97, v98, v97
	v_mul_f32_e32 v13, v17, v13
	s_delay_alu instid0(VALU_DEP_1) | instskip(NEXT) | instid1(VALU_DEP_1)
	v_add_f32_e32 v13, v97, v13
	v_add_f32_e32 v17, v96, v13
	s_delay_alu instid0(VALU_DEP_1) | instskip(NEXT) | instid1(VALU_DEP_1)
	v_mul_f32_e32 v97, v17, v17
	v_fmaak_f32 v98, s83, v97, 0x3ecc95a3
	v_mul_f32_e32 v99, v17, v97
	s_delay_alu instid0(VALU_DEP_2) | instskip(SKIP_1) | instid1(VALU_DEP_2)
	v_fmaak_f32 v97, v97, v98, 0x3f2aaada
	v_ldexp_f32 v98, v17, 1
	v_mul_f32_e32 v97, v99, v97
	s_delay_alu instid0(VALU_DEP_1) | instskip(NEXT) | instid1(VALU_DEP_1)
	v_dual_sub_f32 v17, v17, v96 :: v_dual_add_f32 v96, v98, v97
	v_sub_f32_e32 v13, v13, v17
	s_delay_alu instid0(VALU_DEP_2) | instskip(NEXT) | instid1(VALU_DEP_2)
	v_sub_f32_e32 v17, v96, v98
	v_ldexp_f32 v13, v13, 1
	s_delay_alu instid0(VALU_DEP_2) | instskip(SKIP_1) | instid1(VALU_DEP_1)
	v_sub_f32_e32 v17, v97, v17
	v_mul_f32_e32 v99, 0x3f317218, v12
	v_fma_f32 v98, 0x3f317218, v12, -v99
	s_delay_alu instid0(VALU_DEP_1) | instskip(NEXT) | instid1(VALU_DEP_1)
	v_fmac_f32_e32 v98, 0xb102e308, v12
	v_dual_add_f32 v12, v13, v17 :: v_dual_add_f32 v13, v99, v98
	s_delay_alu instid0(VALU_DEP_1) | instskip(NEXT) | instid1(VALU_DEP_1)
	v_add_f32_e32 v17, v96, v12
	v_add_f32_e32 v97, v13, v17
	v_sub_f32_e32 v96, v17, v96
	s_delay_alu instid0(VALU_DEP_2) | instskip(NEXT) | instid1(VALU_DEP_2)
	v_sub_f32_e32 v100, v97, v13
	v_dual_sub_f32 v12, v12, v96 :: v_dual_sub_f32 v99, v13, v99
	s_delay_alu instid0(VALU_DEP_2) | instskip(NEXT) | instid1(VALU_DEP_2)
	v_sub_f32_e32 v101, v97, v100
	v_dual_sub_f32 v17, v17, v100 :: v_dual_sub_f32 v98, v98, v99
	s_delay_alu instid0(VALU_DEP_1) | instskip(NEXT) | instid1(VALU_DEP_1)
	v_dual_sub_f32 v13, v13, v101 :: v_dual_add_f32 v96, v98, v12
	v_add_f32_e32 v13, v17, v13
	s_delay_alu instid0(VALU_DEP_2) | instskip(NEXT) | instid1(VALU_DEP_2)
	v_sub_f32_e32 v17, v96, v98
	v_add_f32_e32 v13, v96, v13
	s_delay_alu instid0(VALU_DEP_2) | instskip(SKIP_1) | instid1(VALU_DEP_2)
	v_sub_f32_e32 v96, v96, v17
	v_sub_f32_e32 v12, v12, v17
	v_dual_add_f32 v99, v97, v13 :: v_dual_sub_f32 v96, v98, v96
	s_delay_alu instid0(VALU_DEP_1) | instskip(NEXT) | instid1(VALU_DEP_1)
	v_dual_sub_f32 v17, v99, v97 :: v_dual_add_f32 v12, v12, v96
	v_sub_f32_e32 v13, v13, v17
	s_delay_alu instid0(VALU_DEP_1) | instskip(NEXT) | instid1(VALU_DEP_1)
	v_add_f32_e32 v12, v12, v13
	v_add_f32_e32 v12, v99, v12
	s_delay_alu instid0(VALU_DEP_1)
	v_cndmask_b32_e32 v96, v12, v14, vcc_lo
.LBB55_88:                              ;   in Loop: Header=BB55_12 Depth=1
	s_or_b32 exec_lo, exec_lo, s29
	v_and_b32_e32 v12, 0xffff0000, v15
	s_delay_alu instid0(VALU_DEP_1) | instskip(NEXT) | instid1(VALU_DEP_1)
	v_add_f32_e32 v97, s68, v12
	v_cmp_ge_f32_e32 vcc_lo, 0x41a00000, v97
	s_and_b32 s28, s79, vcc_lo
	s_delay_alu instid0(SALU_CYCLE_1)
	s_and_saveexec_b32 s29, s28
	s_cbranch_execz .LBB55_90
; %bb.89:                               ;   in Loop: Header=BB55_12 Depth=1
	v_mul_f32_e32 v12, 0x3fb8aa3b, v97
	v_cmp_ngt_f32_e32 vcc_lo, 0xc2ce8ed0, v97
	s_delay_alu instid0(VALU_DEP_2) | instskip(SKIP_1) | instid1(VALU_DEP_2)
	v_rndne_f32_e32 v13, v12
	v_fma_f32 v14, 0x3fb8aa3b, v97, -v12
	v_sub_f32_e32 v12, v12, v13
	s_delay_alu instid0(VALU_DEP_2) | instskip(SKIP_1) | instid1(VALU_DEP_2)
	v_fmac_f32_e32 v14, 0x32a5705f, v97
	v_cvt_i32_f32_e32 v13, v13
	v_add_f32_e32 v12, v12, v14
	s_delay_alu instid0(VALU_DEP_1) | instskip(SKIP_2) | instid1(VALU_DEP_1)
	v_exp_f32_e32 v12, v12
	s_waitcnt_depctr 0xfff
	v_ldexp_f32 v12, v12, v13
	v_cndmask_b32_e32 v12, 0, v12, vcc_lo
	v_cmp_nlt_f32_e32 vcc_lo, 0x42b17218, v97
	s_delay_alu instid0(VALU_DEP_2) | instskip(NEXT) | instid1(VALU_DEP_1)
	v_cndmask_b32_e32 v14, 0x7f800000, v12, vcc_lo
	v_add_f32_e32 v15, 1.0, v14
	s_delay_alu instid0(VALU_DEP_1) | instskip(NEXT) | instid1(VALU_DEP_1)
	v_cvt_f64_f32_e32 v[12:13], v15
	v_frexp_exp_i32_f64_e32 v12, v[12:13]
	v_frexp_mant_f32_e32 v13, v15
	s_delay_alu instid0(VALU_DEP_1) | instskip(SKIP_1) | instid1(VALU_DEP_1)
	v_cmp_gt_f32_e32 vcc_lo, 0x3f2aaaab, v13
	v_add_f32_e32 v13, -1.0, v15
	v_sub_f32_e32 v97, v13, v15
	v_sub_f32_e32 v13, v14, v13
	s_delay_alu instid0(VALU_DEP_2) | instskip(NEXT) | instid1(VALU_DEP_1)
	v_add_f32_e32 v97, 1.0, v97
	v_add_f32_e32 v13, v13, v97
	v_cmp_gt_f32_e64 s28, 0x33800000, v14
	v_subrev_co_ci_u32_e32 v12, vcc_lo, 0, v12, vcc_lo
	v_cmp_eq_f32_e32 vcc_lo, 0x7f800000, v14
	s_delay_alu instid0(VALU_DEP_2) | instskip(SKIP_2) | instid1(VALU_DEP_2)
	v_sub_nc_u32_e32 v17, 0, v12
	v_cvt_f32_i32_e32 v12, v12
	s_or_b32 vcc_lo, s28, vcc_lo
	v_ldexp_f32 v15, v15, v17
	v_ldexp_f32 v13, v13, v17
	s_delay_alu instid0(VALU_DEP_2) | instskip(SKIP_1) | instid1(VALU_DEP_2)
	v_add_f32_e32 v98, 1.0, v15
	v_add_f32_e32 v17, -1.0, v15
	v_add_f32_e32 v97, -1.0, v98
	s_delay_alu instid0(VALU_DEP_2) | instskip(NEXT) | instid1(VALU_DEP_2)
	v_add_f32_e32 v99, 1.0, v17
	v_sub_f32_e32 v97, v15, v97
	s_delay_alu instid0(VALU_DEP_2) | instskip(NEXT) | instid1(VALU_DEP_2)
	v_sub_f32_e32 v15, v15, v99
	v_add_f32_e32 v97, v13, v97
	s_delay_alu instid0(VALU_DEP_2) | instskip(NEXT) | instid1(VALU_DEP_1)
	v_add_f32_e32 v13, v13, v15
	v_add_f32_e32 v100, v17, v13
	s_delay_alu instid0(VALU_DEP_3) | instskip(NEXT) | instid1(VALU_DEP_1)
	v_add_f32_e32 v99, v98, v97
	v_rcp_f32_e32 v15, v99
	v_sub_f32_e32 v98, v98, v99
	s_delay_alu instid0(VALU_DEP_1) | instskip(SKIP_2) | instid1(VALU_DEP_1)
	v_add_f32_e32 v97, v97, v98
	s_waitcnt_depctr 0xfff
	v_mul_f32_e32 v101, v100, v15
	v_dual_mul_f32 v102, v99, v101 :: v_dual_sub_f32 v17, v17, v100
	s_delay_alu instid0(VALU_DEP_1) | instskip(NEXT) | instid1(VALU_DEP_2)
	v_fma_f32 v98, v101, v99, -v102
	v_add_f32_e32 v13, v13, v17
	s_delay_alu instid0(VALU_DEP_2) | instskip(NEXT) | instid1(VALU_DEP_1)
	v_fmac_f32_e32 v98, v101, v97
	v_add_f32_e32 v103, v102, v98
	s_delay_alu instid0(VALU_DEP_1) | instskip(NEXT) | instid1(VALU_DEP_1)
	v_dual_sub_f32 v104, v100, v103 :: v_dual_sub_f32 v17, v103, v102
	v_dual_sub_f32 v100, v100, v104 :: v_dual_sub_f32 v17, v17, v98
	s_delay_alu instid0(VALU_DEP_1) | instskip(NEXT) | instid1(VALU_DEP_1)
	v_sub_f32_e32 v100, v100, v103
	v_add_f32_e32 v13, v13, v100
	s_delay_alu instid0(VALU_DEP_1) | instskip(NEXT) | instid1(VALU_DEP_1)
	v_add_f32_e32 v13, v17, v13
	v_add_f32_e32 v17, v104, v13
	s_delay_alu instid0(VALU_DEP_1) | instskip(NEXT) | instid1(VALU_DEP_1)
	v_mul_f32_e32 v98, v15, v17
	v_dual_sub_f32 v103, v104, v17 :: v_dual_mul_f32 v100, v99, v98
	s_delay_alu instid0(VALU_DEP_1) | instskip(NEXT) | instid1(VALU_DEP_2)
	v_add_f32_e32 v13, v13, v103
	v_fma_f32 v99, v98, v99, -v100
	s_delay_alu instid0(VALU_DEP_1) | instskip(NEXT) | instid1(VALU_DEP_1)
	v_fmac_f32_e32 v99, v98, v97
	v_add_f32_e32 v97, v100, v99
	s_delay_alu instid0(VALU_DEP_1) | instskip(SKIP_1) | instid1(VALU_DEP_2)
	v_sub_f32_e32 v102, v17, v97
	v_sub_f32_e32 v100, v97, v100
	;; [unrolled: 1-line block ×3, first 2 shown]
	s_delay_alu instid0(VALU_DEP_1) | instskip(NEXT) | instid1(VALU_DEP_3)
	v_sub_f32_e32 v17, v17, v97
	v_sub_f32_e32 v97, v100, v99
	s_delay_alu instid0(VALU_DEP_2) | instskip(SKIP_1) | instid1(VALU_DEP_2)
	v_add_f32_e32 v13, v13, v17
	v_add_f32_e32 v17, v101, v98
	;; [unrolled: 1-line block ×3, first 2 shown]
	s_delay_alu instid0(VALU_DEP_2) | instskip(NEXT) | instid1(VALU_DEP_2)
	v_sub_f32_e32 v97, v17, v101
	v_add_f32_e32 v13, v102, v13
	s_delay_alu instid0(VALU_DEP_2) | instskip(NEXT) | instid1(VALU_DEP_2)
	v_sub_f32_e32 v97, v98, v97
	v_mul_f32_e32 v13, v15, v13
	s_delay_alu instid0(VALU_DEP_1) | instskip(NEXT) | instid1(VALU_DEP_1)
	v_add_f32_e32 v13, v97, v13
	v_add_f32_e32 v15, v17, v13
	s_delay_alu instid0(VALU_DEP_1) | instskip(NEXT) | instid1(VALU_DEP_1)
	v_mul_f32_e32 v97, v15, v15
	v_fmaak_f32 v98, s83, v97, 0x3ecc95a3
	v_mul_f32_e32 v99, v15, v97
	s_delay_alu instid0(VALU_DEP_2) | instskip(SKIP_2) | instid1(VALU_DEP_3)
	v_fmaak_f32 v97, v97, v98, 0x3f2aaada
	v_ldexp_f32 v98, v15, 1
	v_sub_f32_e32 v15, v15, v17
	v_mul_f32_e32 v97, v99, v97
	v_mul_f32_e32 v99, 0x3f317218, v12
	s_delay_alu instid0(VALU_DEP_3) | instskip(NEXT) | instid1(VALU_DEP_3)
	v_sub_f32_e32 v13, v13, v15
	v_add_f32_e32 v17, v98, v97
	s_delay_alu instid0(VALU_DEP_2) | instskip(NEXT) | instid1(VALU_DEP_2)
	v_ldexp_f32 v13, v13, 1
	v_sub_f32_e32 v15, v17, v98
	v_fma_f32 v98, 0x3f317218, v12, -v99
	s_delay_alu instid0(VALU_DEP_1) | instskip(NEXT) | instid1(VALU_DEP_1)
	v_dual_sub_f32 v15, v97, v15 :: v_dual_fmac_f32 v98, 0xb102e308, v12
	v_dual_add_f32 v12, v13, v15 :: v_dual_add_f32 v13, v99, v98
	s_delay_alu instid0(VALU_DEP_1) | instskip(NEXT) | instid1(VALU_DEP_1)
	v_add_f32_e32 v15, v17, v12
	v_add_f32_e32 v97, v13, v15
	v_sub_f32_e32 v17, v15, v17
	s_delay_alu instid0(VALU_DEP_2) | instskip(NEXT) | instid1(VALU_DEP_2)
	v_sub_f32_e32 v100, v97, v13
	v_dual_sub_f32 v99, v13, v99 :: v_dual_sub_f32 v12, v12, v17
	s_delay_alu instid0(VALU_DEP_1) | instskip(SKIP_1) | instid1(VALU_DEP_2)
	v_dual_sub_f32 v101, v97, v100 :: v_dual_sub_f32 v98, v98, v99
	v_sub_f32_e32 v15, v15, v100
	v_sub_f32_e32 v13, v13, v101
	s_delay_alu instid0(VALU_DEP_3) | instskip(NEXT) | instid1(VALU_DEP_2)
	v_add_f32_e32 v17, v98, v12
	v_add_f32_e32 v13, v15, v13
	s_delay_alu instid0(VALU_DEP_2) | instskip(NEXT) | instid1(VALU_DEP_2)
	v_sub_f32_e32 v15, v17, v98
	v_add_f32_e32 v13, v17, v13
	s_delay_alu instid0(VALU_DEP_2) | instskip(NEXT) | instid1(VALU_DEP_2)
	v_sub_f32_e32 v17, v17, v15
	v_dual_sub_f32 v12, v12, v15 :: v_dual_add_f32 v99, v97, v13
	s_delay_alu instid0(VALU_DEP_2) | instskip(NEXT) | instid1(VALU_DEP_2)
	v_sub_f32_e32 v17, v98, v17
	v_sub_f32_e32 v15, v99, v97
	s_delay_alu instid0(VALU_DEP_1) | instskip(NEXT) | instid1(VALU_DEP_1)
	v_dual_add_f32 v12, v12, v17 :: v_dual_sub_f32 v13, v13, v15
	v_add_f32_e32 v12, v12, v13
	s_delay_alu instid0(VALU_DEP_1) | instskip(NEXT) | instid1(VALU_DEP_1)
	v_add_f32_e32 v12, v99, v12
	v_cndmask_b32_e32 v97, v12, v14, vcc_lo
.LBB55_90:                              ;   in Loop: Header=BB55_12 Depth=1
	s_or_b32 exec_lo, exec_lo, s29
	s_waitcnt lgkmcnt(0)
	v_lshlrev_b32_e32 v12, 16, v8
	s_delay_alu instid0(VALU_DEP_1) | instskip(NEXT) | instid1(VALU_DEP_1)
	v_add_f32_e32 v98, s68, v12
	v_cmp_ge_f32_e32 vcc_lo, 0x41a00000, v98
	s_and_b32 s28, s79, vcc_lo
	s_delay_alu instid0(SALU_CYCLE_1)
	s_and_saveexec_b32 s29, s28
	s_cbranch_execz .LBB55_92
; %bb.91:                               ;   in Loop: Header=BB55_12 Depth=1
	v_mul_f32_e32 v12, 0x3fb8aa3b, v98
	v_cmp_ngt_f32_e32 vcc_lo, 0xc2ce8ed0, v98
	s_delay_alu instid0(VALU_DEP_2) | instskip(SKIP_1) | instid1(VALU_DEP_2)
	v_rndne_f32_e32 v13, v12
	v_fma_f32 v14, 0x3fb8aa3b, v98, -v12
	v_sub_f32_e32 v12, v12, v13
	s_delay_alu instid0(VALU_DEP_2) | instskip(SKIP_1) | instid1(VALU_DEP_2)
	v_fmac_f32_e32 v14, 0x32a5705f, v98
	v_cvt_i32_f32_e32 v13, v13
	v_add_f32_e32 v12, v12, v14
	s_delay_alu instid0(VALU_DEP_1) | instskip(SKIP_2) | instid1(VALU_DEP_1)
	v_exp_f32_e32 v12, v12
	s_waitcnt_depctr 0xfff
	v_ldexp_f32 v12, v12, v13
	v_cndmask_b32_e32 v12, 0, v12, vcc_lo
	v_cmp_nlt_f32_e32 vcc_lo, 0x42b17218, v98
	s_delay_alu instid0(VALU_DEP_2) | instskip(NEXT) | instid1(VALU_DEP_1)
	v_cndmask_b32_e32 v14, 0x7f800000, v12, vcc_lo
	v_add_f32_e32 v15, 1.0, v14
	s_delay_alu instid0(VALU_DEP_1) | instskip(NEXT) | instid1(VALU_DEP_1)
	v_cvt_f64_f32_e32 v[12:13], v15
	v_frexp_exp_i32_f64_e32 v12, v[12:13]
	v_frexp_mant_f32_e32 v13, v15
	s_delay_alu instid0(VALU_DEP_1) | instskip(SKIP_1) | instid1(VALU_DEP_1)
	v_cmp_gt_f32_e32 vcc_lo, 0x3f2aaaab, v13
	v_add_f32_e32 v13, -1.0, v15
	v_dual_sub_f32 v98, v13, v15 :: v_dual_sub_f32 v13, v14, v13
	s_delay_alu instid0(VALU_DEP_1) | instskip(NEXT) | instid1(VALU_DEP_1)
	v_add_f32_e32 v98, 1.0, v98
	v_add_f32_e32 v13, v13, v98
	v_subrev_co_ci_u32_e32 v12, vcc_lo, 0, v12, vcc_lo
	s_delay_alu instid0(VALU_DEP_1) | instskip(SKIP_1) | instid1(VALU_DEP_2)
	v_sub_nc_u32_e32 v17, 0, v12
	v_cvt_f32_i32_e32 v12, v12
	v_ldexp_f32 v15, v15, v17
	v_ldexp_f32 v13, v13, v17
	s_delay_alu instid0(VALU_DEP_2) | instskip(SKIP_3) | instid1(VALU_DEP_4)
	v_add_f32_e32 v99, 1.0, v15
	v_add_f32_e32 v17, -1.0, v15
	v_cmp_eq_f32_e32 vcc_lo, 0x7f800000, v14
	v_cmp_gt_f32_e64 s28, 0x33800000, v14
	v_add_f32_e32 v98, -1.0, v99
	s_delay_alu instid0(VALU_DEP_4) | instskip(NEXT) | instid1(VALU_DEP_3)
	v_add_f32_e32 v100, 1.0, v17
	s_or_b32 vcc_lo, s28, vcc_lo
	s_delay_alu instid0(VALU_DEP_2) | instskip(NEXT) | instid1(VALU_DEP_1)
	v_sub_f32_e32 v98, v15, v98
	v_dual_sub_f32 v15, v15, v100 :: v_dual_add_f32 v98, v13, v98
	s_delay_alu instid0(VALU_DEP_1) | instskip(NEXT) | instid1(VALU_DEP_1)
	v_add_f32_e32 v13, v13, v15
	v_dual_add_f32 v101, v17, v13 :: v_dual_add_f32 v100, v99, v98
	s_delay_alu instid0(VALU_DEP_1) | instskip(NEXT) | instid1(VALU_DEP_2)
	v_sub_f32_e32 v17, v17, v101
	v_rcp_f32_e32 v15, v100
	v_sub_f32_e32 v99, v99, v100
	s_delay_alu instid0(VALU_DEP_1) | instskip(SKIP_2) | instid1(VALU_DEP_1)
	v_dual_add_f32 v98, v98, v99 :: v_dual_add_f32 v13, v13, v17
	s_waitcnt_depctr 0xfff
	v_mul_f32_e32 v102, v101, v15
	v_mul_f32_e32 v103, v100, v102
	s_delay_alu instid0(VALU_DEP_1) | instskip(NEXT) | instid1(VALU_DEP_1)
	v_fma_f32 v99, v102, v100, -v103
	v_fmac_f32_e32 v99, v102, v98
	s_delay_alu instid0(VALU_DEP_1) | instskip(NEXT) | instid1(VALU_DEP_1)
	v_add_f32_e32 v104, v103, v99
	v_sub_f32_e32 v105, v101, v104
	s_delay_alu instid0(VALU_DEP_1) | instskip(SKIP_1) | instid1(VALU_DEP_2)
	v_sub_f32_e32 v101, v101, v105
	v_sub_f32_e32 v17, v104, v103
	;; [unrolled: 1-line block ×3, first 2 shown]
	s_delay_alu instid0(VALU_DEP_2) | instskip(NEXT) | instid1(VALU_DEP_2)
	v_sub_f32_e32 v17, v17, v99
	v_add_f32_e32 v13, v13, v101
	s_delay_alu instid0(VALU_DEP_1) | instskip(NEXT) | instid1(VALU_DEP_1)
	v_add_f32_e32 v13, v17, v13
	v_add_f32_e32 v17, v105, v13
	s_delay_alu instid0(VALU_DEP_1) | instskip(NEXT) | instid1(VALU_DEP_1)
	v_mul_f32_e32 v99, v15, v17
	v_dual_sub_f32 v104, v105, v17 :: v_dual_mul_f32 v101, v100, v99
	s_delay_alu instid0(VALU_DEP_1) | instskip(NEXT) | instid1(VALU_DEP_2)
	v_add_f32_e32 v13, v13, v104
	v_fma_f32 v100, v99, v100, -v101
	s_delay_alu instid0(VALU_DEP_1) | instskip(NEXT) | instid1(VALU_DEP_1)
	v_fmac_f32_e32 v100, v99, v98
	v_add_f32_e32 v98, v101, v100
	s_delay_alu instid0(VALU_DEP_1) | instskip(NEXT) | instid1(VALU_DEP_1)
	v_sub_f32_e32 v103, v17, v98
	v_sub_f32_e32 v17, v17, v103
	s_delay_alu instid0(VALU_DEP_1) | instskip(NEXT) | instid1(VALU_DEP_1)
	v_sub_f32_e32 v17, v17, v98
	v_add_f32_e32 v13, v13, v17
	v_add_f32_e32 v17, v102, v99
	v_sub_f32_e32 v101, v98, v101
	s_delay_alu instid0(VALU_DEP_1) | instskip(NEXT) | instid1(VALU_DEP_1)
	v_sub_f32_e32 v98, v101, v100
	v_dual_add_f32 v13, v98, v13 :: v_dual_sub_f32 v98, v17, v102
	s_delay_alu instid0(VALU_DEP_1) | instskip(NEXT) | instid1(VALU_DEP_2)
	v_add_f32_e32 v13, v103, v13
	v_sub_f32_e32 v98, v99, v98
	s_delay_alu instid0(VALU_DEP_2) | instskip(NEXT) | instid1(VALU_DEP_1)
	v_mul_f32_e32 v13, v15, v13
	v_add_f32_e32 v13, v98, v13
	s_delay_alu instid0(VALU_DEP_1) | instskip(NEXT) | instid1(VALU_DEP_1)
	v_add_f32_e32 v15, v17, v13
	v_mul_f32_e32 v98, v15, v15
	s_delay_alu instid0(VALU_DEP_1) | instskip(SKIP_1) | instid1(VALU_DEP_2)
	v_fmaak_f32 v99, s83, v98, 0x3ecc95a3
	v_mul_f32_e32 v100, v15, v98
	v_fmaak_f32 v98, v98, v99, 0x3f2aaada
	v_ldexp_f32 v99, v15, 1
	s_delay_alu instid0(VALU_DEP_2) | instskip(NEXT) | instid1(VALU_DEP_1)
	v_dual_sub_f32 v15, v15, v17 :: v_dual_mul_f32 v98, v100, v98
	v_dual_mul_f32 v100, 0x3f317218, v12 :: v_dual_sub_f32 v13, v13, v15
	s_delay_alu instid0(VALU_DEP_2) | instskip(NEXT) | instid1(VALU_DEP_2)
	v_add_f32_e32 v17, v99, v98
	v_ldexp_f32 v13, v13, 1
	s_delay_alu instid0(VALU_DEP_2) | instskip(NEXT) | instid1(VALU_DEP_4)
	v_sub_f32_e32 v15, v17, v99
	v_fma_f32 v99, 0x3f317218, v12, -v100
	s_delay_alu instid0(VALU_DEP_2) | instskip(NEXT) | instid1(VALU_DEP_1)
	v_sub_f32_e32 v15, v98, v15
	v_dual_fmac_f32 v99, 0xb102e308, v12 :: v_dual_add_f32 v12, v13, v15
	s_delay_alu instid0(VALU_DEP_1) | instskip(NEXT) | instid1(VALU_DEP_2)
	v_add_f32_e32 v13, v100, v99
	v_add_f32_e32 v15, v17, v12
	s_delay_alu instid0(VALU_DEP_2) | instskip(NEXT) | instid1(VALU_DEP_2)
	v_sub_f32_e32 v100, v13, v100
	v_dual_add_f32 v98, v13, v15 :: v_dual_sub_f32 v17, v15, v17
	s_delay_alu instid0(VALU_DEP_2) | instskip(NEXT) | instid1(VALU_DEP_2)
	v_sub_f32_e32 v99, v99, v100
	v_sub_f32_e32 v101, v98, v13
	s_delay_alu instid0(VALU_DEP_3) | instskip(NEXT) | instid1(VALU_DEP_2)
	v_sub_f32_e32 v12, v12, v17
	v_sub_f32_e32 v102, v98, v101
	;; [unrolled: 1-line block ×3, first 2 shown]
	s_delay_alu instid0(VALU_DEP_3) | instskip(NEXT) | instid1(VALU_DEP_3)
	v_add_f32_e32 v17, v99, v12
	v_sub_f32_e32 v13, v13, v102
	s_delay_alu instid0(VALU_DEP_1) | instskip(NEXT) | instid1(VALU_DEP_3)
	v_add_f32_e32 v13, v15, v13
	v_sub_f32_e32 v15, v17, v99
	s_delay_alu instid0(VALU_DEP_2) | instskip(NEXT) | instid1(VALU_DEP_2)
	v_add_f32_e32 v13, v17, v13
	v_sub_f32_e32 v17, v17, v15
	v_sub_f32_e32 v12, v12, v15
	s_delay_alu instid0(VALU_DEP_3) | instskip(NEXT) | instid1(VALU_DEP_3)
	v_add_f32_e32 v100, v98, v13
	v_sub_f32_e32 v17, v99, v17
	s_delay_alu instid0(VALU_DEP_2) | instskip(NEXT) | instid1(VALU_DEP_1)
	v_sub_f32_e32 v15, v100, v98
	v_dual_add_f32 v12, v12, v17 :: v_dual_sub_f32 v13, v13, v15
	s_delay_alu instid0(VALU_DEP_1) | instskip(NEXT) | instid1(VALU_DEP_1)
	v_add_f32_e32 v12, v12, v13
	v_add_f32_e32 v12, v100, v12
	s_delay_alu instid0(VALU_DEP_1)
	v_cndmask_b32_e32 v98, v12, v14, vcc_lo
.LBB55_92:                              ;   in Loop: Header=BB55_12 Depth=1
	s_or_b32 exec_lo, exec_lo, s29
	v_and_b32_e32 v8, 0xffff0000, v8
	s_delay_alu instid0(VALU_DEP_1) | instskip(NEXT) | instid1(VALU_DEP_1)
	v_add_f32_e32 v99, s68, v8
	v_cmp_ge_f32_e32 vcc_lo, 0x41a00000, v99
	s_and_b32 s28, s79, vcc_lo
	s_delay_alu instid0(SALU_CYCLE_1)
	s_and_saveexec_b32 s29, s28
	s_cbranch_execz .LBB55_94
; %bb.93:                               ;   in Loop: Header=BB55_12 Depth=1
	v_mul_f32_e32 v8, 0x3fb8aa3b, v99
	v_cmp_ngt_f32_e32 vcc_lo, 0xc2ce8ed0, v99
	s_delay_alu instid0(VALU_DEP_2) | instskip(SKIP_1) | instid1(VALU_DEP_1)
	v_rndne_f32_e32 v12, v8
	v_fma_f32 v13, 0x3fb8aa3b, v99, -v8
	v_dual_sub_f32 v8, v8, v12 :: v_dual_fmac_f32 v13, 0x32a5705f, v99
	v_cvt_i32_f32_e32 v12, v12
	s_delay_alu instid0(VALU_DEP_2) | instskip(NEXT) | instid1(VALU_DEP_1)
	v_add_f32_e32 v8, v8, v13
	v_exp_f32_e32 v8, v8
	s_waitcnt_depctr 0xfff
	v_ldexp_f32 v8, v8, v12
	s_delay_alu instid0(VALU_DEP_1) | instskip(SKIP_1) | instid1(VALU_DEP_2)
	v_cndmask_b32_e32 v8, 0, v8, vcc_lo
	v_cmp_nlt_f32_e32 vcc_lo, 0x42b17218, v99
	v_cndmask_b32_e32 v8, 0x7f800000, v8, vcc_lo
	s_delay_alu instid0(VALU_DEP_1) | instskip(NEXT) | instid1(VALU_DEP_1)
	v_add_f32_e32 v14, 1.0, v8
	v_cvt_f64_f32_e32 v[12:13], v14
	s_delay_alu instid0(VALU_DEP_1) | instskip(SKIP_1) | instid1(VALU_DEP_1)
	v_frexp_exp_i32_f64_e32 v12, v[12:13]
	v_frexp_mant_f32_e32 v13, v14
	v_cmp_gt_f32_e32 vcc_lo, 0x3f2aaaab, v13
	v_add_f32_e32 v13, -1.0, v14
	s_delay_alu instid0(VALU_DEP_1) | instskip(NEXT) | instid1(VALU_DEP_1)
	v_sub_f32_e32 v17, v13, v14
	v_add_f32_e32 v17, 1.0, v17
	v_subrev_co_ci_u32_e32 v12, vcc_lo, 0, v12, vcc_lo
	s_delay_alu instid0(VALU_DEP_1) | instskip(SKIP_1) | instid1(VALU_DEP_2)
	v_sub_nc_u32_e32 v15, 0, v12
	v_cvt_f32_i32_e32 v12, v12
	v_ldexp_f32 v14, v14, v15
	s_delay_alu instid0(VALU_DEP_1) | instskip(SKIP_3) | instid1(VALU_DEP_3)
	v_add_f32_e32 v99, 1.0, v14
	v_sub_f32_e32 v13, v8, v13
	v_cmp_eq_f32_e32 vcc_lo, 0x7f800000, v8
	v_cmp_gt_f32_e64 s28, 0x33800000, v8
	v_add_f32_e32 v13, v13, v17
	s_delay_alu instid0(VALU_DEP_2) | instskip(NEXT) | instid1(VALU_DEP_1)
	s_or_b32 vcc_lo, s28, vcc_lo
	v_ldexp_f32 v13, v13, v15
	v_add_f32_e32 v15, -1.0, v14
	s_delay_alu instid0(VALU_DEP_1) | instskip(SKIP_1) | instid1(VALU_DEP_1)
	v_add_f32_e32 v100, 1.0, v15
	v_add_f32_e32 v17, -1.0, v99
	v_sub_f32_e32 v17, v14, v17
	s_delay_alu instid0(VALU_DEP_1) | instskip(NEXT) | instid1(VALU_DEP_1)
	v_dual_sub_f32 v14, v14, v100 :: v_dual_add_f32 v17, v13, v17
	v_add_f32_e32 v100, v99, v17
	s_delay_alu instid0(VALU_DEP_1) | instskip(NEXT) | instid1(VALU_DEP_1)
	v_sub_f32_e32 v99, v99, v100
	v_add_f32_e32 v17, v17, v99
	s_delay_alu instid0(VALU_DEP_4) | instskip(SKIP_1) | instid1(VALU_DEP_1)
	v_add_f32_e32 v13, v13, v14
	v_rcp_f32_e32 v14, v100
	v_add_f32_e32 v101, v15, v13
	s_waitcnt_depctr 0xfff
	v_dual_sub_f32 v15, v15, v101 :: v_dual_mul_f32 v102, v101, v14
	s_delay_alu instid0(VALU_DEP_1) | instskip(NEXT) | instid1(VALU_DEP_2)
	v_add_f32_e32 v13, v13, v15
	v_mul_f32_e32 v103, v100, v102
	s_delay_alu instid0(VALU_DEP_1) | instskip(NEXT) | instid1(VALU_DEP_1)
	v_fma_f32 v99, v102, v100, -v103
	v_fmac_f32_e32 v99, v102, v17
	s_delay_alu instid0(VALU_DEP_1) | instskip(NEXT) | instid1(VALU_DEP_1)
	v_add_f32_e32 v104, v103, v99
	v_sub_f32_e32 v105, v101, v104
	v_sub_f32_e32 v15, v104, v103
	s_delay_alu instid0(VALU_DEP_2) | instskip(NEXT) | instid1(VALU_DEP_2)
	v_sub_f32_e32 v101, v101, v105
	v_sub_f32_e32 v15, v15, v99
	s_delay_alu instid0(VALU_DEP_2) | instskip(NEXT) | instid1(VALU_DEP_1)
	v_sub_f32_e32 v101, v101, v104
	v_add_f32_e32 v13, v13, v101
	s_delay_alu instid0(VALU_DEP_1) | instskip(NEXT) | instid1(VALU_DEP_1)
	v_add_f32_e32 v13, v15, v13
	v_add_f32_e32 v15, v105, v13
	s_delay_alu instid0(VALU_DEP_1) | instskip(SKIP_1) | instid1(VALU_DEP_2)
	v_mul_f32_e32 v99, v14, v15
	v_sub_f32_e32 v104, v105, v15
	v_mul_f32_e32 v101, v100, v99
	s_delay_alu instid0(VALU_DEP_2) | instskip(NEXT) | instid1(VALU_DEP_2)
	v_add_f32_e32 v13, v13, v104
	v_fma_f32 v100, v99, v100, -v101
	s_delay_alu instid0(VALU_DEP_1) | instskip(NEXT) | instid1(VALU_DEP_1)
	v_fmac_f32_e32 v100, v99, v17
	v_add_f32_e32 v17, v101, v100
	s_delay_alu instid0(VALU_DEP_1) | instskip(SKIP_1) | instid1(VALU_DEP_2)
	v_sub_f32_e32 v103, v15, v17
	v_sub_f32_e32 v101, v17, v101
	;; [unrolled: 1-line block ×3, first 2 shown]
	s_delay_alu instid0(VALU_DEP_1) | instskip(NEXT) | instid1(VALU_DEP_3)
	v_sub_f32_e32 v15, v15, v17
	v_sub_f32_e32 v17, v101, v100
	s_delay_alu instid0(VALU_DEP_2) | instskip(SKIP_1) | instid1(VALU_DEP_2)
	v_add_f32_e32 v13, v13, v15
	v_add_f32_e32 v15, v102, v99
	;; [unrolled: 1-line block ×3, first 2 shown]
	s_delay_alu instid0(VALU_DEP_2) | instskip(NEXT) | instid1(VALU_DEP_2)
	v_sub_f32_e32 v17, v15, v102
	v_add_f32_e32 v13, v103, v13
	s_delay_alu instid0(VALU_DEP_2) | instskip(NEXT) | instid1(VALU_DEP_2)
	v_sub_f32_e32 v17, v99, v17
	v_mul_f32_e32 v13, v14, v13
	s_delay_alu instid0(VALU_DEP_1) | instskip(NEXT) | instid1(VALU_DEP_1)
	v_add_f32_e32 v13, v17, v13
	v_add_f32_e32 v14, v15, v13
	s_delay_alu instid0(VALU_DEP_1) | instskip(NEXT) | instid1(VALU_DEP_1)
	v_mul_f32_e32 v17, v14, v14
	v_fmaak_f32 v99, s83, v17, 0x3ecc95a3
	s_delay_alu instid0(VALU_DEP_1) | instskip(SKIP_1) | instid1(VALU_DEP_2)
	v_dual_mul_f32 v100, v14, v17 :: v_dual_fmaak_f32 v17, v17, v99, 0x3f2aaada
	v_ldexp_f32 v99, v14, 1
	v_dual_sub_f32 v14, v14, v15 :: v_dual_mul_f32 v17, v100, v17
	s_delay_alu instid0(VALU_DEP_1) | instskip(NEXT) | instid1(VALU_DEP_2)
	v_dual_mul_f32 v100, 0x3f317218, v12 :: v_dual_sub_f32 v13, v13, v14
	v_add_f32_e32 v15, v99, v17
	s_delay_alu instid0(VALU_DEP_2) | instskip(NEXT) | instid1(VALU_DEP_2)
	v_ldexp_f32 v13, v13, 1
	v_sub_f32_e32 v14, v15, v99
	s_delay_alu instid0(VALU_DEP_4) | instskip(NEXT) | instid1(VALU_DEP_1)
	v_fma_f32 v99, 0x3f317218, v12, -v100
	v_dual_sub_f32 v14, v17, v14 :: v_dual_fmac_f32 v99, 0xb102e308, v12
	s_delay_alu instid0(VALU_DEP_1) | instskip(NEXT) | instid1(VALU_DEP_1)
	v_dual_add_f32 v12, v13, v14 :: v_dual_add_f32 v13, v100, v99
	v_add_f32_e32 v14, v15, v12
	s_delay_alu instid0(VALU_DEP_2) | instskip(NEXT) | instid1(VALU_DEP_2)
	v_sub_f32_e32 v100, v13, v100
	v_add_f32_e32 v17, v13, v14
	v_sub_f32_e32 v15, v14, v15
	s_delay_alu instid0(VALU_DEP_3) | instskip(NEXT) | instid1(VALU_DEP_2)
	v_sub_f32_e32 v99, v99, v100
	v_dual_sub_f32 v101, v17, v13 :: v_dual_sub_f32 v12, v12, v15
	s_delay_alu instid0(VALU_DEP_1) | instskip(NEXT) | instid1(VALU_DEP_2)
	v_sub_f32_e32 v102, v17, v101
	v_dual_sub_f32 v14, v14, v101 :: v_dual_add_f32 v15, v99, v12
	s_delay_alu instid0(VALU_DEP_2) | instskip(NEXT) | instid1(VALU_DEP_1)
	v_sub_f32_e32 v13, v13, v102
	v_dual_add_f32 v13, v14, v13 :: v_dual_sub_f32 v14, v15, v99
	s_delay_alu instid0(VALU_DEP_1) | instskip(NEXT) | instid1(VALU_DEP_2)
	v_add_f32_e32 v13, v15, v13
	v_sub_f32_e32 v15, v15, v14
	v_sub_f32_e32 v12, v12, v14
	s_delay_alu instid0(VALU_DEP_2) | instskip(NEXT) | instid1(VALU_DEP_1)
	v_dual_add_f32 v100, v17, v13 :: v_dual_sub_f32 v15, v99, v15
	v_sub_f32_e32 v14, v100, v17
	s_delay_alu instid0(VALU_DEP_1) | instskip(NEXT) | instid1(VALU_DEP_1)
	v_dual_add_f32 v12, v12, v15 :: v_dual_sub_f32 v13, v13, v14
	v_add_f32_e32 v12, v12, v13
	s_delay_alu instid0(VALU_DEP_1) | instskip(NEXT) | instid1(VALU_DEP_1)
	v_add_f32_e32 v12, v100, v12
	v_cndmask_b32_e32 v99, v12, v8, vcc_lo
.LBB55_94:                              ;   in Loop: Header=BB55_12 Depth=1
	s_or_b32 exec_lo, exec_lo, s29
	v_lshlrev_b32_e32 v8, 16, v9
	s_delay_alu instid0(VALU_DEP_1) | instskip(NEXT) | instid1(VALU_DEP_1)
	v_add_f32_e32 v100, s68, v8
	v_cmp_ge_f32_e32 vcc_lo, 0x41a00000, v100
	s_and_b32 s28, s79, vcc_lo
	s_delay_alu instid0(SALU_CYCLE_1)
	s_and_saveexec_b32 s29, s28
	s_cbranch_execz .LBB55_96
; %bb.95:                               ;   in Loop: Header=BB55_12 Depth=1
	v_mul_f32_e32 v8, 0x3fb8aa3b, v100
	v_cmp_ngt_f32_e32 vcc_lo, 0xc2ce8ed0, v100
	s_delay_alu instid0(VALU_DEP_2) | instskip(SKIP_1) | instid1(VALU_DEP_2)
	v_rndne_f32_e32 v12, v8
	v_fma_f32 v13, 0x3fb8aa3b, v100, -v8
	v_sub_f32_e32 v8, v8, v12
	s_delay_alu instid0(VALU_DEP_2) | instskip(SKIP_1) | instid1(VALU_DEP_2)
	v_fmac_f32_e32 v13, 0x32a5705f, v100
	v_cvt_i32_f32_e32 v12, v12
	v_add_f32_e32 v8, v8, v13
	s_delay_alu instid0(VALU_DEP_1) | instskip(SKIP_2) | instid1(VALU_DEP_1)
	v_exp_f32_e32 v8, v8
	s_waitcnt_depctr 0xfff
	v_ldexp_f32 v8, v8, v12
	v_cndmask_b32_e32 v8, 0, v8, vcc_lo
	v_cmp_nlt_f32_e32 vcc_lo, 0x42b17218, v100
	s_delay_alu instid0(VALU_DEP_2) | instskip(NEXT) | instid1(VALU_DEP_1)
	v_cndmask_b32_e32 v8, 0x7f800000, v8, vcc_lo
	v_add_f32_e32 v14, 1.0, v8
	s_delay_alu instid0(VALU_DEP_1) | instskip(NEXT) | instid1(VALU_DEP_1)
	v_cvt_f64_f32_e32 v[12:13], v14
	v_frexp_exp_i32_f64_e32 v12, v[12:13]
	v_frexp_mant_f32_e32 v13, v14
	s_delay_alu instid0(VALU_DEP_1) | instskip(SKIP_1) | instid1(VALU_DEP_1)
	v_cmp_gt_f32_e32 vcc_lo, 0x3f2aaaab, v13
	v_add_f32_e32 v13, -1.0, v14
	v_sub_f32_e32 v17, v13, v14
	v_sub_f32_e32 v13, v8, v13
	s_delay_alu instid0(VALU_DEP_2) | instskip(NEXT) | instid1(VALU_DEP_1)
	v_add_f32_e32 v17, 1.0, v17
	v_add_f32_e32 v13, v13, v17
	v_cmp_gt_f32_e64 s28, 0x33800000, v8
	v_subrev_co_ci_u32_e32 v12, vcc_lo, 0, v12, vcc_lo
	v_cmp_eq_f32_e32 vcc_lo, 0x7f800000, v8
	s_delay_alu instid0(VALU_DEP_2) | instskip(SKIP_2) | instid1(VALU_DEP_2)
	v_sub_nc_u32_e32 v15, 0, v12
	v_cvt_f32_i32_e32 v12, v12
	s_or_b32 vcc_lo, s28, vcc_lo
	v_ldexp_f32 v14, v14, v15
	v_ldexp_f32 v13, v13, v15
	s_delay_alu instid0(VALU_DEP_2) | instskip(SKIP_1) | instid1(VALU_DEP_2)
	v_add_f32_e32 v100, 1.0, v14
	v_add_f32_e32 v15, -1.0, v14
	v_add_f32_e32 v17, -1.0, v100
	s_delay_alu instid0(VALU_DEP_2) | instskip(NEXT) | instid1(VALU_DEP_2)
	v_add_f32_e32 v101, 1.0, v15
	v_sub_f32_e32 v17, v14, v17
	s_delay_alu instid0(VALU_DEP_2) | instskip(NEXT) | instid1(VALU_DEP_2)
	v_sub_f32_e32 v14, v14, v101
	v_add_f32_e32 v17, v13, v17
	s_delay_alu instid0(VALU_DEP_1) | instskip(NEXT) | instid1(VALU_DEP_1)
	v_add_f32_e32 v101, v100, v17
	v_dual_add_f32 v13, v13, v14 :: v_dual_sub_f32 v100, v100, v101
	v_rcp_f32_e32 v14, v101
	s_delay_alu instid0(VALU_DEP_1) | instskip(NEXT) | instid1(VALU_DEP_1)
	v_dual_add_f32 v102, v15, v13 :: v_dual_add_f32 v17, v17, v100
	v_sub_f32_e32 v15, v15, v102
	s_waitcnt_depctr 0xfff
	v_mul_f32_e32 v103, v102, v14
	v_add_f32_e32 v13, v13, v15
	s_delay_alu instid0(VALU_DEP_2) | instskip(NEXT) | instid1(VALU_DEP_1)
	v_mul_f32_e32 v104, v101, v103
	v_fma_f32 v100, v103, v101, -v104
	s_delay_alu instid0(VALU_DEP_1) | instskip(NEXT) | instid1(VALU_DEP_1)
	v_fmac_f32_e32 v100, v103, v17
	v_add_f32_e32 v105, v104, v100
	s_delay_alu instid0(VALU_DEP_1) | instskip(NEXT) | instid1(VALU_DEP_1)
	v_dual_sub_f32 v106, v102, v105 :: v_dual_sub_f32 v15, v105, v104
	v_dual_sub_f32 v102, v102, v106 :: v_dual_sub_f32 v15, v15, v100
	s_delay_alu instid0(VALU_DEP_1) | instskip(NEXT) | instid1(VALU_DEP_1)
	v_sub_f32_e32 v102, v102, v105
	v_add_f32_e32 v13, v13, v102
	s_delay_alu instid0(VALU_DEP_1) | instskip(NEXT) | instid1(VALU_DEP_1)
	v_add_f32_e32 v13, v15, v13
	v_add_f32_e32 v15, v106, v13
	s_delay_alu instid0(VALU_DEP_1) | instskip(NEXT) | instid1(VALU_DEP_1)
	v_mul_f32_e32 v100, v14, v15
	v_dual_sub_f32 v105, v106, v15 :: v_dual_mul_f32 v102, v101, v100
	s_delay_alu instid0(VALU_DEP_1) | instskip(NEXT) | instid1(VALU_DEP_2)
	v_add_f32_e32 v13, v13, v105
	v_fma_f32 v101, v100, v101, -v102
	s_delay_alu instid0(VALU_DEP_1) | instskip(NEXT) | instid1(VALU_DEP_1)
	v_fmac_f32_e32 v101, v100, v17
	v_add_f32_e32 v17, v102, v101
	s_delay_alu instid0(VALU_DEP_1) | instskip(NEXT) | instid1(VALU_DEP_1)
	v_sub_f32_e32 v104, v15, v17
	v_dual_sub_f32 v102, v17, v102 :: v_dual_sub_f32 v15, v15, v104
	s_delay_alu instid0(VALU_DEP_1) | instskip(NEXT) | instid1(VALU_DEP_2)
	v_sub_f32_e32 v15, v15, v17
	v_sub_f32_e32 v17, v102, v101
	s_delay_alu instid0(VALU_DEP_2) | instskip(SKIP_1) | instid1(VALU_DEP_2)
	v_add_f32_e32 v13, v13, v15
	v_add_f32_e32 v15, v103, v100
	;; [unrolled: 1-line block ×3, first 2 shown]
	s_delay_alu instid0(VALU_DEP_2) | instskip(NEXT) | instid1(VALU_DEP_2)
	v_sub_f32_e32 v17, v15, v103
	v_add_f32_e32 v13, v104, v13
	s_delay_alu instid0(VALU_DEP_2) | instskip(NEXT) | instid1(VALU_DEP_2)
	v_sub_f32_e32 v17, v100, v17
	v_mul_f32_e32 v13, v14, v13
	s_delay_alu instid0(VALU_DEP_1) | instskip(NEXT) | instid1(VALU_DEP_1)
	v_add_f32_e32 v13, v17, v13
	v_add_f32_e32 v14, v15, v13
	s_delay_alu instid0(VALU_DEP_1) | instskip(NEXT) | instid1(VALU_DEP_1)
	v_mul_f32_e32 v17, v14, v14
	v_fmaak_f32 v100, s83, v17, 0x3ecc95a3
	v_mul_f32_e32 v101, v14, v17
	s_delay_alu instid0(VALU_DEP_2) | instskip(SKIP_1) | instid1(VALU_DEP_2)
	v_fmaak_f32 v17, v17, v100, 0x3f2aaada
	v_ldexp_f32 v100, v14, 1
	v_dual_sub_f32 v14, v14, v15 :: v_dual_mul_f32 v17, v101, v17
	v_mul_f32_e32 v101, 0x3f317218, v12
	s_delay_alu instid0(VALU_DEP_2) | instskip(NEXT) | instid1(VALU_DEP_3)
	v_sub_f32_e32 v13, v13, v14
	v_add_f32_e32 v15, v100, v17
	s_delay_alu instid0(VALU_DEP_2) | instskip(NEXT) | instid1(VALU_DEP_2)
	v_ldexp_f32 v13, v13, 1
	v_sub_f32_e32 v14, v15, v100
	v_fma_f32 v100, 0x3f317218, v12, -v101
	s_delay_alu instid0(VALU_DEP_2) | instskip(NEXT) | instid1(VALU_DEP_2)
	v_sub_f32_e32 v14, v17, v14
	v_fmac_f32_e32 v100, 0xb102e308, v12
	s_delay_alu instid0(VALU_DEP_2) | instskip(NEXT) | instid1(VALU_DEP_2)
	v_add_f32_e32 v12, v13, v14
	v_add_f32_e32 v13, v101, v100
	s_delay_alu instid0(VALU_DEP_1) | instskip(NEXT) | instid1(VALU_DEP_1)
	v_dual_add_f32 v14, v15, v12 :: v_dual_sub_f32 v101, v13, v101
	v_add_f32_e32 v17, v13, v14
	s_delay_alu instid0(VALU_DEP_2) | instskip(NEXT) | instid1(VALU_DEP_2)
	v_dual_sub_f32 v15, v14, v15 :: v_dual_sub_f32 v100, v100, v101
	v_sub_f32_e32 v102, v17, v13
	s_delay_alu instid0(VALU_DEP_1) | instskip(NEXT) | instid1(VALU_DEP_1)
	v_dual_sub_f32 v12, v12, v15 :: v_dual_sub_f32 v103, v17, v102
	v_dual_sub_f32 v14, v14, v102 :: v_dual_add_f32 v15, v100, v12
	s_delay_alu instid0(VALU_DEP_2) | instskip(NEXT) | instid1(VALU_DEP_1)
	v_sub_f32_e32 v13, v13, v103
	v_dual_add_f32 v13, v14, v13 :: v_dual_sub_f32 v14, v15, v100
	s_delay_alu instid0(VALU_DEP_1) | instskip(NEXT) | instid1(VALU_DEP_2)
	v_add_f32_e32 v13, v15, v13
	v_sub_f32_e32 v15, v15, v14
	s_delay_alu instid0(VALU_DEP_2) | instskip(NEXT) | instid1(VALU_DEP_1)
	v_dual_sub_f32 v12, v12, v14 :: v_dual_add_f32 v101, v17, v13
	v_dual_sub_f32 v15, v100, v15 :: v_dual_sub_f32 v14, v101, v17
	s_delay_alu instid0(VALU_DEP_1) | instskip(NEXT) | instid1(VALU_DEP_1)
	v_dual_add_f32 v12, v12, v15 :: v_dual_sub_f32 v13, v13, v14
	v_add_f32_e32 v12, v12, v13
	s_delay_alu instid0(VALU_DEP_1) | instskip(NEXT) | instid1(VALU_DEP_1)
	v_add_f32_e32 v12, v101, v12
	v_cndmask_b32_e32 v100, v12, v8, vcc_lo
.LBB55_96:                              ;   in Loop: Header=BB55_12 Depth=1
	s_or_b32 exec_lo, exec_lo, s29
	v_and_b32_e32 v8, 0xffff0000, v9
	s_delay_alu instid0(VALU_DEP_1) | instskip(NEXT) | instid1(VALU_DEP_1)
	v_add_f32_e32 v101, s68, v8
	v_cmp_ge_f32_e32 vcc_lo, 0x41a00000, v101
	s_and_b32 s28, s79, vcc_lo
	s_delay_alu instid0(SALU_CYCLE_1)
	s_and_saveexec_b32 s29, s28
	s_cbranch_execz .LBB55_98
; %bb.97:                               ;   in Loop: Header=BB55_12 Depth=1
	v_mul_f32_e32 v8, 0x3fb8aa3b, v101
	v_cmp_ngt_f32_e32 vcc_lo, 0xc2ce8ed0, v101
	s_delay_alu instid0(VALU_DEP_2) | instskip(SKIP_1) | instid1(VALU_DEP_2)
	v_rndne_f32_e32 v9, v8
	v_fma_f32 v12, 0x3fb8aa3b, v101, -v8
	v_sub_f32_e32 v8, v8, v9
	s_delay_alu instid0(VALU_DEP_2) | instskip(SKIP_1) | instid1(VALU_DEP_2)
	v_fmac_f32_e32 v12, 0x32a5705f, v101
	v_cvt_i32_f32_e32 v9, v9
	v_add_f32_e32 v8, v8, v12
	s_delay_alu instid0(VALU_DEP_1) | instskip(SKIP_2) | instid1(VALU_DEP_1)
	v_exp_f32_e32 v8, v8
	s_waitcnt_depctr 0xfff
	v_ldexp_f32 v8, v8, v9
	v_cndmask_b32_e32 v8, 0, v8, vcc_lo
	v_cmp_nlt_f32_e32 vcc_lo, 0x42b17218, v101
	s_delay_alu instid0(VALU_DEP_2) | instskip(NEXT) | instid1(VALU_DEP_1)
	v_cndmask_b32_e32 v12, 0x7f800000, v8, vcc_lo
	v_add_f32_e32 v13, 1.0, v12
	s_delay_alu instid0(VALU_DEP_1) | instskip(NEXT) | instid1(VALU_DEP_1)
	v_cvt_f64_f32_e32 v[8:9], v13
	v_frexp_exp_i32_f64_e32 v8, v[8:9]
	v_frexp_mant_f32_e32 v9, v13
	s_delay_alu instid0(VALU_DEP_1) | instskip(SKIP_1) | instid1(VALU_DEP_1)
	v_cmp_gt_f32_e32 vcc_lo, 0x3f2aaaab, v9
	v_add_f32_e32 v9, -1.0, v13
	v_sub_f32_e32 v15, v9, v13
	s_delay_alu instid0(VALU_DEP_1) | instskip(SKIP_1) | instid1(VALU_DEP_1)
	v_add_f32_e32 v15, 1.0, v15
	v_subrev_co_ci_u32_e32 v8, vcc_lo, 0, v8, vcc_lo
	v_sub_nc_u32_e32 v14, 0, v8
	v_cvt_f32_i32_e32 v8, v8
	s_delay_alu instid0(VALU_DEP_2) | instskip(NEXT) | instid1(VALU_DEP_1)
	v_ldexp_f32 v13, v13, v14
	v_add_f32_e32 v17, 1.0, v13
	v_sub_f32_e32 v9, v12, v9
	v_cmp_eq_f32_e32 vcc_lo, 0x7f800000, v12
	v_cmp_gt_f32_e64 s28, 0x33800000, v12
	s_delay_alu instid0(VALU_DEP_3) | instskip(NEXT) | instid1(VALU_DEP_2)
	v_add_f32_e32 v9, v9, v15
	s_or_b32 vcc_lo, s28, vcc_lo
	s_delay_alu instid0(VALU_DEP_1) | instskip(SKIP_2) | instid1(VALU_DEP_1)
	v_ldexp_f32 v9, v9, v14
	v_add_f32_e32 v14, -1.0, v13
	v_add_f32_e32 v15, -1.0, v17
	v_sub_f32_e32 v15, v13, v15
	s_delay_alu instid0(VALU_DEP_3) | instskip(NEXT) | instid1(VALU_DEP_2)
	v_add_f32_e32 v101, 1.0, v14
	v_add_f32_e32 v15, v9, v15
	s_delay_alu instid0(VALU_DEP_2) | instskip(NEXT) | instid1(VALU_DEP_2)
	v_sub_f32_e32 v13, v13, v101
	v_add_f32_e32 v101, v17, v15
	s_delay_alu instid0(VALU_DEP_2) | instskip(NEXT) | instid1(VALU_DEP_2)
	v_add_f32_e32 v9, v9, v13
	v_rcp_f32_e32 v13, v101
	s_delay_alu instid0(VALU_DEP_1) | instskip(NEXT) | instid1(VALU_DEP_1)
	v_add_f32_e32 v102, v14, v9
	v_dual_sub_f32 v17, v17, v101 :: v_dual_sub_f32 v14, v14, v102
	s_delay_alu instid0(VALU_DEP_1) | instskip(SKIP_2) | instid1(VALU_DEP_1)
	v_add_f32_e32 v15, v15, v17
	s_waitcnt_depctr 0xfff
	v_mul_f32_e32 v103, v102, v13
	v_mul_f32_e32 v104, v101, v103
	s_delay_alu instid0(VALU_DEP_1) | instskip(NEXT) | instid1(VALU_DEP_1)
	v_fma_f32 v17, v103, v101, -v104
	v_fmac_f32_e32 v17, v103, v15
	v_add_f32_e32 v9, v9, v14
	s_delay_alu instid0(VALU_DEP_2) | instskip(NEXT) | instid1(VALU_DEP_1)
	v_add_f32_e32 v105, v104, v17
	v_sub_f32_e32 v106, v102, v105
	v_sub_f32_e32 v14, v105, v104
	s_delay_alu instid0(VALU_DEP_2) | instskip(NEXT) | instid1(VALU_DEP_2)
	v_sub_f32_e32 v102, v102, v106
	v_sub_f32_e32 v14, v14, v17
	s_delay_alu instid0(VALU_DEP_2) | instskip(NEXT) | instid1(VALU_DEP_1)
	v_sub_f32_e32 v102, v102, v105
	v_add_f32_e32 v9, v9, v102
	s_delay_alu instid0(VALU_DEP_1) | instskip(NEXT) | instid1(VALU_DEP_1)
	v_add_f32_e32 v9, v14, v9
	v_add_f32_e32 v14, v106, v9
	s_delay_alu instid0(VALU_DEP_1) | instskip(NEXT) | instid1(VALU_DEP_1)
	v_mul_f32_e32 v17, v13, v14
	v_dual_sub_f32 v105, v106, v14 :: v_dual_mul_f32 v102, v101, v17
	s_delay_alu instid0(VALU_DEP_1) | instskip(NEXT) | instid1(VALU_DEP_2)
	v_add_f32_e32 v9, v9, v105
	v_fma_f32 v101, v17, v101, -v102
	s_delay_alu instid0(VALU_DEP_1) | instskip(NEXT) | instid1(VALU_DEP_1)
	v_fmac_f32_e32 v101, v17, v15
	v_add_f32_e32 v15, v102, v101
	s_delay_alu instid0(VALU_DEP_1) | instskip(SKIP_1) | instid1(VALU_DEP_2)
	v_sub_f32_e32 v104, v14, v15
	v_sub_f32_e32 v102, v15, v102
	;; [unrolled: 1-line block ×3, first 2 shown]
	s_delay_alu instid0(VALU_DEP_1) | instskip(NEXT) | instid1(VALU_DEP_1)
	v_sub_f32_e32 v14, v14, v15
	v_dual_add_f32 v9, v9, v14 :: v_dual_add_f32 v14, v103, v17
	s_delay_alu instid0(VALU_DEP_4) | instskip(NEXT) | instid1(VALU_DEP_1)
	v_sub_f32_e32 v15, v102, v101
	v_add_f32_e32 v9, v15, v9
	s_delay_alu instid0(VALU_DEP_3) | instskip(NEXT) | instid1(VALU_DEP_2)
	v_sub_f32_e32 v15, v14, v103
	v_add_f32_e32 v9, v104, v9
	s_delay_alu instid0(VALU_DEP_2) | instskip(NEXT) | instid1(VALU_DEP_2)
	v_sub_f32_e32 v15, v17, v15
	v_mul_f32_e32 v9, v13, v9
	s_delay_alu instid0(VALU_DEP_1) | instskip(NEXT) | instid1(VALU_DEP_1)
	v_add_f32_e32 v9, v15, v9
	v_add_f32_e32 v13, v14, v9
	s_delay_alu instid0(VALU_DEP_1) | instskip(NEXT) | instid1(VALU_DEP_1)
	v_mul_f32_e32 v15, v13, v13
	v_fmaak_f32 v17, s83, v15, 0x3ecc95a3
	v_mul_f32_e32 v101, v13, v15
	s_delay_alu instid0(VALU_DEP_2) | instskip(SKIP_2) | instid1(VALU_DEP_3)
	v_fmaak_f32 v15, v15, v17, 0x3f2aaada
	v_ldexp_f32 v17, v13, 1
	v_sub_f32_e32 v13, v13, v14
	v_mul_f32_e32 v15, v101, v15
	v_mul_f32_e32 v101, 0x3f317218, v8
	s_delay_alu instid0(VALU_DEP_3) | instskip(NEXT) | instid1(VALU_DEP_3)
	v_sub_f32_e32 v9, v9, v13
	v_add_f32_e32 v14, v17, v15
	s_delay_alu instid0(VALU_DEP_2) | instskip(NEXT) | instid1(VALU_DEP_2)
	v_ldexp_f32 v9, v9, 1
	v_sub_f32_e32 v13, v14, v17
	v_fma_f32 v17, 0x3f317218, v8, -v101
	s_delay_alu instid0(VALU_DEP_2) | instskip(NEXT) | instid1(VALU_DEP_1)
	v_sub_f32_e32 v13, v15, v13
	v_dual_fmac_f32 v17, 0xb102e308, v8 :: v_dual_add_f32 v8, v9, v13
	s_delay_alu instid0(VALU_DEP_1) | instskip(NEXT) | instid1(VALU_DEP_2)
	v_add_f32_e32 v9, v101, v17
	v_add_f32_e32 v13, v14, v8
	s_delay_alu instid0(VALU_DEP_2) | instskip(NEXT) | instid1(VALU_DEP_2)
	v_sub_f32_e32 v101, v9, v101
	v_add_f32_e32 v15, v9, v13
	v_sub_f32_e32 v14, v13, v14
	s_delay_alu instid0(VALU_DEP_3) | instskip(NEXT) | instid1(VALU_DEP_3)
	v_sub_f32_e32 v17, v17, v101
	v_sub_f32_e32 v102, v15, v9
	s_delay_alu instid0(VALU_DEP_3) | instskip(NEXT) | instid1(VALU_DEP_2)
	v_sub_f32_e32 v8, v8, v14
	v_sub_f32_e32 v103, v15, v102
	;; [unrolled: 1-line block ×3, first 2 shown]
	s_delay_alu instid0(VALU_DEP_3) | instskip(NEXT) | instid1(VALU_DEP_3)
	v_add_f32_e32 v14, v17, v8
	v_sub_f32_e32 v9, v9, v103
	s_delay_alu instid0(VALU_DEP_1) | instskip(NEXT) | instid1(VALU_DEP_3)
	v_add_f32_e32 v9, v13, v9
	v_sub_f32_e32 v13, v14, v17
	s_delay_alu instid0(VALU_DEP_2) | instskip(NEXT) | instid1(VALU_DEP_2)
	v_add_f32_e32 v9, v14, v9
	v_sub_f32_e32 v14, v14, v13
	v_sub_f32_e32 v8, v8, v13
	s_delay_alu instid0(VALU_DEP_2) | instskip(NEXT) | instid1(VALU_DEP_1)
	v_dual_add_f32 v101, v15, v9 :: v_dual_sub_f32 v14, v17, v14
	v_dual_sub_f32 v13, v101, v15 :: v_dual_add_f32 v8, v8, v14
	s_delay_alu instid0(VALU_DEP_1) | instskip(NEXT) | instid1(VALU_DEP_1)
	v_sub_f32_e32 v9, v9, v13
	v_add_f32_e32 v8, v8, v9
	s_delay_alu instid0(VALU_DEP_1) | instskip(NEXT) | instid1(VALU_DEP_1)
	v_add_f32_e32 v8, v101, v8
	v_cndmask_b32_e32 v101, v8, v12, vcc_lo
.LBB55_98:                              ;   in Loop: Header=BB55_12 Depth=1
	s_or_b32 exec_lo, exec_lo, s29
	v_lshlrev_b32_e32 v8, 16, v10
	s_delay_alu instid0(VALU_DEP_1) | instskip(NEXT) | instid1(VALU_DEP_1)
	v_add_f32_e32 v102, s68, v8
	v_cmp_ge_f32_e32 vcc_lo, 0x41a00000, v102
	s_and_b32 s28, s79, vcc_lo
	s_delay_alu instid0(SALU_CYCLE_1)
	s_and_saveexec_b32 s29, s28
	s_cbranch_execz .LBB55_100
; %bb.99:                               ;   in Loop: Header=BB55_12 Depth=1
	v_mul_f32_e32 v8, 0x3fb8aa3b, v102
	v_cmp_ngt_f32_e32 vcc_lo, 0xc2ce8ed0, v102
	s_delay_alu instid0(VALU_DEP_2) | instskip(SKIP_1) | instid1(VALU_DEP_2)
	v_rndne_f32_e32 v9, v8
	v_fma_f32 v12, 0x3fb8aa3b, v102, -v8
	v_sub_f32_e32 v8, v8, v9
	s_delay_alu instid0(VALU_DEP_2) | instskip(SKIP_1) | instid1(VALU_DEP_2)
	v_fmac_f32_e32 v12, 0x32a5705f, v102
	v_cvt_i32_f32_e32 v9, v9
	v_add_f32_e32 v8, v8, v12
	s_delay_alu instid0(VALU_DEP_1) | instskip(SKIP_2) | instid1(VALU_DEP_1)
	v_exp_f32_e32 v8, v8
	s_waitcnt_depctr 0xfff
	v_ldexp_f32 v8, v8, v9
	v_cndmask_b32_e32 v8, 0, v8, vcc_lo
	v_cmp_nlt_f32_e32 vcc_lo, 0x42b17218, v102
	s_delay_alu instid0(VALU_DEP_2) | instskip(NEXT) | instid1(VALU_DEP_1)
	v_cndmask_b32_e32 v12, 0x7f800000, v8, vcc_lo
	v_add_f32_e32 v13, 1.0, v12
	s_delay_alu instid0(VALU_DEP_1) | instskip(NEXT) | instid1(VALU_DEP_1)
	v_cvt_f64_f32_e32 v[8:9], v13
	v_frexp_exp_i32_f64_e32 v8, v[8:9]
	v_frexp_mant_f32_e32 v9, v13
	s_delay_alu instid0(VALU_DEP_1) | instskip(SKIP_1) | instid1(VALU_DEP_1)
	v_cmp_gt_f32_e32 vcc_lo, 0x3f2aaaab, v9
	v_add_f32_e32 v9, -1.0, v13
	v_sub_f32_e32 v15, v9, v13
	s_delay_alu instid0(VALU_DEP_1) | instskip(SKIP_1) | instid1(VALU_DEP_1)
	v_add_f32_e32 v15, 1.0, v15
	v_subrev_co_ci_u32_e32 v8, vcc_lo, 0, v8, vcc_lo
	v_sub_nc_u32_e32 v14, 0, v8
	v_cvt_f32_i32_e32 v8, v8
	s_delay_alu instid0(VALU_DEP_2) | instskip(NEXT) | instid1(VALU_DEP_1)
	v_ldexp_f32 v13, v13, v14
	v_add_f32_e32 v17, 1.0, v13
	v_sub_f32_e32 v9, v12, v9
	v_cmp_eq_f32_e32 vcc_lo, 0x7f800000, v12
	v_cmp_gt_f32_e64 s28, 0x33800000, v12
	s_delay_alu instid0(VALU_DEP_3) | instskip(NEXT) | instid1(VALU_DEP_2)
	v_add_f32_e32 v9, v9, v15
	s_or_b32 vcc_lo, s28, vcc_lo
	s_delay_alu instid0(VALU_DEP_1) | instskip(SKIP_1) | instid1(VALU_DEP_1)
	v_ldexp_f32 v9, v9, v14
	v_add_f32_e32 v14, -1.0, v13
	v_dual_add_f32 v15, -1.0, v17 :: v_dual_add_f32 v102, 1.0, v14
	s_delay_alu instid0(VALU_DEP_1) | instskip(NEXT) | instid1(VALU_DEP_2)
	v_sub_f32_e32 v15, v13, v15
	v_sub_f32_e32 v13, v13, v102
	s_delay_alu instid0(VALU_DEP_2) | instskip(NEXT) | instid1(VALU_DEP_2)
	v_add_f32_e32 v15, v9, v15
	v_add_f32_e32 v9, v9, v13
	s_delay_alu instid0(VALU_DEP_1) | instskip(NEXT) | instid1(VALU_DEP_1)
	v_dual_add_f32 v102, v17, v15 :: v_dual_add_f32 v103, v14, v9
	v_rcp_f32_e32 v13, v102
	s_delay_alu instid0(VALU_DEP_1) | instskip(NEXT) | instid1(VALU_DEP_1)
	v_dual_sub_f32 v17, v17, v102 :: v_dual_sub_f32 v14, v14, v103
	v_add_f32_e32 v15, v15, v17
	s_waitcnt_depctr 0xfff
	v_dual_add_f32 v9, v9, v14 :: v_dual_mul_f32 v104, v103, v13
	s_delay_alu instid0(VALU_DEP_1) | instskip(NEXT) | instid1(VALU_DEP_1)
	v_mul_f32_e32 v105, v102, v104
	v_fma_f32 v17, v104, v102, -v105
	s_delay_alu instid0(VALU_DEP_1) | instskip(NEXT) | instid1(VALU_DEP_1)
	v_fmac_f32_e32 v17, v104, v15
	v_add_f32_e32 v106, v105, v17
	s_delay_alu instid0(VALU_DEP_1) | instskip(NEXT) | instid1(VALU_DEP_1)
	v_sub_f32_e32 v107, v103, v106
	v_dual_sub_f32 v103, v103, v107 :: v_dual_sub_f32 v14, v106, v105
	s_delay_alu instid0(VALU_DEP_1) | instskip(NEXT) | instid1(VALU_DEP_1)
	v_dual_sub_f32 v103, v103, v106 :: v_dual_sub_f32 v14, v14, v17
	v_add_f32_e32 v9, v9, v103
	s_delay_alu instid0(VALU_DEP_1) | instskip(NEXT) | instid1(VALU_DEP_1)
	v_add_f32_e32 v9, v14, v9
	v_add_f32_e32 v14, v107, v9
	s_delay_alu instid0(VALU_DEP_1) | instskip(NEXT) | instid1(VALU_DEP_1)
	v_mul_f32_e32 v17, v13, v14
	v_dual_sub_f32 v106, v107, v14 :: v_dual_mul_f32 v103, v102, v17
	s_delay_alu instid0(VALU_DEP_1) | instskip(NEXT) | instid1(VALU_DEP_2)
	v_add_f32_e32 v9, v9, v106
	v_fma_f32 v102, v17, v102, -v103
	s_delay_alu instid0(VALU_DEP_1) | instskip(NEXT) | instid1(VALU_DEP_1)
	v_fmac_f32_e32 v102, v17, v15
	v_add_f32_e32 v15, v103, v102
	s_delay_alu instid0(VALU_DEP_1) | instskip(NEXT) | instid1(VALU_DEP_1)
	v_sub_f32_e32 v105, v14, v15
	v_dual_sub_f32 v103, v15, v103 :: v_dual_sub_f32 v14, v14, v105
	s_delay_alu instid0(VALU_DEP_1) | instskip(NEXT) | instid1(VALU_DEP_1)
	v_dual_sub_f32 v14, v14, v15 :: v_dual_sub_f32 v15, v103, v102
	v_dual_add_f32 v9, v9, v14 :: v_dual_add_f32 v14, v104, v17
	s_delay_alu instid0(VALU_DEP_1) | instskip(NEXT) | instid1(VALU_DEP_2)
	v_add_f32_e32 v9, v15, v9
	v_sub_f32_e32 v15, v14, v104
	s_delay_alu instid0(VALU_DEP_2) | instskip(NEXT) | instid1(VALU_DEP_2)
	v_add_f32_e32 v9, v105, v9
	v_sub_f32_e32 v15, v17, v15
	s_delay_alu instid0(VALU_DEP_2) | instskip(NEXT) | instid1(VALU_DEP_1)
	v_mul_f32_e32 v9, v13, v9
	v_add_f32_e32 v9, v15, v9
	s_delay_alu instid0(VALU_DEP_1) | instskip(NEXT) | instid1(VALU_DEP_1)
	v_add_f32_e32 v13, v14, v9
	v_mul_f32_e32 v15, v13, v13
	s_delay_alu instid0(VALU_DEP_1) | instskip(NEXT) | instid1(VALU_DEP_1)
	v_fmaak_f32 v17, s83, v15, 0x3ecc95a3
	v_dual_mul_f32 v102, v13, v15 :: v_dual_fmaak_f32 v15, v15, v17, 0x3f2aaada
	v_ldexp_f32 v17, v13, 1
	v_sub_f32_e32 v13, v13, v14
	s_delay_alu instid0(VALU_DEP_3) | instskip(NEXT) | instid1(VALU_DEP_2)
	v_dual_mul_f32 v15, v102, v15 :: v_dual_mul_f32 v102, 0x3f317218, v8
	v_sub_f32_e32 v9, v9, v13
	s_delay_alu instid0(VALU_DEP_2) | instskip(NEXT) | instid1(VALU_DEP_2)
	v_add_f32_e32 v14, v17, v15
	v_ldexp_f32 v9, v9, 1
	s_delay_alu instid0(VALU_DEP_2) | instskip(SKIP_1) | instid1(VALU_DEP_2)
	v_sub_f32_e32 v13, v14, v17
	v_fma_f32 v17, 0x3f317218, v8, -v102
	v_sub_f32_e32 v13, v15, v13
	s_delay_alu instid0(VALU_DEP_1) | instskip(NEXT) | instid1(VALU_DEP_1)
	v_dual_fmac_f32 v17, 0xb102e308, v8 :: v_dual_add_f32 v8, v9, v13
	v_add_f32_e32 v9, v102, v17
	s_delay_alu instid0(VALU_DEP_1) | instskip(NEXT) | instid1(VALU_DEP_1)
	v_dual_add_f32 v13, v14, v8 :: v_dual_sub_f32 v102, v9, v102
	v_add_f32_e32 v15, v9, v13
	v_sub_f32_e32 v14, v13, v14
	s_delay_alu instid0(VALU_DEP_3) | instskip(NEXT) | instid1(VALU_DEP_2)
	v_sub_f32_e32 v17, v17, v102
	v_dual_sub_f32 v103, v15, v9 :: v_dual_sub_f32 v8, v8, v14
	s_delay_alu instid0(VALU_DEP_1) | instskip(SKIP_1) | instid1(VALU_DEP_3)
	v_sub_f32_e32 v104, v15, v103
	v_sub_f32_e32 v13, v13, v103
	v_add_f32_e32 v14, v17, v8
	s_delay_alu instid0(VALU_DEP_3) | instskip(NEXT) | instid1(VALU_DEP_1)
	v_sub_f32_e32 v9, v9, v104
	v_add_f32_e32 v9, v13, v9
	s_delay_alu instid0(VALU_DEP_3) | instskip(NEXT) | instid1(VALU_DEP_2)
	v_sub_f32_e32 v13, v14, v17
	v_add_f32_e32 v9, v14, v9
	s_delay_alu instid0(VALU_DEP_2) | instskip(SKIP_1) | instid1(VALU_DEP_3)
	v_sub_f32_e32 v14, v14, v13
	v_sub_f32_e32 v8, v8, v13
	v_add_f32_e32 v102, v15, v9
	s_delay_alu instid0(VALU_DEP_1) | instskip(NEXT) | instid1(VALU_DEP_1)
	v_dual_sub_f32 v14, v17, v14 :: v_dual_sub_f32 v13, v102, v15
	v_dual_add_f32 v8, v8, v14 :: v_dual_sub_f32 v9, v9, v13
	s_delay_alu instid0(VALU_DEP_1) | instskip(NEXT) | instid1(VALU_DEP_1)
	v_add_f32_e32 v8, v8, v9
	v_add_f32_e32 v8, v102, v8
	s_delay_alu instid0(VALU_DEP_1)
	v_cndmask_b32_e32 v102, v8, v12, vcc_lo
.LBB55_100:                             ;   in Loop: Header=BB55_12 Depth=1
	s_or_b32 exec_lo, exec_lo, s29
	v_and_b32_e32 v8, 0xffff0000, v10
	s_delay_alu instid0(VALU_DEP_1) | instskip(NEXT) | instid1(VALU_DEP_1)
	v_add_f32_e32 v103, s68, v8
	v_cmp_ge_f32_e32 vcc_lo, 0x41a00000, v103
	s_and_b32 s28, s79, vcc_lo
	s_delay_alu instid0(SALU_CYCLE_1)
	s_and_saveexec_b32 s29, s28
	s_cbranch_execz .LBB55_102
; %bb.101:                              ;   in Loop: Header=BB55_12 Depth=1
	v_mul_f32_e32 v8, 0x3fb8aa3b, v103
	v_cmp_ngt_f32_e32 vcc_lo, 0xc2ce8ed0, v103
	s_delay_alu instid0(VALU_DEP_2) | instskip(SKIP_1) | instid1(VALU_DEP_2)
	v_rndne_f32_e32 v9, v8
	v_fma_f32 v10, 0x3fb8aa3b, v103, -v8
	v_sub_f32_e32 v8, v8, v9
	s_delay_alu instid0(VALU_DEP_2) | instskip(SKIP_1) | instid1(VALU_DEP_2)
	v_fmac_f32_e32 v10, 0x32a5705f, v103
	v_cvt_i32_f32_e32 v9, v9
	v_add_f32_e32 v8, v8, v10
	s_delay_alu instid0(VALU_DEP_1) | instskip(SKIP_2) | instid1(VALU_DEP_1)
	v_exp_f32_e32 v8, v8
	s_waitcnt_depctr 0xfff
	v_ldexp_f32 v8, v8, v9
	v_cndmask_b32_e32 v8, 0, v8, vcc_lo
	v_cmp_nlt_f32_e32 vcc_lo, 0x42b17218, v103
	s_delay_alu instid0(VALU_DEP_2) | instskip(NEXT) | instid1(VALU_DEP_1)
	v_cndmask_b32_e32 v10, 0x7f800000, v8, vcc_lo
	v_add_f32_e32 v12, 1.0, v10
	s_delay_alu instid0(VALU_DEP_1) | instskip(NEXT) | instid1(VALU_DEP_1)
	v_cvt_f64_f32_e32 v[8:9], v12
	v_frexp_exp_i32_f64_e32 v8, v[8:9]
	v_frexp_mant_f32_e32 v9, v12
	s_delay_alu instid0(VALU_DEP_1) | instskip(SKIP_1) | instid1(VALU_DEP_1)
	v_cmp_gt_f32_e32 vcc_lo, 0x3f2aaaab, v9
	v_add_f32_e32 v9, -1.0, v12
	v_dual_sub_f32 v14, v9, v12 :: v_dual_sub_f32 v9, v10, v9
	v_subrev_co_ci_u32_e32 v8, vcc_lo, 0, v8, vcc_lo
	s_delay_alu instid0(VALU_DEP_1) | instskip(SKIP_1) | instid1(VALU_DEP_2)
	v_sub_nc_u32_e32 v13, 0, v8
	v_cvt_f32_i32_e32 v8, v8
	v_ldexp_f32 v12, v12, v13
	s_delay_alu instid0(VALU_DEP_1) | instskip(NEXT) | instid1(VALU_DEP_1)
	v_dual_add_f32 v14, 1.0, v14 :: v_dual_add_f32 v15, 1.0, v12
	v_add_f32_e32 v9, v9, v14
	s_delay_alu instid0(VALU_DEP_1) | instskip(NEXT) | instid1(VALU_DEP_3)
	v_ldexp_f32 v9, v9, v13
	v_dual_add_f32 v13, -1.0, v12 :: v_dual_add_f32 v14, -1.0, v15
	s_delay_alu instid0(VALU_DEP_1) | instskip(NEXT) | instid1(VALU_DEP_1)
	v_dual_add_f32 v17, 1.0, v13 :: v_dual_sub_f32 v14, v12, v14
	v_sub_f32_e32 v12, v12, v17
	s_delay_alu instid0(VALU_DEP_2) | instskip(NEXT) | instid1(VALU_DEP_2)
	v_add_f32_e32 v14, v9, v14
	v_add_f32_e32 v9, v9, v12
	s_delay_alu instid0(VALU_DEP_2) | instskip(SKIP_2) | instid1(VALU_DEP_4)
	v_add_f32_e32 v17, v15, v14
	v_cmp_eq_f32_e32 vcc_lo, 0x7f800000, v10
	v_cmp_gt_f32_e64 s28, 0x33800000, v10
	v_add_f32_e32 v103, v13, v9
	s_delay_alu instid0(VALU_DEP_4) | instskip(SKIP_1) | instid1(VALU_DEP_3)
	v_rcp_f32_e32 v12, v17
	v_sub_f32_e32 v15, v15, v17
	s_or_b32 vcc_lo, s28, vcc_lo
	s_delay_alu instid0(VALU_DEP_2) | instskip(NEXT) | instid1(VALU_DEP_1)
	v_sub_f32_e32 v13, v13, v103
	v_dual_add_f32 v14, v14, v15 :: v_dual_add_f32 v9, v9, v13
	s_waitcnt_depctr 0xfff
	v_mul_f32_e32 v104, v103, v12
	s_delay_alu instid0(VALU_DEP_1) | instskip(NEXT) | instid1(VALU_DEP_1)
	v_mul_f32_e32 v105, v17, v104
	v_fma_f32 v15, v104, v17, -v105
	s_delay_alu instid0(VALU_DEP_1) | instskip(NEXT) | instid1(VALU_DEP_1)
	v_fmac_f32_e32 v15, v104, v14
	v_add_f32_e32 v106, v105, v15
	s_delay_alu instid0(VALU_DEP_1) | instskip(SKIP_1) | instid1(VALU_DEP_2)
	v_sub_f32_e32 v107, v103, v106
	v_sub_f32_e32 v13, v106, v105
	;; [unrolled: 1-line block ×3, first 2 shown]
	s_delay_alu instid0(VALU_DEP_2) | instskip(NEXT) | instid1(VALU_DEP_2)
	v_sub_f32_e32 v13, v13, v15
	v_sub_f32_e32 v103, v103, v106
	s_delay_alu instid0(VALU_DEP_1) | instskip(NEXT) | instid1(VALU_DEP_1)
	v_add_f32_e32 v9, v9, v103
	v_add_f32_e32 v9, v13, v9
	s_delay_alu instid0(VALU_DEP_1) | instskip(NEXT) | instid1(VALU_DEP_1)
	v_add_f32_e32 v13, v107, v9
	v_mul_f32_e32 v15, v12, v13
	s_delay_alu instid0(VALU_DEP_1) | instskip(NEXT) | instid1(VALU_DEP_1)
	v_dual_sub_f32 v106, v107, v13 :: v_dual_mul_f32 v103, v17, v15
	v_add_f32_e32 v9, v9, v106
	s_delay_alu instid0(VALU_DEP_2) | instskip(NEXT) | instid1(VALU_DEP_1)
	v_fma_f32 v17, v15, v17, -v103
	v_fmac_f32_e32 v17, v15, v14
	s_delay_alu instid0(VALU_DEP_1) | instskip(NEXT) | instid1(VALU_DEP_1)
	v_add_f32_e32 v14, v103, v17
	v_sub_f32_e32 v105, v13, v14
	v_sub_f32_e32 v103, v14, v103
	s_delay_alu instid0(VALU_DEP_2) | instskip(NEXT) | instid1(VALU_DEP_1)
	v_sub_f32_e32 v13, v13, v105
	v_dual_sub_f32 v13, v13, v14 :: v_dual_sub_f32 v14, v103, v17
	s_delay_alu instid0(VALU_DEP_1) | instskip(SKIP_1) | instid1(VALU_DEP_1)
	v_add_f32_e32 v9, v9, v13
	v_add_f32_e32 v13, v104, v15
	v_dual_add_f32 v9, v14, v9 :: v_dual_sub_f32 v14, v13, v104
	s_delay_alu instid0(VALU_DEP_1) | instskip(NEXT) | instid1(VALU_DEP_1)
	v_dual_add_f32 v9, v105, v9 :: v_dual_sub_f32 v14, v15, v14
	v_mul_f32_e32 v9, v12, v9
	s_delay_alu instid0(VALU_DEP_1) | instskip(NEXT) | instid1(VALU_DEP_1)
	v_add_f32_e32 v9, v14, v9
	v_add_f32_e32 v12, v13, v9
	s_delay_alu instid0(VALU_DEP_1) | instskip(NEXT) | instid1(VALU_DEP_1)
	v_mul_f32_e32 v14, v12, v12
	v_fmaak_f32 v15, s83, v14, 0x3ecc95a3
	s_delay_alu instid0(VALU_DEP_1) | instskip(SKIP_2) | instid1(VALU_DEP_3)
	v_dual_mul_f32 v17, v12, v14 :: v_dual_fmaak_f32 v14, v14, v15, 0x3f2aaada
	v_ldexp_f32 v15, v12, 1
	v_sub_f32_e32 v12, v12, v13
	v_dual_mul_f32 v14, v17, v14 :: v_dual_mul_f32 v17, 0x3f317218, v8
	s_delay_alu instid0(VALU_DEP_2) | instskip(NEXT) | instid1(VALU_DEP_2)
	v_sub_f32_e32 v9, v9, v12
	v_add_f32_e32 v13, v15, v14
	s_delay_alu instid0(VALU_DEP_2) | instskip(NEXT) | instid1(VALU_DEP_2)
	v_ldexp_f32 v9, v9, 1
	v_sub_f32_e32 v12, v13, v15
	v_fma_f32 v15, 0x3f317218, v8, -v17
	s_delay_alu instid0(VALU_DEP_2) | instskip(NEXT) | instid1(VALU_DEP_2)
	v_sub_f32_e32 v12, v14, v12
	v_fmac_f32_e32 v15, 0xb102e308, v8
	s_delay_alu instid0(VALU_DEP_2) | instskip(NEXT) | instid1(VALU_DEP_2)
	v_add_f32_e32 v8, v9, v12
	v_add_f32_e32 v9, v17, v15
	s_delay_alu instid0(VALU_DEP_2) | instskip(NEXT) | instid1(VALU_DEP_2)
	v_add_f32_e32 v12, v13, v8
	v_sub_f32_e32 v17, v9, v17
	s_delay_alu instid0(VALU_DEP_2) | instskip(NEXT) | instid1(VALU_DEP_2)
	v_dual_add_f32 v14, v9, v12 :: v_dual_sub_f32 v13, v12, v13
	v_sub_f32_e32 v15, v15, v17
	s_delay_alu instid0(VALU_DEP_2) | instskip(NEXT) | instid1(VALU_DEP_3)
	v_sub_f32_e32 v103, v14, v9
	v_sub_f32_e32 v8, v8, v13
	s_delay_alu instid0(VALU_DEP_2) | instskip(NEXT) | instid1(VALU_DEP_2)
	v_sub_f32_e32 v104, v14, v103
	v_dual_sub_f32 v12, v12, v103 :: v_dual_add_f32 v13, v15, v8
	s_delay_alu instid0(VALU_DEP_2) | instskip(NEXT) | instid1(VALU_DEP_1)
	v_sub_f32_e32 v9, v9, v104
	v_dual_add_f32 v9, v12, v9 :: v_dual_sub_f32 v12, v13, v15
	s_delay_alu instid0(VALU_DEP_1) | instskip(NEXT) | instid1(VALU_DEP_2)
	v_add_f32_e32 v9, v13, v9
	v_sub_f32_e32 v13, v13, v12
	s_delay_alu instid0(VALU_DEP_2) | instskip(NEXT) | instid1(VALU_DEP_1)
	v_dual_sub_f32 v8, v8, v12 :: v_dual_add_f32 v17, v14, v9
	v_dual_sub_f32 v13, v15, v13 :: v_dual_sub_f32 v12, v17, v14
	s_delay_alu instid0(VALU_DEP_1) | instskip(NEXT) | instid1(VALU_DEP_1)
	v_dual_add_f32 v8, v8, v13 :: v_dual_sub_f32 v9, v9, v12
	v_add_f32_e32 v8, v8, v9
	s_delay_alu instid0(VALU_DEP_1) | instskip(NEXT) | instid1(VALU_DEP_1)
	v_add_f32_e32 v8, v17, v8
	v_cndmask_b32_e32 v103, v8, v10, vcc_lo
.LBB55_102:                             ;   in Loop: Header=BB55_12 Depth=1
	s_or_b32 exec_lo, exec_lo, s29
	v_lshlrev_b32_e32 v8, 16, v11
	s_delay_alu instid0(VALU_DEP_1) | instskip(NEXT) | instid1(VALU_DEP_1)
	v_add_f32_e32 v104, s68, v8
	v_cmp_ge_f32_e32 vcc_lo, 0x41a00000, v104
	s_and_b32 s28, s79, vcc_lo
	s_delay_alu instid0(SALU_CYCLE_1)
	s_and_saveexec_b32 s29, s28
	s_cbranch_execz .LBB55_104
; %bb.103:                              ;   in Loop: Header=BB55_12 Depth=1
	v_mul_f32_e32 v8, 0x3fb8aa3b, v104
	v_cmp_ngt_f32_e32 vcc_lo, 0xc2ce8ed0, v104
	s_delay_alu instid0(VALU_DEP_2) | instskip(SKIP_1) | instid1(VALU_DEP_2)
	v_rndne_f32_e32 v9, v8
	v_fma_f32 v10, 0x3fb8aa3b, v104, -v8
	v_sub_f32_e32 v8, v8, v9
	s_delay_alu instid0(VALU_DEP_2) | instskip(SKIP_1) | instid1(VALU_DEP_2)
	v_fmac_f32_e32 v10, 0x32a5705f, v104
	v_cvt_i32_f32_e32 v9, v9
	v_add_f32_e32 v8, v8, v10
	s_delay_alu instid0(VALU_DEP_1) | instskip(SKIP_2) | instid1(VALU_DEP_1)
	v_exp_f32_e32 v8, v8
	s_waitcnt_depctr 0xfff
	v_ldexp_f32 v8, v8, v9
	v_cndmask_b32_e32 v8, 0, v8, vcc_lo
	v_cmp_nlt_f32_e32 vcc_lo, 0x42b17218, v104
	s_delay_alu instid0(VALU_DEP_2) | instskip(NEXT) | instid1(VALU_DEP_1)
	v_cndmask_b32_e32 v10, 0x7f800000, v8, vcc_lo
	v_add_f32_e32 v12, 1.0, v10
	s_delay_alu instid0(VALU_DEP_1) | instskip(NEXT) | instid1(VALU_DEP_1)
	v_cvt_f64_f32_e32 v[8:9], v12
	v_frexp_exp_i32_f64_e32 v8, v[8:9]
	v_frexp_mant_f32_e32 v9, v12
	s_delay_alu instid0(VALU_DEP_1) | instskip(SKIP_1) | instid1(VALU_DEP_1)
	v_cmp_gt_f32_e32 vcc_lo, 0x3f2aaaab, v9
	v_add_f32_e32 v9, -1.0, v12
	v_dual_sub_f32 v14, v9, v12 :: v_dual_sub_f32 v9, v10, v9
	v_subrev_co_ci_u32_e32 v8, vcc_lo, 0, v8, vcc_lo
	s_delay_alu instid0(VALU_DEP_1) | instskip(SKIP_1) | instid1(VALU_DEP_2)
	v_sub_nc_u32_e32 v13, 0, v8
	v_cvt_f32_i32_e32 v8, v8
	v_ldexp_f32 v12, v12, v13
	s_delay_alu instid0(VALU_DEP_1) | instskip(NEXT) | instid1(VALU_DEP_1)
	v_dual_add_f32 v14, 1.0, v14 :: v_dual_add_f32 v15, 1.0, v12
	v_add_f32_e32 v9, v9, v14
	s_delay_alu instid0(VALU_DEP_1) | instskip(NEXT) | instid1(VALU_DEP_3)
	v_ldexp_f32 v9, v9, v13
	v_dual_add_f32 v13, -1.0, v12 :: v_dual_add_f32 v14, -1.0, v15
	s_delay_alu instid0(VALU_DEP_1) | instskip(NEXT) | instid1(VALU_DEP_1)
	v_dual_add_f32 v17, 1.0, v13 :: v_dual_sub_f32 v14, v12, v14
	v_sub_f32_e32 v12, v12, v17
	s_delay_alu instid0(VALU_DEP_2) | instskip(NEXT) | instid1(VALU_DEP_2)
	v_add_f32_e32 v14, v9, v14
	v_add_f32_e32 v9, v9, v12
	s_delay_alu instid0(VALU_DEP_2) | instskip(SKIP_2) | instid1(VALU_DEP_4)
	v_add_f32_e32 v17, v15, v14
	v_cmp_eq_f32_e32 vcc_lo, 0x7f800000, v10
	v_cmp_gt_f32_e64 s28, 0x33800000, v10
	v_add_f32_e32 v104, v13, v9
	s_delay_alu instid0(VALU_DEP_4) | instskip(SKIP_1) | instid1(VALU_DEP_3)
	v_rcp_f32_e32 v12, v17
	v_sub_f32_e32 v15, v15, v17
	s_or_b32 vcc_lo, s28, vcc_lo
	s_delay_alu instid0(VALU_DEP_2) | instskip(NEXT) | instid1(VALU_DEP_1)
	v_sub_f32_e32 v13, v13, v104
	v_add_f32_e32 v9, v9, v13
	s_waitcnt_depctr 0xfff
	v_dual_mul_f32 v105, v104, v12 :: v_dual_add_f32 v14, v14, v15
	s_delay_alu instid0(VALU_DEP_1) | instskip(NEXT) | instid1(VALU_DEP_1)
	v_mul_f32_e32 v106, v17, v105
	v_fma_f32 v15, v105, v17, -v106
	s_delay_alu instid0(VALU_DEP_1) | instskip(NEXT) | instid1(VALU_DEP_1)
	v_fmac_f32_e32 v15, v105, v14
	v_add_f32_e32 v107, v106, v15
	s_delay_alu instid0(VALU_DEP_1) | instskip(NEXT) | instid1(VALU_DEP_1)
	v_dual_sub_f32 v13, v107, v106 :: v_dual_sub_f32 v108, v104, v107
	v_dual_sub_f32 v13, v13, v15 :: v_dual_sub_f32 v104, v104, v108
	s_delay_alu instid0(VALU_DEP_1) | instskip(NEXT) | instid1(VALU_DEP_1)
	v_sub_f32_e32 v104, v104, v107
	v_add_f32_e32 v9, v9, v104
	s_delay_alu instid0(VALU_DEP_1) | instskip(NEXT) | instid1(VALU_DEP_1)
	v_add_f32_e32 v9, v13, v9
	v_add_f32_e32 v13, v108, v9
	s_delay_alu instid0(VALU_DEP_1) | instskip(NEXT) | instid1(VALU_DEP_1)
	v_mul_f32_e32 v15, v12, v13
	v_mul_f32_e32 v104, v17, v15
	s_delay_alu instid0(VALU_DEP_1) | instskip(NEXT) | instid1(VALU_DEP_1)
	v_fma_f32 v17, v15, v17, -v104
	v_fmac_f32_e32 v17, v15, v14
	s_delay_alu instid0(VALU_DEP_1) | instskip(NEXT) | instid1(VALU_DEP_1)
	v_add_f32_e32 v14, v104, v17
	v_dual_sub_f32 v107, v108, v13 :: v_dual_sub_f32 v106, v13, v14
	s_delay_alu instid0(VALU_DEP_1) | instskip(NEXT) | instid1(VALU_DEP_2)
	v_dual_sub_f32 v13, v13, v106 :: v_dual_sub_f32 v104, v14, v104
	v_add_f32_e32 v9, v9, v107
	s_delay_alu instid0(VALU_DEP_2) | instskip(NEXT) | instid1(VALU_DEP_1)
	v_dual_sub_f32 v13, v13, v14 :: v_dual_sub_f32 v14, v104, v17
	v_add_f32_e32 v9, v9, v13
	v_add_f32_e32 v13, v105, v15
	s_delay_alu instid0(VALU_DEP_2) | instskip(NEXT) | instid1(VALU_DEP_2)
	v_add_f32_e32 v9, v14, v9
	v_sub_f32_e32 v14, v13, v105
	s_delay_alu instid0(VALU_DEP_1) | instskip(NEXT) | instid1(VALU_DEP_1)
	v_dual_add_f32 v9, v106, v9 :: v_dual_sub_f32 v14, v15, v14
	v_mul_f32_e32 v9, v12, v9
	s_delay_alu instid0(VALU_DEP_1) | instskip(NEXT) | instid1(VALU_DEP_1)
	v_add_f32_e32 v9, v14, v9
	v_add_f32_e32 v12, v13, v9
	s_delay_alu instid0(VALU_DEP_1) | instskip(NEXT) | instid1(VALU_DEP_1)
	v_mul_f32_e32 v14, v12, v12
	v_fmaak_f32 v15, s83, v14, 0x3ecc95a3
	s_delay_alu instid0(VALU_DEP_1) | instskip(SKIP_1) | instid1(VALU_DEP_2)
	v_dual_mul_f32 v17, v12, v14 :: v_dual_fmaak_f32 v14, v14, v15, 0x3f2aaada
	v_ldexp_f32 v15, v12, 1
	v_mul_f32_e32 v14, v17, v14
	v_dual_sub_f32 v12, v12, v13 :: v_dual_mul_f32 v17, 0x3f317218, v8
	s_delay_alu instid0(VALU_DEP_2) | instskip(NEXT) | instid1(VALU_DEP_2)
	v_add_f32_e32 v13, v15, v14
	v_sub_f32_e32 v9, v9, v12
	s_delay_alu instid0(VALU_DEP_2) | instskip(NEXT) | instid1(VALU_DEP_4)
	v_sub_f32_e32 v12, v13, v15
	v_fma_f32 v15, 0x3f317218, v8, -v17
	s_delay_alu instid0(VALU_DEP_3) | instskip(NEXT) | instid1(VALU_DEP_3)
	v_ldexp_f32 v9, v9, 1
	v_sub_f32_e32 v12, v14, v12
	s_delay_alu instid0(VALU_DEP_3) | instskip(NEXT) | instid1(VALU_DEP_2)
	v_fmac_f32_e32 v15, 0xb102e308, v8
	v_add_f32_e32 v8, v9, v12
	s_delay_alu instid0(VALU_DEP_1) | instskip(NEXT) | instid1(VALU_DEP_3)
	v_add_f32_e32 v12, v13, v8
	v_add_f32_e32 v9, v17, v15
	s_delay_alu instid0(VALU_DEP_1) | instskip(NEXT) | instid1(VALU_DEP_1)
	v_dual_sub_f32 v13, v12, v13 :: v_dual_add_f32 v14, v9, v12
	v_sub_f32_e32 v8, v8, v13
	s_delay_alu instid0(VALU_DEP_2) | instskip(NEXT) | instid1(VALU_DEP_1)
	v_sub_f32_e32 v104, v14, v9
	v_dual_sub_f32 v12, v12, v104 :: v_dual_sub_f32 v17, v9, v17
	s_delay_alu instid0(VALU_DEP_1) | instskip(NEXT) | instid1(VALU_DEP_1)
	v_sub_f32_e32 v15, v15, v17
	v_add_f32_e32 v13, v15, v8
	v_sub_f32_e32 v105, v14, v104
	s_delay_alu instid0(VALU_DEP_1) | instskip(NEXT) | instid1(VALU_DEP_1)
	v_sub_f32_e32 v9, v9, v105
	v_dual_add_f32 v9, v12, v9 :: v_dual_sub_f32 v12, v13, v15
	s_delay_alu instid0(VALU_DEP_1) | instskip(NEXT) | instid1(VALU_DEP_2)
	v_add_f32_e32 v9, v13, v9
	v_sub_f32_e32 v13, v13, v12
	s_delay_alu instid0(VALU_DEP_2) | instskip(NEXT) | instid1(VALU_DEP_1)
	v_dual_sub_f32 v8, v8, v12 :: v_dual_add_f32 v17, v14, v9
	v_dual_sub_f32 v12, v17, v14 :: v_dual_sub_f32 v13, v15, v13
	s_delay_alu instid0(VALU_DEP_1) | instskip(NEXT) | instid1(VALU_DEP_1)
	v_dual_sub_f32 v9, v9, v12 :: v_dual_add_f32 v8, v8, v13
	v_add_f32_e32 v8, v8, v9
	s_delay_alu instid0(VALU_DEP_1) | instskip(NEXT) | instid1(VALU_DEP_1)
	v_add_f32_e32 v8, v17, v8
	v_cndmask_b32_e32 v104, v8, v10, vcc_lo
.LBB55_104:                             ;   in Loop: Header=BB55_12 Depth=1
	s_or_b32 exec_lo, exec_lo, s29
	v_and_b32_e32 v8, 0xffff0000, v11
	s_delay_alu instid0(VALU_DEP_1) | instskip(NEXT) | instid1(VALU_DEP_1)
	v_add_f32_e32 v121, s68, v8
	v_cmp_ge_f32_e32 vcc_lo, 0x41a00000, v121
	s_and_b32 s28, s79, vcc_lo
	s_delay_alu instid0(SALU_CYCLE_1)
	s_and_saveexec_b32 s29, s28
	s_cbranch_execz .LBB55_106
; %bb.105:                              ;   in Loop: Header=BB55_12 Depth=1
	v_mul_f32_e32 v8, 0x3fb8aa3b, v121
	v_cmp_ngt_f32_e32 vcc_lo, 0xc2ce8ed0, v121
	s_delay_alu instid0(VALU_DEP_2) | instskip(SKIP_1) | instid1(VALU_DEP_2)
	v_rndne_f32_e32 v9, v8
	v_fma_f32 v10, 0x3fb8aa3b, v121, -v8
	v_sub_f32_e32 v8, v8, v9
	s_delay_alu instid0(VALU_DEP_2) | instskip(SKIP_1) | instid1(VALU_DEP_2)
	v_fmac_f32_e32 v10, 0x32a5705f, v121
	v_cvt_i32_f32_e32 v9, v9
	v_add_f32_e32 v8, v8, v10
	s_delay_alu instid0(VALU_DEP_1) | instskip(SKIP_2) | instid1(VALU_DEP_1)
	v_exp_f32_e32 v8, v8
	s_waitcnt_depctr 0xfff
	v_ldexp_f32 v8, v8, v9
	v_cndmask_b32_e32 v8, 0, v8, vcc_lo
	v_cmp_nlt_f32_e32 vcc_lo, 0x42b17218, v121
	s_delay_alu instid0(VALU_DEP_2) | instskip(NEXT) | instid1(VALU_DEP_1)
	v_cndmask_b32_e32 v10, 0x7f800000, v8, vcc_lo
	v_add_f32_e32 v11, 1.0, v10
	s_delay_alu instid0(VALU_DEP_1) | instskip(NEXT) | instid1(VALU_DEP_1)
	v_cvt_f64_f32_e32 v[8:9], v11
	v_frexp_exp_i32_f64_e32 v8, v[8:9]
	v_frexp_mant_f32_e32 v9, v11
	s_delay_alu instid0(VALU_DEP_1) | instskip(SKIP_1) | instid1(VALU_DEP_1)
	v_cmp_gt_f32_e32 vcc_lo, 0x3f2aaaab, v9
	v_add_f32_e32 v9, -1.0, v11
	v_sub_f32_e32 v13, v9, v11
	v_sub_f32_e32 v9, v10, v9
	s_delay_alu instid0(VALU_DEP_2) | instskip(NEXT) | instid1(VALU_DEP_1)
	v_add_f32_e32 v13, 1.0, v13
	v_add_f32_e32 v9, v9, v13
	v_cmp_gt_f32_e64 s28, 0x33800000, v10
	v_subrev_co_ci_u32_e32 v8, vcc_lo, 0, v8, vcc_lo
	v_cmp_eq_f32_e32 vcc_lo, 0x7f800000, v10
	s_delay_alu instid0(VALU_DEP_2) | instskip(SKIP_2) | instid1(VALU_DEP_2)
	v_sub_nc_u32_e32 v12, 0, v8
	v_cvt_f32_i32_e32 v8, v8
	s_or_b32 vcc_lo, s28, vcc_lo
	v_ldexp_f32 v11, v11, v12
	v_ldexp_f32 v9, v9, v12
	s_delay_alu instid0(VALU_DEP_2) | instskip(NEXT) | instid1(VALU_DEP_1)
	v_add_f32_e32 v14, 1.0, v11
	v_dual_add_f32 v12, -1.0, v11 :: v_dual_add_f32 v13, -1.0, v14
	s_delay_alu instid0(VALU_DEP_1) | instskip(NEXT) | instid1(VALU_DEP_2)
	v_add_f32_e32 v15, 1.0, v12
	v_sub_f32_e32 v13, v11, v13
	s_delay_alu instid0(VALU_DEP_2) | instskip(NEXT) | instid1(VALU_DEP_2)
	v_sub_f32_e32 v11, v11, v15
	v_add_f32_e32 v13, v9, v13
	s_delay_alu instid0(VALU_DEP_2) | instskip(NEXT) | instid1(VALU_DEP_1)
	v_add_f32_e32 v9, v9, v11
	v_add_f32_e32 v17, v12, v9
	s_delay_alu instid0(VALU_DEP_3) | instskip(NEXT) | instid1(VALU_DEP_2)
	v_add_f32_e32 v15, v14, v13
	v_sub_f32_e32 v12, v12, v17
	s_delay_alu instid0(VALU_DEP_2) | instskip(SKIP_1) | instid1(VALU_DEP_1)
	v_rcp_f32_e32 v11, v15
	v_sub_f32_e32 v14, v14, v15
	v_add_f32_e32 v13, v13, v14
	s_waitcnt_depctr 0xfff
	v_mul_f32_e32 v105, v17, v11
	s_delay_alu instid0(VALU_DEP_1) | instskip(NEXT) | instid1(VALU_DEP_1)
	v_dual_mul_f32 v106, v15, v105 :: v_dual_add_f32 v9, v9, v12
	v_fma_f32 v14, v105, v15, -v106
	s_delay_alu instid0(VALU_DEP_1) | instskip(NEXT) | instid1(VALU_DEP_1)
	v_fmac_f32_e32 v14, v105, v13
	v_add_f32_e32 v107, v106, v14
	s_delay_alu instid0(VALU_DEP_1) | instskip(SKIP_1) | instid1(VALU_DEP_1)
	v_sub_f32_e32 v12, v107, v106
	v_sub_f32_e32 v108, v17, v107
	v_dual_sub_f32 v12, v12, v14 :: v_dual_sub_f32 v17, v17, v108
	s_delay_alu instid0(VALU_DEP_1) | instskip(NEXT) | instid1(VALU_DEP_1)
	v_sub_f32_e32 v17, v17, v107
	v_add_f32_e32 v9, v9, v17
	s_delay_alu instid0(VALU_DEP_1) | instskip(NEXT) | instid1(VALU_DEP_1)
	v_add_f32_e32 v9, v12, v9
	v_add_f32_e32 v12, v108, v9
	s_delay_alu instid0(VALU_DEP_1) | instskip(SKIP_1) | instid1(VALU_DEP_2)
	v_mul_f32_e32 v14, v11, v12
	v_sub_f32_e32 v107, v108, v12
	v_mul_f32_e32 v17, v15, v14
	s_delay_alu instid0(VALU_DEP_2) | instskip(NEXT) | instid1(VALU_DEP_2)
	v_add_f32_e32 v9, v9, v107
	v_fma_f32 v15, v14, v15, -v17
	s_delay_alu instid0(VALU_DEP_1) | instskip(NEXT) | instid1(VALU_DEP_1)
	v_fmac_f32_e32 v15, v14, v13
	v_add_f32_e32 v13, v17, v15
	s_delay_alu instid0(VALU_DEP_1) | instskip(NEXT) | instid1(VALU_DEP_1)
	v_sub_f32_e32 v106, v12, v13
	v_dual_sub_f32 v17, v13, v17 :: v_dual_sub_f32 v12, v12, v106
	s_delay_alu instid0(VALU_DEP_1) | instskip(NEXT) | instid1(VALU_DEP_1)
	v_dual_sub_f32 v12, v12, v13 :: v_dual_sub_f32 v13, v17, v15
	v_add_f32_e32 v9, v9, v12
	v_add_f32_e32 v12, v105, v14
	s_delay_alu instid0(VALU_DEP_2) | instskip(NEXT) | instid1(VALU_DEP_2)
	v_add_f32_e32 v9, v13, v9
	v_sub_f32_e32 v13, v12, v105
	s_delay_alu instid0(VALU_DEP_2) | instskip(NEXT) | instid1(VALU_DEP_2)
	v_add_f32_e32 v9, v106, v9
	v_sub_f32_e32 v13, v14, v13
	s_delay_alu instid0(VALU_DEP_2) | instskip(NEXT) | instid1(VALU_DEP_1)
	v_mul_f32_e32 v9, v11, v9
	v_add_f32_e32 v9, v13, v9
	s_delay_alu instid0(VALU_DEP_1) | instskip(NEXT) | instid1(VALU_DEP_1)
	v_add_f32_e32 v11, v12, v9
	v_mul_f32_e32 v13, v11, v11
	s_delay_alu instid0(VALU_DEP_1) | instskip(SKIP_1) | instid1(VALU_DEP_2)
	v_fmaak_f32 v14, s83, v13, 0x3ecc95a3
	v_mul_f32_e32 v15, v11, v13
	v_fmaak_f32 v13, v13, v14, 0x3f2aaada
	v_ldexp_f32 v14, v11, 1
	v_sub_f32_e32 v11, v11, v12
	s_delay_alu instid0(VALU_DEP_3) | instskip(SKIP_1) | instid1(VALU_DEP_2)
	v_mul_f32_e32 v13, v15, v13
	v_mul_f32_e32 v15, 0x3f317218, v8
	v_dual_sub_f32 v9, v9, v11 :: v_dual_add_f32 v12, v14, v13
	s_delay_alu instid0(VALU_DEP_1) | instskip(NEXT) | instid1(VALU_DEP_2)
	v_ldexp_f32 v9, v9, 1
	v_sub_f32_e32 v11, v12, v14
	s_delay_alu instid0(VALU_DEP_4) | instskip(NEXT) | instid1(VALU_DEP_1)
	v_fma_f32 v14, 0x3f317218, v8, -v15
	v_dual_sub_f32 v11, v13, v11 :: v_dual_fmac_f32 v14, 0xb102e308, v8
	s_delay_alu instid0(VALU_DEP_1) | instskip(NEXT) | instid1(VALU_DEP_1)
	v_dual_add_f32 v8, v9, v11 :: v_dual_add_f32 v9, v15, v14
	v_add_f32_e32 v11, v12, v8
	s_delay_alu instid0(VALU_DEP_2) | instskip(NEXT) | instid1(VALU_DEP_2)
	v_sub_f32_e32 v15, v9, v15
	v_dual_add_f32 v13, v9, v11 :: v_dual_sub_f32 v12, v11, v12
	s_delay_alu instid0(VALU_DEP_1) | instskip(NEXT) | instid1(VALU_DEP_1)
	v_dual_sub_f32 v14, v14, v15 :: v_dual_sub_f32 v17, v13, v9
	v_dual_sub_f32 v8, v8, v12 :: v_dual_sub_f32 v105, v13, v17
	s_delay_alu instid0(VALU_DEP_1) | instskip(NEXT) | instid1(VALU_DEP_2)
	v_dual_sub_f32 v11, v11, v17 :: v_dual_add_f32 v12, v14, v8
	v_sub_f32_e32 v9, v9, v105
	s_delay_alu instid0(VALU_DEP_1) | instskip(NEXT) | instid1(VALU_DEP_3)
	v_add_f32_e32 v9, v11, v9
	v_sub_f32_e32 v11, v12, v14
	s_delay_alu instid0(VALU_DEP_2) | instskip(NEXT) | instid1(VALU_DEP_2)
	v_add_f32_e32 v9, v12, v9
	v_sub_f32_e32 v12, v12, v11
	s_delay_alu instid0(VALU_DEP_2) | instskip(NEXT) | instid1(VALU_DEP_1)
	v_dual_sub_f32 v8, v8, v11 :: v_dual_add_f32 v15, v13, v9
	v_dual_sub_f32 v12, v14, v12 :: v_dual_sub_f32 v11, v15, v13
	s_delay_alu instid0(VALU_DEP_1) | instskip(NEXT) | instid1(VALU_DEP_1)
	v_dual_add_f32 v8, v8, v12 :: v_dual_sub_f32 v9, v9, v11
	v_add_f32_e32 v8, v8, v9
	s_delay_alu instid0(VALU_DEP_1) | instskip(NEXT) | instid1(VALU_DEP_1)
	v_add_f32_e32 v8, v15, v8
	v_cndmask_b32_e32 v121, v8, v10, vcc_lo
.LBB55_106:                             ;   in Loop: Header=BB55_12 Depth=1
	s_or_b32 exec_lo, exec_lo, s29
	v_and_b32_e32 v11, 0xffff0000, v3
	v_and_b32_e32 v9, 0xffff0000, v6
	v_lshlrev_b32_e32 v6, 16, v6
	v_and_b32_e32 v15, 0xffff0000, v0
	v_lshlrev_b32_e32 v8, 16, v7
	v_mul_f32_e32 v115, s69, v11
	v_mul_f32_e32 v105, s69, v9
	v_dual_mul_f32 v107, s69, v6 :: v_dual_and_b32 v10, 0xffff0000, v5
	v_and_b32_e32 v14, 0xffff0000, v7
	v_and_b32_e32 v7, 0xffff0000, v4
	v_lshlrev_b32_e32 v5, 16, v5
	s_delay_alu instid0(VALU_DEP_4) | instskip(NEXT) | instid1(VALU_DEP_4)
	v_dual_mul_f32 v109, s69, v10 :: v_dual_lshlrev_b32 v0, 16, v0
	v_mul_f32_e32 v111, s69, v14
	v_and_b32_e32 v13, 0xffff0000, v1
	v_lshlrev_b32_e32 v3, 16, v3
	v_mul_f32_e32 v108, s69, v7
	v_mul_f32_e32 v120, s69, v0
	s_delay_alu instid0(VALU_DEP_4) | instskip(SKIP_3) | instid1(VALU_DEP_4)
	v_dual_mul_f32 v113, s69, v13 :: v_dual_and_b32 v12, 0xffff0000, v2
	v_lshlrev_b32_e32 v1, 16, v1
	v_mul_f32_e32 v110, s69, v5
	v_mul_f32_e32 v106, s69, v8
	;; [unrolled: 1-line block ×5, first 2 shown]
	v_dual_mul_f32 v119, s69, v15 :: v_dual_lshlrev_b32 v2, 16, v2
	v_lshlrev_b32_e32 v4, 16, v4
	s_and_b32 vcc_lo, exec_lo, s80
	s_delay_alu instid0(VALU_DEP_2) | instskip(SKIP_1) | instid1(VALU_DEP_2)
	v_mul_f32_e32 v117, s69, v2
	s_barrier
	v_mul_f32_e32 v112, s69, v4
	buffer_gl0_inv
	s_cbranch_vccz .LBB55_202
; %bb.107:                              ;   in Loop: Header=BB55_12 Depth=1
	v_dual_mul_f32 v122, v121, v14 :: v_dual_mul_f32 v127, v104, v8
	v_add_co_u32 v14, s28, s53, v16
	s_delay_alu instid0(VALU_DEP_1) | instskip(SKIP_1) | instid1(VALU_DEP_1)
	v_add_co_ci_u32_e64 v17, null, s74, 0, s28
	v_add_co_u32 v16, s28, s57, v16
	v_add_co_ci_u32_e64 v126, null, s75, 0, s28
	s_delay_alu instid0(VALU_DEP_4) | instskip(NEXT) | instid1(VALU_DEP_4)
	v_add_co_u32 v123, vcc_lo, v14, v89
	v_add_co_ci_u32_e32 v124, vcc_lo, 0, v17, vcc_lo
	s_delay_alu instid0(VALU_DEP_4) | instskip(NEXT) | instid1(VALU_DEP_4)
	v_add_co_u32 v125, vcc_lo, v16, v89
	v_add_co_ci_u32_e32 v126, vcc_lo, 0, v126, vcc_lo
	v_cmp_gt_u32_e32 vcc_lo, s40, v18
	s_cmp_lg_u32 s85, 0
	v_cmp_gt_u32_e64 s30, s40, v75
	s_cselect_b32 s51, -1, 0
	s_cmp_eq_u32 s85, s82
	v_cmp_gt_u32_e64 s31, s40, v76
	s_cselect_b32 s86, -1, 0
	s_or_b32 s28, s81, vcc_lo
	v_cmp_gt_u32_e32 vcc_lo, s40, v74
	v_cmp_gt_u32_e64 s33, s40, v77
	v_cmp_gt_u32_e64 s34, s40, v78
	;; [unrolled: 1-line block ×4, first 2 shown]
	s_or_b32 s29, s81, vcc_lo
	v_cmp_gt_u32_e32 vcc_lo, s40, v79
	v_cmp_gt_u32_e64 s38, s40, v82
	v_cmp_gt_u32_e64 s39, s40, v83
	;; [unrolled: 1-line block ×4, first 2 shown]
	s_or_b32 s35, s81, vcc_lo
	v_cmp_gt_u32_e32 vcc_lo, s40, v84
	v_cmp_gt_u32_e64 s43, s40, v87
	v_cmp_gt_u32_e64 s44, s40, v88
	v_dual_mul_f32 v128, v103, v9 :: v_dual_mul_f32 v129, v102, v6
	v_dual_mul_f32 v130, v101, v10 :: v_dual_mul_f32 v131, v100, v5
	;; [unrolled: 1-line block ×7, first 2 shown]
	s_mov_b32 s66, 0
	s_or_b32 s30, s81, s30
	s_or_b32 s31, s81, s31
	;; [unrolled: 1-line block ×8, first 2 shown]
	s_or_b32 s40, s81, vcc_lo
	s_or_b32 s41, s81, s41
	s_or_b32 s42, s81, s42
	s_or_b32 s43, s81, s43
	s_or_b32 s44, s81, s44
	s_mov_b32 s54, s66
	s_mov_b32 s58, s66
	;; [unrolled: 1-line block ×5, first 2 shown]
	s_branch .LBB55_109
.LBB55_108:                             ;   in Loop: Header=BB55_109 Depth=2
	s_or_b32 exec_lo, exec_lo, s45
	v_cndmask_b32_e64 v9, v171, v11, s11
	v_cndmask_b32_e64 v10, v170, v10, s11
	s_add_i32 s87, s87, -1
	s_add_i32 s88, s88, 8
	s_add_i32 s60, s60, s62
	v_fma_f32 v9, v9, v145, v144
	v_mul_f32_e32 v10, v10, v145
	s_add_i32 s58, s58, s56
	s_add_i32 s54, s54, s52
	;; [unrolled: 1-line block ×3, first 2 shown]
	v_cndmask_b32_e64 v9, v9, v144, s10
	v_cndmask_b32_e64 v10, v10, v145, s10
	s_cmp_eq_u32 s87, 0
	s_waitcnt lgkmcnt(0)
	s_delay_alu instid0(VALU_DEP_1) | instskip(NEXT) | instid1(VALU_DEP_1)
	v_dual_fmac_f32 v9, v8, v10 :: v_dual_and_b32 v10, 0xffff0000, v5
	v_dual_fmac_f32 v12, v9, v147 :: v_dual_lshlrev_b32 v5, 16, v5
	s_delay_alu instid0(VALU_DEP_1) | instskip(NEXT) | instid1(VALU_DEP_1)
	v_fmac_f32_e32 v13, v12, v148
	v_dual_fmac_f32 v118, v13, v5 :: v_dual_and_b32 v17, 0xffff0000, v0
	v_fmac_f32_e32 v14, v13, v150
	s_delay_alu instid0(VALU_DEP_1) | instskip(NEXT) | instid1(VALU_DEP_1)
	v_fmac_f32_e32 v15, v14, v153
	v_fmac_f32_e32 v142, v15, v154
	s_delay_alu instid0(VALU_DEP_1) | instskip(NEXT) | instid1(VALU_DEP_1)
	v_fmac_f32_e32 v143, v142, v155
	v_fmac_f32_e32 v146, v143, v156
	s_delay_alu instid0(VALU_DEP_1) | instskip(SKIP_1) | instid1(VALU_DEP_2)
	v_dual_fmac_f32 v149, v146, v158 :: v_dual_and_b32 v8, 0xffff0000, v4
	v_lshlrev_b32_e32 v4, 16, v4
	v_dual_fmac_f32 v119, v12, v8 :: v_dual_and_b32 v16, 0xffff0000, v7
	s_delay_alu instid0(VALU_DEP_3) | instskip(SKIP_1) | instid1(VALU_DEP_4)
	v_fmac_f32_e32 v151, v149, v159
	v_and_b32_e32 v11, 0xffff0000, v6
	v_dual_fmac_f32 v120, v9, v4 :: v_dual_lshlrev_b32 v7, 16, v7
	s_delay_alu instid0(VALU_DEP_4) | instskip(NEXT) | instid1(VALU_DEP_4)
	v_fmac_f32_e32 v115, v146, v16
	v_fmac_f32_e32 v152, v151, v160
	s_delay_alu instid0(VALU_DEP_4) | instskip(NEXT) | instid1(VALU_DEP_2)
	v_fmac_f32_e32 v114, v142, v11
	v_dual_fmac_f32 v108, v151, v17 :: v_dual_fmac_f32 v157, v152, v168
	v_lshlrev_b32_e32 v6, 16, v6
	v_dual_fmac_f32 v113, v14, v10 :: v_dual_lshlrev_b32 v0, 16, v0
	v_and_b32_e32 v147, 0xffff0000, v3
	s_delay_alu instid0(VALU_DEP_4) | instskip(SKIP_3) | instid1(VALU_DEP_4)
	v_fmac_f32_e32 v161, v157, v163
	v_and_b32_e32 v145, 0xffff0000, v2
	v_lshlrev_b32_e32 v2, 16, v2
	v_dual_fmac_f32 v117, v15, v6 :: v_dual_and_b32 v144, 0xffff0000, v1
	v_fmac_f32_e32 v162, v161, v165
	v_lshlrev_b32_e32 v1, 16, v1
	v_lshlrev_b32_e32 v3, 16, v3
	v_dual_fmac_f32 v107, v161, v2 :: v_dual_fmac_f32 v116, v143, v7
	s_delay_alu instid0(VALU_DEP_4) | instskip(SKIP_1) | instid1(VALU_DEP_2)
	v_dual_fmac_f32 v109, v157, v144 :: v_dual_fmac_f32 v164, v162, v167
	v_dual_fmac_f32 v112, v149, v0 :: v_dual_fmac_f32 v105, v162, v145
	v_fmac_f32_e32 v106, v164, v3
	v_fmac_f32_e32 v166, v164, v169
	s_delay_alu instid0(VALU_DEP_1)
	v_dual_fmac_f32 v110, v152, v1 :: v_dual_fmac_f32 v111, v166, v147
	s_cbranch_scc1 .LBB55_202
.LBB55_109:                             ;   Parent Loop BB55_12 Depth=1
                                        ; =>  This Inner Loop Header: Depth=2
	s_lshl_b64 s[90:91], s[66:67], 2
	s_mov_b32 s55, s67
	s_add_u32 s90, s73, s90
	s_addc_u32 s91, s63, s91
	v_dual_mov_b32 v2, 0 :: v_dual_mov_b32 v3, 0
	global_load_b32 v142, v21, s[90:91]
	s_lshl_b64 s[90:91], s[54:55], 1
	s_delay_alu instid0(SALU_CYCLE_1)
	v_add_co_u32 v0, vcc_lo, v123, s90
	v_add_co_ci_u32_e32 v1, vcc_lo, s91, v124, vcc_lo
	s_and_saveexec_b32 s45, s12
	s_cbranch_execz .LBB55_111
; %bb.110:                              ;   in Loop: Header=BB55_109 Depth=2
	global_load_u16 v3, v[0:1], off
.LBB55_111:                             ;   in Loop: Header=BB55_109 Depth=2
	s_or_b32 exec_lo, exec_lo, s45
	s_and_saveexec_b32 s45, s13
	s_cbranch_execz .LBB55_113
; %bb.112:                              ;   in Loop: Header=BB55_109 Depth=2
	global_load_u16 v2, v[0:1], off offset:64
.LBB55_113:                             ;   in Loop: Header=BB55_109 Depth=2
	s_or_b32 exec_lo, exec_lo, s45
	v_dual_mov_b32 v4, 0 :: v_dual_mov_b32 v5, 0
	s_and_saveexec_b32 s45, s14
	s_cbranch_execz .LBB55_115
; %bb.114:                              ;   in Loop: Header=BB55_109 Depth=2
	global_load_u16 v5, v[0:1], off offset:128
.LBB55_115:                             ;   in Loop: Header=BB55_109 Depth=2
	s_or_b32 exec_lo, exec_lo, s45
	s_and_saveexec_b32 s45, s15
	s_cbranch_execz .LBB55_117
; %bb.116:                              ;   in Loop: Header=BB55_109 Depth=2
	global_load_u16 v4, v[0:1], off offset:192
.LBB55_117:                             ;   in Loop: Header=BB55_109 Depth=2
	s_or_b32 exec_lo, exec_lo, s45
	v_dual_mov_b32 v6, 0 :: v_dual_mov_b32 v7, 0
	s_and_saveexec_b32 s45, s16
	s_cbranch_execz .LBB55_119
; %bb.118:                              ;   in Loop: Header=BB55_109 Depth=2
	global_load_u16 v7, v[0:1], off offset:256
.LBB55_119:                             ;   in Loop: Header=BB55_109 Depth=2
	;; [unrolled: 13-line block ×7, first 2 shown]
	s_or_b32 exec_lo, exec_lo, s45
	s_and_saveexec_b32 s45, s27
	s_cbranch_execz .LBB55_141
; %bb.140:                              ;   in Loop: Header=BB55_109 Depth=2
	global_load_u16 v16, v[0:1], off offset:960
.LBB55_141:                             ;   in Loop: Header=BB55_109 Depth=2
	s_or_b32 exec_lo, exec_lo, s45
	s_waitcnt vmcnt(0)
	ds_store_b16 v37, v3
	ds_store_b16 v37, v2 offset:64
	ds_store_b16 v38, v5 offset:128
	;; [unrolled: 1-line block ×15, first 2 shown]
	; wave barrier
	ds_load_b128 v[12:15], v52
	ds_load_b128 v[8:11], v52 offset:16
	s_mov_b32 s59, s67
	v_dual_mov_b32 v2, 0 :: v_dual_mov_b32 v3, 0
	s_lshl_b64 s[90:91], s[58:59], 1
	s_delay_alu instid0(SALU_CYCLE_1)
	v_add_co_u32 v0, vcc_lo, v125, s90
	v_add_co_ci_u32_e32 v1, vcc_lo, s91, v126, vcc_lo
	s_and_saveexec_b32 s45, s12
	s_cbranch_execz .LBB55_143
; %bb.142:                              ;   in Loop: Header=BB55_109 Depth=2
	global_load_u16 v3, v[0:1], off
.LBB55_143:                             ;   in Loop: Header=BB55_109 Depth=2
	s_or_b32 exec_lo, exec_lo, s45
	s_and_saveexec_b32 s45, s13
	s_cbranch_execz .LBB55_145
; %bb.144:                              ;   in Loop: Header=BB55_109 Depth=2
	global_load_u16 v2, v[0:1], off offset:64
.LBB55_145:                             ;   in Loop: Header=BB55_109 Depth=2
	s_or_b32 exec_lo, exec_lo, s45
	v_dual_mov_b32 v4, 0 :: v_dual_mov_b32 v5, 0
	s_and_saveexec_b32 s45, s14
	s_cbranch_execz .LBB55_147
; %bb.146:                              ;   in Loop: Header=BB55_109 Depth=2
	global_load_u16 v5, v[0:1], off offset:128
.LBB55_147:                             ;   in Loop: Header=BB55_109 Depth=2
	s_or_b32 exec_lo, exec_lo, s45
	s_and_saveexec_b32 s45, s15
	s_cbranch_execz .LBB55_149
; %bb.148:                              ;   in Loop: Header=BB55_109 Depth=2
	global_load_u16 v4, v[0:1], off offset:192
.LBB55_149:                             ;   in Loop: Header=BB55_109 Depth=2
	s_or_b32 exec_lo, exec_lo, s45
	v_dual_mov_b32 v6, 0 :: v_dual_mov_b32 v7, 0
	s_and_saveexec_b32 s45, s16
	s_cbranch_execz .LBB55_151
; %bb.150:                              ;   in Loop: Header=BB55_109 Depth=2
	global_load_u16 v7, v[0:1], off offset:256
.LBB55_151:                             ;   in Loop: Header=BB55_109 Depth=2
	;; [unrolled: 13-line block ×7, first 2 shown]
	s_or_b32 exec_lo, exec_lo, s45
	s_and_saveexec_b32 s45, s27
	s_cbranch_execz .LBB55_173
; %bb.172:                              ;   in Loop: Header=BB55_109 Depth=2
	global_load_u16 v149, v[0:1], off offset:960
.LBB55_173:                             ;   in Loop: Header=BB55_109 Depth=2
	s_or_b32 exec_lo, exec_lo, s45
	s_waitcnt vmcnt(0)
	ds_store_b16 v37, v3 offset:2112
	ds_store_b16 v53, v2 offset:64
	;; [unrolled: 1-line block ×16, first 2 shown]
	; wave barrier
	ds_load_b128 v[4:7], v52 offset:2112
	ds_load_b128 v[0:3], v68 offset:16
	s_and_not1_b32 vcc_lo, exec_lo, s51
	s_cbranch_vccnz .LBB55_175
; %bb.174:                              ;   in Loop: Header=BB55_109 Depth=2
	v_mov_b32_e32 v16, s88
	ds_load_b64 v[16:17], v16
	s_cbranch_execz .LBB55_176
	s_branch .LBB55_179
.LBB55_175:                             ;   in Loop: Header=BB55_109 Depth=2
                                        ; implicit-def: $vgpr16
.LBB55_176:                             ;   in Loop: Header=BB55_109 Depth=2
	s_waitcnt lgkmcnt(0)
	v_mov_b32_e32 v17, 0
	s_and_not1_b32 vcc_lo, exec_lo, s47
	s_cbranch_vccnz .LBB55_178
; %bb.177:                              ;   in Loop: Header=BB55_109 Depth=2
	s_mov_b32 s61, s67
	s_delay_alu instid0(SALU_CYCLE_1) | instskip(NEXT) | instid1(SALU_CYCLE_1)
	s_lshl_b64 s[90:91], s[60:61], 2
	s_add_u32 s90, s76, s90
	s_addc_u32 s91, s77, s91
	global_load_b32 v17, v21, s[90:91]
.LBB55_178:                             ;   in Loop: Header=BB55_109 Depth=2
	v_mov_b32_e32 v16, 1.0
.LBB55_179:                             ;   in Loop: Header=BB55_109 Depth=2
	s_waitcnt lgkmcnt(19)
	v_dual_mul_f32 v164, 0x3fb8aa3b, v142 :: v_dual_lshlrev_b32 v143, 16, v12
	v_and_b32_e32 v12, 0xffff0000, v12
	v_lshlrev_b32_e32 v142, 16, v13
	v_and_b32_e32 v146, 0xffff0000, v13
	v_lshlrev_b32_e32 v149, 16, v14
	v_mul_f32_e32 v13, v164, v90
	v_dual_mul_f32 v14, v164, v91 :: v_dual_and_b32 v151, 0xffff0000, v14
	v_dual_mul_f32 v145, v164, v93 :: v_dual_lshlrev_b32 v152, 16, v15
	s_delay_alu instid0(VALU_DEP_3) | instskip(SKIP_1) | instid1(VALU_DEP_4)
	v_cmp_gt_f32_e32 vcc_lo, 0xc2fc0000, v13
	v_dual_mul_f32 v12, v140, v12 :: v_dual_and_b32 v155, 0xffff0000, v15
	v_cmp_gt_f32_e64 s45, 0xc2fc0000, v14
	v_mul_f32_e32 v15, v164, v92
	v_cndmask_b32_e64 v13, 0, 0x42800000, vcc_lo
	v_cndmask_b32_e64 v144, 1.0, 0x1f800000, vcc_lo
	s_waitcnt lgkmcnt(18)
	v_lshlrev_b32_e32 v161, 16, v10
	v_cndmask_b32_e64 v14, 0, 0x42800000, s45
	v_mul_f32_e32 v143, v141, v143
	v_fmac_f32_e32 v13, v164, v90
	v_dual_mul_f32 v142, v139, v142 :: v_dual_lshlrev_b32 v157, 16, v8
	v_and_b32_e32 v8, 0xffff0000, v8
	v_fmac_f32_e32 v14, v164, v91
	s_delay_alu instid0(VALU_DEP_4) | instskip(SKIP_2) | instid1(VALU_DEP_3)
	v_exp_f32_e32 v13, v13
	v_cmp_gt_f32_e32 vcc_lo, 0xc2fc0000, v15
	v_dual_mul_f32 v151, v136, v151 :: v_dual_and_b32 v10, 0xffff0000, v10
	v_exp_f32_e32 v14, v14
	v_dual_mul_f32 v157, v133, v157 :: v_dual_mul_f32 v8, v132, v8
	v_cndmask_b32_e64 v15, 0, 0x42800000, vcc_lo
	v_lshlrev_b32_e32 v166, 16, v11
	v_and_b32_e32 v11, 0xffff0000, v11
	s_delay_alu instid0(TRANS32_DEP_2)
	v_mul_f32_e32 v13, v13, v144
	v_cndmask_b32_e64 v144, 0, v143, s28
	v_cndmask_b32_e64 v143, 1.0, 0x1f800000, s45
	v_cmp_gt_f32_e64 s45, 0xc2fc0000, v145
	v_fmac_f32_e32 v15, v164, v92
	v_cndmask_b32_e64 v145, 1.0, v13, s28
	v_cndmask_b32_e64 v12, 0, v12, s29
	v_mul_f32_e32 v13, v14, v143
	v_cndmask_b32_e64 v147, 0, 0x42800000, s45
	v_exp_f32_e32 v14, v15
	v_cndmask_b32_e64 v143, 1.0, 0x1f800000, vcc_lo
	v_lshlrev_b32_e32 v159, 16, v9
	v_mul_f32_e32 v15, v164, v94
	v_fmac_f32_e32 v147, v164, v93
	v_and_b32_e32 v9, 0xffff0000, v9
	v_mul_f32_e32 v167, v164, v103
	v_mul_f32_e32 v169, v164, v121
	v_cmp_gt_f32_e32 vcc_lo, 0xc2fc0000, v15
	v_exp_f32_e32 v150, v147
	v_mul_f32_e32 v14, v14, v143
	v_cndmask_b32_e64 v143, 1.0, 0x1f800000, s45
	v_mul_f32_e32 v153, v164, v97
	v_cndmask_b32_e64 v15, 0, 0x42800000, vcc_lo
	v_mul_f32_e32 v156, v164, v98
	v_cndmask_b32_e64 v148, 1.0, v14, s30
	v_mul_f32_e32 v14, v138, v146
	v_mul_f32_e32 v146, v164, v96
	v_fmac_f32_e32 v15, v164, v94
	v_mul_f32_e32 v143, v150, v143
	v_cmp_gt_f32_e64 s46, 0xc2fc0000, v153
	v_cndmask_b32_e64 v14, 0, v14, s31
	v_mul_f32_e32 v158, v164, v100
	v_exp_f32_e32 v15, v15
	v_cndmask_b32_e64 v150, 1.0, v143, s31
	v_cndmask_b32_e64 v143, 1.0, 0x1f800000, vcc_lo
	v_cmp_gt_f32_e32 vcc_lo, 0xc2fc0000, v146
	v_mul_f32_e32 v166, v127, v166
	v_dual_mul_f32 v10, v128, v10 :: v_dual_mul_f32 v11, v122, v11
	v_cndmask_b32_e64 v146, 0, 0x42800000, vcc_lo
	s_delay_alu instid0(TRANS32_DEP_1) | instskip(SKIP_2) | instid1(VALU_DEP_4)
	v_mul_f32_e32 v143, v15, v143
	v_mul_f32_e32 v15, v137, v149
	v_cndmask_b32_e64 v149, 0, 0x42800000, s46
	v_fmac_f32_e32 v146, v164, v96
	v_cndmask_b32_e64 v147, 1.0, v13, s29
	v_cndmask_b32_e64 v13, 0, v142, s30
	v_mul_f32_e32 v142, v164, v95
	v_cndmask_b32_e64 v153, 1.0, v143, s33
	v_exp_f32_e32 v146, v146
	v_fma_f32 v165, v147, v144, v12
	v_cndmask_b32_e64 v15, 0, v15, s33
	v_cmp_gt_f32_e64 s45, 0xc2fc0000, v142
	s_delay_alu instid0(VALU_DEP_1) | instskip(SKIP_1) | instid1(VALU_DEP_2)
	v_cndmask_b32_e64 v142, 0, 0x42800000, s45
	v_cndmask_b32_e64 v154, 1.0, 0x1f800000, s45
	v_fmac_f32_e32 v142, v164, v95
	s_delay_alu instid0(VALU_DEP_1)
	v_exp_f32_e32 v142, v142
	s_waitcnt_depctr 0xfff
	v_mul_f32_e32 v143, v142, v154
	v_cndmask_b32_e64 v142, 0, v151, s34
	v_cndmask_b32_e64 v151, 1.0, 0x1f800000, vcc_lo
	v_cmp_gt_f32_e32 vcc_lo, 0xc2fc0000, v156
	v_mul_f32_e32 v156, v134, v155
	v_cndmask_b32_e64 v154, 1.0, v143, s34
	s_delay_alu instid0(VALU_DEP_4)
	v_dual_mul_f32 v143, v135, v152 :: v_dual_mul_f32 v146, v146, v151
	v_cndmask_b32_e64 v151, 1.0, 0x1f800000, s46
	v_cmp_gt_f32_e64 s46, 0xc2fc0000, v158
	v_mul_f32_e32 v158, v164, v101
	v_cndmask_b32_e64 v152, 0, 0x42800000, vcc_lo
	v_cndmask_b32_e64 v160, 1.0, 0x1f800000, vcc_lo
	v_cndmask_b32_e64 v155, 1.0, v146, s35
	v_cndmask_b32_e64 v146, 0, v156, s36
	v_cmp_gt_f32_e32 vcc_lo, 0xc2fc0000, v158
	v_fmac_f32_e32 v152, v164, v98
	v_cndmask_b32_e64 v143, 0, v143, s35
	v_cndmask_b32_e64 v162, 0, 0x42800000, vcc_lo
	v_cndmask_b32_e64 v163, 1.0, 0x1f800000, vcc_lo
	s_delay_alu instid0(VALU_DEP_2) | instskip(NEXT) | instid1(VALU_DEP_1)
	v_fmac_f32_e32 v162, v164, v101
	v_exp_f32_e32 v162, v162
	v_fmac_f32_e32 v149, v164, v97
	s_delay_alu instid0(VALU_DEP_1) | instskip(SKIP_3) | instid1(VALU_DEP_2)
	v_exp_f32_e32 v149, v149
	s_waitcnt_depctr 0xfff
	v_mul_f32_e32 v149, v149, v151
	v_mul_f32_e32 v151, v164, v99
	v_cndmask_b32_e64 v156, 1.0, v149, s36
	s_delay_alu instid0(VALU_DEP_2) | instskip(SKIP_2) | instid1(VALU_DEP_2)
	v_cmp_gt_f32_e64 s45, 0xc2fc0000, v151
	v_exp_f32_e32 v149, v152
	v_cndmask_b32_e64 v152, 0, 0x42800000, s46
	v_cndmask_b32_e64 v151, 0, 0x42800000, s45
	s_delay_alu instid0(VALU_DEP_2)
	v_fmac_f32_e32 v152, v164, v100
	s_waitcnt_depctr 0xfff
	v_dual_fmac_f32 v151, v164, v99 :: v_dual_mul_f32 v158, v149, v160
	v_cndmask_b32_e64 v149, 0, v157, s37
	v_exp_f32_e32 v152, v152
	v_cndmask_b32_e64 v157, 1.0, 0x1f800000, s45
	s_delay_alu instid0(VALU_DEP_3) | instskip(SKIP_3) | instid1(VALU_DEP_2)
	v_exp_f32_e32 v151, v151
	v_cndmask_b32_e64 v160, 1.0, 0x1f800000, s46
	v_cmp_gt_f32_e64 s45, 0xc2fc0000, v167
	v_cndmask_b32_e64 v158, 1.0, v158, s37
	v_cndmask_b32_e64 v167, 1.0, 0x1f800000, s45
	s_waitcnt_depctr 0xfff
	v_dual_mul_f32 v160, v152, v160 :: v_dual_mul_f32 v157, v151, v157
	v_cndmask_b32_e64 v151, 0, v8, s38
	v_mul_f32_e32 v8, v131, v159
	s_delay_alu instid0(VALU_DEP_3) | instskip(NEXT) | instid1(VALU_DEP_4)
	v_cndmask_b32_e64 v160, 1.0, v160, s39
	v_cndmask_b32_e64 v159, 1.0, v157, s38
	v_mul_f32_e32 v157, v164, v102
	s_delay_alu instid0(VALU_DEP_4) | instskip(SKIP_1) | instid1(VALU_DEP_3)
	v_cndmask_b32_e64 v152, 0, v8, s39
	v_dual_mul_f32 v8, v162, v163 :: v_dual_mul_f32 v163, v147, v145
	v_cmp_gt_f32_e32 vcc_lo, 0xc2fc0000, v157
	s_delay_alu instid0(VALU_DEP_2) | instskip(SKIP_3) | instid1(VALU_DEP_3)
	v_cndmask_b32_e64 v168, 1.0, v8, s40
	v_cndmask_b32_e64 v162, 0, 0x42800000, vcc_lo
	v_mul_f32_e32 v9, v130, v9
	v_cndmask_b32_e64 v8, 1.0, 0x1f800000, vcc_lo
	v_fmac_f32_e32 v162, v164, v102
	s_delay_alu instid0(VALU_DEP_3)
	v_cndmask_b32_e64 v157, 0, v9, s40
	v_mul_f32_e32 v9, v163, v148
	v_fma_f32 v163, v165, v148, v13
	v_cndmask_b32_e64 v165, 0, 0x42800000, s45
	v_exp_f32_e32 v162, v162
	v_cmp_gt_f32_e64 s45, 0xc2fc0000, v169
	v_mul_f32_e32 v9, v9, v150
	v_fma_f32 v163, v163, v150, v14
	v_fmac_f32_e32 v165, v164, v103
	s_delay_alu instid0(VALU_DEP_3) | instskip(NEXT) | instid1(VALU_DEP_3)
	v_mul_f32_e32 v9, v9, v153
	v_fma_f32 v163, v163, v153, v15
	s_delay_alu instid0(VALU_DEP_3)
	v_exp_f32_e32 v165, v165
	s_delay_alu instid0(TRANS32_DEP_2) | instid1(VALU_DEP_2)
	v_dual_mul_f32 v8, v162, v8 :: v_dual_mul_f32 v9, v9, v154
	s_delay_alu instid0(VALU_DEP_2) | instskip(NEXT) | instid1(VALU_DEP_2)
	v_fma_f32 v162, v163, v154, v142
	v_cndmask_b32_e64 v163, 1.0, v8, s41
	s_delay_alu instid0(VALU_DEP_3) | instskip(NEXT) | instid1(VALU_DEP_3)
	v_mul_f32_e32 v8, v9, v155
	v_fma_f32 v9, v162, v155, v143
	v_mul_f32_e32 v162, v164, v104
	s_delay_alu instid0(VALU_DEP_3) | instskip(NEXT) | instid1(VALU_DEP_3)
	v_mul_f32_e32 v8, v8, v156
	v_fma_f32 v9, v9, v156, v146
	s_delay_alu instid0(VALU_DEP_3)
	v_cmp_gt_f32_e32 vcc_lo, 0xc2fc0000, v162
	v_mul_f32_e32 v161, v129, v161
	v_cndmask_b32_e64 v162, 0, v10, s42
	v_mul_f32_e32 v8, v8, v158
	v_fma_f32 v9, v9, v158, v149
	v_cndmask_b32_e64 v10, 0, 0x42800000, s45
	v_mul_f32_e32 v165, v165, v167
	v_cndmask_b32_e64 v167, 0, 0x42800000, vcc_lo
	v_mul_f32_e32 v8, v8, v159
	v_fma_f32 v9, v9, v159, v151
	v_fmac_f32_e32 v10, v164, v121
	v_cndmask_b32_e64 v161, 0, v161, s41
	v_fmac_f32_e32 v167, v164, v104
	v_mul_f32_e32 v8, v8, v160
	v_fma_f32 v9, v9, v160, v152
	v_cndmask_b32_e64 v164, 1.0, 0x1f800000, vcc_lo
	v_exp_f32_e32 v10, v10
	v_exp_f32_e32 v167, v167
	v_mul_f32_e32 v8, v8, v168
	v_fma_f32 v9, v9, v168, v157
	v_cndmask_b32_e64 v165, 1.0, v165, s42
	s_delay_alu instid0(VALU_DEP_3) | instskip(NEXT) | instid1(VALU_DEP_3)
	v_mul_f32_e32 v8, v8, v163
	v_fma_f32 v9, v9, v163, v161
	s_waitcnt_depctr 0xfff
	v_mul_f32_e32 v167, v167, v164
	v_cndmask_b32_e64 v164, 0, v166, s43
	v_cndmask_b32_e64 v166, 1.0, 0x1f800000, s45
	v_mul_f32_e32 v8, v8, v165
	v_fma_f32 v9, v9, v165, v162
	v_cndmask_b32_e64 v167, 1.0, v167, s43
	s_delay_alu instid0(VALU_DEP_4) | instskip(SKIP_1) | instid1(VALU_DEP_3)
	v_mul_f32_e32 v10, v10, v166
	v_cndmask_b32_e64 v166, 0, v11, s44
	v_mul_f32_e32 v8, v8, v167
	v_fma_f32 v9, v9, v167, v164
	s_delay_alu instid0(VALU_DEP_4) | instskip(NEXT) | instid1(VALU_DEP_1)
	v_cndmask_b32_e64 v169, 1.0, v10, s44
	v_mul_f32_e32 v8, v8, v169
	s_delay_alu instid0(VALU_DEP_3) | instskip(NEXT) | instid1(VALU_DEP_2)
	v_fma_f32 v9, v9, v169, v166
	v_mov_b32_dpp v11, v8 row_shr:1 row_mask:0xf bank_mask:0xf
	s_delay_alu instid0(VALU_DEP_2)
	v_mov_b32_dpp v10, v9 row_shr:1 row_mask:0xf bank_mask:0xf
	s_and_saveexec_b32 s45, s0
; %bb.180:                              ;   in Loop: Header=BB55_109 Depth=2
	s_delay_alu instid0(VALU_DEP_2) | instskip(NEXT) | instid1(VALU_DEP_1)
	v_mul_f32_e32 v11, v8, v11
	v_dual_fmac_f32 v9, v8, v10 :: v_dual_mov_b32 v8, v11
; %bb.181:                              ;   in Loop: Header=BB55_109 Depth=2
	s_or_b32 exec_lo, exec_lo, s45
	s_delay_alu instid0(VALU_DEP_1) | instskip(NEXT) | instid1(VALU_DEP_2)
	v_mov_b32_dpp v10, v8 row_shr:2 row_mask:0xf bank_mask:0xf
	v_mov_b32_dpp v11, v9 row_shr:2 row_mask:0xf bank_mask:0xf
	s_and_saveexec_b32 s45, s1
; %bb.182:                              ;   in Loop: Header=BB55_109 Depth=2
	s_delay_alu instid0(VALU_DEP_1) | instskip(NEXT) | instid1(VALU_DEP_3)
	v_fmac_f32_e32 v9, v8, v11
	v_mul_f32_e32 v8, v8, v10
; %bb.183:                              ;   in Loop: Header=BB55_109 Depth=2
	s_or_b32 exec_lo, exec_lo, s45
	s_delay_alu instid0(VALU_DEP_1) | instskip(NEXT) | instid1(VALU_DEP_3)
	v_mov_b32_dpp v10, v8 row_shr:4 row_mask:0xf bank_mask:0xf
	v_mov_b32_dpp v11, v9 row_shr:4 row_mask:0xf bank_mask:0xf
	s_and_saveexec_b32 s45, s2
; %bb.184:                              ;   in Loop: Header=BB55_109 Depth=2
	s_delay_alu instid0(VALU_DEP_1) | instskip(NEXT) | instid1(VALU_DEP_3)
	v_fmac_f32_e32 v9, v8, v11
	v_mul_f32_e32 v8, v8, v10
; %bb.185:                              ;   in Loop: Header=BB55_109 Depth=2
	s_or_b32 exec_lo, exec_lo, s45
	s_delay_alu instid0(VALU_DEP_1) | instskip(NEXT) | instid1(VALU_DEP_3)
	v_mov_b32_dpp v10, v8 row_shr:8 row_mask:0xf bank_mask:0xf
	v_mov_b32_dpp v11, v9 row_shr:8 row_mask:0xf bank_mask:0xf
	s_and_saveexec_b32 s45, s3
; %bb.186:                              ;   in Loop: Header=BB55_109 Depth=2
	s_delay_alu instid0(VALU_DEP_1) | instskip(NEXT) | instid1(VALU_DEP_3)
	v_fmac_f32_e32 v9, v8, v11
	v_mul_f32_e32 v8, v8, v10
; %bb.187:                              ;   in Loop: Header=BB55_109 Depth=2
	s_or_b32 exec_lo, exec_lo, s45
	ds_swizzle_b32 v11, v8 offset:swizzle(BROADCAST,32,15)
	ds_swizzle_b32 v10, v9 offset:swizzle(BROADCAST,32,15)
	s_and_saveexec_b32 s45, s4
	s_cbranch_execz .LBB55_189
; %bb.188:                              ;   in Loop: Header=BB55_109 Depth=2
	s_waitcnt lgkmcnt(1)
	v_mul_f32_e32 v11, v8, v11
	s_waitcnt lgkmcnt(0)
	s_delay_alu instid0(VALU_DEP_1)
	v_dual_fmac_f32 v9, v8, v10 :: v_dual_mov_b32 v8, v11
.LBB55_189:                             ;   in Loop: Header=BB55_109 Depth=2
	s_or_b32 exec_lo, exec_lo, s45
	s_and_saveexec_b32 s45, s5
	s_cbranch_execz .LBB55_191
; %bb.190:                              ;   in Loop: Header=BB55_109 Depth=2
	ds_store_b64 v69, v[8:9] offset:4224
.LBB55_191:                             ;   in Loop: Header=BB55_109 Depth=2
	s_or_b32 exec_lo, exec_lo, s45
	s_waitcnt vmcnt(0) lgkmcnt(0)
	s_waitcnt_vscnt null, 0x0
	s_barrier
	buffer_gl0_inv
	s_and_saveexec_b32 s45, s6
	s_cbranch_execz .LBB55_193
; %bb.192:                              ;   in Loop: Header=BB55_109 Depth=2
	ds_load_b64 v[10:11], v70 offset:4224
	s_waitcnt lgkmcnt(0)
	v_mov_b32_dpp v170, v10 row_shr:1 row_mask:0xf bank_mask:0xf
	v_mov_b32_dpp v171, v11 row_shr:1 row_mask:0xf bank_mask:0xf
	s_delay_alu instid0(VALU_DEP_2) | instskip(NEXT) | instid1(VALU_DEP_2)
	v_mul_f32_e32 v170, v10, v170
	v_fma_f32 v171, v10, v171, v11
	s_delay_alu instid0(VALU_DEP_2) | instskip(NEXT) | instid1(VALU_DEP_2)
	v_cndmask_b32_e64 v10, v170, v10, s7
	v_cndmask_b32_e64 v11, v171, v11, s7
	ds_store_b64 v70, v[10:11] offset:4224
.LBB55_193:                             ;   in Loop: Header=BB55_109 Depth=2
	s_or_b32 exec_lo, exec_lo, s45
	s_waitcnt lgkmcnt(0)
	s_barrier
	buffer_gl0_inv
                                        ; implicit-def: $vgpr11
	s_and_saveexec_b32 s45, s9
	s_cbranch_execz .LBB55_195
; %bb.194:                              ;   in Loop: Header=BB55_109 Depth=2
	ds_load_b64 v[10:11], v69 offset:4216
	s_waitcnt lgkmcnt(0)
	v_mul_f32_e32 v170, v8, v10
	s_delay_alu instid0(VALU_DEP_1)
	v_dual_fmac_f32 v9, v8, v11 :: v_dual_mov_b32 v8, v170
.LBB55_195:                             ;   in Loop: Header=BB55_109 Depth=2
	s_or_b32 exec_lo, exec_lo, s45
	ds_bpermute_b32 v170, v71, v8
	ds_bpermute_b32 v171, v71, v9
	s_and_saveexec_b32 s45, s8
	s_cbranch_execz .LBB55_199
; %bb.196:                              ;   in Loop: Header=BB55_109 Depth=2
	ds_load_b64 v[8:9], v21 offset:4232
	s_and_saveexec_b32 s46, s10
	s_cbranch_execz .LBB55_198
; %bb.197:                              ;   in Loop: Header=BB55_109 Depth=2
	ds_store_b64 v21, v[16:17] offset:4232
.LBB55_198:                             ;   in Loop: Header=BB55_109 Depth=2
	s_or_b32 exec_lo, exec_lo, s46
	s_waitcnt lgkmcnt(0)
	v_fmac_f32_e32 v9, v17, v8
	s_delay_alu instid0(VALU_DEP_1)
	v_dual_mul_f32 v16, v16, v8 :: v_dual_mov_b32 v17, v9
.LBB55_199:                             ;   in Loop: Header=BB55_109 Depth=2
	s_or_b32 exec_lo, exec_lo, s45
	s_waitcnt lgkmcnt(0)
	s_barrier
	buffer_gl0_inv
	ds_load_b32 v8, v21 offset:4236
	s_and_saveexec_b32 s45, s10
	s_cbranch_execz .LBB55_108
; %bb.200:                              ;   in Loop: Header=BB55_109 Depth=2
	v_mov_b32_e32 v9, s88
	s_and_not1_b32 vcc_lo, exec_lo, s86
	ds_store_b64 v9, v[16:17]
	s_cbranch_vccnz .LBB55_108
; %bb.201:                              ;   in Loop: Header=BB55_109 Depth=2
	s_mov_b32 s61, s67
	s_delay_alu instid0(SALU_CYCLE_1) | instskip(NEXT) | instid1(SALU_CYCLE_1)
	s_lshl_b64 s[90:91], s[60:61], 2
	s_add_u32 s90, s76, s90
	s_addc_u32 s91, s77, s91
	global_store_b32 v21, v17, s[90:91]
	s_branch .LBB55_108
.LBB55_202:                             ;   in Loop: Header=BB55_12 Depth=1
	v_bfe_u32 v0, v120, 16, 1
	v_bfe_u32 v1, v119, 16, 1
	v_cmp_o_f32_e32 vcc_lo, v120, v120
	v_bfe_u32 v2, v118, 16, 1
	v_bfe_u32 v4, v114, 16, 1
	v_add3_u32 v0, v120, v0, 0x7fff
	v_add3_u32 v1, v119, v1, 0x7fff
	v_bfe_u32 v7, v116, 16, 1
	v_add3_u32 v2, v118, v2, 0x7fff
	v_bfe_u32 v6, v115, 16, 1
	v_lshrrev_b32_e32 v0, 16, v0
	v_lshrrev_b32_e32 v1, 16, v1
	v_add3_u32 v4, v114, v4, 0x7fff
	v_lshrrev_b32_e32 v2, 16, v2
	v_add3_u32 v7, v116, v7, 0x7fff
	v_cndmask_b32_e32 v0, 0x7fc0, v0, vcc_lo
	v_cmp_o_f32_e32 vcc_lo, v119, v119
	v_add3_u32 v6, v115, v6, 0x7fff
	v_bfe_u32 v3, v113, 16, 1
	v_bfe_u32 v10, v109, 16, 1
	;; [unrolled: 1-line block ×3, first 2 shown]
	v_cndmask_b32_e32 v5, 0x7fc0, v1, vcc_lo
	v_bfe_u32 v1, v117, 16, 1
	v_cmp_o_f32_e32 vcc_lo, v118, v118
	v_lshrrev_b32_e32 v6, 16, v6
	v_add3_u32 v3, v113, v3, 0x7fff
	v_bfe_u32 v12, v111, 16, 1
	v_add3_u32 v1, v117, v1, 0x7fff
	v_cndmask_b32_e32 v8, 0x7fc0, v2, vcc_lo
	v_cmp_o_f32_e32 vcc_lo, v117, v117
	v_lshrrev_b32_e32 v2, 16, v4
	v_lshrrev_b32_e32 v4, 16, v7
	;; [unrolled: 1-line block ×4, first 2 shown]
	v_bfe_u32 v7, v112, 16, 1
	v_add3_u32 v11, v106, v11, 0x7fff
	v_perm_b32 v0, v5, v0, 0x5040100
	v_cndmask_b32_e32 v1, 0x7fc0, v1, vcc_lo
	v_cmp_o_f32_e32 vcc_lo, v116, v116
	s_waitcnt_vscnt null, 0x0
	s_barrier
	buffer_gl0_inv
	s_mov_b32 s51, s67
	v_cndmask_b32_e32 v4, 0x7fc0, v4, vcc_lo
	v_cmp_o_f32_e32 vcc_lo, v115, v115
	s_lshl_b64 s[28:29], s[50:51], 1
	v_cndmask_b32_e32 v6, 0x7fc0, v6, vcc_lo
	v_cmp_o_f32_e32 vcc_lo, v114, v114
	v_cndmask_b32_e32 v2, 0x7fc0, v2, vcc_lo
	v_cmp_o_f32_e32 vcc_lo, v113, v113
	s_delay_alu instid0(VALU_DEP_2)
	v_perm_b32 v2, v2, v1, 0x5040100
	v_cndmask_b32_e32 v9, 0x7fc0, v3, vcc_lo
	v_perm_b32 v3, v6, v4, 0x5040100
	v_add3_u32 v6, v112, v7, 0x7fff
	v_bfe_u32 v7, v110, 16, 1
	v_cmp_o_f32_e32 vcc_lo, v112, v112
	v_perm_b32 v1, v9, v8, 0x5040100
	v_add3_u32 v8, v109, v10, 0x7fff
	v_lshrrev_b32_e32 v6, 16, v6
	v_add3_u32 v7, v110, v7, 0x7fff
	v_bfe_u32 v10, v105, 16, 1
	v_bfe_u32 v4, v108, 16, 1
	s_delay_alu instid0(VALU_DEP_4) | instskip(NEXT) | instid1(VALU_DEP_4)
	v_cndmask_b32_e32 v9, 0x7fc0, v6, vcc_lo
	v_lshrrev_b32_e32 v6, 16, v7
	v_lshrrev_b32_e32 v7, 16, v8
	v_bfe_u32 v8, v107, 16, 1
	v_cmp_o_f32_e32 vcc_lo, v110, v110
	v_add3_u32 v4, v108, v4, 0x7fff
	s_delay_alu instid0(VALU_DEP_3)
	v_add3_u32 v8, v107, v8, 0x7fff
	v_cndmask_b32_e32 v13, 0x7fc0, v6, vcc_lo
	v_cmp_o_f32_e32 vcc_lo, v109, v109
	v_add3_u32 v6, v105, v10, 0x7fff
	v_add3_u32 v10, v111, v12, 0x7fff
	v_lshrrev_b32_e32 v4, 16, v4
	v_cndmask_b32_e32 v12, 0x7fc0, v7, vcc_lo
	v_lshrrev_b32_e32 v7, 16, v8
	v_cmp_o_f32_e32 vcc_lo, v107, v107
	v_lshrrev_b32_e32 v8, 16, v11
	v_lshrrev_b32_e32 v10, 16, v10
	;; [unrolled: 1-line block ×3, first 2 shown]
	v_perm_b32 v5, v12, v13, 0x5040100
	v_cndmask_b32_e32 v11, 0x7fc0, v7, vcc_lo
	v_cmp_o_f32_e32 vcc_lo, v106, v106
	v_cndmask_b32_e32 v7, 0x7fc0, v8, vcc_lo
	v_cmp_o_f32_e32 vcc_lo, v111, v111
	;; [unrolled: 2-line block ×3, first 2 shown]
	s_delay_alu instid0(VALU_DEP_2) | instskip(SKIP_2) | instid1(VALU_DEP_2)
	v_perm_b32 v7, v8, v7, 0x5040100
	v_cndmask_b32_e32 v6, 0x7fc0, v6, vcc_lo
	v_cmp_o_f32_e32 vcc_lo, v108, v108
	v_perm_b32 v6, v6, v11, 0x5040100
	v_cndmask_b32_e32 v4, 0x7fc0, v4, vcc_lo
	s_delay_alu instid0(VALU_DEP_1)
	v_perm_b32 v4, v4, v9, 0x5040100
	ds_store_b128 v52, v[0:3]
	ds_store_b128 v52, v[4:7] offset:16
	; wave barrier
	ds_load_u16 v16, v37 offset:64
	ds_load_u16 v15, v38 offset:128
	;; [unrolled: 1-line block ×15, first 2 shown]
	v_add_co_u32 v0, vcc_lo, v72, s28
	v_add_co_ci_u32_e32 v1, vcc_lo, s29, v73, vcc_lo
	s_and_saveexec_b32 s28, s12
	s_cbranch_execnz .LBB55_220
; %bb.203:                              ;   in Loop: Header=BB55_12 Depth=1
	s_or_b32 exec_lo, exec_lo, s28
	s_and_saveexec_b32 s12, s13
	s_cbranch_execnz .LBB55_221
.LBB55_204:                             ;   in Loop: Header=BB55_12 Depth=1
	s_or_b32 exec_lo, exec_lo, s12
	s_and_saveexec_b32 s12, s14
	s_cbranch_execnz .LBB55_222
.LBB55_205:                             ;   in Loop: Header=BB55_12 Depth=1
	s_or_b32 exec_lo, exec_lo, s12
	s_and_saveexec_b32 s12, s15
	s_cbranch_execnz .LBB55_223
.LBB55_206:                             ;   in Loop: Header=BB55_12 Depth=1
	s_or_b32 exec_lo, exec_lo, s12
	s_and_saveexec_b32 s12, s16
	s_cbranch_execnz .LBB55_224
.LBB55_207:                             ;   in Loop: Header=BB55_12 Depth=1
	s_or_b32 exec_lo, exec_lo, s12
	s_and_saveexec_b32 s12, s17
	s_cbranch_execnz .LBB55_225
.LBB55_208:                             ;   in Loop: Header=BB55_12 Depth=1
	s_or_b32 exec_lo, exec_lo, s12
	s_and_saveexec_b32 s12, s18
	s_cbranch_execnz .LBB55_226
.LBB55_209:                             ;   in Loop: Header=BB55_12 Depth=1
	s_or_b32 exec_lo, exec_lo, s12
	s_and_saveexec_b32 s12, s19
	s_cbranch_execnz .LBB55_227
.LBB55_210:                             ;   in Loop: Header=BB55_12 Depth=1
	s_or_b32 exec_lo, exec_lo, s12
	s_and_saveexec_b32 s12, s20
	s_cbranch_execnz .LBB55_228
.LBB55_211:                             ;   in Loop: Header=BB55_12 Depth=1
	s_or_b32 exec_lo, exec_lo, s12
	s_and_saveexec_b32 s12, s21
	s_cbranch_execnz .LBB55_229
.LBB55_212:                             ;   in Loop: Header=BB55_12 Depth=1
	s_or_b32 exec_lo, exec_lo, s12
	s_and_saveexec_b32 s12, s22
	s_cbranch_execnz .LBB55_230
.LBB55_213:                             ;   in Loop: Header=BB55_12 Depth=1
	s_or_b32 exec_lo, exec_lo, s12
	s_and_saveexec_b32 s12, s23
	s_cbranch_execnz .LBB55_231
.LBB55_214:                             ;   in Loop: Header=BB55_12 Depth=1
	s_or_b32 exec_lo, exec_lo, s12
	s_and_saveexec_b32 s12, s24
	s_cbranch_execnz .LBB55_232
.LBB55_215:                             ;   in Loop: Header=BB55_12 Depth=1
	s_or_b32 exec_lo, exec_lo, s12
	s_and_saveexec_b32 s12, s25
	s_cbranch_execnz .LBB55_233
.LBB55_216:                             ;   in Loop: Header=BB55_12 Depth=1
	s_or_b32 exec_lo, exec_lo, s12
	s_and_saveexec_b32 s12, s26
	s_cbranch_execnz .LBB55_234
.LBB55_217:                             ;   in Loop: Header=BB55_12 Depth=1
	s_or_b32 exec_lo, exec_lo, s12
	s_and_saveexec_b32 s12, s27
	s_cbranch_execz .LBB55_11
	s_branch .LBB55_235
.LBB55_218:                             ;   in Loop: Header=BB55_12 Depth=1
	global_load_u16 v97, v[8:9], off offset:832
	s_or_b32 exec_lo, exec_lo, s28
	s_and_saveexec_b32 s28, s26
	s_cbranch_execz .LBB55_72
.LBB55_219:                             ;   in Loop: Header=BB55_12 Depth=1
	global_load_u16 v96, v[8:9], off offset:896
	s_or_b32 exec_lo, exec_lo, s28
	v_mov_b32_e32 v98, 0
	s_and_saveexec_b32 s28, s27
	s_cbranch_execnz .LBB55_73
	s_branch .LBB55_74
.LBB55_220:                             ;   in Loop: Header=BB55_12 Depth=1
	ds_load_u16 v17, v37
	s_waitcnt lgkmcnt(0)
	global_store_b16 v[0:1], v17, off
	s_or_b32 exec_lo, exec_lo, s28
	s_and_saveexec_b32 s12, s13
	s_cbranch_execz .LBB55_204
.LBB55_221:                             ;   in Loop: Header=BB55_12 Depth=1
	s_waitcnt lgkmcnt(14)
	global_store_b16 v[0:1], v16, off offset:64
	s_or_b32 exec_lo, exec_lo, s12
	s_and_saveexec_b32 s12, s14
	s_cbranch_execz .LBB55_205
.LBB55_222:                             ;   in Loop: Header=BB55_12 Depth=1
	s_waitcnt lgkmcnt(13)
	global_store_b16 v[0:1], v15, off offset:128
	s_or_b32 exec_lo, exec_lo, s12
	s_and_saveexec_b32 s12, s15
	s_cbranch_execz .LBB55_206
.LBB55_223:                             ;   in Loop: Header=BB55_12 Depth=1
	s_waitcnt lgkmcnt(12)
	global_store_b16 v[0:1], v14, off offset:192
	s_or_b32 exec_lo, exec_lo, s12
	s_and_saveexec_b32 s12, s16
	s_cbranch_execz .LBB55_207
.LBB55_224:                             ;   in Loop: Header=BB55_12 Depth=1
	s_waitcnt lgkmcnt(11)
	global_store_b16 v[0:1], v13, off offset:256
	s_or_b32 exec_lo, exec_lo, s12
	s_and_saveexec_b32 s12, s17
	s_cbranch_execz .LBB55_208
.LBB55_225:                             ;   in Loop: Header=BB55_12 Depth=1
	s_waitcnt lgkmcnt(10)
	global_store_b16 v[0:1], v12, off offset:320
	s_or_b32 exec_lo, exec_lo, s12
	s_and_saveexec_b32 s12, s18
	s_cbranch_execz .LBB55_209
.LBB55_226:                             ;   in Loop: Header=BB55_12 Depth=1
	s_waitcnt lgkmcnt(9)
	global_store_b16 v[0:1], v11, off offset:384
	s_or_b32 exec_lo, exec_lo, s12
	s_and_saveexec_b32 s12, s19
	s_cbranch_execz .LBB55_210
.LBB55_227:                             ;   in Loop: Header=BB55_12 Depth=1
	s_waitcnt lgkmcnt(8)
	global_store_b16 v[0:1], v10, off offset:448
	s_or_b32 exec_lo, exec_lo, s12
	s_and_saveexec_b32 s12, s20
	s_cbranch_execz .LBB55_211
.LBB55_228:                             ;   in Loop: Header=BB55_12 Depth=1
	s_waitcnt lgkmcnt(7)
	global_store_b16 v[0:1], v9, off offset:512
	s_or_b32 exec_lo, exec_lo, s12
	s_and_saveexec_b32 s12, s21
	s_cbranch_execz .LBB55_212
.LBB55_229:                             ;   in Loop: Header=BB55_12 Depth=1
	s_waitcnt lgkmcnt(6)
	global_store_b16 v[0:1], v8, off offset:576
	s_or_b32 exec_lo, exec_lo, s12
	s_and_saveexec_b32 s12, s22
	s_cbranch_execz .LBB55_213
.LBB55_230:                             ;   in Loop: Header=BB55_12 Depth=1
	s_waitcnt lgkmcnt(5)
	global_store_b16 v[0:1], v7, off offset:640
	s_or_b32 exec_lo, exec_lo, s12
	s_and_saveexec_b32 s12, s23
	s_cbranch_execz .LBB55_214
.LBB55_231:                             ;   in Loop: Header=BB55_12 Depth=1
	s_waitcnt lgkmcnt(4)
	global_store_b16 v[0:1], v6, off offset:704
	s_or_b32 exec_lo, exec_lo, s12
	s_and_saveexec_b32 s12, s24
	s_cbranch_execz .LBB55_215
.LBB55_232:                             ;   in Loop: Header=BB55_12 Depth=1
	s_waitcnt lgkmcnt(3)
	global_store_b16 v[0:1], v5, off offset:768
	s_or_b32 exec_lo, exec_lo, s12
	s_and_saveexec_b32 s12, s25
	s_cbranch_execz .LBB55_216
.LBB55_233:                             ;   in Loop: Header=BB55_12 Depth=1
	s_waitcnt lgkmcnt(2)
	global_store_b16 v[0:1], v4, off offset:832
	s_or_b32 exec_lo, exec_lo, s12
	s_and_saveexec_b32 s12, s26
	s_cbranch_execz .LBB55_217
.LBB55_234:                             ;   in Loop: Header=BB55_12 Depth=1
	s_waitcnt lgkmcnt(1)
	global_store_b16 v[0:1], v3, off offset:896
	s_or_b32 exec_lo, exec_lo, s12
	s_and_saveexec_b32 s12, s27
	s_cbranch_execz .LBB55_11
.LBB55_235:                             ;   in Loop: Header=BB55_12 Depth=1
	s_waitcnt lgkmcnt(0)
	global_store_b16 v[0:1], v2, off offset:960
	s_branch .LBB55_11
.LBB55_236:
	s_nop 0
	s_sendmsg sendmsg(MSG_DEALLOC_VGPRS)
	s_endpgm
	.section	.rodata,"a",@progbits
	.p2align	6, 0x0
	.amdhsa_kernel _Z25selective_scan_fwd_kernelI32Selective_Scan_fwd_kernel_traitsILi64ELi16ELi1ELb0ELb1ELb1ELb0ELb0EN3c108BFloat16EffEEv13SSMParamsBase
		.amdhsa_group_segment_fixed_size 0
		.amdhsa_private_segment_fixed_size 0
		.amdhsa_kernarg_size 248
		.amdhsa_user_sgpr_count 14
		.amdhsa_user_sgpr_dispatch_ptr 0
		.amdhsa_user_sgpr_queue_ptr 0
		.amdhsa_user_sgpr_kernarg_segment_ptr 1
		.amdhsa_user_sgpr_dispatch_id 0
		.amdhsa_user_sgpr_private_segment_size 0
		.amdhsa_wavefront_size32 1
		.amdhsa_uses_dynamic_stack 0
		.amdhsa_enable_private_segment 0
		.amdhsa_system_sgpr_workgroup_id_x 1
		.amdhsa_system_sgpr_workgroup_id_y 1
		.amdhsa_system_sgpr_workgroup_id_z 0
		.amdhsa_system_sgpr_workgroup_info 0
		.amdhsa_system_vgpr_workitem_id 0
		.amdhsa_next_free_vgpr 172
		.amdhsa_next_free_sgpr 92
		.amdhsa_reserve_vcc 1
		.amdhsa_float_round_mode_32 0
		.amdhsa_float_round_mode_16_64 0
		.amdhsa_float_denorm_mode_32 3
		.amdhsa_float_denorm_mode_16_64 3
		.amdhsa_dx10_clamp 1
		.amdhsa_ieee_mode 1
		.amdhsa_fp16_overflow 0
		.amdhsa_workgroup_processor_mode 1
		.amdhsa_memory_ordered 1
		.amdhsa_forward_progress 0
		.amdhsa_shared_vgpr_count 0
		.amdhsa_exception_fp_ieee_invalid_op 0
		.amdhsa_exception_fp_denorm_src 0
		.amdhsa_exception_fp_ieee_div_zero 0
		.amdhsa_exception_fp_ieee_overflow 0
		.amdhsa_exception_fp_ieee_underflow 0
		.amdhsa_exception_fp_ieee_inexact 0
		.amdhsa_exception_int_div_zero 0
	.end_amdhsa_kernel
	.section	.text._Z25selective_scan_fwd_kernelI32Selective_Scan_fwd_kernel_traitsILi64ELi16ELi1ELb0ELb1ELb1ELb0ELb0EN3c108BFloat16EffEEv13SSMParamsBase,"axG",@progbits,_Z25selective_scan_fwd_kernelI32Selective_Scan_fwd_kernel_traitsILi64ELi16ELi1ELb0ELb1ELb1ELb0ELb0EN3c108BFloat16EffEEv13SSMParamsBase,comdat
.Lfunc_end55:
	.size	_Z25selective_scan_fwd_kernelI32Selective_Scan_fwd_kernel_traitsILi64ELi16ELi1ELb0ELb1ELb1ELb0ELb0EN3c108BFloat16EffEEv13SSMParamsBase, .Lfunc_end55-_Z25selective_scan_fwd_kernelI32Selective_Scan_fwd_kernel_traitsILi64ELi16ELi1ELb0ELb1ELb1ELb0ELb0EN3c108BFloat16EffEEv13SSMParamsBase
                                        ; -- End function
	.section	.AMDGPU.csdata,"",@progbits
; Kernel info:
; codeLenInByte = 21456
; NumSgprs: 94
; NumVgprs: 172
; ScratchSize: 0
; MemoryBound: 0
; FloatMode: 240
; IeeeMode: 1
; LDSByteSize: 0 bytes/workgroup (compile time only)
; SGPRBlocks: 11
; VGPRBlocks: 21
; NumSGPRsForWavesPerEU: 94
; NumVGPRsForWavesPerEU: 172
; Occupancy: 8
; WaveLimiterHint : 0
; COMPUTE_PGM_RSRC2:SCRATCH_EN: 0
; COMPUTE_PGM_RSRC2:USER_SGPR: 14
; COMPUTE_PGM_RSRC2:TRAP_HANDLER: 0
; COMPUTE_PGM_RSRC2:TGID_X_EN: 1
; COMPUTE_PGM_RSRC2:TGID_Y_EN: 1
; COMPUTE_PGM_RSRC2:TGID_Z_EN: 0
; COMPUTE_PGM_RSRC2:TIDIG_COMP_CNT: 0
	.section	.text._Z25selective_scan_fwd_kernelI32Selective_Scan_fwd_kernel_traitsILi128ELi16ELi1ELb1ELb1ELb1ELb1ELb1EN3c108BFloat16EffEEv13SSMParamsBase,"axG",@progbits,_Z25selective_scan_fwd_kernelI32Selective_Scan_fwd_kernel_traitsILi128ELi16ELi1ELb1ELb1ELb1ELb1ELb1EN3c108BFloat16EffEEv13SSMParamsBase,comdat
	.protected	_Z25selective_scan_fwd_kernelI32Selective_Scan_fwd_kernel_traitsILi128ELi16ELi1ELb1ELb1ELb1ELb1ELb1EN3c108BFloat16EffEEv13SSMParamsBase ; -- Begin function _Z25selective_scan_fwd_kernelI32Selective_Scan_fwd_kernel_traitsILi128ELi16ELi1ELb1ELb1ELb1ELb1ELb1EN3c108BFloat16EffEEv13SSMParamsBase
	.globl	_Z25selective_scan_fwd_kernelI32Selective_Scan_fwd_kernel_traitsILi128ELi16ELi1ELb1ELb1ELb1ELb1ELb1EN3c108BFloat16EffEEv13SSMParamsBase
	.p2align	8
	.type	_Z25selective_scan_fwd_kernelI32Selective_Scan_fwd_kernel_traitsILi128ELi16ELi1ELb1ELb1ELb1ELb1ELb1EN3c108BFloat16EffEEv13SSMParamsBase,@function
_Z25selective_scan_fwd_kernelI32Selective_Scan_fwd_kernel_traitsILi128ELi16ELi1ELb1ELb1ELb1ELb1ELb1EN3c108BFloat16EffEEv13SSMParamsBase: ; @_Z25selective_scan_fwd_kernelI32Selective_Scan_fwd_kernel_traitsILi128ELi16ELi1ELb1ELb1ELb1ELb1ELb1EN3c108BFloat16EffEEv13SSMParamsBase
; %bb.0:
	s_clause 0x2
	s_load_b32 s11, s[0:1], 0x18
	s_load_b256 s[36:43], s[0:1], 0xc8
	s_load_b128 s[4:7], s[0:1], 0xe8
	s_mov_b32 s34, s15
	s_ashr_i32 s15, s14, 31
	s_mov_b32 s66, 0
	s_lshl_b64 s[8:9], s[14:15], 2
	s_waitcnt lgkmcnt(0)
	s_abs_i32 s10, s11
	s_add_u32 s2, s42, s8
	v_cvt_f32_u32_e32 v1, s10
	s_addc_u32 s3, s43, s9
	s_cmp_eq_u64 s[6:7], 0
	s_delay_alu instid0(VALU_DEP_1) | instskip(SKIP_2) | instid1(VALU_DEP_1)
	v_rcp_iflag_f32_e32 v1, v1
	s_waitcnt_depctr 0xfff
	v_mul_f32_e32 v1, 0x4f7ffffe, v1
	v_cvt_u32_f32_e32 v1, v1
	s_delay_alu instid0(VALU_DEP_1)
	v_readfirstlane_b32 s12, v1
	s_cbranch_scc1 .LBB56_2
; %bb.1:
	v_mov_b32_e32 v1, 0
	s_add_u32 s6, s6, s14
	s_addc_u32 s7, s7, s15
	global_load_u8 v1, v1, s[6:7]
	s_waitcnt vmcnt(0)
	v_and_b32_e32 v1, 1, v1
	s_delay_alu instid0(VALU_DEP_1)
	v_cmp_eq_u32_e64 s66, 1, v1
.LBB56_2:
	s_load_b64 s[6:7], s[0:1], 0x20
	s_cmp_eq_u64 s[4:5], 0
	s_cbranch_scc1 .LBB56_4
; %bb.3:
	s_add_u32 s4, s4, s8
	s_addc_u32 s5, s5, s9
	s_load_b32 s14, s[4:5], 0x0
	s_waitcnt lgkmcnt(0)
	s_ashr_i32 s15, s14, 31
.LBB56_4:
	s_waitcnt lgkmcnt(0)
	s_cmp_eq_u64 s[6:7], s[14:15]
	s_cbranch_scc1 .LBB56_302
; %bb.5:
	s_load_b512 s[16:31], s[0:1], 0x88
	s_load_b64 s[42:43], s[2:3], 0x0
	s_mov_b32 s67, 0
	s_mov_b32 s68, 0
	s_waitcnt lgkmcnt(0)
	s_cmp_eq_u64 s[22:23], 0
	s_cbranch_scc1 .LBB56_7
; %bb.6:
	s_ashr_i32 s35, s34, 31
	s_delay_alu instid0(SALU_CYCLE_1) | instskip(NEXT) | instid1(SALU_CYCLE_1)
	s_lshl_b64 s[2:3], s[34:35], 2
	s_add_u32 s2, s22, s2
	s_addc_u32 s3, s23, s3
	s_load_b32 s68, s[2:3], 0x0
.LBB56_7:
	s_cmp_eq_u64 s[28:29], 0
	s_cbranch_scc1 .LBB56_9
; %bb.8:
	s_ashr_i32 s35, s34, 31
	s_delay_alu instid0(SALU_CYCLE_1) | instskip(NEXT) | instid1(SALU_CYCLE_1)
	s_lshl_b64 s[2:3], s[34:35], 2
	s_add_u32 s2, s28, s2
	s_addc_u32 s3, s29, s3
	s_load_b32 s67, s[2:3], 0x0
.LBB56_9:
	s_sub_i32 s69, s43, s42
	s_delay_alu instid0(SALU_CYCLE_1)
	s_cmp_lt_i32 s69, 1
	s_cbranch_scc1 .LBB56_302
; %bb.10:
	s_sub_i32 s2, 0, s10
	s_load_b256 s[48:55], s[0:1], 0x4c
	s_mul_i32 s2, s2, s12
	s_abs_i32 s3, s34
	s_mul_hi_u32 s2, s12, s2
	s_ashr_i32 s5, s11, 31
	s_add_i32 s12, s12, s2
	s_ashr_i32 s2, s34, 31
	s_mul_hi_u32 s4, s3, s12
	s_xor_b32 s5, s2, s5
	s_mul_i32 s6, s4, s10
	s_load_b256 s[56:63], s[0:1], 0x2c
	s_sub_i32 s2, s3, s6
	s_add_i32 s3, s4, 1
	s_sub_i32 s6, s2, s10
	s_cmp_ge_u32 s2, s10
	s_mov_b32 s65, 0
	s_cselect_b32 s3, s3, s4
	s_cselect_b32 s2, s6, s2
	s_add_i32 s4, s3, 1
	s_cmp_ge_u32 s2, s10
	s_waitcnt lgkmcnt(0)
	s_mul_i32 s64, s42, s50
	s_cselect_b32 s4, s4, s3
	s_lshl_b64 s[2:3], s[64:65], 1
	s_xor_b32 s4, s4, s5
	s_mul_i32 s64, s51, s34
	s_sub_i32 s6, s4, s5
	s_add_u32 s4, s24, s2
	s_addc_u32 s5, s25, s3
	s_lshl_b64 s[2:3], s[64:65], 1
	s_mul_i32 s64, s42, s52
	s_add_u32 s63, s4, s2
	s_addc_u32 s70, s5, s3
	s_lshl_b64 s[2:3], s[64:65], 1
	s_mul_i32 s64, s53, s34
	;; [unrolled: 4-line block ×3, first 2 shown]
	s_add_u32 s71, s4, s2
	s_addc_u32 s56, s5, s3
	s_load_b64 s[4:5], s[0:1], 0x7c
	v_dual_mov_b32 v21, 0 :: v_dual_lshlrev_b32 v18, 4, v0
	s_lshl_b64 s[2:3], s[64:65], 2
	s_mul_i32 s64, s42, s58
	s_add_u32 s72, s16, s2
	v_mbcnt_lo_u32_b32 v19, -1, 0
	v_and_b32_e32 v1, 0x600, v18
	s_addc_u32 s73, s17, s3
	s_lshl_b64 s[2:3], s[64:65], 1
	s_mul_i32 s64, s6, s61
	s_add_u32 s7, s18, s2
	s_addc_u32 s8, s19, s3
	s_clause 0x3
	s_load_b128 s[16:19], s[0:1], 0x6c
	s_load_b32 s75, s[0:1], 0x84
	s_load_b32 s78, s[0:1], 0xc
	;; [unrolled: 1-line block ×3, first 2 shown]
	v_or_b32_e32 v20, v19, v1
	s_lshl_b64 s[2:3], s[64:65], 1
	s_mul_i32 s64, s42, s62
	s_add_u32 s61, s7, s2
	s_addc_u32 s62, s8, s3
	s_lshl_b64 s[2:3], s[64:65], 1
	s_mul_i32 s64, s6, s49
	v_or_b32_e32 v24, 0x60, v20
	v_and_b32_e32 v14, 0x60, v0
	s_add_u32 s7, s20, s2
	s_addc_u32 s6, s21, s3
	s_lshl_b64 s[2:3], s[64:65], 1
	s_waitcnt lgkmcnt(0)
	s_mul_i32 s64, s14, s4
	s_add_u32 s49, s7, s2
	s_addc_u32 s74, s6, s3
	s_lshl_b64 s[2:3], s[64:65], 2
	v_or_b32_e32 v26, 0xa0, v20
	v_or_b32_e32 v28, 0xe0, v20
	;; [unrolled: 1-line block ×5, first 2 shown]
	v_lshrrev_b32_e32 v2, 5, v24
	v_or_b32_e32 v36, 0x1e0, v20
	v_or_b32_e32 v16, v19, v14
	s_mul_i32 s64, s5, s34
	s_add_u32 s4, s36, s2
	s_addc_u32 s5, s37, s3
	s_lshl_b64 s[2:3], s[64:65], 2
	v_or_b32_e32 v23, 64, v20
	s_add_u32 s76, s4, s2
	v_or_b32_e32 v25, 0x80, v20
	v_or_b32_e32 v27, 0xc0, v20
	;; [unrolled: 1-line block ×6, first 2 shown]
	v_and_b32_e32 v2, 50, v2
	v_lshrrev_b32_e32 v5, 5, v26
	v_lshrrev_b32_e32 v8, 5, v28
	v_lshrrev_b32_e32 v9, 5, v30
	v_lshrrev_b32_e32 v11, 5, v32
	v_lshrrev_b32_e32 v15, 5, v34
	v_lshrrev_b32_e32 v49, 5, v36
	v_lshrrev_b16 v50, 1, v16
	s_addc_u32 s77, s5, s3
	s_add_i32 s2, s69, 0x7ff
	v_lshrrev_b32_e32 v3, 5, v1
	s_lshr_b32 s79, s2, 11
	s_bitcmp1_b32 s0, 0
	v_lshrrev_b32_e32 v4, 5, v23
	v_lshrrev_b32_e32 v6, 5, v25
	v_add_lshl_u32 v2, v2, v20, 1
	v_and_b32_e32 v5, 52, v5
	v_lshrrev_b32_e32 v7, 5, v27
	v_and_b32_e32 v8, 54, v8
	v_lshrrev_b32_e32 v10, 5, v29
	;; [unrolled: 2-line block ×5, first 2 shown]
	v_and_b32_e32 v51, 62, v49
	v_lshlrev_b32_e32 v16, 4, v16
	v_and_b32_e32 v52, 62, v50
	s_cselect_b32 s80, -1, 0
	s_cmp_gt_i32 s78, 0
	v_add_lshl_u32 v3, v3, v20, 1
	s_cselect_b32 s81, -1, 0
	s_add_i32 s0, 0, 0x1080
	v_add_lshl_u32 v4, v4, v20, 1
	v_add_lshl_u32 v6, v6, v20, 1
	v_add_nc_u32_e32 v39, 0, v2
	v_add_lshl_u32 v5, v5, v20, 1
	v_add_lshl_u32 v7, v7, v20, 1
	;; [unrolled: 1-line block ×12, first 2 shown]
	v_add_nc_u32_e32 v55, s0, v2
	v_and_b32_e32 v2, 15, v19
	s_and_b32 s1, s69, 0x7ff
	v_add_nc_u32_e32 v51, 0, v67
	v_add_nc_u32_e32 v53, s0, v3
	;; [unrolled: 1-line block ×15, first 2 shown]
	s_cmp_eq_u32 s1, 0
	v_add_nc_u32_e32 v68, s0, v16
	v_cmp_ne_u32_e64 s0, 0, v2
	v_cmp_lt_u32_e64 s1, 1, v2
	v_cmp_lt_u32_e64 s2, 3, v2
	;; [unrolled: 1-line block ×3, first 2 shown]
	v_add_nc_u32_e32 v2, -1, v19
	v_add_nc_u32_e32 v37, 0, v3
	v_lshrrev_b32_e32 v3, 2, v0
	s_mul_i32 s64, s42, s16
	v_add_nc_u32_e32 v41, 0, v5
	v_or_b32_e32 v5, 31, v14
	v_cmp_gt_i32_e32 vcc_lo, 0, v2
	s_cselect_b32 s82, -1, 0
	s_lshl_b64 s[12:13], s[64:65], 1
	v_and_b32_e32 v3, 24, v3
	s_add_i32 s83, s79, -1
	v_cndmask_b32_e32 v2, v2, v19, vcc_lo
	s_mul_i32 s64, s17, s34
	s_add_u32 s16, s30, s12
	s_addc_u32 s13, s31, s13
	s_lshl_b64 s[14:15], s[64:65], 1
	v_cmp_eq_u32_e64 s5, v5, v0
	v_cmp_gt_u32_e64 s6, 4, v0
	v_lshl_add_u32 v70, v0, 3, 0
	v_cmp_gt_u32_e64 s9, 32, v0
	v_cmp_lt_u32_e64 s10, 31, v0
	v_cmp_eq_u32_e64 s11, 0, v0
	s_mul_i32 s64, s42, s54
	v_lshlrev_b32_e32 v0, 1, v19
	s_add_u32 s16, s16, s14
	v_add_nc_u32_e32 v38, 0, v4
	v_and_b32_e32 v4, 16, v19
	v_add_nc_u32_e32 v69, 0, v3
	v_and_b32_e32 v3, 3, v19
	s_addc_u32 s13, s13, s15
	s_lshl_b64 s[14:15], s[64:65], 1
	s_mul_i32 s64, s55, s34
	s_add_u32 s17, s38, s14
	v_lshlrev_b32_e32 v71, 2, v2
	s_addc_u32 s20, s39, s15
	s_lshl_b64 s[14:15], s[64:65], 1
	v_add_co_u32 v2, s16, s16, v0
	s_mul_i32 s64, s42, s18
	v_cmp_ne_u32_e64 s4, 0, v4
	v_cmp_ne_u32_e64 s7, 0, v3
	v_cmp_lt_u32_e64 s8, 1, v3
	v_add_co_ci_u32_e64 v3, null, s13, 0, s16
	s_add_u32 s13, s17, s14
	v_lshlrev_b32_e32 v4, 1, v1
	s_addc_u32 s16, s20, s15
	s_lshl_b64 s[14:15], s[64:65], 1
	s_mul_i32 s64, s19, s34
	s_add_u32 s17, s40, s14
	s_addc_u32 s18, s41, s15
	s_lshl_b64 s[14:15], s[64:65], 1
	v_add_co_u32 v72, vcc_lo, v2, v4
	v_add_co_u32 v2, s13, s13, v0
	s_add_u32 s14, s17, s14
	v_add_co_ci_u32_e32 v73, vcc_lo, 0, v3, vcc_lo
	v_add_co_ci_u32_e64 v3, null, s16, 0, s13
	s_addc_u32 s15, s18, s15
	v_add_co_u32 v0, s13, s14, v0
	s_delay_alu instid0(VALU_DEP_1) | instskip(SKIP_2) | instid1(VALU_DEP_4)
	v_add_co_ci_u32_e64 v5, null, s15, 0, s13
	v_add_co_u32 v74, vcc_lo, v2, v4
	v_add_co_ci_u32_e32 v75, vcc_lo, 0, v3, vcc_lo
	v_add_co_u32 v76, vcc_lo, v0, v4
	v_or_b32_e32 v22, 32, v20
	v_add_nc_u32_e32 v40, 0, v6
	v_add_nc_u32_e32 v42, 0, v7
	;; [unrolled: 1-line block ×11, first 2 shown]
	v_cmp_eq_u32_e64 s12, 0, v19
	v_add_co_ci_u32_e32 v77, vcc_lo, 0, v5, vcc_lo
	v_or_b32_e32 v78, 1, v18
	v_or_b32_e32 v79, 2, v18
	;; [unrolled: 1-line block ×15, first 2 shown]
	v_lshlrev_b32_e32 v93, 1, v1
	s_mov_b32 s84, 0x3e9b6dac
	s_add_i32 s85, 0, 0x2120
	s_mov_b32 s86, 0
	s_branch .LBB56_12
.LBB56_11:                              ;   in Loop: Header=BB56_12 Depth=1
	s_or_b32 exec_lo, exec_lo, s13
	s_add_u32 s71, s71, 0x1000
	s_addc_u32 s56, s56, 0
	s_add_u32 s63, s63, 0x1000
	s_addc_u32 s70, s70, 0
	;; [unrolled: 2-line block ×4, first 2 shown]
	s_add_i32 s86, s86, 1
	s_delay_alu instid0(SALU_CYCLE_1)
	s_cmp_lg_u32 s86, s79
	s_cbranch_scc0 .LBB56_302
.LBB56_12:                              ; =>This Loop Header: Depth=1
                                        ;     Child Loop BB56_109 Depth 2
	s_waitcnt lgkmcnt(14)
	v_lshlrev_b32_e32 v16, 1, v19
	s_lshl_b32 s50, s86, 11
	s_waitcnt lgkmcnt(0)
	v_mov_b32_e32 v2, 0
	s_sub_i32 s41, s69, s50
	v_add_co_u32 v0, s13, s63, v16
	s_delay_alu instid0(VALU_DEP_1) | instskip(SKIP_1) | instid1(VALU_DEP_3)
	v_add_co_ci_u32_e64 v1, null, s70, 0, s13
	v_cmp_gt_u32_e64 s13, s41, v20
	v_add_co_u32 v0, vcc_lo, v0, v93
	s_delay_alu instid0(VALU_DEP_3)
	v_add_co_ci_u32_e32 v1, vcc_lo, 0, v1, vcc_lo
	s_waitcnt_vscnt null, 0x0
	s_barrier
	buffer_gl0_inv
	s_and_saveexec_b32 s14, s13
	s_cbranch_execz .LBB56_14
; %bb.13:                               ;   in Loop: Header=BB56_12 Depth=1
	global_load_u16 v2, v[0:1], off
.LBB56_14:                              ;   in Loop: Header=BB56_12 Depth=1
	s_or_b32 exec_lo, exec_lo, s14
	v_cmp_gt_u32_e64 s14, s41, v22
	v_dual_mov_b32 v3, 0 :: v_dual_mov_b32 v4, 0
	s_delay_alu instid0(VALU_DEP_2)
	s_and_saveexec_b32 s15, s14
	s_cbranch_execz .LBB56_16
; %bb.15:                               ;   in Loop: Header=BB56_12 Depth=1
	global_load_u16 v4, v[0:1], off offset:64
.LBB56_16:                              ;   in Loop: Header=BB56_12 Depth=1
	s_or_b32 exec_lo, exec_lo, s15
	v_cmp_gt_u32_e64 s15, s41, v23
	s_delay_alu instid0(VALU_DEP_1)
	s_and_saveexec_b32 s16, s15
	s_cbranch_execz .LBB56_18
; %bb.17:                               ;   in Loop: Header=BB56_12 Depth=1
	global_load_u16 v3, v[0:1], off offset:128
.LBB56_18:                              ;   in Loop: Header=BB56_12 Depth=1
	s_or_b32 exec_lo, exec_lo, s16
	v_cmp_gt_u32_e64 s16, s41, v24
	v_dual_mov_b32 v5, 0 :: v_dual_mov_b32 v6, 0
	s_delay_alu instid0(VALU_DEP_2)
	s_and_saveexec_b32 s17, s16
	s_cbranch_execz .LBB56_20
; %bb.19:                               ;   in Loop: Header=BB56_12 Depth=1
	global_load_u16 v6, v[0:1], off offset:192
.LBB56_20:                              ;   in Loop: Header=BB56_12 Depth=1
	s_or_b32 exec_lo, exec_lo, s17
	v_cmp_gt_u32_e64 s17, s41, v25
	s_delay_alu instid0(VALU_DEP_1)
	s_and_saveexec_b32 s18, s17
	s_cbranch_execz .LBB56_22
; %bb.21:                               ;   in Loop: Header=BB56_12 Depth=1
	global_load_u16 v5, v[0:1], off offset:256
.LBB56_22:                              ;   in Loop: Header=BB56_12 Depth=1
	;; [unrolled: 17-line block ×3, first 2 shown]
	s_or_b32 exec_lo, exec_lo, s20
	v_cmp_gt_u32_e64 s20, s41, v28
	v_mov_b32_e32 v9, 0
	v_mov_b32_e32 v11, 0
	s_delay_alu instid0(VALU_DEP_3)
	s_and_saveexec_b32 s21, s20
	s_cbranch_execz .LBB56_28
; %bb.27:                               ;   in Loop: Header=BB56_12 Depth=1
	global_load_u16 v11, v[0:1], off offset:448
.LBB56_28:                              ;   in Loop: Header=BB56_12 Depth=1
	s_or_b32 exec_lo, exec_lo, s21
	v_cmp_gt_u32_e64 s21, s41, v29
	s_delay_alu instid0(VALU_DEP_1)
	s_and_saveexec_b32 s22, s21
	s_cbranch_execz .LBB56_30
; %bb.29:                               ;   in Loop: Header=BB56_12 Depth=1
	global_load_u16 v9, v[0:1], off offset:512
.LBB56_30:                              ;   in Loop: Header=BB56_12 Depth=1
	s_or_b32 exec_lo, exec_lo, s22
	v_cmp_gt_u32_e64 s22, s41, v30
	v_dual_mov_b32 v12, 0 :: v_dual_mov_b32 v13, 0
	s_delay_alu instid0(VALU_DEP_2)
	s_and_saveexec_b32 s23, s22
	s_cbranch_execz .LBB56_32
; %bb.31:                               ;   in Loop: Header=BB56_12 Depth=1
	global_load_u16 v13, v[0:1], off offset:576
.LBB56_32:                              ;   in Loop: Header=BB56_12 Depth=1
	s_or_b32 exec_lo, exec_lo, s23
	v_cmp_gt_u32_e64 s23, s41, v31
	s_delay_alu instid0(VALU_DEP_1)
	s_and_saveexec_b32 s24, s23
	s_cbranch_execz .LBB56_34
; %bb.33:                               ;   in Loop: Header=BB56_12 Depth=1
	global_load_u16 v12, v[0:1], off offset:640
.LBB56_34:                              ;   in Loop: Header=BB56_12 Depth=1
	s_or_b32 exec_lo, exec_lo, s24
	v_cmp_gt_u32_e64 s24, s41, v32
	v_dual_mov_b32 v14, 0 :: v_dual_mov_b32 v15, 0
	s_delay_alu instid0(VALU_DEP_2)
	s_and_saveexec_b32 s25, s24
	s_cbranch_execz .LBB56_36
; %bb.35:                               ;   in Loop: Header=BB56_12 Depth=1
	global_load_u16 v15, v[0:1], off offset:704
.LBB56_36:                              ;   in Loop: Header=BB56_12 Depth=1
	s_or_b32 exec_lo, exec_lo, s25
	v_cmp_gt_u32_e64 s25, s41, v33
	s_delay_alu instid0(VALU_DEP_1)
	s_and_saveexec_b32 s26, s25
	s_cbranch_execz .LBB56_38
; %bb.37:                               ;   in Loop: Header=BB56_12 Depth=1
	global_load_u16 v14, v[0:1], off offset:768
.LBB56_38:                              ;   in Loop: Header=BB56_12 Depth=1
	s_or_b32 exec_lo, exec_lo, s26
	v_cmp_gt_u32_e64 s26, s41, v34
	v_dual_mov_b32 v17, 0 :: v_dual_mov_b32 v94, 0
	s_delay_alu instid0(VALU_DEP_2)
	s_and_saveexec_b32 s27, s26
	s_cbranch_execz .LBB56_40
; %bb.39:                               ;   in Loop: Header=BB56_12 Depth=1
	global_load_u16 v94, v[0:1], off offset:832
.LBB56_40:                              ;   in Loop: Header=BB56_12 Depth=1
	s_or_b32 exec_lo, exec_lo, s27
	v_cmp_gt_u32_e64 s27, s41, v35
	s_delay_alu instid0(VALU_DEP_1)
	s_and_saveexec_b32 s28, s27
	s_cbranch_execz .LBB56_42
; %bb.41:                               ;   in Loop: Header=BB56_12 Depth=1
	global_load_u16 v17, v[0:1], off offset:896
.LBB56_42:                              ;   in Loop: Header=BB56_12 Depth=1
	s_or_b32 exec_lo, exec_lo, s28
	v_cmp_gt_u32_e64 s28, s41, v36
	v_dual_mov_b32 v10, 0 :: v_dual_mov_b32 v95, 0
	s_delay_alu instid0(VALU_DEP_2)
	s_and_saveexec_b32 s29, s28
	s_cbranch_execz .LBB56_44
; %bb.43:                               ;   in Loop: Header=BB56_12 Depth=1
	global_load_u16 v95, v[0:1], off offset:960
.LBB56_44:                              ;   in Loop: Header=BB56_12 Depth=1
	s_or_b32 exec_lo, exec_lo, s29
	s_waitcnt vmcnt(0)
	ds_store_b16 v37, v2
	ds_store_b16 v37, v4 offset:64
	ds_store_b16 v38, v3 offset:128
	;; [unrolled: 1-line block ×15, first 2 shown]
	; wave barrier
	ds_load_b128 v[0:3], v52
	ds_load_b128 v[4:7], v52 offset:16
	v_add_co_u32 v8, s29, s71, v16
	s_delay_alu instid0(VALU_DEP_1) | instskip(SKIP_1) | instid1(VALU_DEP_2)
	v_add_co_ci_u32_e64 v9, null, s56, 0, s29
	s_waitcnt lgkmcnt(0)
	v_add_co_u32 v8, vcc_lo, v8, v93
	s_delay_alu instid0(VALU_DEP_2)
	v_add_co_ci_u32_e32 v9, vcc_lo, 0, v9, vcc_lo
	s_barrier
	buffer_gl0_inv
	s_and_saveexec_b32 s29, s13
	s_cbranch_execz .LBB56_46
; %bb.45:                               ;   in Loop: Header=BB56_12 Depth=1
	global_load_u16 v10, v[8:9], off
.LBB56_46:                              ;   in Loop: Header=BB56_12 Depth=1
	s_or_b32 exec_lo, exec_lo, s29
	v_dual_mov_b32 v11, 0 :: v_dual_mov_b32 v12, 0
	s_and_saveexec_b32 s29, s14
	s_cbranch_execz .LBB56_48
; %bb.47:                               ;   in Loop: Header=BB56_12 Depth=1
	global_load_u16 v12, v[8:9], off offset:64
.LBB56_48:                              ;   in Loop: Header=BB56_12 Depth=1
	s_or_b32 exec_lo, exec_lo, s29
	s_and_saveexec_b32 s29, s15
	s_cbranch_execz .LBB56_50
; %bb.49:                               ;   in Loop: Header=BB56_12 Depth=1
	global_load_u16 v11, v[8:9], off offset:128
.LBB56_50:                              ;   in Loop: Header=BB56_12 Depth=1
	s_or_b32 exec_lo, exec_lo, s29
	v_dual_mov_b32 v13, 0 :: v_dual_mov_b32 v14, 0
	s_and_saveexec_b32 s29, s16
	s_cbranch_execz .LBB56_52
; %bb.51:                               ;   in Loop: Header=BB56_12 Depth=1
	global_load_u16 v14, v[8:9], off offset:192
.LBB56_52:                              ;   in Loop: Header=BB56_12 Depth=1
	s_or_b32 exec_lo, exec_lo, s29
	s_and_saveexec_b32 s29, s17
	s_cbranch_execz .LBB56_54
; %bb.53:                               ;   in Loop: Header=BB56_12 Depth=1
	global_load_u16 v13, v[8:9], off offset:256
.LBB56_54:                              ;   in Loop: Header=BB56_12 Depth=1
	s_or_b32 exec_lo, exec_lo, s29
	v_mov_b32_e32 v15, 0
	v_mov_b32_e32 v17, 0
	s_and_saveexec_b32 s29, s18
	s_cbranch_execz .LBB56_56
; %bb.55:                               ;   in Loop: Header=BB56_12 Depth=1
	global_load_u16 v17, v[8:9], off offset:320
.LBB56_56:                              ;   in Loop: Header=BB56_12 Depth=1
	s_or_b32 exec_lo, exec_lo, s29
	s_and_saveexec_b32 s29, s19
	s_cbranch_execz .LBB56_58
; %bb.57:                               ;   in Loop: Header=BB56_12 Depth=1
	global_load_u16 v15, v[8:9], off offset:384
.LBB56_58:                              ;   in Loop: Header=BB56_12 Depth=1
	s_or_b32 exec_lo, exec_lo, s29
	v_dual_mov_b32 v94, 0 :: v_dual_mov_b32 v95, 0
	s_and_saveexec_b32 s29, s20
	s_cbranch_execz .LBB56_60
; %bb.59:                               ;   in Loop: Header=BB56_12 Depth=1
	global_load_u16 v95, v[8:9], off offset:448
.LBB56_60:                              ;   in Loop: Header=BB56_12 Depth=1
	s_or_b32 exec_lo, exec_lo, s29
	s_and_saveexec_b32 s29, s21
	s_cbranch_execz .LBB56_62
; %bb.61:                               ;   in Loop: Header=BB56_12 Depth=1
	global_load_u16 v94, v[8:9], off offset:512
.LBB56_62:                              ;   in Loop: Header=BB56_12 Depth=1
	s_or_b32 exec_lo, exec_lo, s29
	v_dual_mov_b32 v96, 0 :: v_dual_mov_b32 v97, 0
	;; [unrolled: 13-line block ×4, first 2 shown]
	s_and_saveexec_b32 s29, s26
	s_cbranch_execnz .LBB56_269
; %bb.71:                               ;   in Loop: Header=BB56_12 Depth=1
	s_or_b32 exec_lo, exec_lo, s29
	s_and_saveexec_b32 s29, s27
	s_cbranch_execnz .LBB56_270
.LBB56_72:                              ;   in Loop: Header=BB56_12 Depth=1
	s_or_b32 exec_lo, exec_lo, s29
	v_mov_b32_e32 v102, 0
	s_and_saveexec_b32 s29, s28
	s_cbranch_execz .LBB56_74
.LBB56_73:                              ;   in Loop: Header=BB56_12 Depth=1
	global_load_u16 v102, v[8:9], off offset:960
.LBB56_74:                              ;   in Loop: Header=BB56_12 Depth=1
	s_or_b32 exec_lo, exec_lo, s29
	s_waitcnt vmcnt(0)
	ds_store_b16 v37, v10
	ds_store_b16 v37, v12 offset:64
	ds_store_b16 v38, v11 offset:128
	;; [unrolled: 1-line block ×15, first 2 shown]
	; wave barrier
	ds_load_b128 v[12:15], v52
	ds_load_b128 v[8:11], v52 offset:16
	s_waitcnt lgkmcnt(1)
	v_lshlrev_b32_e32 v17, 16, v12
	s_delay_alu instid0(VALU_DEP_1) | instskip(NEXT) | instid1(VALU_DEP_1)
	v_add_f32_e32 v94, s67, v17
	v_cmp_ge_f32_e32 vcc_lo, 0x41a00000, v94
	s_and_b32 s29, s80, vcc_lo
	s_delay_alu instid0(SALU_CYCLE_1)
	s_and_saveexec_b32 s30, s29
	s_cbranch_execz .LBB56_76
; %bb.75:                               ;   in Loop: Header=BB56_12 Depth=1
	v_mul_f32_e32 v17, 0x3fb8aa3b, v94
	v_cmp_ngt_f32_e32 vcc_lo, 0xc2ce8ed0, v94
	s_delay_alu instid0(VALU_DEP_2) | instskip(SKIP_1) | instid1(VALU_DEP_1)
	v_rndne_f32_e32 v95, v17
	v_fma_f32 v96, 0x3fb8aa3b, v94, -v17
	v_dual_sub_f32 v17, v17, v95 :: v_dual_fmac_f32 v96, 0x32a5705f, v94
	v_cvt_i32_f32_e32 v95, v95
	s_delay_alu instid0(VALU_DEP_2) | instskip(NEXT) | instid1(VALU_DEP_1)
	v_add_f32_e32 v17, v17, v96
	v_exp_f32_e32 v17, v17
	s_waitcnt_depctr 0xfff
	v_ldexp_f32 v17, v17, v95
	s_delay_alu instid0(VALU_DEP_1) | instskip(SKIP_1) | instid1(VALU_DEP_2)
	v_cndmask_b32_e32 v17, 0, v17, vcc_lo
	v_cmp_nlt_f32_e32 vcc_lo, 0x42b17218, v94
	v_cndmask_b32_e32 v17, 0x7f800000, v17, vcc_lo
	s_delay_alu instid0(VALU_DEP_1) | instskip(NEXT) | instid1(VALU_DEP_1)
	v_add_f32_e32 v96, 1.0, v17
	v_cvt_f64_f32_e32 v[94:95], v96
	s_delay_alu instid0(VALU_DEP_1) | instskip(SKIP_1) | instid1(VALU_DEP_1)
	v_frexp_exp_i32_f64_e32 v94, v[94:95]
	v_frexp_mant_f32_e32 v95, v96
	v_cmp_gt_f32_e32 vcc_lo, 0x3f2aaaab, v95
	v_add_f32_e32 v95, -1.0, v96
	s_delay_alu instid0(VALU_DEP_1) | instskip(NEXT) | instid1(VALU_DEP_1)
	v_dual_sub_f32 v98, v95, v96 :: v_dual_sub_f32 v95, v17, v95
	v_add_f32_e32 v98, 1.0, v98
	v_subrev_co_ci_u32_e32 v94, vcc_lo, 0, v94, vcc_lo
	s_delay_alu instid0(VALU_DEP_1) | instskip(SKIP_1) | instid1(VALU_DEP_2)
	v_sub_nc_u32_e32 v97, 0, v94
	v_cvt_f32_i32_e32 v94, v94
	v_ldexp_f32 v96, v96, v97
	v_add_f32_e32 v95, v95, v98
	s_delay_alu instid0(VALU_DEP_1) | instskip(NEXT) | instid1(VALU_DEP_3)
	v_ldexp_f32 v95, v95, v97
	v_add_f32_e32 v99, 1.0, v96
	s_delay_alu instid0(VALU_DEP_1) | instskip(NEXT) | instid1(VALU_DEP_1)
	v_add_f32_e32 v98, -1.0, v99
	v_sub_f32_e32 v98, v96, v98
	v_cmp_eq_f32_e32 vcc_lo, 0x7f800000, v17
	v_cmp_gt_f32_e64 s29, 0x33800000, v17
	s_delay_alu instid0(VALU_DEP_3) | instskip(NEXT) | instid1(VALU_DEP_2)
	v_dual_add_f32 v98, v95, v98 :: v_dual_add_f32 v97, -1.0, v96
	s_or_b32 vcc_lo, s29, vcc_lo
	s_delay_alu instid0(VALU_DEP_1) | instskip(NEXT) | instid1(VALU_DEP_1)
	v_add_f32_e32 v100, 1.0, v97
	v_sub_f32_e32 v96, v96, v100
	s_delay_alu instid0(VALU_DEP_3) | instskip(NEXT) | instid1(VALU_DEP_1)
	v_add_f32_e32 v100, v99, v98
	v_sub_f32_e32 v99, v99, v100
	s_delay_alu instid0(VALU_DEP_3) | instskip(SKIP_1) | instid1(VALU_DEP_2)
	v_add_f32_e32 v95, v95, v96
	v_rcp_f32_e32 v96, v100
	v_add_f32_e32 v98, v98, v99
	s_delay_alu instid0(VALU_DEP_2) | instskip(NEXT) | instid1(VALU_DEP_1)
	v_add_f32_e32 v101, v97, v95
	v_sub_f32_e32 v97, v97, v101
	s_waitcnt_depctr 0xfff
	v_dual_mul_f32 v102, v101, v96 :: v_dual_add_f32 v95, v95, v97
	s_delay_alu instid0(VALU_DEP_1) | instskip(NEXT) | instid1(VALU_DEP_1)
	v_mul_f32_e32 v103, v100, v102
	v_fma_f32 v99, v102, v100, -v103
	s_delay_alu instid0(VALU_DEP_1) | instskip(NEXT) | instid1(VALU_DEP_1)
	v_fmac_f32_e32 v99, v102, v98
	v_add_f32_e32 v104, v103, v99
	s_delay_alu instid0(VALU_DEP_1) | instskip(NEXT) | instid1(VALU_DEP_1)
	v_sub_f32_e32 v105, v101, v104
	v_sub_f32_e32 v101, v101, v105
	;; [unrolled: 1-line block ×3, first 2 shown]
	s_delay_alu instid0(VALU_DEP_2) | instskip(NEXT) | instid1(VALU_DEP_2)
	v_sub_f32_e32 v101, v101, v104
	v_sub_f32_e32 v97, v97, v99
	s_delay_alu instid0(VALU_DEP_2) | instskip(NEXT) | instid1(VALU_DEP_1)
	v_add_f32_e32 v95, v95, v101
	v_add_f32_e32 v95, v97, v95
	s_delay_alu instid0(VALU_DEP_1) | instskip(NEXT) | instid1(VALU_DEP_1)
	v_add_f32_e32 v97, v105, v95
	v_mul_f32_e32 v99, v96, v97
	s_delay_alu instid0(VALU_DEP_1) | instskip(NEXT) | instid1(VALU_DEP_1)
	v_dual_sub_f32 v104, v105, v97 :: v_dual_mul_f32 v101, v100, v99
	v_add_f32_e32 v95, v95, v104
	s_delay_alu instid0(VALU_DEP_2) | instskip(NEXT) | instid1(VALU_DEP_1)
	v_fma_f32 v100, v99, v100, -v101
	v_fmac_f32_e32 v100, v99, v98
	s_delay_alu instid0(VALU_DEP_1) | instskip(NEXT) | instid1(VALU_DEP_1)
	v_add_f32_e32 v98, v101, v100
	v_sub_f32_e32 v103, v97, v98
	v_sub_f32_e32 v101, v98, v101
	s_delay_alu instid0(VALU_DEP_2) | instskip(NEXT) | instid1(VALU_DEP_1)
	v_sub_f32_e32 v97, v97, v103
	v_sub_f32_e32 v97, v97, v98
	s_delay_alu instid0(VALU_DEP_1) | instskip(SKIP_1) | instid1(VALU_DEP_1)
	v_dual_sub_f32 v98, v101, v100 :: v_dual_add_f32 v95, v95, v97
	v_add_f32_e32 v97, v102, v99
	v_dual_add_f32 v95, v98, v95 :: v_dual_sub_f32 v98, v97, v102
	s_delay_alu instid0(VALU_DEP_1) | instskip(NEXT) | instid1(VALU_DEP_1)
	v_add_f32_e32 v95, v103, v95
	v_dual_sub_f32 v98, v99, v98 :: v_dual_mul_f32 v95, v96, v95
	s_delay_alu instid0(VALU_DEP_1) | instskip(NEXT) | instid1(VALU_DEP_1)
	v_add_f32_e32 v95, v98, v95
	v_add_f32_e32 v96, v97, v95
	s_delay_alu instid0(VALU_DEP_1) | instskip(NEXT) | instid1(VALU_DEP_1)
	v_mul_f32_e32 v98, v96, v96
	v_fmaak_f32 v99, s84, v98, 0x3ecc95a3
	v_mul_f32_e32 v100, v96, v98
	s_delay_alu instid0(VALU_DEP_2) | instskip(SKIP_2) | instid1(VALU_DEP_3)
	v_fmaak_f32 v98, v98, v99, 0x3f2aaada
	v_ldexp_f32 v99, v96, 1
	v_sub_f32_e32 v96, v96, v97
	v_mul_f32_e32 v98, v100, v98
	s_delay_alu instid0(VALU_DEP_2) | instskip(NEXT) | instid1(VALU_DEP_2)
	v_dual_mul_f32 v100, 0x3f317218, v94 :: v_dual_sub_f32 v95, v95, v96
	v_add_f32_e32 v97, v99, v98
	s_delay_alu instid0(VALU_DEP_2) | instskip(NEXT) | instid1(VALU_DEP_2)
	v_ldexp_f32 v95, v95, 1
	v_sub_f32_e32 v96, v97, v99
	s_delay_alu instid0(VALU_DEP_4) | instskip(NEXT) | instid1(VALU_DEP_1)
	v_fma_f32 v99, 0x3f317218, v94, -v100
	v_dual_sub_f32 v96, v98, v96 :: v_dual_fmac_f32 v99, 0xb102e308, v94
	s_delay_alu instid0(VALU_DEP_1) | instskip(NEXT) | instid1(VALU_DEP_1)
	v_dual_add_f32 v94, v95, v96 :: v_dual_add_f32 v95, v100, v99
	v_add_f32_e32 v96, v97, v94
	s_delay_alu instid0(VALU_DEP_2) | instskip(NEXT) | instid1(VALU_DEP_2)
	v_sub_f32_e32 v100, v95, v100
	v_dual_add_f32 v98, v95, v96 :: v_dual_sub_f32 v97, v96, v97
	s_delay_alu instid0(VALU_DEP_2) | instskip(NEXT) | instid1(VALU_DEP_2)
	v_sub_f32_e32 v99, v99, v100
	v_sub_f32_e32 v101, v98, v95
	s_delay_alu instid0(VALU_DEP_3) | instskip(NEXT) | instid1(VALU_DEP_2)
	v_sub_f32_e32 v94, v94, v97
	v_sub_f32_e32 v102, v98, v101
	s_delay_alu instid0(VALU_DEP_2) | instskip(NEXT) | instid1(VALU_DEP_2)
	v_dual_sub_f32 v96, v96, v101 :: v_dual_add_f32 v97, v99, v94
	v_sub_f32_e32 v95, v95, v102
	s_delay_alu instid0(VALU_DEP_1) | instskip(NEXT) | instid1(VALU_DEP_3)
	v_add_f32_e32 v95, v96, v95
	v_sub_f32_e32 v96, v97, v99
	s_delay_alu instid0(VALU_DEP_2) | instskip(NEXT) | instid1(VALU_DEP_2)
	v_add_f32_e32 v95, v97, v95
	v_sub_f32_e32 v97, v97, v96
	v_sub_f32_e32 v94, v94, v96
	s_delay_alu instid0(VALU_DEP_2) | instskip(NEXT) | instid1(VALU_DEP_1)
	v_dual_add_f32 v100, v98, v95 :: v_dual_sub_f32 v97, v99, v97
	v_sub_f32_e32 v96, v100, v98
	s_delay_alu instid0(VALU_DEP_1) | instskip(NEXT) | instid1(VALU_DEP_1)
	v_dual_add_f32 v94, v94, v97 :: v_dual_sub_f32 v95, v95, v96
	v_add_f32_e32 v94, v94, v95
	s_delay_alu instid0(VALU_DEP_1) | instskip(NEXT) | instid1(VALU_DEP_1)
	v_add_f32_e32 v94, v100, v94
	v_cndmask_b32_e32 v94, v94, v17, vcc_lo
.LBB56_76:                              ;   in Loop: Header=BB56_12 Depth=1
	s_or_b32 exec_lo, exec_lo, s30
	v_and_b32_e32 v12, 0xffff0000, v12
	s_delay_alu instid0(VALU_DEP_1) | instskip(NEXT) | instid1(VALU_DEP_1)
	v_add_f32_e32 v95, s67, v12
	v_cmp_ge_f32_e32 vcc_lo, 0x41a00000, v95
	s_and_b32 s29, s80, vcc_lo
	s_delay_alu instid0(SALU_CYCLE_1)
	s_and_saveexec_b32 s30, s29
	s_cbranch_execz .LBB56_78
; %bb.77:                               ;   in Loop: Header=BB56_12 Depth=1
	v_mul_f32_e32 v12, 0x3fb8aa3b, v95
	v_cmp_ngt_f32_e32 vcc_lo, 0xc2ce8ed0, v95
	s_delay_alu instid0(VALU_DEP_2) | instskip(SKIP_1) | instid1(VALU_DEP_2)
	v_rndne_f32_e32 v17, v12
	v_fma_f32 v96, 0x3fb8aa3b, v95, -v12
	v_sub_f32_e32 v12, v12, v17
	s_delay_alu instid0(VALU_DEP_2) | instskip(SKIP_1) | instid1(VALU_DEP_2)
	v_fmac_f32_e32 v96, 0x32a5705f, v95
	v_cvt_i32_f32_e32 v17, v17
	v_add_f32_e32 v12, v12, v96
	s_delay_alu instid0(VALU_DEP_1) | instskip(SKIP_2) | instid1(VALU_DEP_1)
	v_exp_f32_e32 v12, v12
	s_waitcnt_depctr 0xfff
	v_ldexp_f32 v12, v12, v17
	v_cndmask_b32_e32 v12, 0, v12, vcc_lo
	v_cmp_nlt_f32_e32 vcc_lo, 0x42b17218, v95
	s_delay_alu instid0(VALU_DEP_2) | instskip(NEXT) | instid1(VALU_DEP_1)
	v_cndmask_b32_e32 v12, 0x7f800000, v12, vcc_lo
	v_add_f32_e32 v17, 1.0, v12
	s_delay_alu instid0(VALU_DEP_1) | instskip(NEXT) | instid1(VALU_DEP_1)
	v_cvt_f64_f32_e32 v[95:96], v17
	v_frexp_exp_i32_f64_e32 v95, v[95:96]
	v_frexp_mant_f32_e32 v96, v17
	s_delay_alu instid0(VALU_DEP_1) | instskip(SKIP_1) | instid1(VALU_DEP_1)
	v_cmp_gt_f32_e32 vcc_lo, 0x3f2aaaab, v96
	v_add_f32_e32 v96, -1.0, v17
	v_sub_f32_e32 v98, v96, v17
	v_sub_f32_e32 v96, v12, v96
	s_delay_alu instid0(VALU_DEP_2) | instskip(NEXT) | instid1(VALU_DEP_1)
	v_add_f32_e32 v98, 1.0, v98
	v_add_f32_e32 v96, v96, v98
	v_subrev_co_ci_u32_e32 v95, vcc_lo, 0, v95, vcc_lo
	s_delay_alu instid0(VALU_DEP_1) | instskip(SKIP_1) | instid1(VALU_DEP_2)
	v_sub_nc_u32_e32 v97, 0, v95
	v_cvt_f32_i32_e32 v95, v95
	v_ldexp_f32 v17, v17, v97
	v_ldexp_f32 v96, v96, v97
	s_delay_alu instid0(VALU_DEP_2) | instskip(NEXT) | instid1(VALU_DEP_1)
	v_add_f32_e32 v99, 1.0, v17
	v_dual_add_f32 v97, -1.0, v17 :: v_dual_add_f32 v98, -1.0, v99
	s_delay_alu instid0(VALU_DEP_1) | instskip(NEXT) | instid1(VALU_DEP_2)
	v_add_f32_e32 v100, 1.0, v97
	v_sub_f32_e32 v98, v17, v98
	s_delay_alu instid0(VALU_DEP_2) | instskip(NEXT) | instid1(VALU_DEP_1)
	v_sub_f32_e32 v17, v17, v100
	v_add_f32_e32 v17, v96, v17
	s_delay_alu instid0(VALU_DEP_1) | instskip(SKIP_2) | instid1(VALU_DEP_3)
	v_add_f32_e32 v101, v97, v17
	v_cmp_eq_f32_e32 vcc_lo, 0x7f800000, v12
	v_cmp_gt_f32_e64 s29, 0x33800000, v12
	v_dual_sub_f32 v97, v97, v101 :: v_dual_add_f32 v98, v96, v98
	s_delay_alu instid0(VALU_DEP_2) | instskip(NEXT) | instid1(VALU_DEP_1)
	s_or_b32 vcc_lo, s29, vcc_lo
	v_dual_add_f32 v17, v17, v97 :: v_dual_add_f32 v100, v99, v98
	s_delay_alu instid0(VALU_DEP_1) | instskip(SKIP_1) | instid1(VALU_DEP_1)
	v_rcp_f32_e32 v96, v100
	v_sub_f32_e32 v99, v99, v100
	v_add_f32_e32 v98, v98, v99
	s_waitcnt_depctr 0xfff
	v_mul_f32_e32 v102, v101, v96
	s_delay_alu instid0(VALU_DEP_1) | instskip(NEXT) | instid1(VALU_DEP_1)
	v_mul_f32_e32 v103, v100, v102
	v_fma_f32 v99, v102, v100, -v103
	s_delay_alu instid0(VALU_DEP_1) | instskip(NEXT) | instid1(VALU_DEP_1)
	v_fmac_f32_e32 v99, v102, v98
	v_add_f32_e32 v104, v103, v99
	s_delay_alu instid0(VALU_DEP_1) | instskip(SKIP_1) | instid1(VALU_DEP_2)
	v_sub_f32_e32 v105, v101, v104
	v_sub_f32_e32 v97, v104, v103
	;; [unrolled: 1-line block ×3, first 2 shown]
	s_delay_alu instid0(VALU_DEP_2) | instskip(NEXT) | instid1(VALU_DEP_2)
	v_sub_f32_e32 v97, v97, v99
	v_sub_f32_e32 v101, v101, v104
	s_delay_alu instid0(VALU_DEP_1) | instskip(NEXT) | instid1(VALU_DEP_1)
	v_add_f32_e32 v17, v17, v101
	v_add_f32_e32 v17, v97, v17
	s_delay_alu instid0(VALU_DEP_1) | instskip(NEXT) | instid1(VALU_DEP_1)
	v_add_f32_e32 v97, v105, v17
	v_mul_f32_e32 v99, v96, v97
	s_delay_alu instid0(VALU_DEP_1) | instskip(NEXT) | instid1(VALU_DEP_1)
	v_mul_f32_e32 v101, v100, v99
	v_fma_f32 v100, v99, v100, -v101
	s_delay_alu instid0(VALU_DEP_1) | instskip(SKIP_1) | instid1(VALU_DEP_2)
	v_fmac_f32_e32 v100, v99, v98
	v_sub_f32_e32 v104, v105, v97
	v_add_f32_e32 v98, v101, v100
	s_delay_alu instid0(VALU_DEP_2) | instskip(NEXT) | instid1(VALU_DEP_2)
	v_add_f32_e32 v17, v17, v104
	v_sub_f32_e32 v103, v97, v98
	s_delay_alu instid0(VALU_DEP_1) | instskip(NEXT) | instid1(VALU_DEP_1)
	v_sub_f32_e32 v97, v97, v103
	v_sub_f32_e32 v97, v97, v98
	s_delay_alu instid0(VALU_DEP_1) | instskip(SKIP_2) | instid1(VALU_DEP_1)
	v_add_f32_e32 v17, v17, v97
	v_add_f32_e32 v97, v102, v99
	v_sub_f32_e32 v101, v98, v101
	v_sub_f32_e32 v98, v101, v100
	s_delay_alu instid0(VALU_DEP_1) | instskip(NEXT) | instid1(VALU_DEP_1)
	v_dual_add_f32 v17, v98, v17 :: v_dual_sub_f32 v98, v97, v102
	v_add_f32_e32 v17, v103, v17
	s_delay_alu instid0(VALU_DEP_1) | instskip(NEXT) | instid1(VALU_DEP_1)
	v_dual_sub_f32 v98, v99, v98 :: v_dual_mul_f32 v17, v96, v17
	v_add_f32_e32 v17, v98, v17
	s_delay_alu instid0(VALU_DEP_1) | instskip(NEXT) | instid1(VALU_DEP_1)
	v_add_f32_e32 v96, v97, v17
	v_mul_f32_e32 v98, v96, v96
	s_delay_alu instid0(VALU_DEP_1) | instskip(SKIP_1) | instid1(VALU_DEP_2)
	v_fmaak_f32 v99, s84, v98, 0x3ecc95a3
	v_mul_f32_e32 v100, v96, v98
	v_fmaak_f32 v98, v98, v99, 0x3f2aaada
	v_ldexp_f32 v99, v96, 1
	s_delay_alu instid0(VALU_DEP_2) | instskip(SKIP_1) | instid1(VALU_DEP_2)
	v_mul_f32_e32 v98, v100, v98
	v_sub_f32_e32 v96, v96, v97
	v_dual_mul_f32 v100, 0x3f317218, v95 :: v_dual_add_f32 v97, v99, v98
	s_delay_alu instid0(VALU_DEP_2) | instskip(NEXT) | instid1(VALU_DEP_2)
	v_sub_f32_e32 v17, v17, v96
	v_sub_f32_e32 v96, v97, v99
	s_delay_alu instid0(VALU_DEP_3) | instskip(NEXT) | instid1(VALU_DEP_3)
	v_fma_f32 v99, 0x3f317218, v95, -v100
	v_ldexp_f32 v17, v17, 1
	s_delay_alu instid0(VALU_DEP_2) | instskip(NEXT) | instid1(VALU_DEP_1)
	v_dual_sub_f32 v96, v98, v96 :: v_dual_fmac_f32 v99, 0xb102e308, v95
	v_add_f32_e32 v17, v17, v96
	s_delay_alu instid0(VALU_DEP_1) | instskip(NEXT) | instid1(VALU_DEP_1)
	v_dual_add_f32 v95, v100, v99 :: v_dual_add_f32 v96, v97, v17
	v_sub_f32_e32 v100, v95, v100
	s_delay_alu instid0(VALU_DEP_2) | instskip(NEXT) | instid1(VALU_DEP_2)
	v_dual_add_f32 v98, v95, v96 :: v_dual_sub_f32 v97, v96, v97
	v_sub_f32_e32 v99, v99, v100
	s_delay_alu instid0(VALU_DEP_2) | instskip(NEXT) | instid1(VALU_DEP_1)
	v_sub_f32_e32 v101, v98, v95
	v_sub_f32_e32 v102, v98, v101
	;; [unrolled: 1-line block ×4, first 2 shown]
	s_delay_alu instid0(VALU_DEP_1) | instskip(NEXT) | instid1(VALU_DEP_4)
	v_add_f32_e32 v97, v99, v17
	v_sub_f32_e32 v95, v95, v102
	s_delay_alu instid0(VALU_DEP_1) | instskip(NEXT) | instid1(VALU_DEP_3)
	v_add_f32_e32 v95, v96, v95
	v_sub_f32_e32 v96, v97, v99
	s_delay_alu instid0(VALU_DEP_2) | instskip(NEXT) | instid1(VALU_DEP_2)
	v_add_f32_e32 v95, v97, v95
	v_sub_f32_e32 v97, v97, v96
	s_delay_alu instid0(VALU_DEP_2) | instskip(NEXT) | instid1(VALU_DEP_1)
	v_dual_sub_f32 v17, v17, v96 :: v_dual_add_f32 v100, v98, v95
	v_dual_sub_f32 v96, v100, v98 :: v_dual_sub_f32 v97, v99, v97
	s_delay_alu instid0(VALU_DEP_1) | instskip(NEXT) | instid1(VALU_DEP_2)
	v_sub_f32_e32 v95, v95, v96
	v_add_f32_e32 v17, v17, v97
	s_delay_alu instid0(VALU_DEP_1) | instskip(NEXT) | instid1(VALU_DEP_1)
	v_add_f32_e32 v17, v17, v95
	v_add_f32_e32 v17, v100, v17
	s_delay_alu instid0(VALU_DEP_1)
	v_cndmask_b32_e32 v95, v17, v12, vcc_lo
.LBB56_78:                              ;   in Loop: Header=BB56_12 Depth=1
	s_or_b32 exec_lo, exec_lo, s30
	v_lshlrev_b32_e32 v12, 16, v13
	s_delay_alu instid0(VALU_DEP_1) | instskip(NEXT) | instid1(VALU_DEP_1)
	v_add_f32_e32 v96, s67, v12
	v_cmp_ge_f32_e32 vcc_lo, 0x41a00000, v96
	s_and_b32 s29, s80, vcc_lo
	s_delay_alu instid0(SALU_CYCLE_1)
	s_and_saveexec_b32 s30, s29
	s_cbranch_execz .LBB56_80
; %bb.79:                               ;   in Loop: Header=BB56_12 Depth=1
	v_mul_f32_e32 v12, 0x3fb8aa3b, v96
	v_cmp_ngt_f32_e32 vcc_lo, 0xc2ce8ed0, v96
	s_delay_alu instid0(VALU_DEP_2) | instskip(SKIP_1) | instid1(VALU_DEP_1)
	v_rndne_f32_e32 v17, v12
	v_fma_f32 v97, 0x3fb8aa3b, v96, -v12
	v_dual_sub_f32 v12, v12, v17 :: v_dual_fmac_f32 v97, 0x32a5705f, v96
	v_cvt_i32_f32_e32 v17, v17
	s_delay_alu instid0(VALU_DEP_2) | instskip(NEXT) | instid1(VALU_DEP_1)
	v_add_f32_e32 v12, v12, v97
	v_exp_f32_e32 v12, v12
	s_waitcnt_depctr 0xfff
	v_ldexp_f32 v12, v12, v17
	s_delay_alu instid0(VALU_DEP_1) | instskip(SKIP_1) | instid1(VALU_DEP_2)
	v_cndmask_b32_e32 v12, 0, v12, vcc_lo
	v_cmp_nlt_f32_e32 vcc_lo, 0x42b17218, v96
	v_cndmask_b32_e32 v12, 0x7f800000, v12, vcc_lo
	s_delay_alu instid0(VALU_DEP_1) | instskip(NEXT) | instid1(VALU_DEP_1)
	v_add_f32_e32 v17, 1.0, v12
	v_cvt_f64_f32_e32 v[96:97], v17
	s_delay_alu instid0(VALU_DEP_1) | instskip(SKIP_1) | instid1(VALU_DEP_1)
	v_frexp_exp_i32_f64_e32 v96, v[96:97]
	v_frexp_mant_f32_e32 v97, v17
	v_cmp_gt_f32_e32 vcc_lo, 0x3f2aaaab, v97
	v_add_f32_e32 v97, -1.0, v17
	s_delay_alu instid0(VALU_DEP_1) | instskip(SKIP_1) | instid1(VALU_DEP_2)
	v_sub_f32_e32 v99, v97, v17
	v_sub_f32_e32 v97, v12, v97
	v_add_f32_e32 v99, 1.0, v99
	s_delay_alu instid0(VALU_DEP_1) | instskip(SKIP_3) | instid1(VALU_DEP_2)
	v_add_f32_e32 v97, v97, v99
	v_cmp_gt_f32_e64 s29, 0x33800000, v12
	v_subrev_co_ci_u32_e32 v96, vcc_lo, 0, v96, vcc_lo
	v_cmp_eq_f32_e32 vcc_lo, 0x7f800000, v12
	v_sub_nc_u32_e32 v98, 0, v96
	v_cvt_f32_i32_e32 v96, v96
	s_or_b32 vcc_lo, s29, vcc_lo
	s_delay_alu instid0(VALU_DEP_2) | instskip(SKIP_1) | instid1(VALU_DEP_2)
	v_ldexp_f32 v17, v17, v98
	v_ldexp_f32 v97, v97, v98
	v_add_f32_e32 v100, 1.0, v17
	s_delay_alu instid0(VALU_DEP_1) | instskip(NEXT) | instid1(VALU_DEP_1)
	v_dual_add_f32 v98, -1.0, v17 :: v_dual_add_f32 v99, -1.0, v100
	v_add_f32_e32 v101, 1.0, v98
	s_delay_alu instid0(VALU_DEP_2) | instskip(NEXT) | instid1(VALU_DEP_2)
	v_sub_f32_e32 v99, v17, v99
	v_sub_f32_e32 v17, v17, v101
	s_delay_alu instid0(VALU_DEP_1) | instskip(NEXT) | instid1(VALU_DEP_1)
	v_add_f32_e32 v17, v97, v17
	v_dual_add_f32 v102, v98, v17 :: v_dual_add_f32 v99, v97, v99
	s_delay_alu instid0(VALU_DEP_1) | instskip(NEXT) | instid1(VALU_DEP_1)
	v_dual_sub_f32 v98, v98, v102 :: v_dual_add_f32 v101, v100, v99
	v_rcp_f32_e32 v97, v101
	v_sub_f32_e32 v100, v100, v101
	s_delay_alu instid0(VALU_DEP_1) | instskip(SKIP_2) | instid1(VALU_DEP_1)
	v_add_f32_e32 v99, v99, v100
	s_waitcnt_depctr 0xfff
	v_mul_f32_e32 v103, v102, v97
	v_mul_f32_e32 v104, v101, v103
	s_delay_alu instid0(VALU_DEP_1) | instskip(NEXT) | instid1(VALU_DEP_1)
	v_fma_f32 v100, v103, v101, -v104
	v_fmac_f32_e32 v100, v103, v99
	s_delay_alu instid0(VALU_DEP_1) | instskip(NEXT) | instid1(VALU_DEP_1)
	v_add_f32_e32 v105, v104, v100
	v_sub_f32_e32 v106, v102, v105
	s_delay_alu instid0(VALU_DEP_1) | instskip(SKIP_2) | instid1(VALU_DEP_3)
	v_sub_f32_e32 v102, v102, v106
	v_add_f32_e32 v17, v17, v98
	v_sub_f32_e32 v98, v105, v104
	v_sub_f32_e32 v102, v102, v105
	s_delay_alu instid0(VALU_DEP_1) | instskip(NEXT) | instid1(VALU_DEP_1)
	v_dual_sub_f32 v98, v98, v100 :: v_dual_add_f32 v17, v17, v102
	v_add_f32_e32 v17, v98, v17
	s_delay_alu instid0(VALU_DEP_1) | instskip(NEXT) | instid1(VALU_DEP_1)
	v_add_f32_e32 v98, v106, v17
	v_mul_f32_e32 v100, v97, v98
	s_delay_alu instid0(VALU_DEP_1) | instskip(NEXT) | instid1(VALU_DEP_1)
	v_dual_sub_f32 v105, v106, v98 :: v_dual_mul_f32 v102, v101, v100
	v_add_f32_e32 v17, v17, v105
	s_delay_alu instid0(VALU_DEP_2) | instskip(NEXT) | instid1(VALU_DEP_1)
	v_fma_f32 v101, v100, v101, -v102
	v_fmac_f32_e32 v101, v100, v99
	s_delay_alu instid0(VALU_DEP_1) | instskip(NEXT) | instid1(VALU_DEP_1)
	v_add_f32_e32 v99, v102, v101
	v_sub_f32_e32 v104, v98, v99
	s_delay_alu instid0(VALU_DEP_1) | instskip(NEXT) | instid1(VALU_DEP_1)
	v_sub_f32_e32 v98, v98, v104
	v_sub_f32_e32 v98, v98, v99
	s_delay_alu instid0(VALU_DEP_1) | instskip(SKIP_1) | instid1(VALU_DEP_1)
	v_dual_add_f32 v17, v17, v98 :: v_dual_add_f32 v98, v103, v100
	v_sub_f32_e32 v102, v99, v102
	v_sub_f32_e32 v99, v102, v101
	s_delay_alu instid0(VALU_DEP_1) | instskip(NEXT) | instid1(VALU_DEP_4)
	v_add_f32_e32 v17, v99, v17
	v_sub_f32_e32 v99, v98, v103
	s_delay_alu instid0(VALU_DEP_2) | instskip(NEXT) | instid1(VALU_DEP_2)
	v_add_f32_e32 v17, v104, v17
	v_sub_f32_e32 v99, v100, v99
	s_delay_alu instid0(VALU_DEP_2) | instskip(NEXT) | instid1(VALU_DEP_1)
	v_mul_f32_e32 v17, v97, v17
	v_add_f32_e32 v17, v99, v17
	s_delay_alu instid0(VALU_DEP_1) | instskip(NEXT) | instid1(VALU_DEP_1)
	v_add_f32_e32 v97, v98, v17
	v_mul_f32_e32 v99, v97, v97
	s_delay_alu instid0(VALU_DEP_1) | instskip(SKIP_1) | instid1(VALU_DEP_2)
	v_fmaak_f32 v100, s84, v99, 0x3ecc95a3
	v_mul_f32_e32 v101, v97, v99
	v_fmaak_f32 v99, v99, v100, 0x3f2aaada
	v_ldexp_f32 v100, v97, 1
	v_sub_f32_e32 v97, v97, v98
	s_delay_alu instid0(VALU_DEP_3) | instskip(SKIP_1) | instid1(VALU_DEP_2)
	v_mul_f32_e32 v99, v101, v99
	v_mul_f32_e32 v101, 0x3f317218, v96
	v_dual_sub_f32 v17, v17, v97 :: v_dual_add_f32 v98, v100, v99
	s_delay_alu instid0(VALU_DEP_1) | instskip(NEXT) | instid1(VALU_DEP_2)
	v_ldexp_f32 v17, v17, 1
	v_sub_f32_e32 v97, v98, v100
	s_delay_alu instid0(VALU_DEP_4) | instskip(NEXT) | instid1(VALU_DEP_1)
	v_fma_f32 v100, 0x3f317218, v96, -v101
	v_dual_sub_f32 v97, v99, v97 :: v_dual_fmac_f32 v100, 0xb102e308, v96
	s_delay_alu instid0(VALU_DEP_1) | instskip(NEXT) | instid1(VALU_DEP_1)
	v_add_f32_e32 v17, v17, v97
	v_dual_add_f32 v96, v101, v100 :: v_dual_add_f32 v97, v98, v17
	s_delay_alu instid0(VALU_DEP_1) | instskip(NEXT) | instid1(VALU_DEP_2)
	v_sub_f32_e32 v101, v96, v101
	v_dual_add_f32 v99, v96, v97 :: v_dual_sub_f32 v98, v97, v98
	s_delay_alu instid0(VALU_DEP_2) | instskip(NEXT) | instid1(VALU_DEP_2)
	v_sub_f32_e32 v100, v100, v101
	v_dual_sub_f32 v102, v99, v96 :: v_dual_sub_f32 v17, v17, v98
	s_delay_alu instid0(VALU_DEP_1) | instskip(NEXT) | instid1(VALU_DEP_2)
	v_sub_f32_e32 v103, v99, v102
	v_dual_sub_f32 v97, v97, v102 :: v_dual_add_f32 v98, v100, v17
	s_delay_alu instid0(VALU_DEP_2) | instskip(NEXT) | instid1(VALU_DEP_1)
	v_sub_f32_e32 v96, v96, v103
	v_add_f32_e32 v96, v97, v96
	s_delay_alu instid0(VALU_DEP_3) | instskip(NEXT) | instid1(VALU_DEP_2)
	v_sub_f32_e32 v97, v98, v100
	v_add_f32_e32 v96, v98, v96
	s_delay_alu instid0(VALU_DEP_2) | instskip(SKIP_1) | instid1(VALU_DEP_2)
	v_sub_f32_e32 v98, v98, v97
	v_sub_f32_e32 v17, v17, v97
	v_dual_add_f32 v101, v99, v96 :: v_dual_sub_f32 v98, v100, v98
	s_delay_alu instid0(VALU_DEP_1) | instskip(NEXT) | instid1(VALU_DEP_1)
	v_sub_f32_e32 v97, v101, v99
	v_dual_add_f32 v17, v17, v98 :: v_dual_sub_f32 v96, v96, v97
	s_delay_alu instid0(VALU_DEP_1) | instskip(NEXT) | instid1(VALU_DEP_1)
	v_add_f32_e32 v17, v17, v96
	v_add_f32_e32 v17, v101, v17
	s_delay_alu instid0(VALU_DEP_1)
	v_cndmask_b32_e32 v96, v17, v12, vcc_lo
.LBB56_80:                              ;   in Loop: Header=BB56_12 Depth=1
	s_or_b32 exec_lo, exec_lo, s30
	v_and_b32_e32 v12, 0xffff0000, v13
	s_delay_alu instid0(VALU_DEP_1) | instskip(NEXT) | instid1(VALU_DEP_1)
	v_add_f32_e32 v97, s67, v12
	v_cmp_ge_f32_e32 vcc_lo, 0x41a00000, v97
	s_and_b32 s29, s80, vcc_lo
	s_delay_alu instid0(SALU_CYCLE_1)
	s_and_saveexec_b32 s30, s29
	s_cbranch_execz .LBB56_82
; %bb.81:                               ;   in Loop: Header=BB56_12 Depth=1
	v_mul_f32_e32 v12, 0x3fb8aa3b, v97
	v_cmp_ngt_f32_e32 vcc_lo, 0xc2ce8ed0, v97
	s_delay_alu instid0(VALU_DEP_2) | instskip(SKIP_1) | instid1(VALU_DEP_2)
	v_rndne_f32_e32 v13, v12
	v_fma_f32 v17, 0x3fb8aa3b, v97, -v12
	v_sub_f32_e32 v12, v12, v13
	s_delay_alu instid0(VALU_DEP_2) | instskip(SKIP_1) | instid1(VALU_DEP_2)
	v_fmac_f32_e32 v17, 0x32a5705f, v97
	v_cvt_i32_f32_e32 v13, v13
	v_add_f32_e32 v12, v12, v17
	s_delay_alu instid0(VALU_DEP_1) | instskip(SKIP_2) | instid1(VALU_DEP_1)
	v_exp_f32_e32 v12, v12
	s_waitcnt_depctr 0xfff
	v_ldexp_f32 v12, v12, v13
	v_cndmask_b32_e32 v12, 0, v12, vcc_lo
	v_cmp_nlt_f32_e32 vcc_lo, 0x42b17218, v97
	s_delay_alu instid0(VALU_DEP_2) | instskip(NEXT) | instid1(VALU_DEP_1)
	v_cndmask_b32_e32 v17, 0x7f800000, v12, vcc_lo
	v_add_f32_e32 v97, 1.0, v17
	s_delay_alu instid0(VALU_DEP_1) | instskip(NEXT) | instid1(VALU_DEP_1)
	v_cvt_f64_f32_e32 v[12:13], v97
	v_frexp_exp_i32_f64_e32 v12, v[12:13]
	v_frexp_mant_f32_e32 v13, v97
	s_delay_alu instid0(VALU_DEP_1) | instskip(SKIP_1) | instid1(VALU_DEP_1)
	v_cmp_gt_f32_e32 vcc_lo, 0x3f2aaaab, v13
	v_add_f32_e32 v13, -1.0, v97
	v_sub_f32_e32 v99, v13, v97
	s_delay_alu instid0(VALU_DEP_1) | instskip(SKIP_1) | instid1(VALU_DEP_1)
	v_add_f32_e32 v99, 1.0, v99
	v_subrev_co_ci_u32_e32 v12, vcc_lo, 0, v12, vcc_lo
	v_sub_nc_u32_e32 v98, 0, v12
	v_cvt_f32_i32_e32 v12, v12
	s_delay_alu instid0(VALU_DEP_2) | instskip(NEXT) | instid1(VALU_DEP_1)
	v_ldexp_f32 v97, v97, v98
	v_add_f32_e32 v100, 1.0, v97
	v_sub_f32_e32 v13, v17, v13
	v_cmp_eq_f32_e32 vcc_lo, 0x7f800000, v17
	v_cmp_gt_f32_e64 s29, 0x33800000, v17
	s_delay_alu instid0(VALU_DEP_3) | instskip(SKIP_1) | instid1(VALU_DEP_3)
	v_add_f32_e32 v13, v13, v99
	v_add_f32_e32 v99, -1.0, v100
	s_or_b32 vcc_lo, s29, vcc_lo
	s_delay_alu instid0(VALU_DEP_2) | instskip(NEXT) | instid1(VALU_DEP_2)
	v_ldexp_f32 v13, v13, v98
	v_dual_add_f32 v98, -1.0, v97 :: v_dual_sub_f32 v99, v97, v99
	s_delay_alu instid0(VALU_DEP_1) | instskip(NEXT) | instid1(VALU_DEP_2)
	v_add_f32_e32 v101, 1.0, v98
	v_add_f32_e32 v99, v13, v99
	s_delay_alu instid0(VALU_DEP_2) | instskip(NEXT) | instid1(VALU_DEP_1)
	v_sub_f32_e32 v97, v97, v101
	v_add_f32_e32 v13, v13, v97
	s_delay_alu instid0(VALU_DEP_1) | instskip(NEXT) | instid1(VALU_DEP_1)
	v_dual_add_f32 v102, v98, v13 :: v_dual_add_f32 v101, v100, v99
	v_sub_f32_e32 v98, v98, v102
	s_delay_alu instid0(VALU_DEP_2) | instskip(NEXT) | instid1(VALU_DEP_1)
	v_rcp_f32_e32 v97, v101
	v_dual_sub_f32 v100, v100, v101 :: v_dual_add_f32 v13, v13, v98
	s_delay_alu instid0(VALU_DEP_1) | instskip(SKIP_2) | instid1(VALU_DEP_1)
	v_add_f32_e32 v99, v99, v100
	s_waitcnt_depctr 0xfff
	v_mul_f32_e32 v103, v102, v97
	v_mul_f32_e32 v104, v101, v103
	s_delay_alu instid0(VALU_DEP_1) | instskip(NEXT) | instid1(VALU_DEP_1)
	v_fma_f32 v100, v103, v101, -v104
	v_fmac_f32_e32 v100, v103, v99
	s_delay_alu instid0(VALU_DEP_1) | instskip(NEXT) | instid1(VALU_DEP_1)
	v_add_f32_e32 v105, v104, v100
	v_sub_f32_e32 v106, v102, v105
	v_sub_f32_e32 v98, v105, v104
	s_delay_alu instid0(VALU_DEP_2) | instskip(NEXT) | instid1(VALU_DEP_2)
	v_sub_f32_e32 v102, v102, v106
	v_sub_f32_e32 v98, v98, v100
	s_delay_alu instid0(VALU_DEP_2) | instskip(NEXT) | instid1(VALU_DEP_1)
	v_sub_f32_e32 v102, v102, v105
	v_add_f32_e32 v13, v13, v102
	s_delay_alu instid0(VALU_DEP_1) | instskip(NEXT) | instid1(VALU_DEP_1)
	v_add_f32_e32 v13, v98, v13
	v_add_f32_e32 v98, v106, v13
	s_delay_alu instid0(VALU_DEP_1) | instskip(NEXT) | instid1(VALU_DEP_1)
	v_mul_f32_e32 v100, v97, v98
	v_dual_sub_f32 v105, v106, v98 :: v_dual_mul_f32 v102, v101, v100
	s_delay_alu instid0(VALU_DEP_1) | instskip(NEXT) | instid1(VALU_DEP_1)
	v_fma_f32 v101, v100, v101, -v102
	v_fmac_f32_e32 v101, v100, v99
	s_delay_alu instid0(VALU_DEP_1) | instskip(NEXT) | instid1(VALU_DEP_1)
	v_add_f32_e32 v99, v102, v101
	v_dual_add_f32 v13, v13, v105 :: v_dual_sub_f32 v104, v98, v99
	s_delay_alu instid0(VALU_DEP_1) | instskip(NEXT) | instid1(VALU_DEP_1)
	v_sub_f32_e32 v98, v98, v104
	v_sub_f32_e32 v98, v98, v99
	s_delay_alu instid0(VALU_DEP_1) | instskip(SKIP_1) | instid1(VALU_DEP_1)
	v_dual_add_f32 v13, v13, v98 :: v_dual_add_f32 v98, v103, v100
	v_sub_f32_e32 v102, v99, v102
	v_sub_f32_e32 v99, v102, v101
	s_delay_alu instid0(VALU_DEP_1) | instskip(NEXT) | instid1(VALU_DEP_4)
	v_add_f32_e32 v13, v99, v13
	v_sub_f32_e32 v99, v98, v103
	s_delay_alu instid0(VALU_DEP_2) | instskip(NEXT) | instid1(VALU_DEP_2)
	v_add_f32_e32 v13, v104, v13
	v_sub_f32_e32 v99, v100, v99
	s_delay_alu instid0(VALU_DEP_2) | instskip(NEXT) | instid1(VALU_DEP_1)
	v_mul_f32_e32 v13, v97, v13
	v_add_f32_e32 v13, v99, v13
	s_delay_alu instid0(VALU_DEP_1) | instskip(NEXT) | instid1(VALU_DEP_1)
	v_add_f32_e32 v97, v98, v13
	v_mul_f32_e32 v99, v97, v97
	s_delay_alu instid0(VALU_DEP_1) | instskip(SKIP_1) | instid1(VALU_DEP_2)
	v_fmaak_f32 v100, s84, v99, 0x3ecc95a3
	v_mul_f32_e32 v101, v97, v99
	v_fmaak_f32 v99, v99, v100, 0x3f2aaada
	v_ldexp_f32 v100, v97, 1
	v_sub_f32_e32 v97, v97, v98
	s_delay_alu instid0(VALU_DEP_3) | instskip(SKIP_1) | instid1(VALU_DEP_2)
	v_mul_f32_e32 v99, v101, v99
	v_mul_f32_e32 v101, 0x3f317218, v12
	v_dual_sub_f32 v13, v13, v97 :: v_dual_add_f32 v98, v100, v99
	s_delay_alu instid0(VALU_DEP_1) | instskip(NEXT) | instid1(VALU_DEP_2)
	v_ldexp_f32 v13, v13, 1
	v_sub_f32_e32 v97, v98, v100
	s_delay_alu instid0(VALU_DEP_4) | instskip(NEXT) | instid1(VALU_DEP_1)
	v_fma_f32 v100, 0x3f317218, v12, -v101
	v_dual_sub_f32 v97, v99, v97 :: v_dual_fmac_f32 v100, 0xb102e308, v12
	s_delay_alu instid0(VALU_DEP_1) | instskip(NEXT) | instid1(VALU_DEP_2)
	v_add_f32_e32 v12, v13, v97
	v_add_f32_e32 v13, v101, v100
	s_delay_alu instid0(VALU_DEP_2) | instskip(NEXT) | instid1(VALU_DEP_2)
	v_add_f32_e32 v97, v98, v12
	v_sub_f32_e32 v101, v13, v101
	s_delay_alu instid0(VALU_DEP_2) | instskip(SKIP_1) | instid1(VALU_DEP_3)
	v_add_f32_e32 v99, v13, v97
	v_sub_f32_e32 v98, v97, v98
	v_sub_f32_e32 v100, v100, v101
	s_delay_alu instid0(VALU_DEP_3) | instskip(NEXT) | instid1(VALU_DEP_3)
	v_sub_f32_e32 v102, v99, v13
	v_sub_f32_e32 v12, v12, v98
	s_delay_alu instid0(VALU_DEP_2) | instskip(NEXT) | instid1(VALU_DEP_2)
	v_sub_f32_e32 v103, v99, v102
	v_dual_sub_f32 v97, v97, v102 :: v_dual_add_f32 v98, v100, v12
	s_delay_alu instid0(VALU_DEP_2) | instskip(NEXT) | instid1(VALU_DEP_1)
	v_sub_f32_e32 v13, v13, v103
	v_add_f32_e32 v13, v97, v13
	s_delay_alu instid0(VALU_DEP_3) | instskip(NEXT) | instid1(VALU_DEP_2)
	v_sub_f32_e32 v97, v98, v100
	v_add_f32_e32 v13, v98, v13
	s_delay_alu instid0(VALU_DEP_2) | instskip(SKIP_1) | instid1(VALU_DEP_1)
	v_sub_f32_e32 v12, v12, v97
	v_sub_f32_e32 v98, v98, v97
	v_dual_add_f32 v101, v99, v13 :: v_dual_sub_f32 v98, v100, v98
	s_delay_alu instid0(VALU_DEP_1) | instskip(NEXT) | instid1(VALU_DEP_1)
	v_dual_sub_f32 v97, v101, v99 :: v_dual_add_f32 v12, v12, v98
	v_sub_f32_e32 v13, v13, v97
	s_delay_alu instid0(VALU_DEP_1) | instskip(NEXT) | instid1(VALU_DEP_1)
	v_add_f32_e32 v12, v12, v13
	v_add_f32_e32 v12, v101, v12
	s_delay_alu instid0(VALU_DEP_1)
	v_cndmask_b32_e32 v97, v12, v17, vcc_lo
.LBB56_82:                              ;   in Loop: Header=BB56_12 Depth=1
	s_or_b32 exec_lo, exec_lo, s30
	v_lshlrev_b32_e32 v12, 16, v14
	s_delay_alu instid0(VALU_DEP_1) | instskip(NEXT) | instid1(VALU_DEP_1)
	v_add_f32_e32 v98, s67, v12
	v_cmp_ge_f32_e32 vcc_lo, 0x41a00000, v98
	s_and_b32 s29, s80, vcc_lo
	s_delay_alu instid0(SALU_CYCLE_1)
	s_and_saveexec_b32 s30, s29
	s_cbranch_execz .LBB56_84
; %bb.83:                               ;   in Loop: Header=BB56_12 Depth=1
	v_mul_f32_e32 v12, 0x3fb8aa3b, v98
	v_cmp_ngt_f32_e32 vcc_lo, 0xc2ce8ed0, v98
	s_delay_alu instid0(VALU_DEP_2) | instskip(SKIP_1) | instid1(VALU_DEP_1)
	v_rndne_f32_e32 v13, v12
	v_fma_f32 v17, 0x3fb8aa3b, v98, -v12
	v_dual_sub_f32 v12, v12, v13 :: v_dual_fmac_f32 v17, 0x32a5705f, v98
	v_cvt_i32_f32_e32 v13, v13
	s_delay_alu instid0(VALU_DEP_2) | instskip(NEXT) | instid1(VALU_DEP_1)
	v_add_f32_e32 v12, v12, v17
	v_exp_f32_e32 v12, v12
	s_waitcnt_depctr 0xfff
	v_ldexp_f32 v12, v12, v13
	s_delay_alu instid0(VALU_DEP_1) | instskip(SKIP_1) | instid1(VALU_DEP_2)
	v_cndmask_b32_e32 v12, 0, v12, vcc_lo
	v_cmp_nlt_f32_e32 vcc_lo, 0x42b17218, v98
	v_cndmask_b32_e32 v17, 0x7f800000, v12, vcc_lo
	s_delay_alu instid0(VALU_DEP_1) | instskip(NEXT) | instid1(VALU_DEP_1)
	v_add_f32_e32 v98, 1.0, v17
	v_cvt_f64_f32_e32 v[12:13], v98
	s_delay_alu instid0(VALU_DEP_1) | instskip(SKIP_1) | instid1(VALU_DEP_1)
	v_frexp_exp_i32_f64_e32 v12, v[12:13]
	v_frexp_mant_f32_e32 v13, v98
	v_cmp_gt_f32_e32 vcc_lo, 0x3f2aaaab, v13
	v_add_f32_e32 v13, -1.0, v98
	s_delay_alu instid0(VALU_DEP_1) | instskip(SKIP_2) | instid1(VALU_DEP_3)
	v_sub_f32_e32 v100, v13, v98
	v_sub_f32_e32 v13, v17, v13
	v_cmp_gt_f32_e64 s29, 0x33800000, v17
	v_add_f32_e32 v100, 1.0, v100
	s_delay_alu instid0(VALU_DEP_1) | instskip(SKIP_2) | instid1(VALU_DEP_2)
	v_add_f32_e32 v13, v13, v100
	v_subrev_co_ci_u32_e32 v12, vcc_lo, 0, v12, vcc_lo
	v_cmp_eq_f32_e32 vcc_lo, 0x7f800000, v17
	v_sub_nc_u32_e32 v99, 0, v12
	v_cvt_f32_i32_e32 v12, v12
	s_or_b32 vcc_lo, s29, vcc_lo
	s_delay_alu instid0(VALU_DEP_2) | instskip(SKIP_1) | instid1(VALU_DEP_2)
	v_ldexp_f32 v98, v98, v99
	v_ldexp_f32 v13, v13, v99
	v_add_f32_e32 v99, -1.0, v98
	s_delay_alu instid0(VALU_DEP_1) | instskip(NEXT) | instid1(VALU_DEP_1)
	v_dual_add_f32 v101, 1.0, v98 :: v_dual_add_f32 v102, 1.0, v99
	v_add_f32_e32 v100, -1.0, v101
	s_delay_alu instid0(VALU_DEP_1) | instskip(NEXT) | instid1(VALU_DEP_3)
	v_sub_f32_e32 v100, v98, v100
	v_sub_f32_e32 v98, v98, v102
	s_delay_alu instid0(VALU_DEP_2) | instskip(NEXT) | instid1(VALU_DEP_2)
	v_add_f32_e32 v100, v13, v100
	v_add_f32_e32 v13, v13, v98
	s_delay_alu instid0(VALU_DEP_1) | instskip(NEXT) | instid1(VALU_DEP_1)
	v_dual_add_f32 v103, v99, v13 :: v_dual_add_f32 v102, v101, v100
	v_sub_f32_e32 v99, v99, v103
	s_delay_alu instid0(VALU_DEP_2) | instskip(SKIP_1) | instid1(VALU_DEP_1)
	v_rcp_f32_e32 v98, v102
	v_sub_f32_e32 v101, v101, v102
	v_dual_add_f32 v13, v13, v99 :: v_dual_add_f32 v100, v100, v101
	s_waitcnt_depctr 0xfff
	v_mul_f32_e32 v104, v103, v98
	s_delay_alu instid0(VALU_DEP_1) | instskip(NEXT) | instid1(VALU_DEP_1)
	v_mul_f32_e32 v105, v102, v104
	v_fma_f32 v101, v104, v102, -v105
	s_delay_alu instid0(VALU_DEP_1) | instskip(NEXT) | instid1(VALU_DEP_1)
	v_fmac_f32_e32 v101, v104, v100
	v_add_f32_e32 v106, v105, v101
	s_delay_alu instid0(VALU_DEP_1) | instskip(SKIP_1) | instid1(VALU_DEP_2)
	v_sub_f32_e32 v107, v103, v106
	v_sub_f32_e32 v99, v106, v105
	;; [unrolled: 1-line block ×3, first 2 shown]
	s_delay_alu instid0(VALU_DEP_2) | instskip(NEXT) | instid1(VALU_DEP_2)
	v_sub_f32_e32 v99, v99, v101
	v_sub_f32_e32 v103, v103, v106
	s_delay_alu instid0(VALU_DEP_1) | instskip(NEXT) | instid1(VALU_DEP_1)
	v_add_f32_e32 v13, v13, v103
	v_add_f32_e32 v13, v99, v13
	s_delay_alu instid0(VALU_DEP_1) | instskip(NEXT) | instid1(VALU_DEP_1)
	v_add_f32_e32 v99, v107, v13
	v_mul_f32_e32 v101, v98, v99
	s_delay_alu instid0(VALU_DEP_1) | instskip(NEXT) | instid1(VALU_DEP_1)
	v_dual_sub_f32 v106, v107, v99 :: v_dual_mul_f32 v103, v102, v101
	v_add_f32_e32 v13, v13, v106
	s_delay_alu instid0(VALU_DEP_2) | instskip(NEXT) | instid1(VALU_DEP_1)
	v_fma_f32 v102, v101, v102, -v103
	v_fmac_f32_e32 v102, v101, v100
	s_delay_alu instid0(VALU_DEP_1) | instskip(NEXT) | instid1(VALU_DEP_1)
	v_add_f32_e32 v100, v103, v102
	v_sub_f32_e32 v105, v99, v100
	s_delay_alu instid0(VALU_DEP_1) | instskip(NEXT) | instid1(VALU_DEP_1)
	v_sub_f32_e32 v99, v99, v105
	v_sub_f32_e32 v99, v99, v100
	s_delay_alu instid0(VALU_DEP_1) | instskip(SKIP_2) | instid1(VALU_DEP_1)
	v_add_f32_e32 v13, v13, v99
	v_add_f32_e32 v99, v104, v101
	v_sub_f32_e32 v103, v100, v103
	v_sub_f32_e32 v100, v103, v102
	s_delay_alu instid0(VALU_DEP_1) | instskip(NEXT) | instid1(VALU_DEP_1)
	v_dual_add_f32 v13, v100, v13 :: v_dual_sub_f32 v100, v99, v104
	v_add_f32_e32 v13, v105, v13
	s_delay_alu instid0(VALU_DEP_1) | instskip(NEXT) | instid1(VALU_DEP_1)
	v_dual_sub_f32 v100, v101, v100 :: v_dual_mul_f32 v13, v98, v13
	v_add_f32_e32 v13, v100, v13
	s_delay_alu instid0(VALU_DEP_1) | instskip(NEXT) | instid1(VALU_DEP_1)
	v_add_f32_e32 v98, v99, v13
	v_mul_f32_e32 v100, v98, v98
	s_delay_alu instid0(VALU_DEP_1) | instskip(SKIP_1) | instid1(VALU_DEP_2)
	v_fmaak_f32 v101, s84, v100, 0x3ecc95a3
	v_mul_f32_e32 v102, v98, v100
	v_fmaak_f32 v100, v100, v101, 0x3f2aaada
	v_ldexp_f32 v101, v98, 1
	v_sub_f32_e32 v98, v98, v99
	s_delay_alu instid0(VALU_DEP_3) | instskip(NEXT) | instid1(VALU_DEP_2)
	v_mul_f32_e32 v100, v102, v100
	v_dual_mul_f32 v102, 0x3f317218, v12 :: v_dual_sub_f32 v13, v13, v98
	s_delay_alu instid0(VALU_DEP_2) | instskip(NEXT) | instid1(VALU_DEP_2)
	v_add_f32_e32 v99, v101, v100
	v_ldexp_f32 v13, v13, 1
	s_delay_alu instid0(VALU_DEP_2) | instskip(NEXT) | instid1(VALU_DEP_4)
	v_sub_f32_e32 v98, v99, v101
	v_fma_f32 v101, 0x3f317218, v12, -v102
	s_delay_alu instid0(VALU_DEP_1) | instskip(NEXT) | instid1(VALU_DEP_1)
	v_dual_sub_f32 v98, v100, v98 :: v_dual_fmac_f32 v101, 0xb102e308, v12
	v_add_f32_e32 v12, v13, v98
	s_delay_alu instid0(VALU_DEP_1) | instskip(NEXT) | instid1(VALU_DEP_1)
	v_add_f32_e32 v98, v99, v12
	v_sub_f32_e32 v99, v98, v99
	s_delay_alu instid0(VALU_DEP_1) | instskip(NEXT) | instid1(VALU_DEP_1)
	v_dual_sub_f32 v12, v12, v99 :: v_dual_add_f32 v13, v102, v101
	v_add_f32_e32 v100, v13, v98
	s_delay_alu instid0(VALU_DEP_1) | instskip(NEXT) | instid1(VALU_DEP_1)
	v_dual_sub_f32 v102, v13, v102 :: v_dual_sub_f32 v103, v100, v13
	v_dual_sub_f32 v101, v101, v102 :: v_dual_sub_f32 v104, v100, v103
	s_delay_alu instid0(VALU_DEP_1) | instskip(NEXT) | instid1(VALU_DEP_2)
	v_dual_sub_f32 v98, v98, v103 :: v_dual_add_f32 v99, v101, v12
	v_sub_f32_e32 v13, v13, v104
	s_delay_alu instid0(VALU_DEP_1) | instskip(NEXT) | instid1(VALU_DEP_3)
	v_add_f32_e32 v13, v98, v13
	v_sub_f32_e32 v98, v99, v101
	s_delay_alu instid0(VALU_DEP_2) | instskip(NEXT) | instid1(VALU_DEP_2)
	v_add_f32_e32 v13, v99, v13
	v_sub_f32_e32 v99, v99, v98
	v_sub_f32_e32 v12, v12, v98
	s_delay_alu instid0(VALU_DEP_2) | instskip(NEXT) | instid1(VALU_DEP_1)
	v_dual_add_f32 v102, v100, v13 :: v_dual_sub_f32 v99, v101, v99
	v_sub_f32_e32 v98, v102, v100
	s_delay_alu instid0(VALU_DEP_1) | instskip(NEXT) | instid1(VALU_DEP_1)
	v_dual_add_f32 v12, v12, v99 :: v_dual_sub_f32 v13, v13, v98
	v_add_f32_e32 v12, v12, v13
	s_delay_alu instid0(VALU_DEP_1) | instskip(NEXT) | instid1(VALU_DEP_1)
	v_add_f32_e32 v12, v102, v12
	v_cndmask_b32_e32 v98, v12, v17, vcc_lo
.LBB56_84:                              ;   in Loop: Header=BB56_12 Depth=1
	s_or_b32 exec_lo, exec_lo, s30
	v_and_b32_e32 v12, 0xffff0000, v14
	s_delay_alu instid0(VALU_DEP_1) | instskip(NEXT) | instid1(VALU_DEP_1)
	v_add_f32_e32 v99, s67, v12
	v_cmp_ge_f32_e32 vcc_lo, 0x41a00000, v99
	s_and_b32 s29, s80, vcc_lo
	s_delay_alu instid0(SALU_CYCLE_1)
	s_and_saveexec_b32 s30, s29
	s_cbranch_execz .LBB56_86
; %bb.85:                               ;   in Loop: Header=BB56_12 Depth=1
	v_mul_f32_e32 v12, 0x3fb8aa3b, v99
	v_cmp_ngt_f32_e32 vcc_lo, 0xc2ce8ed0, v99
	s_delay_alu instid0(VALU_DEP_2) | instskip(SKIP_1) | instid1(VALU_DEP_2)
	v_rndne_f32_e32 v13, v12
	v_fma_f32 v14, 0x3fb8aa3b, v99, -v12
	v_sub_f32_e32 v12, v12, v13
	s_delay_alu instid0(VALU_DEP_2) | instskip(SKIP_1) | instid1(VALU_DEP_2)
	v_fmac_f32_e32 v14, 0x32a5705f, v99
	v_cvt_i32_f32_e32 v13, v13
	v_add_f32_e32 v12, v12, v14
	s_delay_alu instid0(VALU_DEP_1) | instskip(SKIP_2) | instid1(VALU_DEP_1)
	v_exp_f32_e32 v12, v12
	s_waitcnt_depctr 0xfff
	v_ldexp_f32 v12, v12, v13
	v_cndmask_b32_e32 v12, 0, v12, vcc_lo
	v_cmp_nlt_f32_e32 vcc_lo, 0x42b17218, v99
	s_delay_alu instid0(VALU_DEP_2) | instskip(NEXT) | instid1(VALU_DEP_1)
	v_cndmask_b32_e32 v14, 0x7f800000, v12, vcc_lo
	v_add_f32_e32 v17, 1.0, v14
	s_delay_alu instid0(VALU_DEP_1) | instskip(NEXT) | instid1(VALU_DEP_1)
	v_cvt_f64_f32_e32 v[12:13], v17
	v_frexp_exp_i32_f64_e32 v12, v[12:13]
	v_frexp_mant_f32_e32 v13, v17
	s_delay_alu instid0(VALU_DEP_1) | instskip(SKIP_1) | instid1(VALU_DEP_1)
	v_cmp_gt_f32_e32 vcc_lo, 0x3f2aaaab, v13
	v_add_f32_e32 v13, -1.0, v17
	v_sub_f32_e32 v100, v13, v17
	v_sub_f32_e32 v13, v14, v13
	v_subrev_co_ci_u32_e32 v12, vcc_lo, 0, v12, vcc_lo
	s_delay_alu instid0(VALU_DEP_1) | instskip(SKIP_1) | instid1(VALU_DEP_2)
	v_sub_nc_u32_e32 v99, 0, v12
	v_cvt_f32_i32_e32 v12, v12
	v_ldexp_f32 v17, v17, v99
	s_delay_alu instid0(VALU_DEP_1) | instskip(NEXT) | instid1(VALU_DEP_1)
	v_dual_add_f32 v100, 1.0, v100 :: v_dual_add_f32 v101, 1.0, v17
	v_dual_add_f32 v13, v13, v100 :: v_dual_add_f32 v100, -1.0, v101
	s_delay_alu instid0(VALU_DEP_1) | instskip(SKIP_4) | instid1(VALU_DEP_4)
	v_ldexp_f32 v13, v13, v99
	v_add_f32_e32 v99, -1.0, v17
	v_cmp_eq_f32_e32 vcc_lo, 0x7f800000, v14
	v_cmp_gt_f32_e64 s29, 0x33800000, v14
	v_sub_f32_e32 v100, v17, v100
	v_add_f32_e32 v102, 1.0, v99
	s_delay_alu instid0(VALU_DEP_3) | instskip(NEXT) | instid1(VALU_DEP_2)
	s_or_b32 vcc_lo, s29, vcc_lo
	v_add_f32_e32 v100, v13, v100
	s_delay_alu instid0(VALU_DEP_2) | instskip(NEXT) | instid1(VALU_DEP_1)
	v_sub_f32_e32 v17, v17, v102
	v_add_f32_e32 v13, v13, v17
	s_delay_alu instid0(VALU_DEP_1) | instskip(NEXT) | instid1(VALU_DEP_1)
	v_dual_add_f32 v103, v99, v13 :: v_dual_add_f32 v102, v101, v100
	v_sub_f32_e32 v99, v99, v103
	s_delay_alu instid0(VALU_DEP_2) | instskip(SKIP_1) | instid1(VALU_DEP_1)
	v_rcp_f32_e32 v17, v102
	v_sub_f32_e32 v101, v101, v102
	v_dual_add_f32 v13, v13, v99 :: v_dual_add_f32 v100, v100, v101
	s_waitcnt_depctr 0xfff
	v_mul_f32_e32 v104, v103, v17
	s_delay_alu instid0(VALU_DEP_1) | instskip(NEXT) | instid1(VALU_DEP_1)
	v_mul_f32_e32 v105, v102, v104
	v_fma_f32 v101, v104, v102, -v105
	s_delay_alu instid0(VALU_DEP_1) | instskip(NEXT) | instid1(VALU_DEP_1)
	v_fmac_f32_e32 v101, v104, v100
	v_add_f32_e32 v106, v105, v101
	s_delay_alu instid0(VALU_DEP_1) | instskip(NEXT) | instid1(VALU_DEP_1)
	v_sub_f32_e32 v107, v103, v106
	v_sub_f32_e32 v103, v103, v107
	;; [unrolled: 1-line block ×3, first 2 shown]
	s_delay_alu instid0(VALU_DEP_2) | instskip(NEXT) | instid1(VALU_DEP_2)
	v_sub_f32_e32 v103, v103, v106
	v_sub_f32_e32 v99, v99, v101
	s_delay_alu instid0(VALU_DEP_2) | instskip(NEXT) | instid1(VALU_DEP_1)
	v_add_f32_e32 v13, v13, v103
	v_add_f32_e32 v13, v99, v13
	s_delay_alu instid0(VALU_DEP_1) | instskip(NEXT) | instid1(VALU_DEP_1)
	v_add_f32_e32 v99, v107, v13
	v_mul_f32_e32 v101, v17, v99
	s_delay_alu instid0(VALU_DEP_1) | instskip(NEXT) | instid1(VALU_DEP_1)
	v_dual_sub_f32 v106, v107, v99 :: v_dual_mul_f32 v103, v102, v101
	v_add_f32_e32 v13, v13, v106
	s_delay_alu instid0(VALU_DEP_2) | instskip(NEXT) | instid1(VALU_DEP_1)
	v_fma_f32 v102, v101, v102, -v103
	v_fmac_f32_e32 v102, v101, v100
	s_delay_alu instid0(VALU_DEP_1) | instskip(NEXT) | instid1(VALU_DEP_1)
	v_add_f32_e32 v100, v103, v102
	v_sub_f32_e32 v105, v99, v100
	v_sub_f32_e32 v103, v100, v103
	s_delay_alu instid0(VALU_DEP_2) | instskip(NEXT) | instid1(VALU_DEP_1)
	v_sub_f32_e32 v99, v99, v105
	v_sub_f32_e32 v99, v99, v100
	s_delay_alu instid0(VALU_DEP_1) | instskip(SKIP_1) | instid1(VALU_DEP_1)
	v_dual_sub_f32 v100, v103, v102 :: v_dual_add_f32 v13, v13, v99
	v_add_f32_e32 v99, v104, v101
	v_dual_add_f32 v13, v100, v13 :: v_dual_sub_f32 v100, v99, v104
	s_delay_alu instid0(VALU_DEP_1) | instskip(NEXT) | instid1(VALU_DEP_2)
	v_add_f32_e32 v13, v105, v13
	v_sub_f32_e32 v100, v101, v100
	s_delay_alu instid0(VALU_DEP_2) | instskip(NEXT) | instid1(VALU_DEP_1)
	v_mul_f32_e32 v13, v17, v13
	v_add_f32_e32 v13, v100, v13
	s_delay_alu instid0(VALU_DEP_1) | instskip(NEXT) | instid1(VALU_DEP_1)
	v_add_f32_e32 v17, v99, v13
	v_mul_f32_e32 v100, v17, v17
	s_delay_alu instid0(VALU_DEP_1) | instskip(SKIP_1) | instid1(VALU_DEP_2)
	v_fmaak_f32 v101, s84, v100, 0x3ecc95a3
	v_mul_f32_e32 v102, v17, v100
	v_fmaak_f32 v100, v100, v101, 0x3f2aaada
	v_ldexp_f32 v101, v17, 1
	s_delay_alu instid0(VALU_DEP_2) | instskip(NEXT) | instid1(VALU_DEP_1)
	v_dual_sub_f32 v17, v17, v99 :: v_dual_mul_f32 v100, v102, v100
	v_dual_mul_f32 v102, 0x3f317218, v12 :: v_dual_sub_f32 v13, v13, v17
	s_delay_alu instid0(VALU_DEP_2) | instskip(NEXT) | instid1(VALU_DEP_2)
	v_add_f32_e32 v99, v101, v100
	v_ldexp_f32 v13, v13, 1
	s_delay_alu instid0(VALU_DEP_2) | instskip(NEXT) | instid1(VALU_DEP_4)
	v_sub_f32_e32 v17, v99, v101
	v_fma_f32 v101, 0x3f317218, v12, -v102
	s_delay_alu instid0(VALU_DEP_2) | instskip(NEXT) | instid1(VALU_DEP_1)
	v_sub_f32_e32 v17, v100, v17
	v_dual_fmac_f32 v101, 0xb102e308, v12 :: v_dual_add_f32 v12, v13, v17
	s_delay_alu instid0(VALU_DEP_1) | instskip(NEXT) | instid1(VALU_DEP_1)
	v_add_f32_e32 v13, v102, v101
	v_dual_add_f32 v17, v99, v12 :: v_dual_sub_f32 v102, v13, v102
	s_delay_alu instid0(VALU_DEP_1) | instskip(SKIP_1) | instid1(VALU_DEP_3)
	v_add_f32_e32 v100, v13, v17
	v_sub_f32_e32 v99, v17, v99
	v_sub_f32_e32 v101, v101, v102
	s_delay_alu instid0(VALU_DEP_3) | instskip(NEXT) | instid1(VALU_DEP_3)
	v_sub_f32_e32 v103, v100, v13
	v_sub_f32_e32 v12, v12, v99
	s_delay_alu instid0(VALU_DEP_2) | instskip(SKIP_1) | instid1(VALU_DEP_3)
	v_sub_f32_e32 v104, v100, v103
	v_sub_f32_e32 v17, v17, v103
	v_add_f32_e32 v99, v101, v12
	s_delay_alu instid0(VALU_DEP_3) | instskip(NEXT) | instid1(VALU_DEP_1)
	v_sub_f32_e32 v13, v13, v104
	v_add_f32_e32 v13, v17, v13
	s_delay_alu instid0(VALU_DEP_3) | instskip(NEXT) | instid1(VALU_DEP_2)
	v_sub_f32_e32 v17, v99, v101
	v_add_f32_e32 v13, v99, v13
	s_delay_alu instid0(VALU_DEP_2) | instskip(SKIP_1) | instid1(VALU_DEP_2)
	v_sub_f32_e32 v99, v99, v17
	v_sub_f32_e32 v12, v12, v17
	v_dual_add_f32 v102, v100, v13 :: v_dual_sub_f32 v99, v101, v99
	s_delay_alu instid0(VALU_DEP_1) | instskip(NEXT) | instid1(VALU_DEP_1)
	v_dual_sub_f32 v17, v102, v100 :: v_dual_add_f32 v12, v12, v99
	v_sub_f32_e32 v13, v13, v17
	s_delay_alu instid0(VALU_DEP_1) | instskip(NEXT) | instid1(VALU_DEP_1)
	v_add_f32_e32 v12, v12, v13
	v_add_f32_e32 v12, v102, v12
	s_delay_alu instid0(VALU_DEP_1)
	v_cndmask_b32_e32 v99, v12, v14, vcc_lo
.LBB56_86:                              ;   in Loop: Header=BB56_12 Depth=1
	s_or_b32 exec_lo, exec_lo, s30
	v_lshlrev_b32_e32 v12, 16, v15
	s_delay_alu instid0(VALU_DEP_1) | instskip(NEXT) | instid1(VALU_DEP_1)
	v_add_f32_e32 v100, s67, v12
	v_cmp_ge_f32_e32 vcc_lo, 0x41a00000, v100
	s_and_b32 s29, s80, vcc_lo
	s_delay_alu instid0(SALU_CYCLE_1)
	s_and_saveexec_b32 s30, s29
	s_cbranch_execz .LBB56_88
; %bb.87:                               ;   in Loop: Header=BB56_12 Depth=1
	v_mul_f32_e32 v12, 0x3fb8aa3b, v100
	v_cmp_ngt_f32_e32 vcc_lo, 0xc2ce8ed0, v100
	s_delay_alu instid0(VALU_DEP_2) | instskip(SKIP_1) | instid1(VALU_DEP_2)
	v_rndne_f32_e32 v13, v12
	v_fma_f32 v14, 0x3fb8aa3b, v100, -v12
	v_sub_f32_e32 v12, v12, v13
	s_delay_alu instid0(VALU_DEP_2) | instskip(SKIP_1) | instid1(VALU_DEP_2)
	v_fmac_f32_e32 v14, 0x32a5705f, v100
	v_cvt_i32_f32_e32 v13, v13
	v_add_f32_e32 v12, v12, v14
	s_delay_alu instid0(VALU_DEP_1) | instskip(SKIP_2) | instid1(VALU_DEP_1)
	v_exp_f32_e32 v12, v12
	s_waitcnt_depctr 0xfff
	v_ldexp_f32 v12, v12, v13
	v_cndmask_b32_e32 v12, 0, v12, vcc_lo
	v_cmp_nlt_f32_e32 vcc_lo, 0x42b17218, v100
	s_delay_alu instid0(VALU_DEP_2) | instskip(NEXT) | instid1(VALU_DEP_1)
	v_cndmask_b32_e32 v14, 0x7f800000, v12, vcc_lo
	v_add_f32_e32 v17, 1.0, v14
	s_delay_alu instid0(VALU_DEP_1) | instskip(NEXT) | instid1(VALU_DEP_1)
	v_cvt_f64_f32_e32 v[12:13], v17
	v_frexp_exp_i32_f64_e32 v12, v[12:13]
	v_frexp_mant_f32_e32 v13, v17
	s_delay_alu instid0(VALU_DEP_1) | instskip(SKIP_1) | instid1(VALU_DEP_1)
	v_cmp_gt_f32_e32 vcc_lo, 0x3f2aaaab, v13
	v_add_f32_e32 v13, -1.0, v17
	v_sub_f32_e32 v101, v13, v17
	s_delay_alu instid0(VALU_DEP_1) | instskip(SKIP_2) | instid1(VALU_DEP_2)
	v_add_f32_e32 v101, 1.0, v101
	v_sub_f32_e32 v13, v14, v13
	v_cmp_gt_f32_e64 s29, 0x33800000, v14
	v_add_f32_e32 v13, v13, v101
	v_subrev_co_ci_u32_e32 v12, vcc_lo, 0, v12, vcc_lo
	v_cmp_eq_f32_e32 vcc_lo, 0x7f800000, v14
	s_delay_alu instid0(VALU_DEP_2) | instskip(SKIP_2) | instid1(VALU_DEP_2)
	v_sub_nc_u32_e32 v100, 0, v12
	v_cvt_f32_i32_e32 v12, v12
	s_or_b32 vcc_lo, s29, vcc_lo
	v_ldexp_f32 v17, v17, v100
	v_ldexp_f32 v13, v13, v100
	s_delay_alu instid0(VALU_DEP_2) | instskip(NEXT) | instid1(VALU_DEP_1)
	v_add_f32_e32 v100, -1.0, v17
	v_dual_add_f32 v102, 1.0, v17 :: v_dual_add_f32 v103, 1.0, v100
	s_delay_alu instid0(VALU_DEP_1) | instskip(NEXT) | instid1(VALU_DEP_1)
	v_add_f32_e32 v101, -1.0, v102
	v_sub_f32_e32 v101, v17, v101
	s_delay_alu instid0(VALU_DEP_3) | instskip(NEXT) | instid1(VALU_DEP_2)
	v_sub_f32_e32 v17, v17, v103
	v_add_f32_e32 v101, v13, v101
	s_delay_alu instid0(VALU_DEP_2) | instskip(NEXT) | instid1(VALU_DEP_1)
	v_add_f32_e32 v13, v13, v17
	v_add_f32_e32 v104, v100, v13
	s_delay_alu instid0(VALU_DEP_1) | instskip(NEXT) | instid1(VALU_DEP_1)
	v_dual_sub_f32 v100, v100, v104 :: v_dual_add_f32 v103, v102, v101
	v_add_f32_e32 v13, v13, v100
	s_delay_alu instid0(VALU_DEP_2) | instskip(SKIP_1) | instid1(VALU_DEP_1)
	v_rcp_f32_e32 v17, v103
	v_sub_f32_e32 v102, v102, v103
	v_add_f32_e32 v101, v101, v102
	s_waitcnt_depctr 0xfff
	v_mul_f32_e32 v105, v104, v17
	s_delay_alu instid0(VALU_DEP_1) | instskip(NEXT) | instid1(VALU_DEP_1)
	v_mul_f32_e32 v106, v103, v105
	v_fma_f32 v102, v105, v103, -v106
	s_delay_alu instid0(VALU_DEP_1) | instskip(NEXT) | instid1(VALU_DEP_1)
	v_fmac_f32_e32 v102, v105, v101
	v_add_f32_e32 v107, v106, v102
	s_delay_alu instid0(VALU_DEP_1) | instskip(SKIP_1) | instid1(VALU_DEP_2)
	v_sub_f32_e32 v108, v104, v107
	v_sub_f32_e32 v100, v107, v106
	;; [unrolled: 1-line block ×3, first 2 shown]
	s_delay_alu instid0(VALU_DEP_1) | instskip(NEXT) | instid1(VALU_DEP_1)
	v_sub_f32_e32 v104, v104, v107
	v_dual_sub_f32 v100, v100, v102 :: v_dual_add_f32 v13, v13, v104
	s_delay_alu instid0(VALU_DEP_1) | instskip(NEXT) | instid1(VALU_DEP_1)
	v_add_f32_e32 v13, v100, v13
	v_add_f32_e32 v100, v108, v13
	s_delay_alu instid0(VALU_DEP_1) | instskip(NEXT) | instid1(VALU_DEP_1)
	v_mul_f32_e32 v102, v17, v100
	v_dual_sub_f32 v107, v108, v100 :: v_dual_mul_f32 v104, v103, v102
	s_delay_alu instid0(VALU_DEP_1) | instskip(NEXT) | instid1(VALU_DEP_2)
	v_add_f32_e32 v13, v13, v107
	v_fma_f32 v103, v102, v103, -v104
	s_delay_alu instid0(VALU_DEP_1) | instskip(NEXT) | instid1(VALU_DEP_1)
	v_fmac_f32_e32 v103, v102, v101
	v_add_f32_e32 v101, v104, v103
	s_delay_alu instid0(VALU_DEP_1) | instskip(NEXT) | instid1(VALU_DEP_1)
	v_sub_f32_e32 v106, v100, v101
	v_sub_f32_e32 v100, v100, v106
	s_delay_alu instid0(VALU_DEP_1) | instskip(NEXT) | instid1(VALU_DEP_1)
	v_sub_f32_e32 v100, v100, v101
	v_add_f32_e32 v13, v13, v100
	v_add_f32_e32 v100, v105, v102
	v_sub_f32_e32 v104, v101, v104
	s_delay_alu instid0(VALU_DEP_1) | instskip(NEXT) | instid1(VALU_DEP_1)
	v_sub_f32_e32 v101, v104, v103
	v_add_f32_e32 v13, v101, v13
	s_delay_alu instid0(VALU_DEP_4) | instskip(NEXT) | instid1(VALU_DEP_2)
	v_sub_f32_e32 v101, v100, v105
	v_add_f32_e32 v13, v106, v13
	s_delay_alu instid0(VALU_DEP_2) | instskip(NEXT) | instid1(VALU_DEP_2)
	v_sub_f32_e32 v101, v102, v101
	v_mul_f32_e32 v13, v17, v13
	s_delay_alu instid0(VALU_DEP_1) | instskip(NEXT) | instid1(VALU_DEP_1)
	v_add_f32_e32 v13, v101, v13
	v_add_f32_e32 v17, v100, v13
	s_delay_alu instid0(VALU_DEP_1) | instskip(NEXT) | instid1(VALU_DEP_1)
	v_mul_f32_e32 v101, v17, v17
	v_fmaak_f32 v102, s84, v101, 0x3ecc95a3
	v_mul_f32_e32 v103, v17, v101
	s_delay_alu instid0(VALU_DEP_2) | instskip(SKIP_1) | instid1(VALU_DEP_2)
	v_fmaak_f32 v101, v101, v102, 0x3f2aaada
	v_ldexp_f32 v102, v17, 1
	v_mul_f32_e32 v101, v103, v101
	s_delay_alu instid0(VALU_DEP_1) | instskip(NEXT) | instid1(VALU_DEP_1)
	v_dual_sub_f32 v17, v17, v100 :: v_dual_add_f32 v100, v102, v101
	v_sub_f32_e32 v13, v13, v17
	s_delay_alu instid0(VALU_DEP_2) | instskip(NEXT) | instid1(VALU_DEP_2)
	v_sub_f32_e32 v17, v100, v102
	v_ldexp_f32 v13, v13, 1
	s_delay_alu instid0(VALU_DEP_2) | instskip(SKIP_1) | instid1(VALU_DEP_1)
	v_sub_f32_e32 v17, v101, v17
	v_mul_f32_e32 v103, 0x3f317218, v12
	v_fma_f32 v102, 0x3f317218, v12, -v103
	s_delay_alu instid0(VALU_DEP_1) | instskip(NEXT) | instid1(VALU_DEP_1)
	v_fmac_f32_e32 v102, 0xb102e308, v12
	v_dual_add_f32 v12, v13, v17 :: v_dual_add_f32 v13, v103, v102
	s_delay_alu instid0(VALU_DEP_1) | instskip(NEXT) | instid1(VALU_DEP_1)
	v_add_f32_e32 v17, v100, v12
	v_add_f32_e32 v101, v13, v17
	v_sub_f32_e32 v100, v17, v100
	s_delay_alu instid0(VALU_DEP_2) | instskip(NEXT) | instid1(VALU_DEP_2)
	v_sub_f32_e32 v104, v101, v13
	v_dual_sub_f32 v12, v12, v100 :: v_dual_sub_f32 v103, v13, v103
	s_delay_alu instid0(VALU_DEP_2) | instskip(NEXT) | instid1(VALU_DEP_2)
	v_sub_f32_e32 v105, v101, v104
	v_dual_sub_f32 v17, v17, v104 :: v_dual_sub_f32 v102, v102, v103
	s_delay_alu instid0(VALU_DEP_1) | instskip(NEXT) | instid1(VALU_DEP_1)
	v_dual_sub_f32 v13, v13, v105 :: v_dual_add_f32 v100, v102, v12
	v_add_f32_e32 v13, v17, v13
	s_delay_alu instid0(VALU_DEP_2) | instskip(NEXT) | instid1(VALU_DEP_2)
	v_sub_f32_e32 v17, v100, v102
	v_add_f32_e32 v13, v100, v13
	s_delay_alu instid0(VALU_DEP_2) | instskip(SKIP_1) | instid1(VALU_DEP_2)
	v_sub_f32_e32 v100, v100, v17
	v_sub_f32_e32 v12, v12, v17
	v_dual_add_f32 v103, v101, v13 :: v_dual_sub_f32 v100, v102, v100
	s_delay_alu instid0(VALU_DEP_1) | instskip(NEXT) | instid1(VALU_DEP_1)
	v_dual_sub_f32 v17, v103, v101 :: v_dual_add_f32 v12, v12, v100
	v_sub_f32_e32 v13, v13, v17
	s_delay_alu instid0(VALU_DEP_1) | instskip(NEXT) | instid1(VALU_DEP_1)
	v_add_f32_e32 v12, v12, v13
	v_add_f32_e32 v12, v103, v12
	s_delay_alu instid0(VALU_DEP_1)
	v_cndmask_b32_e32 v100, v12, v14, vcc_lo
.LBB56_88:                              ;   in Loop: Header=BB56_12 Depth=1
	s_or_b32 exec_lo, exec_lo, s30
	v_and_b32_e32 v12, 0xffff0000, v15
	s_delay_alu instid0(VALU_DEP_1) | instskip(NEXT) | instid1(VALU_DEP_1)
	v_add_f32_e32 v105, s67, v12
	v_cmp_ge_f32_e32 vcc_lo, 0x41a00000, v105
	s_and_b32 s29, s80, vcc_lo
	s_delay_alu instid0(SALU_CYCLE_1)
	s_and_saveexec_b32 s30, s29
	s_cbranch_execz .LBB56_90
; %bb.89:                               ;   in Loop: Header=BB56_12 Depth=1
	v_mul_f32_e32 v12, 0x3fb8aa3b, v105
	v_cmp_ngt_f32_e32 vcc_lo, 0xc2ce8ed0, v105
	s_delay_alu instid0(VALU_DEP_2) | instskip(SKIP_1) | instid1(VALU_DEP_2)
	v_rndne_f32_e32 v13, v12
	v_fma_f32 v14, 0x3fb8aa3b, v105, -v12
	v_sub_f32_e32 v12, v12, v13
	s_delay_alu instid0(VALU_DEP_2) | instskip(SKIP_1) | instid1(VALU_DEP_2)
	v_fmac_f32_e32 v14, 0x32a5705f, v105
	v_cvt_i32_f32_e32 v13, v13
	v_add_f32_e32 v12, v12, v14
	s_delay_alu instid0(VALU_DEP_1) | instskip(SKIP_2) | instid1(VALU_DEP_1)
	v_exp_f32_e32 v12, v12
	s_waitcnt_depctr 0xfff
	v_ldexp_f32 v12, v12, v13
	v_cndmask_b32_e32 v12, 0, v12, vcc_lo
	v_cmp_nlt_f32_e32 vcc_lo, 0x42b17218, v105
	s_delay_alu instid0(VALU_DEP_2) | instskip(NEXT) | instid1(VALU_DEP_1)
	v_cndmask_b32_e32 v14, 0x7f800000, v12, vcc_lo
	v_add_f32_e32 v15, 1.0, v14
	s_delay_alu instid0(VALU_DEP_1) | instskip(NEXT) | instid1(VALU_DEP_1)
	v_cvt_f64_f32_e32 v[12:13], v15
	v_frexp_exp_i32_f64_e32 v12, v[12:13]
	v_frexp_mant_f32_e32 v13, v15
	s_delay_alu instid0(VALU_DEP_1) | instskip(SKIP_1) | instid1(VALU_DEP_1)
	v_cmp_gt_f32_e32 vcc_lo, 0x3f2aaaab, v13
	v_add_f32_e32 v13, -1.0, v15
	v_sub_f32_e32 v101, v13, v15
	v_sub_f32_e32 v13, v14, v13
	s_delay_alu instid0(VALU_DEP_2) | instskip(NEXT) | instid1(VALU_DEP_1)
	v_add_f32_e32 v101, 1.0, v101
	v_add_f32_e32 v13, v13, v101
	v_cmp_gt_f32_e64 s29, 0x33800000, v14
	v_subrev_co_ci_u32_e32 v12, vcc_lo, 0, v12, vcc_lo
	v_cmp_eq_f32_e32 vcc_lo, 0x7f800000, v14
	s_delay_alu instid0(VALU_DEP_2) | instskip(SKIP_2) | instid1(VALU_DEP_2)
	v_sub_nc_u32_e32 v17, 0, v12
	v_cvt_f32_i32_e32 v12, v12
	s_or_b32 vcc_lo, s29, vcc_lo
	v_ldexp_f32 v15, v15, v17
	v_ldexp_f32 v13, v13, v17
	s_delay_alu instid0(VALU_DEP_2) | instskip(SKIP_1) | instid1(VALU_DEP_2)
	v_add_f32_e32 v102, 1.0, v15
	v_add_f32_e32 v17, -1.0, v15
	v_add_f32_e32 v101, -1.0, v102
	s_delay_alu instid0(VALU_DEP_2) | instskip(NEXT) | instid1(VALU_DEP_2)
	v_add_f32_e32 v103, 1.0, v17
	v_sub_f32_e32 v101, v15, v101
	s_delay_alu instid0(VALU_DEP_2) | instskip(NEXT) | instid1(VALU_DEP_2)
	v_sub_f32_e32 v15, v15, v103
	v_add_f32_e32 v101, v13, v101
	s_delay_alu instid0(VALU_DEP_2) | instskip(NEXT) | instid1(VALU_DEP_1)
	v_add_f32_e32 v13, v13, v15
	v_add_f32_e32 v104, v17, v13
	s_delay_alu instid0(VALU_DEP_3) | instskip(NEXT) | instid1(VALU_DEP_1)
	v_add_f32_e32 v103, v102, v101
	v_rcp_f32_e32 v15, v103
	v_sub_f32_e32 v102, v102, v103
	s_delay_alu instid0(VALU_DEP_1) | instskip(SKIP_2) | instid1(VALU_DEP_1)
	v_add_f32_e32 v101, v101, v102
	s_waitcnt_depctr 0xfff
	v_mul_f32_e32 v105, v104, v15
	v_dual_mul_f32 v106, v103, v105 :: v_dual_sub_f32 v17, v17, v104
	s_delay_alu instid0(VALU_DEP_1) | instskip(NEXT) | instid1(VALU_DEP_2)
	v_fma_f32 v102, v105, v103, -v106
	v_add_f32_e32 v13, v13, v17
	s_delay_alu instid0(VALU_DEP_2) | instskip(NEXT) | instid1(VALU_DEP_1)
	v_fmac_f32_e32 v102, v105, v101
	v_add_f32_e32 v107, v106, v102
	s_delay_alu instid0(VALU_DEP_1) | instskip(NEXT) | instid1(VALU_DEP_1)
	v_dual_sub_f32 v108, v104, v107 :: v_dual_sub_f32 v17, v107, v106
	v_dual_sub_f32 v104, v104, v108 :: v_dual_sub_f32 v17, v17, v102
	s_delay_alu instid0(VALU_DEP_1) | instskip(NEXT) | instid1(VALU_DEP_1)
	v_sub_f32_e32 v104, v104, v107
	v_add_f32_e32 v13, v13, v104
	s_delay_alu instid0(VALU_DEP_1) | instskip(NEXT) | instid1(VALU_DEP_1)
	v_add_f32_e32 v13, v17, v13
	v_add_f32_e32 v17, v108, v13
	s_delay_alu instid0(VALU_DEP_1) | instskip(NEXT) | instid1(VALU_DEP_1)
	v_mul_f32_e32 v102, v15, v17
	v_dual_sub_f32 v107, v108, v17 :: v_dual_mul_f32 v104, v103, v102
	s_delay_alu instid0(VALU_DEP_1) | instskip(NEXT) | instid1(VALU_DEP_2)
	v_add_f32_e32 v13, v13, v107
	v_fma_f32 v103, v102, v103, -v104
	s_delay_alu instid0(VALU_DEP_1) | instskip(NEXT) | instid1(VALU_DEP_1)
	v_fmac_f32_e32 v103, v102, v101
	v_add_f32_e32 v101, v104, v103
	s_delay_alu instid0(VALU_DEP_1) | instskip(SKIP_1) | instid1(VALU_DEP_2)
	v_sub_f32_e32 v106, v17, v101
	v_sub_f32_e32 v104, v101, v104
	;; [unrolled: 1-line block ×3, first 2 shown]
	s_delay_alu instid0(VALU_DEP_1) | instskip(NEXT) | instid1(VALU_DEP_3)
	v_sub_f32_e32 v17, v17, v101
	v_sub_f32_e32 v101, v104, v103
	s_delay_alu instid0(VALU_DEP_2) | instskip(SKIP_1) | instid1(VALU_DEP_2)
	v_add_f32_e32 v13, v13, v17
	v_add_f32_e32 v17, v105, v102
	;; [unrolled: 1-line block ×3, first 2 shown]
	s_delay_alu instid0(VALU_DEP_2) | instskip(NEXT) | instid1(VALU_DEP_2)
	v_sub_f32_e32 v101, v17, v105
	v_add_f32_e32 v13, v106, v13
	s_delay_alu instid0(VALU_DEP_2) | instskip(NEXT) | instid1(VALU_DEP_2)
	v_sub_f32_e32 v101, v102, v101
	v_mul_f32_e32 v13, v15, v13
	s_delay_alu instid0(VALU_DEP_1) | instskip(NEXT) | instid1(VALU_DEP_1)
	v_add_f32_e32 v13, v101, v13
	v_add_f32_e32 v15, v17, v13
	s_delay_alu instid0(VALU_DEP_1) | instskip(NEXT) | instid1(VALU_DEP_1)
	v_mul_f32_e32 v101, v15, v15
	v_fmaak_f32 v102, s84, v101, 0x3ecc95a3
	v_mul_f32_e32 v103, v15, v101
	s_delay_alu instid0(VALU_DEP_2) | instskip(SKIP_2) | instid1(VALU_DEP_3)
	v_fmaak_f32 v101, v101, v102, 0x3f2aaada
	v_ldexp_f32 v102, v15, 1
	v_sub_f32_e32 v15, v15, v17
	v_mul_f32_e32 v101, v103, v101
	v_mul_f32_e32 v103, 0x3f317218, v12
	s_delay_alu instid0(VALU_DEP_3) | instskip(NEXT) | instid1(VALU_DEP_3)
	v_sub_f32_e32 v13, v13, v15
	v_add_f32_e32 v17, v102, v101
	s_delay_alu instid0(VALU_DEP_2) | instskip(NEXT) | instid1(VALU_DEP_2)
	v_ldexp_f32 v13, v13, 1
	v_sub_f32_e32 v15, v17, v102
	v_fma_f32 v102, 0x3f317218, v12, -v103
	s_delay_alu instid0(VALU_DEP_1) | instskip(NEXT) | instid1(VALU_DEP_1)
	v_dual_sub_f32 v15, v101, v15 :: v_dual_fmac_f32 v102, 0xb102e308, v12
	v_dual_add_f32 v12, v13, v15 :: v_dual_add_f32 v13, v103, v102
	s_delay_alu instid0(VALU_DEP_1) | instskip(NEXT) | instid1(VALU_DEP_1)
	v_add_f32_e32 v15, v17, v12
	v_add_f32_e32 v101, v13, v15
	v_sub_f32_e32 v17, v15, v17
	s_delay_alu instid0(VALU_DEP_2) | instskip(NEXT) | instid1(VALU_DEP_2)
	v_sub_f32_e32 v104, v101, v13
	v_dual_sub_f32 v103, v13, v103 :: v_dual_sub_f32 v12, v12, v17
	s_delay_alu instid0(VALU_DEP_1) | instskip(SKIP_1) | instid1(VALU_DEP_2)
	v_dual_sub_f32 v105, v101, v104 :: v_dual_sub_f32 v102, v102, v103
	v_sub_f32_e32 v15, v15, v104
	v_sub_f32_e32 v13, v13, v105
	s_delay_alu instid0(VALU_DEP_3) | instskip(NEXT) | instid1(VALU_DEP_2)
	v_add_f32_e32 v17, v102, v12
	v_add_f32_e32 v13, v15, v13
	s_delay_alu instid0(VALU_DEP_2) | instskip(NEXT) | instid1(VALU_DEP_2)
	v_sub_f32_e32 v15, v17, v102
	v_add_f32_e32 v13, v17, v13
	s_delay_alu instid0(VALU_DEP_2) | instskip(NEXT) | instid1(VALU_DEP_2)
	v_sub_f32_e32 v17, v17, v15
	v_dual_sub_f32 v12, v12, v15 :: v_dual_add_f32 v103, v101, v13
	s_delay_alu instid0(VALU_DEP_2) | instskip(NEXT) | instid1(VALU_DEP_2)
	v_sub_f32_e32 v17, v102, v17
	v_sub_f32_e32 v15, v103, v101
	s_delay_alu instid0(VALU_DEP_1) | instskip(NEXT) | instid1(VALU_DEP_1)
	v_dual_add_f32 v12, v12, v17 :: v_dual_sub_f32 v13, v13, v15
	v_add_f32_e32 v12, v12, v13
	s_delay_alu instid0(VALU_DEP_1) | instskip(NEXT) | instid1(VALU_DEP_1)
	v_add_f32_e32 v12, v103, v12
	v_cndmask_b32_e32 v105, v12, v14, vcc_lo
.LBB56_90:                              ;   in Loop: Header=BB56_12 Depth=1
	s_or_b32 exec_lo, exec_lo, s30
	s_waitcnt lgkmcnt(0)
	v_lshlrev_b32_e32 v12, 16, v8
	s_delay_alu instid0(VALU_DEP_1) | instskip(NEXT) | instid1(VALU_DEP_1)
	v_add_f32_e32 v108, s67, v12
	v_cmp_ge_f32_e32 vcc_lo, 0x41a00000, v108
	s_and_b32 s29, s80, vcc_lo
	s_delay_alu instid0(SALU_CYCLE_1)
	s_and_saveexec_b32 s30, s29
	s_cbranch_execz .LBB56_92
; %bb.91:                               ;   in Loop: Header=BB56_12 Depth=1
	v_mul_f32_e32 v12, 0x3fb8aa3b, v108
	v_cmp_ngt_f32_e32 vcc_lo, 0xc2ce8ed0, v108
	s_delay_alu instid0(VALU_DEP_2) | instskip(SKIP_1) | instid1(VALU_DEP_2)
	v_rndne_f32_e32 v13, v12
	v_fma_f32 v14, 0x3fb8aa3b, v108, -v12
	v_sub_f32_e32 v12, v12, v13
	s_delay_alu instid0(VALU_DEP_2) | instskip(SKIP_1) | instid1(VALU_DEP_2)
	v_fmac_f32_e32 v14, 0x32a5705f, v108
	v_cvt_i32_f32_e32 v13, v13
	v_add_f32_e32 v12, v12, v14
	s_delay_alu instid0(VALU_DEP_1) | instskip(SKIP_2) | instid1(VALU_DEP_1)
	v_exp_f32_e32 v12, v12
	s_waitcnt_depctr 0xfff
	v_ldexp_f32 v12, v12, v13
	v_cndmask_b32_e32 v12, 0, v12, vcc_lo
	v_cmp_nlt_f32_e32 vcc_lo, 0x42b17218, v108
	s_delay_alu instid0(VALU_DEP_2) | instskip(NEXT) | instid1(VALU_DEP_1)
	v_cndmask_b32_e32 v14, 0x7f800000, v12, vcc_lo
	v_add_f32_e32 v15, 1.0, v14
	s_delay_alu instid0(VALU_DEP_1) | instskip(NEXT) | instid1(VALU_DEP_1)
	v_cvt_f64_f32_e32 v[12:13], v15
	v_frexp_exp_i32_f64_e32 v12, v[12:13]
	v_frexp_mant_f32_e32 v13, v15
	s_delay_alu instid0(VALU_DEP_1) | instskip(SKIP_1) | instid1(VALU_DEP_1)
	v_cmp_gt_f32_e32 vcc_lo, 0x3f2aaaab, v13
	v_add_f32_e32 v13, -1.0, v15
	v_sub_f32_e32 v101, v13, v15
	v_sub_f32_e32 v13, v14, v13
	s_delay_alu instid0(VALU_DEP_2) | instskip(NEXT) | instid1(VALU_DEP_1)
	v_add_f32_e32 v101, 1.0, v101
	v_add_f32_e32 v13, v13, v101
	v_cmp_gt_f32_e64 s29, 0x33800000, v14
	v_subrev_co_ci_u32_e32 v12, vcc_lo, 0, v12, vcc_lo
	v_cmp_eq_f32_e32 vcc_lo, 0x7f800000, v14
	s_delay_alu instid0(VALU_DEP_2) | instskip(SKIP_2) | instid1(VALU_DEP_2)
	v_sub_nc_u32_e32 v17, 0, v12
	v_cvt_f32_i32_e32 v12, v12
	s_or_b32 vcc_lo, s29, vcc_lo
	v_ldexp_f32 v15, v15, v17
	v_ldexp_f32 v13, v13, v17
	s_delay_alu instid0(VALU_DEP_2) | instskip(SKIP_1) | instid1(VALU_DEP_2)
	v_add_f32_e32 v102, 1.0, v15
	v_add_f32_e32 v17, -1.0, v15
	v_add_f32_e32 v101, -1.0, v102
	s_delay_alu instid0(VALU_DEP_2) | instskip(NEXT) | instid1(VALU_DEP_2)
	v_add_f32_e32 v103, 1.0, v17
	v_sub_f32_e32 v101, v15, v101
	s_delay_alu instid0(VALU_DEP_2) | instskip(NEXT) | instid1(VALU_DEP_2)
	v_sub_f32_e32 v15, v15, v103
	v_add_f32_e32 v101, v13, v101
	s_delay_alu instid0(VALU_DEP_2) | instskip(NEXT) | instid1(VALU_DEP_2)
	v_add_f32_e32 v13, v13, v15
	v_add_f32_e32 v103, v102, v101
	s_delay_alu instid0(VALU_DEP_2) | instskip(NEXT) | instid1(VALU_DEP_2)
	v_add_f32_e32 v104, v17, v13
	v_rcp_f32_e32 v15, v103
	v_sub_f32_e32 v102, v102, v103
	s_waitcnt_depctr 0xfff
	v_dual_add_f32 v101, v101, v102 :: v_dual_mul_f32 v106, v104, v15
	s_delay_alu instid0(VALU_DEP_1) | instskip(NEXT) | instid1(VALU_DEP_1)
	v_mul_f32_e32 v107, v103, v106
	v_fma_f32 v102, v106, v103, -v107
	s_delay_alu instid0(VALU_DEP_1) | instskip(NEXT) | instid1(VALU_DEP_1)
	v_dual_fmac_f32 v102, v106, v101 :: v_dual_sub_f32 v17, v17, v104
	v_add_f32_e32 v108, v107, v102
	s_delay_alu instid0(VALU_DEP_1) | instskip(NEXT) | instid1(VALU_DEP_1)
	v_sub_f32_e32 v109, v104, v108
	v_sub_f32_e32 v104, v104, v109
	s_delay_alu instid0(VALU_DEP_1) | instskip(SKIP_1) | instid1(VALU_DEP_2)
	v_dual_sub_f32 v104, v104, v108 :: v_dual_add_f32 v13, v13, v17
	v_sub_f32_e32 v17, v108, v107
	v_add_f32_e32 v13, v13, v104
	s_delay_alu instid0(VALU_DEP_2) | instskip(NEXT) | instid1(VALU_DEP_1)
	v_sub_f32_e32 v17, v17, v102
	v_add_f32_e32 v13, v17, v13
	s_delay_alu instid0(VALU_DEP_1) | instskip(NEXT) | instid1(VALU_DEP_1)
	v_add_f32_e32 v17, v109, v13
	v_mul_f32_e32 v102, v15, v17
	s_delay_alu instid0(VALU_DEP_1) | instskip(SKIP_1) | instid1(VALU_DEP_2)
	v_mul_f32_e32 v104, v103, v102
	v_sub_f32_e32 v108, v109, v17
	v_fma_f32 v103, v102, v103, -v104
	s_delay_alu instid0(VALU_DEP_2) | instskip(NEXT) | instid1(VALU_DEP_2)
	v_add_f32_e32 v13, v13, v108
	v_fmac_f32_e32 v103, v102, v101
	s_delay_alu instid0(VALU_DEP_1) | instskip(NEXT) | instid1(VALU_DEP_1)
	v_add_f32_e32 v101, v104, v103
	v_sub_f32_e32 v107, v17, v101
	v_sub_f32_e32 v104, v101, v104
	s_delay_alu instid0(VALU_DEP_2) | instskip(NEXT) | instid1(VALU_DEP_1)
	v_sub_f32_e32 v17, v17, v107
	v_sub_f32_e32 v17, v17, v101
	s_delay_alu instid0(VALU_DEP_3) | instskip(NEXT) | instid1(VALU_DEP_2)
	v_sub_f32_e32 v101, v104, v103
	v_add_f32_e32 v13, v13, v17
	v_add_f32_e32 v17, v106, v102
	s_delay_alu instid0(VALU_DEP_2) | instskip(NEXT) | instid1(VALU_DEP_2)
	v_add_f32_e32 v13, v101, v13
	v_sub_f32_e32 v101, v17, v106
	s_delay_alu instid0(VALU_DEP_2) | instskip(NEXT) | instid1(VALU_DEP_2)
	v_add_f32_e32 v13, v107, v13
	v_sub_f32_e32 v101, v102, v101
	s_delay_alu instid0(VALU_DEP_2) | instskip(NEXT) | instid1(VALU_DEP_1)
	v_mul_f32_e32 v13, v15, v13
	v_add_f32_e32 v13, v101, v13
	s_delay_alu instid0(VALU_DEP_1) | instskip(NEXT) | instid1(VALU_DEP_1)
	v_add_f32_e32 v15, v17, v13
	v_mul_f32_e32 v101, v15, v15
	s_delay_alu instid0(VALU_DEP_1) | instskip(SKIP_1) | instid1(VALU_DEP_2)
	v_fmaak_f32 v102, s84, v101, 0x3ecc95a3
	v_mul_f32_e32 v103, v15, v101
	v_fmaak_f32 v101, v101, v102, 0x3f2aaada
	v_ldexp_f32 v102, v15, 1
	v_sub_f32_e32 v15, v15, v17
	s_delay_alu instid0(VALU_DEP_3) | instskip(SKIP_1) | instid1(VALU_DEP_3)
	v_mul_f32_e32 v101, v103, v101
	v_mul_f32_e32 v103, 0x3f317218, v12
	v_sub_f32_e32 v13, v13, v15
	s_delay_alu instid0(VALU_DEP_3) | instskip(NEXT) | instid1(VALU_DEP_2)
	v_add_f32_e32 v17, v102, v101
	v_ldexp_f32 v13, v13, 1
	s_delay_alu instid0(VALU_DEP_2) | instskip(SKIP_1) | instid1(VALU_DEP_1)
	v_sub_f32_e32 v15, v17, v102
	v_fma_f32 v102, 0x3f317218, v12, -v103
	v_dual_sub_f32 v15, v101, v15 :: v_dual_fmac_f32 v102, 0xb102e308, v12
	s_delay_alu instid0(VALU_DEP_1) | instskip(NEXT) | instid1(VALU_DEP_1)
	v_dual_add_f32 v12, v13, v15 :: v_dual_add_f32 v13, v103, v102
	v_add_f32_e32 v15, v17, v12
	s_delay_alu instid0(VALU_DEP_2) | instskip(NEXT) | instid1(VALU_DEP_2)
	v_sub_f32_e32 v103, v13, v103
	v_add_f32_e32 v101, v13, v15
	s_delay_alu instid0(VALU_DEP_2) | instskip(NEXT) | instid1(VALU_DEP_2)
	v_dual_sub_f32 v17, v15, v17 :: v_dual_sub_f32 v102, v102, v103
	v_sub_f32_e32 v104, v101, v13
	s_delay_alu instid0(VALU_DEP_2) | instskip(NEXT) | instid1(VALU_DEP_2)
	v_sub_f32_e32 v12, v12, v17
	v_sub_f32_e32 v106, v101, v104
	;; [unrolled: 1-line block ×3, first 2 shown]
	s_delay_alu instid0(VALU_DEP_3) | instskip(NEXT) | instid1(VALU_DEP_3)
	v_add_f32_e32 v17, v102, v12
	v_sub_f32_e32 v13, v13, v106
	s_delay_alu instid0(VALU_DEP_1) | instskip(NEXT) | instid1(VALU_DEP_3)
	v_add_f32_e32 v13, v15, v13
	v_sub_f32_e32 v15, v17, v102
	s_delay_alu instid0(VALU_DEP_2) | instskip(NEXT) | instid1(VALU_DEP_2)
	v_add_f32_e32 v13, v17, v13
	v_sub_f32_e32 v17, v17, v15
	s_delay_alu instid0(VALU_DEP_2) | instskip(NEXT) | instid1(VALU_DEP_2)
	v_dual_sub_f32 v12, v12, v15 :: v_dual_add_f32 v103, v101, v13
	v_sub_f32_e32 v17, v102, v17
	s_delay_alu instid0(VALU_DEP_2) | instskip(NEXT) | instid1(VALU_DEP_1)
	v_sub_f32_e32 v15, v103, v101
	v_dual_add_f32 v12, v12, v17 :: v_dual_sub_f32 v13, v13, v15
	s_delay_alu instid0(VALU_DEP_1) | instskip(NEXT) | instid1(VALU_DEP_1)
	v_add_f32_e32 v12, v12, v13
	v_add_f32_e32 v12, v103, v12
	s_delay_alu instid0(VALU_DEP_1)
	v_cndmask_b32_e32 v108, v12, v14, vcc_lo
.LBB56_92:                              ;   in Loop: Header=BB56_12 Depth=1
	s_or_b32 exec_lo, exec_lo, s30
	v_and_b32_e32 v8, 0xffff0000, v8
	s_delay_alu instid0(VALU_DEP_1) | instskip(NEXT) | instid1(VALU_DEP_1)
	v_add_f32_e32 v113, s67, v8
	v_cmp_ge_f32_e32 vcc_lo, 0x41a00000, v113
	s_and_b32 s29, s80, vcc_lo
	s_delay_alu instid0(SALU_CYCLE_1)
	s_and_saveexec_b32 s30, s29
	s_cbranch_execz .LBB56_94
; %bb.93:                               ;   in Loop: Header=BB56_12 Depth=1
	v_mul_f32_e32 v8, 0x3fb8aa3b, v113
	v_cmp_ngt_f32_e32 vcc_lo, 0xc2ce8ed0, v113
	s_delay_alu instid0(VALU_DEP_2) | instskip(SKIP_1) | instid1(VALU_DEP_1)
	v_rndne_f32_e32 v12, v8
	v_fma_f32 v13, 0x3fb8aa3b, v113, -v8
	v_dual_sub_f32 v8, v8, v12 :: v_dual_fmac_f32 v13, 0x32a5705f, v113
	v_cvt_i32_f32_e32 v12, v12
	s_delay_alu instid0(VALU_DEP_2) | instskip(NEXT) | instid1(VALU_DEP_1)
	v_add_f32_e32 v8, v8, v13
	v_exp_f32_e32 v8, v8
	s_waitcnt_depctr 0xfff
	v_ldexp_f32 v8, v8, v12
	s_delay_alu instid0(VALU_DEP_1) | instskip(SKIP_1) | instid1(VALU_DEP_2)
	v_cndmask_b32_e32 v8, 0, v8, vcc_lo
	v_cmp_nlt_f32_e32 vcc_lo, 0x42b17218, v113
	v_cndmask_b32_e32 v8, 0x7f800000, v8, vcc_lo
	s_delay_alu instid0(VALU_DEP_1) | instskip(NEXT) | instid1(VALU_DEP_1)
	v_add_f32_e32 v14, 1.0, v8
	v_cvt_f64_f32_e32 v[12:13], v14
	s_delay_alu instid0(VALU_DEP_1) | instskip(SKIP_1) | instid1(VALU_DEP_1)
	v_frexp_exp_i32_f64_e32 v12, v[12:13]
	v_frexp_mant_f32_e32 v13, v14
	v_cmp_gt_f32_e32 vcc_lo, 0x3f2aaaab, v13
	v_add_f32_e32 v13, -1.0, v14
	s_delay_alu instid0(VALU_DEP_1) | instskip(NEXT) | instid1(VALU_DEP_1)
	v_sub_f32_e32 v17, v13, v14
	v_add_f32_e32 v17, 1.0, v17
	v_subrev_co_ci_u32_e32 v12, vcc_lo, 0, v12, vcc_lo
	s_delay_alu instid0(VALU_DEP_1) | instskip(SKIP_1) | instid1(VALU_DEP_2)
	v_sub_nc_u32_e32 v15, 0, v12
	v_cvt_f32_i32_e32 v12, v12
	v_ldexp_f32 v14, v14, v15
	s_delay_alu instid0(VALU_DEP_1) | instskip(SKIP_3) | instid1(VALU_DEP_3)
	v_add_f32_e32 v101, 1.0, v14
	v_sub_f32_e32 v13, v8, v13
	v_cmp_eq_f32_e32 vcc_lo, 0x7f800000, v8
	v_cmp_gt_f32_e64 s29, 0x33800000, v8
	v_add_f32_e32 v13, v13, v17
	s_delay_alu instid0(VALU_DEP_2) | instskip(NEXT) | instid1(VALU_DEP_1)
	s_or_b32 vcc_lo, s29, vcc_lo
	v_ldexp_f32 v13, v13, v15
	v_add_f32_e32 v15, -1.0, v14
	s_delay_alu instid0(VALU_DEP_1) | instskip(NEXT) | instid1(VALU_DEP_1)
	v_dual_add_f32 v102, 1.0, v15 :: v_dual_add_f32 v17, -1.0, v101
	v_sub_f32_e32 v17, v14, v17
	s_delay_alu instid0(VALU_DEP_1) | instskip(NEXT) | instid1(VALU_DEP_1)
	v_dual_sub_f32 v14, v14, v102 :: v_dual_add_f32 v17, v13, v17
	v_add_f32_e32 v13, v13, v14
	s_delay_alu instid0(VALU_DEP_2) | instskip(NEXT) | instid1(VALU_DEP_2)
	v_add_f32_e32 v102, v101, v17
	v_add_f32_e32 v103, v15, v13
	s_delay_alu instid0(VALU_DEP_2) | instskip(SKIP_1) | instid1(VALU_DEP_2)
	v_rcp_f32_e32 v14, v102
	v_sub_f32_e32 v101, v101, v102
	v_sub_f32_e32 v15, v15, v103
	s_waitcnt_depctr 0xfff
	v_dual_add_f32 v13, v13, v15 :: v_dual_mul_f32 v104, v103, v14
	s_delay_alu instid0(VALU_DEP_1) | instskip(NEXT) | instid1(VALU_DEP_1)
	v_dual_mul_f32 v106, v102, v104 :: v_dual_add_f32 v17, v17, v101
	v_fma_f32 v101, v104, v102, -v106
	s_delay_alu instid0(VALU_DEP_1) | instskip(NEXT) | instid1(VALU_DEP_1)
	v_fmac_f32_e32 v101, v104, v17
	v_add_f32_e32 v107, v106, v101
	s_delay_alu instid0(VALU_DEP_1) | instskip(SKIP_1) | instid1(VALU_DEP_2)
	v_sub_f32_e32 v109, v103, v107
	v_sub_f32_e32 v15, v107, v106
	;; [unrolled: 1-line block ×3, first 2 shown]
	s_delay_alu instid0(VALU_DEP_2) | instskip(NEXT) | instid1(VALU_DEP_2)
	v_sub_f32_e32 v15, v15, v101
	v_sub_f32_e32 v103, v103, v107
	s_delay_alu instid0(VALU_DEP_1) | instskip(NEXT) | instid1(VALU_DEP_1)
	v_add_f32_e32 v13, v13, v103
	v_add_f32_e32 v13, v15, v13
	s_delay_alu instid0(VALU_DEP_1) | instskip(NEXT) | instid1(VALU_DEP_1)
	v_add_f32_e32 v15, v109, v13
	v_mul_f32_e32 v101, v14, v15
	s_delay_alu instid0(VALU_DEP_1) | instskip(NEXT) | instid1(VALU_DEP_1)
	v_mul_f32_e32 v103, v102, v101
	v_fma_f32 v102, v101, v102, -v103
	s_delay_alu instid0(VALU_DEP_1) | instskip(SKIP_1) | instid1(VALU_DEP_2)
	v_fmac_f32_e32 v102, v101, v17
	v_sub_f32_e32 v107, v109, v15
	v_add_f32_e32 v17, v103, v102
	s_delay_alu instid0(VALU_DEP_1) | instskip(SKIP_1) | instid1(VALU_DEP_2)
	v_dual_add_f32 v13, v13, v107 :: v_dual_sub_f32 v106, v15, v17
	v_sub_f32_e32 v103, v17, v103
	v_sub_f32_e32 v15, v15, v106
	s_delay_alu instid0(VALU_DEP_1) | instskip(NEXT) | instid1(VALU_DEP_3)
	v_sub_f32_e32 v15, v15, v17
	v_sub_f32_e32 v17, v103, v102
	s_delay_alu instid0(VALU_DEP_2) | instskip(SKIP_1) | instid1(VALU_DEP_2)
	v_add_f32_e32 v13, v13, v15
	v_add_f32_e32 v15, v104, v101
	v_add_f32_e32 v13, v17, v13
	s_delay_alu instid0(VALU_DEP_2) | instskip(NEXT) | instid1(VALU_DEP_2)
	v_sub_f32_e32 v17, v15, v104
	v_add_f32_e32 v13, v106, v13
	s_delay_alu instid0(VALU_DEP_2) | instskip(NEXT) | instid1(VALU_DEP_2)
	v_sub_f32_e32 v17, v101, v17
	v_mul_f32_e32 v13, v14, v13
	s_delay_alu instid0(VALU_DEP_1) | instskip(NEXT) | instid1(VALU_DEP_1)
	v_add_f32_e32 v13, v17, v13
	v_add_f32_e32 v14, v15, v13
	s_delay_alu instid0(VALU_DEP_1) | instskip(NEXT) | instid1(VALU_DEP_1)
	v_mul_f32_e32 v17, v14, v14
	v_fmaak_f32 v101, s84, v17, 0x3ecc95a3
	v_mul_f32_e32 v102, v14, v17
	s_delay_alu instid0(VALU_DEP_2) | instskip(SKIP_2) | instid1(VALU_DEP_3)
	v_fmaak_f32 v17, v17, v101, 0x3f2aaada
	v_ldexp_f32 v101, v14, 1
	v_sub_f32_e32 v14, v14, v15
	v_dual_mul_f32 v17, v102, v17 :: v_dual_mul_f32 v102, 0x3f317218, v12
	s_delay_alu instid0(VALU_DEP_2) | instskip(NEXT) | instid1(VALU_DEP_2)
	v_sub_f32_e32 v13, v13, v14
	v_add_f32_e32 v15, v101, v17
	s_delay_alu instid0(VALU_DEP_2) | instskip(NEXT) | instid1(VALU_DEP_2)
	v_ldexp_f32 v13, v13, 1
	v_sub_f32_e32 v14, v15, v101
	v_fma_f32 v101, 0x3f317218, v12, -v102
	s_delay_alu instid0(VALU_DEP_1) | instskip(NEXT) | instid1(VALU_DEP_1)
	v_dual_sub_f32 v14, v17, v14 :: v_dual_fmac_f32 v101, 0xb102e308, v12
	v_dual_add_f32 v12, v13, v14 :: v_dual_add_f32 v13, v102, v101
	s_delay_alu instid0(VALU_DEP_1) | instskip(NEXT) | instid1(VALU_DEP_2)
	v_add_f32_e32 v14, v15, v12
	v_sub_f32_e32 v102, v13, v102
	s_delay_alu instid0(VALU_DEP_2) | instskip(SKIP_1) | instid1(VALU_DEP_3)
	v_add_f32_e32 v17, v13, v14
	v_sub_f32_e32 v15, v14, v15
	v_sub_f32_e32 v101, v101, v102
	s_delay_alu instid0(VALU_DEP_2) | instskip(NEXT) | instid1(VALU_DEP_1)
	v_dual_sub_f32 v103, v17, v13 :: v_dual_sub_f32 v12, v12, v15
	v_sub_f32_e32 v104, v17, v103
	s_delay_alu instid0(VALU_DEP_2) | instskip(NEXT) | instid1(VALU_DEP_2)
	v_dual_sub_f32 v14, v14, v103 :: v_dual_add_f32 v15, v101, v12
	v_sub_f32_e32 v13, v13, v104
	s_delay_alu instid0(VALU_DEP_1) | instskip(NEXT) | instid1(VALU_DEP_3)
	v_add_f32_e32 v13, v14, v13
	v_sub_f32_e32 v14, v15, v101
	s_delay_alu instid0(VALU_DEP_2) | instskip(NEXT) | instid1(VALU_DEP_2)
	v_add_f32_e32 v13, v15, v13
	v_sub_f32_e32 v15, v15, v14
	v_sub_f32_e32 v12, v12, v14
	s_delay_alu instid0(VALU_DEP_3) | instskip(NEXT) | instid1(VALU_DEP_1)
	v_add_f32_e32 v102, v17, v13
	v_dual_sub_f32 v15, v101, v15 :: v_dual_sub_f32 v14, v102, v17
	s_delay_alu instid0(VALU_DEP_1) | instskip(NEXT) | instid1(VALU_DEP_1)
	v_dual_add_f32 v12, v12, v15 :: v_dual_sub_f32 v13, v13, v14
	v_add_f32_e32 v12, v12, v13
	s_delay_alu instid0(VALU_DEP_1) | instskip(NEXT) | instid1(VALU_DEP_1)
	v_add_f32_e32 v12, v102, v12
	v_cndmask_b32_e32 v113, v12, v8, vcc_lo
.LBB56_94:                              ;   in Loop: Header=BB56_12 Depth=1
	s_or_b32 exec_lo, exec_lo, s30
	v_lshlrev_b32_e32 v8, 16, v9
	s_delay_alu instid0(VALU_DEP_1) | instskip(NEXT) | instid1(VALU_DEP_1)
	v_add_f32_e32 v116, s67, v8
	v_cmp_ge_f32_e32 vcc_lo, 0x41a00000, v116
	s_and_b32 s29, s80, vcc_lo
	s_delay_alu instid0(SALU_CYCLE_1)
	s_and_saveexec_b32 s30, s29
	s_cbranch_execz .LBB56_96
; %bb.95:                               ;   in Loop: Header=BB56_12 Depth=1
	v_mul_f32_e32 v8, 0x3fb8aa3b, v116
	v_cmp_ngt_f32_e32 vcc_lo, 0xc2ce8ed0, v116
	s_delay_alu instid0(VALU_DEP_2) | instskip(SKIP_1) | instid1(VALU_DEP_2)
	v_rndne_f32_e32 v12, v8
	v_fma_f32 v13, 0x3fb8aa3b, v116, -v8
	v_sub_f32_e32 v8, v8, v12
	s_delay_alu instid0(VALU_DEP_2) | instskip(SKIP_1) | instid1(VALU_DEP_2)
	v_fmac_f32_e32 v13, 0x32a5705f, v116
	v_cvt_i32_f32_e32 v12, v12
	v_add_f32_e32 v8, v8, v13
	s_delay_alu instid0(VALU_DEP_1) | instskip(SKIP_2) | instid1(VALU_DEP_1)
	v_exp_f32_e32 v8, v8
	s_waitcnt_depctr 0xfff
	v_ldexp_f32 v8, v8, v12
	v_cndmask_b32_e32 v8, 0, v8, vcc_lo
	v_cmp_nlt_f32_e32 vcc_lo, 0x42b17218, v116
	s_delay_alu instid0(VALU_DEP_2) | instskip(NEXT) | instid1(VALU_DEP_1)
	v_cndmask_b32_e32 v8, 0x7f800000, v8, vcc_lo
	v_add_f32_e32 v14, 1.0, v8
	s_delay_alu instid0(VALU_DEP_1) | instskip(NEXT) | instid1(VALU_DEP_1)
	v_cvt_f64_f32_e32 v[12:13], v14
	v_frexp_exp_i32_f64_e32 v12, v[12:13]
	v_frexp_mant_f32_e32 v13, v14
	s_delay_alu instid0(VALU_DEP_1) | instskip(SKIP_1) | instid1(VALU_DEP_1)
	v_cmp_gt_f32_e32 vcc_lo, 0x3f2aaaab, v13
	v_add_f32_e32 v13, -1.0, v14
	v_sub_f32_e32 v17, v13, v14
	v_sub_f32_e32 v13, v8, v13
	s_delay_alu instid0(VALU_DEP_2) | instskip(NEXT) | instid1(VALU_DEP_1)
	v_add_f32_e32 v17, 1.0, v17
	v_add_f32_e32 v13, v13, v17
	v_cmp_gt_f32_e64 s29, 0x33800000, v8
	v_subrev_co_ci_u32_e32 v12, vcc_lo, 0, v12, vcc_lo
	v_cmp_eq_f32_e32 vcc_lo, 0x7f800000, v8
	s_delay_alu instid0(VALU_DEP_2) | instskip(SKIP_2) | instid1(VALU_DEP_2)
	v_sub_nc_u32_e32 v15, 0, v12
	v_cvt_f32_i32_e32 v12, v12
	s_or_b32 vcc_lo, s29, vcc_lo
	v_ldexp_f32 v14, v14, v15
	v_ldexp_f32 v13, v13, v15
	s_delay_alu instid0(VALU_DEP_2) | instskip(SKIP_1) | instid1(VALU_DEP_1)
	v_add_f32_e32 v101, 1.0, v14
	v_add_f32_e32 v15, -1.0, v14
	v_dual_add_f32 v102, 1.0, v15 :: v_dual_add_f32 v17, -1.0, v101
	s_delay_alu instid0(VALU_DEP_1) | instskip(NEXT) | instid1(VALU_DEP_1)
	v_sub_f32_e32 v17, v14, v17
	v_dual_sub_f32 v14, v14, v102 :: v_dual_add_f32 v17, v13, v17
	s_delay_alu instid0(VALU_DEP_1) | instskip(NEXT) | instid1(VALU_DEP_2)
	v_add_f32_e32 v13, v13, v14
	v_add_f32_e32 v102, v101, v17
	s_delay_alu instid0(VALU_DEP_2) | instskip(NEXT) | instid1(VALU_DEP_2)
	v_add_f32_e32 v103, v15, v13
	v_rcp_f32_e32 v14, v102
	v_sub_f32_e32 v101, v101, v102
	s_delay_alu instid0(VALU_DEP_2) | instskip(SKIP_2) | instid1(VALU_DEP_1)
	v_sub_f32_e32 v15, v15, v103
	s_waitcnt_depctr 0xfff
	v_dual_add_f32 v13, v13, v15 :: v_dual_mul_f32 v104, v103, v14
	v_dual_mul_f32 v106, v102, v104 :: v_dual_add_f32 v17, v17, v101
	s_delay_alu instid0(VALU_DEP_1) | instskip(NEXT) | instid1(VALU_DEP_1)
	v_fma_f32 v101, v104, v102, -v106
	v_fmac_f32_e32 v101, v104, v17
	s_delay_alu instid0(VALU_DEP_1) | instskip(NEXT) | instid1(VALU_DEP_1)
	v_add_f32_e32 v107, v106, v101
	v_sub_f32_e32 v109, v103, v107
	v_sub_f32_e32 v15, v107, v106
	s_delay_alu instid0(VALU_DEP_2) | instskip(NEXT) | instid1(VALU_DEP_2)
	v_sub_f32_e32 v103, v103, v109
	v_sub_f32_e32 v15, v15, v101
	s_delay_alu instid0(VALU_DEP_2) | instskip(NEXT) | instid1(VALU_DEP_1)
	v_sub_f32_e32 v103, v103, v107
	v_add_f32_e32 v13, v13, v103
	s_delay_alu instid0(VALU_DEP_1) | instskip(NEXT) | instid1(VALU_DEP_1)
	v_add_f32_e32 v13, v15, v13
	v_add_f32_e32 v15, v109, v13
	s_delay_alu instid0(VALU_DEP_1) | instskip(NEXT) | instid1(VALU_DEP_1)
	v_mul_f32_e32 v101, v14, v15
	v_mul_f32_e32 v103, v102, v101
	s_delay_alu instid0(VALU_DEP_1) | instskip(NEXT) | instid1(VALU_DEP_1)
	v_fma_f32 v102, v101, v102, -v103
	v_fmac_f32_e32 v102, v101, v17
	v_sub_f32_e32 v107, v109, v15
	s_delay_alu instid0(VALU_DEP_2) | instskip(NEXT) | instid1(VALU_DEP_1)
	v_add_f32_e32 v17, v103, v102
	v_dual_add_f32 v13, v13, v107 :: v_dual_sub_f32 v106, v15, v17
	v_sub_f32_e32 v103, v17, v103
	s_delay_alu instid0(VALU_DEP_2) | instskip(NEXT) | instid1(VALU_DEP_1)
	v_sub_f32_e32 v15, v15, v106
	v_sub_f32_e32 v15, v15, v17
	s_delay_alu instid0(VALU_DEP_3) | instskip(NEXT) | instid1(VALU_DEP_2)
	v_sub_f32_e32 v17, v103, v102
	v_add_f32_e32 v13, v13, v15
	v_add_f32_e32 v15, v104, v101
	s_delay_alu instid0(VALU_DEP_2) | instskip(NEXT) | instid1(VALU_DEP_2)
	v_add_f32_e32 v13, v17, v13
	v_sub_f32_e32 v17, v15, v104
	s_delay_alu instid0(VALU_DEP_2) | instskip(NEXT) | instid1(VALU_DEP_2)
	v_add_f32_e32 v13, v106, v13
	v_sub_f32_e32 v17, v101, v17
	s_delay_alu instid0(VALU_DEP_2) | instskip(NEXT) | instid1(VALU_DEP_1)
	v_mul_f32_e32 v13, v14, v13
	v_add_f32_e32 v13, v17, v13
	s_delay_alu instid0(VALU_DEP_1) | instskip(NEXT) | instid1(VALU_DEP_1)
	v_add_f32_e32 v14, v15, v13
	v_mul_f32_e32 v17, v14, v14
	s_delay_alu instid0(VALU_DEP_1) | instskip(SKIP_1) | instid1(VALU_DEP_2)
	v_fmaak_f32 v101, s84, v17, 0x3ecc95a3
	v_mul_f32_e32 v102, v14, v17
	v_fmaak_f32 v17, v17, v101, 0x3f2aaada
	v_ldexp_f32 v101, v14, 1
	v_sub_f32_e32 v14, v14, v15
	s_delay_alu instid0(VALU_DEP_3) | instskip(NEXT) | instid1(VALU_DEP_2)
	v_dual_mul_f32 v17, v102, v17 :: v_dual_mul_f32 v102, 0x3f317218, v12
	v_sub_f32_e32 v13, v13, v14
	s_delay_alu instid0(VALU_DEP_2) | instskip(NEXT) | instid1(VALU_DEP_2)
	v_add_f32_e32 v15, v101, v17
	v_ldexp_f32 v13, v13, 1
	s_delay_alu instid0(VALU_DEP_2) | instskip(SKIP_1) | instid1(VALU_DEP_1)
	v_sub_f32_e32 v14, v15, v101
	v_fma_f32 v101, 0x3f317218, v12, -v102
	v_dual_sub_f32 v14, v17, v14 :: v_dual_fmac_f32 v101, 0xb102e308, v12
	s_delay_alu instid0(VALU_DEP_1) | instskip(NEXT) | instid1(VALU_DEP_1)
	v_dual_add_f32 v12, v13, v14 :: v_dual_add_f32 v13, v102, v101
	v_add_f32_e32 v14, v15, v12
	s_delay_alu instid0(VALU_DEP_2) | instskip(NEXT) | instid1(VALU_DEP_2)
	v_sub_f32_e32 v102, v13, v102
	v_add_f32_e32 v17, v13, v14
	v_sub_f32_e32 v15, v14, v15
	s_delay_alu instid0(VALU_DEP_3) | instskip(NEXT) | instid1(VALU_DEP_2)
	v_sub_f32_e32 v101, v101, v102
	v_dual_sub_f32 v103, v17, v13 :: v_dual_sub_f32 v12, v12, v15
	s_delay_alu instid0(VALU_DEP_1) | instskip(NEXT) | instid1(VALU_DEP_2)
	v_sub_f32_e32 v104, v17, v103
	v_dual_sub_f32 v14, v14, v103 :: v_dual_add_f32 v15, v101, v12
	s_delay_alu instid0(VALU_DEP_2) | instskip(NEXT) | instid1(VALU_DEP_1)
	v_sub_f32_e32 v13, v13, v104
	v_add_f32_e32 v13, v14, v13
	s_delay_alu instid0(VALU_DEP_3) | instskip(NEXT) | instid1(VALU_DEP_2)
	v_sub_f32_e32 v14, v15, v101
	v_add_f32_e32 v13, v15, v13
	s_delay_alu instid0(VALU_DEP_2) | instskip(SKIP_1) | instid1(VALU_DEP_3)
	v_sub_f32_e32 v15, v15, v14
	v_sub_f32_e32 v12, v12, v14
	v_add_f32_e32 v102, v17, v13
	s_delay_alu instid0(VALU_DEP_1) | instskip(NEXT) | instid1(VALU_DEP_1)
	v_dual_sub_f32 v15, v101, v15 :: v_dual_sub_f32 v14, v102, v17
	v_dual_add_f32 v12, v12, v15 :: v_dual_sub_f32 v13, v13, v14
	s_delay_alu instid0(VALU_DEP_1) | instskip(NEXT) | instid1(VALU_DEP_1)
	v_add_f32_e32 v12, v12, v13
	v_add_f32_e32 v12, v102, v12
	s_delay_alu instid0(VALU_DEP_1)
	v_cndmask_b32_e32 v116, v12, v8, vcc_lo
.LBB56_96:                              ;   in Loop: Header=BB56_12 Depth=1
	s_or_b32 exec_lo, exec_lo, s30
	v_and_b32_e32 v8, 0xffff0000, v9
	s_delay_alu instid0(VALU_DEP_1) | instskip(NEXT) | instid1(VALU_DEP_1)
	v_add_f32_e32 v121, s67, v8
	v_cmp_ge_f32_e32 vcc_lo, 0x41a00000, v121
	s_and_b32 s29, s80, vcc_lo
	s_delay_alu instid0(SALU_CYCLE_1)
	s_and_saveexec_b32 s30, s29
	s_cbranch_execz .LBB56_98
; %bb.97:                               ;   in Loop: Header=BB56_12 Depth=1
	v_mul_f32_e32 v8, 0x3fb8aa3b, v121
	v_cmp_ngt_f32_e32 vcc_lo, 0xc2ce8ed0, v121
	s_delay_alu instid0(VALU_DEP_2) | instskip(SKIP_1) | instid1(VALU_DEP_2)
	v_rndne_f32_e32 v9, v8
	v_fma_f32 v12, 0x3fb8aa3b, v121, -v8
	v_sub_f32_e32 v8, v8, v9
	s_delay_alu instid0(VALU_DEP_2) | instskip(SKIP_1) | instid1(VALU_DEP_2)
	v_fmac_f32_e32 v12, 0x32a5705f, v121
	v_cvt_i32_f32_e32 v9, v9
	v_add_f32_e32 v8, v8, v12
	s_delay_alu instid0(VALU_DEP_1) | instskip(SKIP_2) | instid1(VALU_DEP_1)
	v_exp_f32_e32 v8, v8
	s_waitcnt_depctr 0xfff
	v_ldexp_f32 v8, v8, v9
	v_cndmask_b32_e32 v8, 0, v8, vcc_lo
	v_cmp_nlt_f32_e32 vcc_lo, 0x42b17218, v121
	s_delay_alu instid0(VALU_DEP_2) | instskip(NEXT) | instid1(VALU_DEP_1)
	v_cndmask_b32_e32 v12, 0x7f800000, v8, vcc_lo
	v_add_f32_e32 v13, 1.0, v12
	s_delay_alu instid0(VALU_DEP_1) | instskip(NEXT) | instid1(VALU_DEP_1)
	v_cvt_f64_f32_e32 v[8:9], v13
	v_frexp_exp_i32_f64_e32 v8, v[8:9]
	v_frexp_mant_f32_e32 v9, v13
	s_delay_alu instid0(VALU_DEP_1) | instskip(SKIP_1) | instid1(VALU_DEP_1)
	v_cmp_gt_f32_e32 vcc_lo, 0x3f2aaaab, v9
	v_add_f32_e32 v9, -1.0, v13
	v_sub_f32_e32 v15, v9, v13
	s_delay_alu instid0(VALU_DEP_1) | instskip(SKIP_1) | instid1(VALU_DEP_1)
	v_add_f32_e32 v15, 1.0, v15
	v_subrev_co_ci_u32_e32 v8, vcc_lo, 0, v8, vcc_lo
	v_sub_nc_u32_e32 v14, 0, v8
	v_cvt_f32_i32_e32 v8, v8
	s_delay_alu instid0(VALU_DEP_2) | instskip(NEXT) | instid1(VALU_DEP_1)
	v_ldexp_f32 v13, v13, v14
	v_add_f32_e32 v17, 1.0, v13
	v_sub_f32_e32 v9, v12, v9
	v_cmp_eq_f32_e32 vcc_lo, 0x7f800000, v12
	v_cmp_gt_f32_e64 s29, 0x33800000, v12
	s_delay_alu instid0(VALU_DEP_3) | instskip(NEXT) | instid1(VALU_DEP_2)
	v_add_f32_e32 v9, v9, v15
	s_or_b32 vcc_lo, s29, vcc_lo
	s_delay_alu instid0(VALU_DEP_1) | instskip(SKIP_2) | instid1(VALU_DEP_1)
	v_ldexp_f32 v9, v9, v14
	v_add_f32_e32 v14, -1.0, v13
	v_add_f32_e32 v15, -1.0, v17
	v_sub_f32_e32 v15, v13, v15
	s_delay_alu instid0(VALU_DEP_3) | instskip(NEXT) | instid1(VALU_DEP_2)
	v_add_f32_e32 v101, 1.0, v14
	v_add_f32_e32 v15, v9, v15
	s_delay_alu instid0(VALU_DEP_2) | instskip(NEXT) | instid1(VALU_DEP_2)
	v_sub_f32_e32 v13, v13, v101
	v_add_f32_e32 v101, v17, v15
	s_delay_alu instid0(VALU_DEP_2) | instskip(NEXT) | instid1(VALU_DEP_2)
	v_add_f32_e32 v9, v9, v13
	v_rcp_f32_e32 v13, v101
	s_delay_alu instid0(VALU_DEP_1) | instskip(NEXT) | instid1(VALU_DEP_1)
	v_add_f32_e32 v102, v14, v9
	v_dual_sub_f32 v17, v17, v101 :: v_dual_sub_f32 v14, v14, v102
	s_delay_alu instid0(VALU_DEP_1) | instskip(SKIP_2) | instid1(VALU_DEP_1)
	v_add_f32_e32 v15, v15, v17
	s_waitcnt_depctr 0xfff
	v_mul_f32_e32 v103, v102, v13
	v_mul_f32_e32 v104, v101, v103
	s_delay_alu instid0(VALU_DEP_1) | instskip(NEXT) | instid1(VALU_DEP_1)
	v_fma_f32 v17, v103, v101, -v104
	v_fmac_f32_e32 v17, v103, v15
	s_delay_alu instid0(VALU_DEP_1) | instskip(NEXT) | instid1(VALU_DEP_1)
	v_add_f32_e32 v106, v104, v17
	v_sub_f32_e32 v107, v102, v106
	s_delay_alu instid0(VALU_DEP_1) | instskip(NEXT) | instid1(VALU_DEP_1)
	v_sub_f32_e32 v102, v102, v107
	v_sub_f32_e32 v102, v102, v106
	v_dual_add_f32 v9, v9, v14 :: v_dual_sub_f32 v14, v106, v104
	s_delay_alu instid0(VALU_DEP_1) | instskip(NEXT) | instid1(VALU_DEP_1)
	v_dual_sub_f32 v14, v14, v17 :: v_dual_add_f32 v9, v9, v102
	v_add_f32_e32 v9, v14, v9
	s_delay_alu instid0(VALU_DEP_1) | instskip(NEXT) | instid1(VALU_DEP_1)
	v_add_f32_e32 v14, v107, v9
	v_mul_f32_e32 v17, v13, v14
	s_delay_alu instid0(VALU_DEP_1) | instskip(NEXT) | instid1(VALU_DEP_1)
	v_mul_f32_e32 v102, v101, v17
	v_fma_f32 v101, v17, v101, -v102
	s_delay_alu instid0(VALU_DEP_1) | instskip(NEXT) | instid1(VALU_DEP_1)
	v_dual_fmac_f32 v101, v17, v15 :: v_dual_sub_f32 v106, v107, v14
	v_add_f32_e32 v15, v102, v101
	s_delay_alu instid0(VALU_DEP_1) | instskip(SKIP_1) | instid1(VALU_DEP_2)
	v_sub_f32_e32 v104, v14, v15
	v_sub_f32_e32 v102, v15, v102
	v_dual_add_f32 v9, v9, v106 :: v_dual_sub_f32 v14, v14, v104
	s_delay_alu instid0(VALU_DEP_1) | instskip(NEXT) | instid1(VALU_DEP_3)
	v_sub_f32_e32 v14, v14, v15
	v_sub_f32_e32 v15, v102, v101
	s_delay_alu instid0(VALU_DEP_2) | instskip(NEXT) | instid1(VALU_DEP_1)
	v_dual_add_f32 v9, v9, v14 :: v_dual_add_f32 v14, v103, v17
	v_add_f32_e32 v9, v15, v9
	s_delay_alu instid0(VALU_DEP_2) | instskip(NEXT) | instid1(VALU_DEP_2)
	v_sub_f32_e32 v15, v14, v103
	v_add_f32_e32 v9, v104, v9
	s_delay_alu instid0(VALU_DEP_2) | instskip(NEXT) | instid1(VALU_DEP_2)
	v_sub_f32_e32 v15, v17, v15
	v_mul_f32_e32 v9, v13, v9
	s_delay_alu instid0(VALU_DEP_1) | instskip(NEXT) | instid1(VALU_DEP_1)
	v_add_f32_e32 v9, v15, v9
	v_add_f32_e32 v13, v14, v9
	s_delay_alu instid0(VALU_DEP_1) | instskip(NEXT) | instid1(VALU_DEP_1)
	v_mul_f32_e32 v15, v13, v13
	v_fmaak_f32 v17, s84, v15, 0x3ecc95a3
	v_mul_f32_e32 v101, v13, v15
	s_delay_alu instid0(VALU_DEP_2) | instskip(SKIP_2) | instid1(VALU_DEP_3)
	v_fmaak_f32 v15, v15, v17, 0x3f2aaada
	v_ldexp_f32 v17, v13, 1
	v_sub_f32_e32 v13, v13, v14
	v_mul_f32_e32 v15, v101, v15
	v_mul_f32_e32 v101, 0x3f317218, v8
	s_delay_alu instid0(VALU_DEP_3) | instskip(NEXT) | instid1(VALU_DEP_3)
	v_sub_f32_e32 v9, v9, v13
	v_add_f32_e32 v14, v17, v15
	s_delay_alu instid0(VALU_DEP_2) | instskip(NEXT) | instid1(VALU_DEP_2)
	v_ldexp_f32 v9, v9, 1
	v_sub_f32_e32 v13, v14, v17
	v_fma_f32 v17, 0x3f317218, v8, -v101
	s_delay_alu instid0(VALU_DEP_2) | instskip(NEXT) | instid1(VALU_DEP_1)
	v_sub_f32_e32 v13, v15, v13
	v_dual_fmac_f32 v17, 0xb102e308, v8 :: v_dual_add_f32 v8, v9, v13
	s_delay_alu instid0(VALU_DEP_1) | instskip(NEXT) | instid1(VALU_DEP_2)
	v_add_f32_e32 v9, v101, v17
	v_add_f32_e32 v13, v14, v8
	s_delay_alu instid0(VALU_DEP_2) | instskip(NEXT) | instid1(VALU_DEP_2)
	v_sub_f32_e32 v101, v9, v101
	v_add_f32_e32 v15, v9, v13
	v_sub_f32_e32 v14, v13, v14
	s_delay_alu instid0(VALU_DEP_3) | instskip(NEXT) | instid1(VALU_DEP_3)
	v_sub_f32_e32 v17, v17, v101
	v_sub_f32_e32 v102, v15, v9
	s_delay_alu instid0(VALU_DEP_3) | instskip(NEXT) | instid1(VALU_DEP_2)
	v_sub_f32_e32 v8, v8, v14
	v_sub_f32_e32 v103, v15, v102
	;; [unrolled: 1-line block ×3, first 2 shown]
	s_delay_alu instid0(VALU_DEP_3) | instskip(NEXT) | instid1(VALU_DEP_3)
	v_add_f32_e32 v14, v17, v8
	v_sub_f32_e32 v9, v9, v103
	s_delay_alu instid0(VALU_DEP_1) | instskip(NEXT) | instid1(VALU_DEP_3)
	v_add_f32_e32 v9, v13, v9
	v_sub_f32_e32 v13, v14, v17
	s_delay_alu instid0(VALU_DEP_2) | instskip(NEXT) | instid1(VALU_DEP_2)
	v_add_f32_e32 v9, v14, v9
	v_sub_f32_e32 v14, v14, v13
	v_sub_f32_e32 v8, v8, v13
	s_delay_alu instid0(VALU_DEP_2) | instskip(NEXT) | instid1(VALU_DEP_1)
	v_dual_add_f32 v101, v15, v9 :: v_dual_sub_f32 v14, v17, v14
	v_dual_sub_f32 v13, v101, v15 :: v_dual_add_f32 v8, v8, v14
	s_delay_alu instid0(VALU_DEP_1) | instskip(NEXT) | instid1(VALU_DEP_1)
	v_sub_f32_e32 v9, v9, v13
	v_add_f32_e32 v8, v8, v9
	s_delay_alu instid0(VALU_DEP_1) | instskip(NEXT) | instid1(VALU_DEP_1)
	v_add_f32_e32 v8, v101, v8
	v_cndmask_b32_e32 v121, v8, v12, vcc_lo
.LBB56_98:                              ;   in Loop: Header=BB56_12 Depth=1
	s_or_b32 exec_lo, exec_lo, s30
	v_lshlrev_b32_e32 v8, 16, v10
	s_delay_alu instid0(VALU_DEP_1) | instskip(NEXT) | instid1(VALU_DEP_1)
	v_add_f32_e32 v122, s67, v8
	v_cmp_ge_f32_e32 vcc_lo, 0x41a00000, v122
	s_and_b32 s29, s80, vcc_lo
	s_delay_alu instid0(SALU_CYCLE_1)
	s_and_saveexec_b32 s30, s29
	s_cbranch_execz .LBB56_100
; %bb.99:                               ;   in Loop: Header=BB56_12 Depth=1
	v_mul_f32_e32 v8, 0x3fb8aa3b, v122
	v_cmp_ngt_f32_e32 vcc_lo, 0xc2ce8ed0, v122
	s_delay_alu instid0(VALU_DEP_2) | instskip(SKIP_1) | instid1(VALU_DEP_2)
	v_rndne_f32_e32 v9, v8
	v_fma_f32 v12, 0x3fb8aa3b, v122, -v8
	v_sub_f32_e32 v8, v8, v9
	s_delay_alu instid0(VALU_DEP_2) | instskip(SKIP_1) | instid1(VALU_DEP_2)
	v_fmac_f32_e32 v12, 0x32a5705f, v122
	v_cvt_i32_f32_e32 v9, v9
	v_add_f32_e32 v8, v8, v12
	s_delay_alu instid0(VALU_DEP_1) | instskip(SKIP_2) | instid1(VALU_DEP_1)
	v_exp_f32_e32 v8, v8
	s_waitcnt_depctr 0xfff
	v_ldexp_f32 v8, v8, v9
	v_cndmask_b32_e32 v8, 0, v8, vcc_lo
	v_cmp_nlt_f32_e32 vcc_lo, 0x42b17218, v122
	s_delay_alu instid0(VALU_DEP_2) | instskip(NEXT) | instid1(VALU_DEP_1)
	v_cndmask_b32_e32 v12, 0x7f800000, v8, vcc_lo
	v_add_f32_e32 v13, 1.0, v12
	s_delay_alu instid0(VALU_DEP_1) | instskip(NEXT) | instid1(VALU_DEP_1)
	v_cvt_f64_f32_e32 v[8:9], v13
	v_frexp_exp_i32_f64_e32 v8, v[8:9]
	v_frexp_mant_f32_e32 v9, v13
	s_delay_alu instid0(VALU_DEP_1) | instskip(SKIP_1) | instid1(VALU_DEP_1)
	v_cmp_gt_f32_e32 vcc_lo, 0x3f2aaaab, v9
	v_add_f32_e32 v9, -1.0, v13
	v_sub_f32_e32 v15, v9, v13
	s_delay_alu instid0(VALU_DEP_1) | instskip(SKIP_1) | instid1(VALU_DEP_1)
	v_add_f32_e32 v15, 1.0, v15
	v_subrev_co_ci_u32_e32 v8, vcc_lo, 0, v8, vcc_lo
	v_sub_nc_u32_e32 v14, 0, v8
	v_cvt_f32_i32_e32 v8, v8
	s_delay_alu instid0(VALU_DEP_2) | instskip(NEXT) | instid1(VALU_DEP_1)
	v_ldexp_f32 v13, v13, v14
	v_add_f32_e32 v17, 1.0, v13
	v_sub_f32_e32 v9, v12, v9
	v_cmp_eq_f32_e32 vcc_lo, 0x7f800000, v12
	v_cmp_gt_f32_e64 s29, 0x33800000, v12
	s_delay_alu instid0(VALU_DEP_3) | instskip(SKIP_1) | instid1(VALU_DEP_3)
	v_add_f32_e32 v9, v9, v15
	v_add_f32_e32 v15, -1.0, v17
	s_or_b32 vcc_lo, s29, vcc_lo
	s_delay_alu instid0(VALU_DEP_2) | instskip(NEXT) | instid1(VALU_DEP_2)
	v_ldexp_f32 v9, v9, v14
	v_dual_add_f32 v14, -1.0, v13 :: v_dual_sub_f32 v15, v13, v15
	s_delay_alu instid0(VALU_DEP_1) | instskip(NEXT) | instid1(VALU_DEP_2)
	v_add_f32_e32 v101, 1.0, v14
	v_add_f32_e32 v15, v9, v15
	s_delay_alu instid0(VALU_DEP_2) | instskip(NEXT) | instid1(VALU_DEP_1)
	v_sub_f32_e32 v13, v13, v101
	v_add_f32_e32 v9, v9, v13
	s_delay_alu instid0(VALU_DEP_1) | instskip(NEXT) | instid1(VALU_DEP_1)
	v_add_f32_e32 v102, v14, v9
	v_dual_sub_f32 v14, v14, v102 :: v_dual_add_f32 v101, v17, v15
	s_delay_alu instid0(VALU_DEP_1) | instskip(SKIP_1) | instid1(VALU_DEP_1)
	v_rcp_f32_e32 v13, v101
	v_sub_f32_e32 v17, v17, v101
	v_add_f32_e32 v15, v15, v17
	s_waitcnt_depctr 0xfff
	v_mul_f32_e32 v103, v102, v13
	s_delay_alu instid0(VALU_DEP_1) | instskip(NEXT) | instid1(VALU_DEP_1)
	v_mul_f32_e32 v104, v101, v103
	v_fma_f32 v17, v103, v101, -v104
	s_delay_alu instid0(VALU_DEP_1) | instskip(NEXT) | instid1(VALU_DEP_1)
	v_fmac_f32_e32 v17, v103, v15
	v_add_f32_e32 v106, v104, v17
	s_delay_alu instid0(VALU_DEP_1) | instskip(NEXT) | instid1(VALU_DEP_1)
	v_sub_f32_e32 v107, v102, v106
	v_sub_f32_e32 v102, v102, v107
	s_delay_alu instid0(VALU_DEP_1) | instskip(SKIP_1) | instid1(VALU_DEP_1)
	v_sub_f32_e32 v102, v102, v106
	v_dual_add_f32 v9, v9, v14 :: v_dual_sub_f32 v14, v106, v104
	v_dual_sub_f32 v14, v14, v17 :: v_dual_add_f32 v9, v9, v102
	s_delay_alu instid0(VALU_DEP_1) | instskip(NEXT) | instid1(VALU_DEP_1)
	v_add_f32_e32 v9, v14, v9
	v_add_f32_e32 v14, v107, v9
	s_delay_alu instid0(VALU_DEP_1) | instskip(NEXT) | instid1(VALU_DEP_1)
	v_mul_f32_e32 v17, v13, v14
	v_mul_f32_e32 v102, v101, v17
	s_delay_alu instid0(VALU_DEP_1) | instskip(NEXT) | instid1(VALU_DEP_1)
	v_fma_f32 v101, v17, v101, -v102
	v_dual_fmac_f32 v101, v17, v15 :: v_dual_sub_f32 v106, v107, v14
	s_delay_alu instid0(VALU_DEP_1) | instskip(NEXT) | instid1(VALU_DEP_1)
	v_add_f32_e32 v15, v102, v101
	v_sub_f32_e32 v104, v14, v15
	v_sub_f32_e32 v102, v15, v102
	s_delay_alu instid0(VALU_DEP_2) | instskip(NEXT) | instid1(VALU_DEP_1)
	v_dual_add_f32 v9, v9, v106 :: v_dual_sub_f32 v14, v14, v104
	v_sub_f32_e32 v14, v14, v15
	s_delay_alu instid0(VALU_DEP_3) | instskip(NEXT) | instid1(VALU_DEP_2)
	v_sub_f32_e32 v15, v102, v101
	v_dual_add_f32 v9, v9, v14 :: v_dual_add_f32 v14, v103, v17
	s_delay_alu instid0(VALU_DEP_1) | instskip(NEXT) | instid1(VALU_DEP_2)
	v_add_f32_e32 v9, v15, v9
	v_sub_f32_e32 v15, v14, v103
	s_delay_alu instid0(VALU_DEP_2) | instskip(NEXT) | instid1(VALU_DEP_2)
	v_add_f32_e32 v9, v104, v9
	v_sub_f32_e32 v15, v17, v15
	s_delay_alu instid0(VALU_DEP_2) | instskip(NEXT) | instid1(VALU_DEP_1)
	v_mul_f32_e32 v9, v13, v9
	v_add_f32_e32 v9, v15, v9
	s_delay_alu instid0(VALU_DEP_1) | instskip(NEXT) | instid1(VALU_DEP_1)
	v_add_f32_e32 v13, v14, v9
	v_mul_f32_e32 v15, v13, v13
	s_delay_alu instid0(VALU_DEP_1) | instskip(SKIP_1) | instid1(VALU_DEP_2)
	v_fmaak_f32 v17, s84, v15, 0x3ecc95a3
	v_mul_f32_e32 v101, v13, v15
	v_fmaak_f32 v15, v15, v17, 0x3f2aaada
	v_ldexp_f32 v17, v13, 1
	v_sub_f32_e32 v13, v13, v14
	s_delay_alu instid0(VALU_DEP_3) | instskip(SKIP_1) | instid1(VALU_DEP_3)
	v_mul_f32_e32 v15, v101, v15
	v_mul_f32_e32 v101, 0x3f317218, v8
	v_sub_f32_e32 v9, v9, v13
	s_delay_alu instid0(VALU_DEP_3) | instskip(NEXT) | instid1(VALU_DEP_2)
	v_add_f32_e32 v14, v17, v15
	v_ldexp_f32 v9, v9, 1
	s_delay_alu instid0(VALU_DEP_2) | instskip(SKIP_1) | instid1(VALU_DEP_2)
	v_sub_f32_e32 v13, v14, v17
	v_fma_f32 v17, 0x3f317218, v8, -v101
	v_sub_f32_e32 v13, v15, v13
	s_delay_alu instid0(VALU_DEP_1) | instskip(NEXT) | instid1(VALU_DEP_1)
	v_dual_fmac_f32 v17, 0xb102e308, v8 :: v_dual_add_f32 v8, v9, v13
	v_add_f32_e32 v9, v101, v17
	s_delay_alu instid0(VALU_DEP_2) | instskip(NEXT) | instid1(VALU_DEP_2)
	v_add_f32_e32 v13, v14, v8
	v_sub_f32_e32 v101, v9, v101
	s_delay_alu instid0(VALU_DEP_2) | instskip(SKIP_1) | instid1(VALU_DEP_3)
	v_add_f32_e32 v15, v9, v13
	v_sub_f32_e32 v14, v13, v14
	v_sub_f32_e32 v17, v17, v101
	s_delay_alu instid0(VALU_DEP_3) | instskip(NEXT) | instid1(VALU_DEP_3)
	v_sub_f32_e32 v102, v15, v9
	v_sub_f32_e32 v8, v8, v14
	s_delay_alu instid0(VALU_DEP_2) | instskip(SKIP_1) | instid1(VALU_DEP_3)
	v_sub_f32_e32 v103, v15, v102
	v_sub_f32_e32 v13, v13, v102
	v_add_f32_e32 v14, v17, v8
	s_delay_alu instid0(VALU_DEP_3) | instskip(NEXT) | instid1(VALU_DEP_1)
	v_sub_f32_e32 v9, v9, v103
	v_add_f32_e32 v9, v13, v9
	s_delay_alu instid0(VALU_DEP_3) | instskip(NEXT) | instid1(VALU_DEP_2)
	v_sub_f32_e32 v13, v14, v17
	v_add_f32_e32 v9, v14, v9
	s_delay_alu instid0(VALU_DEP_2) | instskip(SKIP_1) | instid1(VALU_DEP_2)
	v_sub_f32_e32 v14, v14, v13
	v_sub_f32_e32 v8, v8, v13
	v_dual_add_f32 v101, v15, v9 :: v_dual_sub_f32 v14, v17, v14
	s_delay_alu instid0(VALU_DEP_1) | instskip(NEXT) | instid1(VALU_DEP_1)
	v_dual_sub_f32 v13, v101, v15 :: v_dual_add_f32 v8, v8, v14
	v_sub_f32_e32 v9, v9, v13
	s_delay_alu instid0(VALU_DEP_1) | instskip(NEXT) | instid1(VALU_DEP_1)
	v_add_f32_e32 v8, v8, v9
	v_add_f32_e32 v8, v101, v8
	s_delay_alu instid0(VALU_DEP_1)
	v_cndmask_b32_e32 v122, v8, v12, vcc_lo
.LBB56_100:                             ;   in Loop: Header=BB56_12 Depth=1
	s_or_b32 exec_lo, exec_lo, s30
	v_and_b32_e32 v8, 0xffff0000, v10
	s_delay_alu instid0(VALU_DEP_1) | instskip(NEXT) | instid1(VALU_DEP_1)
	v_add_f32_e32 v123, s67, v8
	v_cmp_ge_f32_e32 vcc_lo, 0x41a00000, v123
	s_and_b32 s29, s80, vcc_lo
	s_delay_alu instid0(SALU_CYCLE_1)
	s_and_saveexec_b32 s30, s29
	s_cbranch_execz .LBB56_102
; %bb.101:                              ;   in Loop: Header=BB56_12 Depth=1
	v_mul_f32_e32 v8, 0x3fb8aa3b, v123
	v_cmp_ngt_f32_e32 vcc_lo, 0xc2ce8ed0, v123
	s_delay_alu instid0(VALU_DEP_2) | instskip(SKIP_1) | instid1(VALU_DEP_2)
	v_rndne_f32_e32 v9, v8
	v_fma_f32 v10, 0x3fb8aa3b, v123, -v8
	v_sub_f32_e32 v8, v8, v9
	s_delay_alu instid0(VALU_DEP_2) | instskip(SKIP_1) | instid1(VALU_DEP_2)
	v_fmac_f32_e32 v10, 0x32a5705f, v123
	v_cvt_i32_f32_e32 v9, v9
	v_add_f32_e32 v8, v8, v10
	s_delay_alu instid0(VALU_DEP_1) | instskip(SKIP_2) | instid1(VALU_DEP_1)
	v_exp_f32_e32 v8, v8
	s_waitcnt_depctr 0xfff
	v_ldexp_f32 v8, v8, v9
	v_cndmask_b32_e32 v8, 0, v8, vcc_lo
	v_cmp_nlt_f32_e32 vcc_lo, 0x42b17218, v123
	s_delay_alu instid0(VALU_DEP_2) | instskip(NEXT) | instid1(VALU_DEP_1)
	v_cndmask_b32_e32 v10, 0x7f800000, v8, vcc_lo
	v_add_f32_e32 v12, 1.0, v10
	s_delay_alu instid0(VALU_DEP_1) | instskip(NEXT) | instid1(VALU_DEP_1)
	v_cvt_f64_f32_e32 v[8:9], v12
	v_frexp_exp_i32_f64_e32 v8, v[8:9]
	v_frexp_mant_f32_e32 v9, v12
	s_delay_alu instid0(VALU_DEP_1) | instskip(SKIP_1) | instid1(VALU_DEP_1)
	v_cmp_gt_f32_e32 vcc_lo, 0x3f2aaaab, v9
	v_add_f32_e32 v9, -1.0, v12
	v_dual_sub_f32 v14, v9, v12 :: v_dual_sub_f32 v9, v10, v9
	v_subrev_co_ci_u32_e32 v8, vcc_lo, 0, v8, vcc_lo
	s_delay_alu instid0(VALU_DEP_1) | instskip(SKIP_1) | instid1(VALU_DEP_2)
	v_sub_nc_u32_e32 v13, 0, v8
	v_cvt_f32_i32_e32 v8, v8
	v_ldexp_f32 v12, v12, v13
	s_delay_alu instid0(VALU_DEP_1) | instskip(NEXT) | instid1(VALU_DEP_1)
	v_dual_add_f32 v14, 1.0, v14 :: v_dual_add_f32 v15, 1.0, v12
	v_add_f32_e32 v9, v9, v14
	s_delay_alu instid0(VALU_DEP_1) | instskip(NEXT) | instid1(VALU_DEP_3)
	v_ldexp_f32 v9, v9, v13
	v_dual_add_f32 v13, -1.0, v12 :: v_dual_add_f32 v14, -1.0, v15
	s_delay_alu instid0(VALU_DEP_1) | instskip(NEXT) | instid1(VALU_DEP_1)
	v_dual_add_f32 v17, 1.0, v13 :: v_dual_sub_f32 v14, v12, v14
	v_sub_f32_e32 v12, v12, v17
	s_delay_alu instid0(VALU_DEP_2) | instskip(NEXT) | instid1(VALU_DEP_2)
	v_add_f32_e32 v14, v9, v14
	v_add_f32_e32 v9, v9, v12
	s_delay_alu instid0(VALU_DEP_2) | instskip(SKIP_2) | instid1(VALU_DEP_4)
	v_add_f32_e32 v17, v15, v14
	v_cmp_eq_f32_e32 vcc_lo, 0x7f800000, v10
	v_cmp_gt_f32_e64 s29, 0x33800000, v10
	v_add_f32_e32 v101, v13, v9
	s_delay_alu instid0(VALU_DEP_4) | instskip(SKIP_1) | instid1(VALU_DEP_3)
	v_rcp_f32_e32 v12, v17
	v_sub_f32_e32 v15, v15, v17
	s_or_b32 vcc_lo, s29, vcc_lo
	s_delay_alu instid0(VALU_DEP_1) | instskip(NEXT) | instid1(VALU_DEP_1)
	v_dual_sub_f32 v13, v13, v101 :: v_dual_add_f32 v14, v14, v15
	v_add_f32_e32 v9, v9, v13
	s_waitcnt_depctr 0xfff
	v_mul_f32_e32 v102, v101, v12
	s_delay_alu instid0(VALU_DEP_1) | instskip(NEXT) | instid1(VALU_DEP_1)
	v_mul_f32_e32 v103, v17, v102
	v_fma_f32 v15, v102, v17, -v103
	s_delay_alu instid0(VALU_DEP_1) | instskip(NEXT) | instid1(VALU_DEP_1)
	v_fmac_f32_e32 v15, v102, v14
	v_add_f32_e32 v104, v103, v15
	s_delay_alu instid0(VALU_DEP_1) | instskip(NEXT) | instid1(VALU_DEP_1)
	v_dual_sub_f32 v106, v101, v104 :: v_dual_sub_f32 v13, v104, v103
	v_sub_f32_e32 v101, v101, v106
	s_delay_alu instid0(VALU_DEP_2) | instskip(NEXT) | instid1(VALU_DEP_2)
	v_sub_f32_e32 v13, v13, v15
	v_sub_f32_e32 v101, v101, v104
	s_delay_alu instid0(VALU_DEP_1) | instskip(NEXT) | instid1(VALU_DEP_1)
	v_add_f32_e32 v9, v9, v101
	v_add_f32_e32 v9, v13, v9
	s_delay_alu instid0(VALU_DEP_1) | instskip(NEXT) | instid1(VALU_DEP_1)
	v_add_f32_e32 v13, v106, v9
	v_mul_f32_e32 v15, v12, v13
	s_delay_alu instid0(VALU_DEP_1) | instskip(NEXT) | instid1(VALU_DEP_1)
	v_dual_sub_f32 v104, v106, v13 :: v_dual_mul_f32 v101, v17, v15
	v_add_f32_e32 v9, v9, v104
	s_delay_alu instid0(VALU_DEP_2) | instskip(NEXT) | instid1(VALU_DEP_1)
	v_fma_f32 v17, v15, v17, -v101
	v_fmac_f32_e32 v17, v15, v14
	s_delay_alu instid0(VALU_DEP_1) | instskip(NEXT) | instid1(VALU_DEP_1)
	v_add_f32_e32 v14, v101, v17
	v_sub_f32_e32 v103, v13, v14
	s_delay_alu instid0(VALU_DEP_1) | instskip(NEXT) | instid1(VALU_DEP_1)
	v_sub_f32_e32 v13, v13, v103
	v_sub_f32_e32 v13, v13, v14
	s_delay_alu instid0(VALU_DEP_1) | instskip(SKIP_2) | instid1(VALU_DEP_1)
	v_add_f32_e32 v9, v9, v13
	v_add_f32_e32 v13, v102, v15
	v_sub_f32_e32 v101, v14, v101
	v_sub_f32_e32 v14, v101, v17
	s_delay_alu instid0(VALU_DEP_1) | instskip(NEXT) | instid1(VALU_DEP_1)
	v_dual_add_f32 v9, v14, v9 :: v_dual_sub_f32 v14, v13, v102
	v_add_f32_e32 v9, v103, v9
	s_delay_alu instid0(VALU_DEP_1) | instskip(NEXT) | instid1(VALU_DEP_1)
	v_dual_sub_f32 v14, v15, v14 :: v_dual_mul_f32 v9, v12, v9
	v_add_f32_e32 v9, v14, v9
	s_delay_alu instid0(VALU_DEP_1) | instskip(NEXT) | instid1(VALU_DEP_1)
	v_add_f32_e32 v12, v13, v9
	v_mul_f32_e32 v14, v12, v12
	s_delay_alu instid0(VALU_DEP_1) | instskip(NEXT) | instid1(VALU_DEP_1)
	v_fmaak_f32 v15, s84, v14, 0x3ecc95a3
	v_dual_mul_f32 v17, v12, v14 :: v_dual_fmaak_f32 v14, v14, v15, 0x3f2aaada
	v_ldexp_f32 v15, v12, 1
	v_sub_f32_e32 v12, v12, v13
	s_delay_alu instid0(VALU_DEP_3) | instskip(NEXT) | instid1(VALU_DEP_2)
	v_dual_mul_f32 v14, v17, v14 :: v_dual_mul_f32 v17, 0x3f317218, v8
	v_sub_f32_e32 v9, v9, v12
	s_delay_alu instid0(VALU_DEP_2) | instskip(NEXT) | instid1(VALU_DEP_2)
	v_add_f32_e32 v13, v15, v14
	v_ldexp_f32 v9, v9, 1
	s_delay_alu instid0(VALU_DEP_2) | instskip(SKIP_1) | instid1(VALU_DEP_2)
	v_sub_f32_e32 v12, v13, v15
	v_fma_f32 v15, 0x3f317218, v8, -v17
	v_sub_f32_e32 v12, v14, v12
	s_delay_alu instid0(VALU_DEP_2) | instskip(NEXT) | instid1(VALU_DEP_2)
	v_fmac_f32_e32 v15, 0xb102e308, v8
	v_add_f32_e32 v8, v9, v12
	s_delay_alu instid0(VALU_DEP_2) | instskip(NEXT) | instid1(VALU_DEP_2)
	v_add_f32_e32 v9, v17, v15
	v_add_f32_e32 v12, v13, v8
	s_delay_alu instid0(VALU_DEP_2) | instskip(NEXT) | instid1(VALU_DEP_2)
	v_sub_f32_e32 v17, v9, v17
	v_dual_add_f32 v14, v9, v12 :: v_dual_sub_f32 v13, v12, v13
	s_delay_alu instid0(VALU_DEP_2) | instskip(NEXT) | instid1(VALU_DEP_2)
	v_sub_f32_e32 v15, v15, v17
	v_sub_f32_e32 v101, v14, v9
	s_delay_alu instid0(VALU_DEP_3) | instskip(NEXT) | instid1(VALU_DEP_2)
	v_sub_f32_e32 v8, v8, v13
	v_sub_f32_e32 v102, v14, v101
	s_delay_alu instid0(VALU_DEP_2) | instskip(NEXT) | instid1(VALU_DEP_2)
	v_dual_sub_f32 v12, v12, v101 :: v_dual_add_f32 v13, v15, v8
	v_sub_f32_e32 v9, v9, v102
	s_delay_alu instid0(VALU_DEP_1) | instskip(NEXT) | instid1(VALU_DEP_1)
	v_dual_add_f32 v9, v12, v9 :: v_dual_sub_f32 v12, v13, v15
	v_add_f32_e32 v9, v13, v9
	s_delay_alu instid0(VALU_DEP_2) | instskip(NEXT) | instid1(VALU_DEP_2)
	v_sub_f32_e32 v13, v13, v12
	v_dual_sub_f32 v8, v8, v12 :: v_dual_add_f32 v17, v14, v9
	s_delay_alu instid0(VALU_DEP_1) | instskip(NEXT) | instid1(VALU_DEP_1)
	v_dual_sub_f32 v13, v15, v13 :: v_dual_sub_f32 v12, v17, v14
	v_dual_add_f32 v8, v8, v13 :: v_dual_sub_f32 v9, v9, v12
	s_delay_alu instid0(VALU_DEP_1) | instskip(NEXT) | instid1(VALU_DEP_1)
	v_add_f32_e32 v8, v8, v9
	v_add_f32_e32 v8, v17, v8
	s_delay_alu instid0(VALU_DEP_1)
	v_cndmask_b32_e32 v123, v8, v10, vcc_lo
.LBB56_102:                             ;   in Loop: Header=BB56_12 Depth=1
	s_or_b32 exec_lo, exec_lo, s30
	v_lshlrev_b32_e32 v8, 16, v11
	s_delay_alu instid0(VALU_DEP_1) | instskip(NEXT) | instid1(VALU_DEP_1)
	v_add_f32_e32 v124, s67, v8
	v_cmp_ge_f32_e32 vcc_lo, 0x41a00000, v124
	s_and_b32 s29, s80, vcc_lo
	s_delay_alu instid0(SALU_CYCLE_1)
	s_and_saveexec_b32 s30, s29
	s_cbranch_execz .LBB56_104
; %bb.103:                              ;   in Loop: Header=BB56_12 Depth=1
	v_mul_f32_e32 v8, 0x3fb8aa3b, v124
	v_cmp_ngt_f32_e32 vcc_lo, 0xc2ce8ed0, v124
	s_delay_alu instid0(VALU_DEP_2) | instskip(SKIP_1) | instid1(VALU_DEP_2)
	v_rndne_f32_e32 v9, v8
	v_fma_f32 v10, 0x3fb8aa3b, v124, -v8
	v_sub_f32_e32 v8, v8, v9
	s_delay_alu instid0(VALU_DEP_2) | instskip(SKIP_1) | instid1(VALU_DEP_2)
	v_fmac_f32_e32 v10, 0x32a5705f, v124
	v_cvt_i32_f32_e32 v9, v9
	v_add_f32_e32 v8, v8, v10
	s_delay_alu instid0(VALU_DEP_1) | instskip(SKIP_2) | instid1(VALU_DEP_1)
	v_exp_f32_e32 v8, v8
	s_waitcnt_depctr 0xfff
	v_ldexp_f32 v8, v8, v9
	v_cndmask_b32_e32 v8, 0, v8, vcc_lo
	v_cmp_nlt_f32_e32 vcc_lo, 0x42b17218, v124
	s_delay_alu instid0(VALU_DEP_2) | instskip(NEXT) | instid1(VALU_DEP_1)
	v_cndmask_b32_e32 v10, 0x7f800000, v8, vcc_lo
	v_add_f32_e32 v12, 1.0, v10
	s_delay_alu instid0(VALU_DEP_1) | instskip(NEXT) | instid1(VALU_DEP_1)
	v_cvt_f64_f32_e32 v[8:9], v12
	v_frexp_exp_i32_f64_e32 v8, v[8:9]
	v_frexp_mant_f32_e32 v9, v12
	s_delay_alu instid0(VALU_DEP_1) | instskip(SKIP_1) | instid1(VALU_DEP_1)
	v_cmp_gt_f32_e32 vcc_lo, 0x3f2aaaab, v9
	v_add_f32_e32 v9, -1.0, v12
	v_dual_sub_f32 v14, v9, v12 :: v_dual_sub_f32 v9, v10, v9
	v_subrev_co_ci_u32_e32 v8, vcc_lo, 0, v8, vcc_lo
	s_delay_alu instid0(VALU_DEP_1) | instskip(SKIP_1) | instid1(VALU_DEP_2)
	v_sub_nc_u32_e32 v13, 0, v8
	v_cvt_f32_i32_e32 v8, v8
	v_ldexp_f32 v12, v12, v13
	s_delay_alu instid0(VALU_DEP_1) | instskip(NEXT) | instid1(VALU_DEP_1)
	v_dual_add_f32 v14, 1.0, v14 :: v_dual_add_f32 v15, 1.0, v12
	v_add_f32_e32 v9, v9, v14
	s_delay_alu instid0(VALU_DEP_1) | instskip(NEXT) | instid1(VALU_DEP_3)
	v_ldexp_f32 v9, v9, v13
	v_dual_add_f32 v13, -1.0, v12 :: v_dual_add_f32 v14, -1.0, v15
	s_delay_alu instid0(VALU_DEP_1) | instskip(NEXT) | instid1(VALU_DEP_1)
	v_dual_add_f32 v17, 1.0, v13 :: v_dual_sub_f32 v14, v12, v14
	v_sub_f32_e32 v12, v12, v17
	s_delay_alu instid0(VALU_DEP_2) | instskip(NEXT) | instid1(VALU_DEP_2)
	v_add_f32_e32 v14, v9, v14
	v_add_f32_e32 v9, v9, v12
	s_delay_alu instid0(VALU_DEP_2) | instskip(SKIP_2) | instid1(VALU_DEP_4)
	v_add_f32_e32 v17, v15, v14
	v_cmp_eq_f32_e32 vcc_lo, 0x7f800000, v10
	v_cmp_gt_f32_e64 s29, 0x33800000, v10
	v_add_f32_e32 v101, v13, v9
	s_delay_alu instid0(VALU_DEP_4) | instskip(SKIP_1) | instid1(VALU_DEP_3)
	v_rcp_f32_e32 v12, v17
	v_sub_f32_e32 v15, v15, v17
	s_or_b32 vcc_lo, s29, vcc_lo
	s_delay_alu instid0(VALU_DEP_1) | instskip(NEXT) | instid1(VALU_DEP_1)
	v_dual_sub_f32 v13, v13, v101 :: v_dual_add_f32 v14, v14, v15
	v_add_f32_e32 v9, v9, v13
	s_waitcnt_depctr 0xfff
	v_mul_f32_e32 v102, v101, v12
	s_delay_alu instid0(VALU_DEP_1) | instskip(NEXT) | instid1(VALU_DEP_1)
	v_mul_f32_e32 v103, v17, v102
	v_fma_f32 v15, v102, v17, -v103
	s_delay_alu instid0(VALU_DEP_1) | instskip(NEXT) | instid1(VALU_DEP_1)
	v_fmac_f32_e32 v15, v102, v14
	v_add_f32_e32 v104, v103, v15
	s_delay_alu instid0(VALU_DEP_1) | instskip(NEXT) | instid1(VALU_DEP_1)
	v_dual_sub_f32 v106, v101, v104 :: v_dual_sub_f32 v13, v104, v103
	v_sub_f32_e32 v101, v101, v106
	s_delay_alu instid0(VALU_DEP_2) | instskip(NEXT) | instid1(VALU_DEP_2)
	v_sub_f32_e32 v13, v13, v15
	v_sub_f32_e32 v101, v101, v104
	s_delay_alu instid0(VALU_DEP_1) | instskip(NEXT) | instid1(VALU_DEP_1)
	v_add_f32_e32 v9, v9, v101
	v_add_f32_e32 v9, v13, v9
	s_delay_alu instid0(VALU_DEP_1) | instskip(NEXT) | instid1(VALU_DEP_1)
	v_add_f32_e32 v13, v106, v9
	v_mul_f32_e32 v15, v12, v13
	s_delay_alu instid0(VALU_DEP_1) | instskip(NEXT) | instid1(VALU_DEP_1)
	v_dual_sub_f32 v104, v106, v13 :: v_dual_mul_f32 v101, v17, v15
	v_add_f32_e32 v9, v9, v104
	s_delay_alu instid0(VALU_DEP_2) | instskip(NEXT) | instid1(VALU_DEP_1)
	v_fma_f32 v17, v15, v17, -v101
	v_fmac_f32_e32 v17, v15, v14
	s_delay_alu instid0(VALU_DEP_1) | instskip(NEXT) | instid1(VALU_DEP_1)
	v_add_f32_e32 v14, v101, v17
	v_sub_f32_e32 v103, v13, v14
	s_delay_alu instid0(VALU_DEP_1) | instskip(NEXT) | instid1(VALU_DEP_1)
	v_sub_f32_e32 v13, v13, v103
	v_sub_f32_e32 v13, v13, v14
	s_delay_alu instid0(VALU_DEP_1) | instskip(SKIP_2) | instid1(VALU_DEP_1)
	v_add_f32_e32 v9, v9, v13
	v_add_f32_e32 v13, v102, v15
	v_sub_f32_e32 v101, v14, v101
	v_sub_f32_e32 v14, v101, v17
	s_delay_alu instid0(VALU_DEP_1) | instskip(NEXT) | instid1(VALU_DEP_1)
	v_dual_add_f32 v9, v14, v9 :: v_dual_sub_f32 v14, v13, v102
	v_add_f32_e32 v9, v103, v9
	s_delay_alu instid0(VALU_DEP_1) | instskip(NEXT) | instid1(VALU_DEP_1)
	v_dual_sub_f32 v14, v15, v14 :: v_dual_mul_f32 v9, v12, v9
	v_add_f32_e32 v9, v14, v9
	s_delay_alu instid0(VALU_DEP_1) | instskip(NEXT) | instid1(VALU_DEP_1)
	v_add_f32_e32 v12, v13, v9
	v_mul_f32_e32 v14, v12, v12
	s_delay_alu instid0(VALU_DEP_1) | instskip(NEXT) | instid1(VALU_DEP_1)
	v_fmaak_f32 v15, s84, v14, 0x3ecc95a3
	v_dual_mul_f32 v17, v12, v14 :: v_dual_fmaak_f32 v14, v14, v15, 0x3f2aaada
	v_ldexp_f32 v15, v12, 1
	v_sub_f32_e32 v12, v12, v13
	s_delay_alu instid0(VALU_DEP_3) | instskip(NEXT) | instid1(VALU_DEP_2)
	v_dual_mul_f32 v14, v17, v14 :: v_dual_mul_f32 v17, 0x3f317218, v8
	v_sub_f32_e32 v9, v9, v12
	s_delay_alu instid0(VALU_DEP_2) | instskip(NEXT) | instid1(VALU_DEP_2)
	v_add_f32_e32 v13, v15, v14
	v_ldexp_f32 v9, v9, 1
	s_delay_alu instid0(VALU_DEP_2) | instskip(SKIP_1) | instid1(VALU_DEP_2)
	v_sub_f32_e32 v12, v13, v15
	v_fma_f32 v15, 0x3f317218, v8, -v17
	v_sub_f32_e32 v12, v14, v12
	s_delay_alu instid0(VALU_DEP_2) | instskip(NEXT) | instid1(VALU_DEP_2)
	v_fmac_f32_e32 v15, 0xb102e308, v8
	v_add_f32_e32 v8, v9, v12
	s_delay_alu instid0(VALU_DEP_2) | instskip(NEXT) | instid1(VALU_DEP_2)
	v_add_f32_e32 v9, v17, v15
	v_add_f32_e32 v12, v13, v8
	s_delay_alu instid0(VALU_DEP_2) | instskip(NEXT) | instid1(VALU_DEP_2)
	v_sub_f32_e32 v17, v9, v17
	v_dual_add_f32 v14, v9, v12 :: v_dual_sub_f32 v13, v12, v13
	s_delay_alu instid0(VALU_DEP_2) | instskip(NEXT) | instid1(VALU_DEP_2)
	v_sub_f32_e32 v15, v15, v17
	v_sub_f32_e32 v101, v14, v9
	s_delay_alu instid0(VALU_DEP_3) | instskip(NEXT) | instid1(VALU_DEP_2)
	v_sub_f32_e32 v8, v8, v13
	v_sub_f32_e32 v102, v14, v101
	s_delay_alu instid0(VALU_DEP_2) | instskip(NEXT) | instid1(VALU_DEP_2)
	v_dual_sub_f32 v12, v12, v101 :: v_dual_add_f32 v13, v15, v8
	v_sub_f32_e32 v9, v9, v102
	s_delay_alu instid0(VALU_DEP_1) | instskip(NEXT) | instid1(VALU_DEP_1)
	v_dual_add_f32 v9, v12, v9 :: v_dual_sub_f32 v12, v13, v15
	v_add_f32_e32 v9, v13, v9
	s_delay_alu instid0(VALU_DEP_2) | instskip(NEXT) | instid1(VALU_DEP_2)
	v_sub_f32_e32 v13, v13, v12
	v_dual_sub_f32 v8, v8, v12 :: v_dual_add_f32 v17, v14, v9
	s_delay_alu instid0(VALU_DEP_1) | instskip(NEXT) | instid1(VALU_DEP_1)
	v_dual_sub_f32 v13, v15, v13 :: v_dual_sub_f32 v12, v17, v14
	v_dual_add_f32 v8, v8, v13 :: v_dual_sub_f32 v9, v9, v12
	s_delay_alu instid0(VALU_DEP_1) | instskip(NEXT) | instid1(VALU_DEP_1)
	v_add_f32_e32 v8, v8, v9
	v_add_f32_e32 v8, v17, v8
	s_delay_alu instid0(VALU_DEP_1)
	v_cndmask_b32_e32 v124, v8, v10, vcc_lo
.LBB56_104:                             ;   in Loop: Header=BB56_12 Depth=1
	s_or_b32 exec_lo, exec_lo, s30
	v_and_b32_e32 v8, 0xffff0000, v11
	s_delay_alu instid0(VALU_DEP_1) | instskip(NEXT) | instid1(VALU_DEP_1)
	v_add_f32_e32 v125, s67, v8
	v_cmp_ge_f32_e32 vcc_lo, 0x41a00000, v125
	s_and_b32 s29, s80, vcc_lo
	s_delay_alu instid0(SALU_CYCLE_1)
	s_and_saveexec_b32 s30, s29
	s_cbranch_execz .LBB56_106
; %bb.105:                              ;   in Loop: Header=BB56_12 Depth=1
	v_mul_f32_e32 v8, 0x3fb8aa3b, v125
	v_cmp_ngt_f32_e32 vcc_lo, 0xc2ce8ed0, v125
	s_delay_alu instid0(VALU_DEP_2) | instskip(SKIP_1) | instid1(VALU_DEP_2)
	v_rndne_f32_e32 v9, v8
	v_fma_f32 v10, 0x3fb8aa3b, v125, -v8
	v_sub_f32_e32 v8, v8, v9
	s_delay_alu instid0(VALU_DEP_2) | instskip(SKIP_1) | instid1(VALU_DEP_2)
	v_fmac_f32_e32 v10, 0x32a5705f, v125
	v_cvt_i32_f32_e32 v9, v9
	v_add_f32_e32 v8, v8, v10
	s_delay_alu instid0(VALU_DEP_1) | instskip(SKIP_2) | instid1(VALU_DEP_1)
	v_exp_f32_e32 v8, v8
	s_waitcnt_depctr 0xfff
	v_ldexp_f32 v8, v8, v9
	v_cndmask_b32_e32 v8, 0, v8, vcc_lo
	v_cmp_nlt_f32_e32 vcc_lo, 0x42b17218, v125
	s_delay_alu instid0(VALU_DEP_2) | instskip(NEXT) | instid1(VALU_DEP_1)
	v_cndmask_b32_e32 v10, 0x7f800000, v8, vcc_lo
	v_add_f32_e32 v11, 1.0, v10
	s_delay_alu instid0(VALU_DEP_1) | instskip(NEXT) | instid1(VALU_DEP_1)
	v_cvt_f64_f32_e32 v[8:9], v11
	v_frexp_exp_i32_f64_e32 v8, v[8:9]
	v_frexp_mant_f32_e32 v9, v11
	s_delay_alu instid0(VALU_DEP_1) | instskip(SKIP_1) | instid1(VALU_DEP_1)
	v_cmp_gt_f32_e32 vcc_lo, 0x3f2aaaab, v9
	v_add_f32_e32 v9, -1.0, v11
	v_sub_f32_e32 v13, v9, v11
	v_sub_f32_e32 v9, v10, v9
	s_delay_alu instid0(VALU_DEP_2) | instskip(NEXT) | instid1(VALU_DEP_1)
	v_add_f32_e32 v13, 1.0, v13
	v_add_f32_e32 v9, v9, v13
	v_cmp_gt_f32_e64 s29, 0x33800000, v10
	v_subrev_co_ci_u32_e32 v8, vcc_lo, 0, v8, vcc_lo
	v_cmp_eq_f32_e32 vcc_lo, 0x7f800000, v10
	s_delay_alu instid0(VALU_DEP_2) | instskip(SKIP_2) | instid1(VALU_DEP_2)
	v_sub_nc_u32_e32 v12, 0, v8
	v_cvt_f32_i32_e32 v8, v8
	s_or_b32 vcc_lo, s29, vcc_lo
	v_ldexp_f32 v11, v11, v12
	v_ldexp_f32 v9, v9, v12
	s_delay_alu instid0(VALU_DEP_2) | instskip(NEXT) | instid1(VALU_DEP_1)
	v_add_f32_e32 v14, 1.0, v11
	v_dual_add_f32 v12, -1.0, v11 :: v_dual_add_f32 v13, -1.0, v14
	s_delay_alu instid0(VALU_DEP_1) | instskip(NEXT) | instid1(VALU_DEP_2)
	v_add_f32_e32 v15, 1.0, v12
	v_sub_f32_e32 v13, v11, v13
	s_delay_alu instid0(VALU_DEP_2) | instskip(NEXT) | instid1(VALU_DEP_2)
	v_sub_f32_e32 v11, v11, v15
	v_add_f32_e32 v13, v9, v13
	s_delay_alu instid0(VALU_DEP_2) | instskip(NEXT) | instid1(VALU_DEP_1)
	v_add_f32_e32 v9, v9, v11
	v_add_f32_e32 v17, v12, v9
	s_delay_alu instid0(VALU_DEP_3) | instskip(NEXT) | instid1(VALU_DEP_2)
	v_add_f32_e32 v15, v14, v13
	v_sub_f32_e32 v12, v12, v17
	s_delay_alu instid0(VALU_DEP_2) | instskip(SKIP_1) | instid1(VALU_DEP_1)
	v_rcp_f32_e32 v11, v15
	v_sub_f32_e32 v14, v14, v15
	v_add_f32_e32 v13, v13, v14
	s_waitcnt_depctr 0xfff
	v_mul_f32_e32 v101, v17, v11
	s_delay_alu instid0(VALU_DEP_1) | instskip(NEXT) | instid1(VALU_DEP_1)
	v_dual_mul_f32 v102, v15, v101 :: v_dual_add_f32 v9, v9, v12
	v_fma_f32 v14, v101, v15, -v102
	s_delay_alu instid0(VALU_DEP_1) | instskip(NEXT) | instid1(VALU_DEP_1)
	v_fmac_f32_e32 v14, v101, v13
	v_add_f32_e32 v103, v102, v14
	s_delay_alu instid0(VALU_DEP_1) | instskip(SKIP_1) | instid1(VALU_DEP_1)
	v_sub_f32_e32 v12, v103, v102
	v_sub_f32_e32 v104, v17, v103
	v_dual_sub_f32 v12, v12, v14 :: v_dual_sub_f32 v17, v17, v104
	s_delay_alu instid0(VALU_DEP_1) | instskip(NEXT) | instid1(VALU_DEP_1)
	v_sub_f32_e32 v17, v17, v103
	v_add_f32_e32 v9, v9, v17
	s_delay_alu instid0(VALU_DEP_1) | instskip(NEXT) | instid1(VALU_DEP_1)
	v_add_f32_e32 v9, v12, v9
	v_add_f32_e32 v12, v104, v9
	s_delay_alu instid0(VALU_DEP_1) | instskip(SKIP_1) | instid1(VALU_DEP_2)
	v_mul_f32_e32 v14, v11, v12
	v_sub_f32_e32 v103, v104, v12
	v_mul_f32_e32 v17, v15, v14
	s_delay_alu instid0(VALU_DEP_2) | instskip(NEXT) | instid1(VALU_DEP_2)
	v_add_f32_e32 v9, v9, v103
	v_fma_f32 v15, v14, v15, -v17
	s_delay_alu instid0(VALU_DEP_1) | instskip(NEXT) | instid1(VALU_DEP_1)
	v_fmac_f32_e32 v15, v14, v13
	v_add_f32_e32 v13, v17, v15
	s_delay_alu instid0(VALU_DEP_1) | instskip(NEXT) | instid1(VALU_DEP_1)
	v_sub_f32_e32 v102, v12, v13
	v_dual_sub_f32 v17, v13, v17 :: v_dual_sub_f32 v12, v12, v102
	s_delay_alu instid0(VALU_DEP_1) | instskip(NEXT) | instid1(VALU_DEP_1)
	v_dual_sub_f32 v12, v12, v13 :: v_dual_sub_f32 v13, v17, v15
	v_add_f32_e32 v9, v9, v12
	v_add_f32_e32 v12, v101, v14
	s_delay_alu instid0(VALU_DEP_2) | instskip(NEXT) | instid1(VALU_DEP_2)
	v_add_f32_e32 v9, v13, v9
	v_sub_f32_e32 v13, v12, v101
	s_delay_alu instid0(VALU_DEP_2) | instskip(NEXT) | instid1(VALU_DEP_2)
	v_add_f32_e32 v9, v102, v9
	v_sub_f32_e32 v13, v14, v13
	s_delay_alu instid0(VALU_DEP_2) | instskip(NEXT) | instid1(VALU_DEP_1)
	v_mul_f32_e32 v9, v11, v9
	v_add_f32_e32 v9, v13, v9
	s_delay_alu instid0(VALU_DEP_1) | instskip(NEXT) | instid1(VALU_DEP_1)
	v_add_f32_e32 v11, v12, v9
	v_mul_f32_e32 v13, v11, v11
	s_delay_alu instid0(VALU_DEP_1) | instskip(SKIP_1) | instid1(VALU_DEP_2)
	v_fmaak_f32 v14, s84, v13, 0x3ecc95a3
	v_mul_f32_e32 v15, v11, v13
	v_fmaak_f32 v13, v13, v14, 0x3f2aaada
	v_ldexp_f32 v14, v11, 1
	v_sub_f32_e32 v11, v11, v12
	s_delay_alu instid0(VALU_DEP_3) | instskip(SKIP_1) | instid1(VALU_DEP_2)
	v_mul_f32_e32 v13, v15, v13
	v_mul_f32_e32 v15, 0x3f317218, v8
	v_dual_sub_f32 v9, v9, v11 :: v_dual_add_f32 v12, v14, v13
	s_delay_alu instid0(VALU_DEP_1) | instskip(NEXT) | instid1(VALU_DEP_2)
	v_ldexp_f32 v9, v9, 1
	v_sub_f32_e32 v11, v12, v14
	s_delay_alu instid0(VALU_DEP_4) | instskip(NEXT) | instid1(VALU_DEP_1)
	v_fma_f32 v14, 0x3f317218, v8, -v15
	v_dual_sub_f32 v11, v13, v11 :: v_dual_fmac_f32 v14, 0xb102e308, v8
	s_delay_alu instid0(VALU_DEP_1) | instskip(NEXT) | instid1(VALU_DEP_1)
	v_dual_add_f32 v8, v9, v11 :: v_dual_add_f32 v9, v15, v14
	v_add_f32_e32 v11, v12, v8
	s_delay_alu instid0(VALU_DEP_2) | instskip(NEXT) | instid1(VALU_DEP_2)
	v_sub_f32_e32 v15, v9, v15
	v_dual_add_f32 v13, v9, v11 :: v_dual_sub_f32 v12, v11, v12
	s_delay_alu instid0(VALU_DEP_1) | instskip(NEXT) | instid1(VALU_DEP_1)
	v_dual_sub_f32 v14, v14, v15 :: v_dual_sub_f32 v17, v13, v9
	v_dual_sub_f32 v8, v8, v12 :: v_dual_sub_f32 v101, v13, v17
	s_delay_alu instid0(VALU_DEP_1) | instskip(NEXT) | instid1(VALU_DEP_2)
	v_dual_sub_f32 v11, v11, v17 :: v_dual_add_f32 v12, v14, v8
	v_sub_f32_e32 v9, v9, v101
	s_delay_alu instid0(VALU_DEP_1) | instskip(NEXT) | instid1(VALU_DEP_3)
	v_add_f32_e32 v9, v11, v9
	v_sub_f32_e32 v11, v12, v14
	s_delay_alu instid0(VALU_DEP_2) | instskip(NEXT) | instid1(VALU_DEP_2)
	v_add_f32_e32 v9, v12, v9
	v_sub_f32_e32 v12, v12, v11
	s_delay_alu instid0(VALU_DEP_2) | instskip(NEXT) | instid1(VALU_DEP_1)
	v_dual_sub_f32 v8, v8, v11 :: v_dual_add_f32 v15, v13, v9
	v_dual_sub_f32 v12, v14, v12 :: v_dual_sub_f32 v11, v15, v13
	s_delay_alu instid0(VALU_DEP_1) | instskip(NEXT) | instid1(VALU_DEP_1)
	v_dual_add_f32 v8, v8, v12 :: v_dual_sub_f32 v9, v9, v11
	v_add_f32_e32 v8, v8, v9
	s_delay_alu instid0(VALU_DEP_1) | instskip(NEXT) | instid1(VALU_DEP_1)
	v_add_f32_e32 v8, v15, v8
	v_cndmask_b32_e32 v125, v8, v10, vcc_lo
.LBB56_106:                             ;   in Loop: Header=BB56_12 Depth=1
	s_or_b32 exec_lo, exec_lo, s30
	v_and_b32_e32 v10, 0xffff0000, v5
	v_lshlrev_b32_e32 v5, 16, v5
	v_and_b32_e32 v9, 0xffff0000, v6
	v_and_b32_e32 v14, 0xffff0000, v7
	;; [unrolled: 1-line block ×4, first 2 shown]
	v_lshlrev_b32_e32 v1, 16, v1
	v_and_b32_e32 v12, 0xffff0000, v2
	v_lshlrev_b32_e32 v0, 16, v0
	v_lshlrev_b32_e32 v2, 16, v2
	v_mul_f32_e32 v106, s68, v5
	v_dual_mul_f32 v103, s68, v9 :: v_dual_lshlrev_b32 v8, 16, v7
	v_lshlrev_b32_e32 v6, 16, v6
	v_mul_f32_e32 v120, s68, v15
	s_delay_alu instid0(VALU_DEP_3)
	v_dual_mul_f32 v118, s68, v13 :: v_dual_mul_f32 v101, s68, v8
	v_mul_f32_e32 v119, s68, v0
	v_dual_mul_f32 v114, s68, v2 :: v_dual_and_b32 v11, 0xffff0000, v3
	v_and_b32_e32 v7, 0xffff0000, v4
	v_lshlrev_b32_e32 v3, 16, v3
	v_lshlrev_b32_e32 v4, 16, v4
	v_mul_f32_e32 v102, s68, v6
	v_mul_f32_e32 v112, s68, v11
	s_and_b32 vcc_lo, exec_lo, s81
	v_mul_f32_e32 v111, s68, v3
	v_mul_f32_e32 v109, s68, v4
	v_mul_f32_e32 v107, s68, v10
	v_dual_mul_f32 v104, s68, v14 :: v_dual_mul_f32 v117, s68, v1
	v_dual_mul_f32 v110, s68, v7 :: v_dual_mul_f32 v115, s68, v12
	s_barrier
	buffer_gl0_inv
	s_cbranch_vccz .LBB56_204
; %bb.107:                              ;   in Loop: Header=BB56_12 Depth=1
	v_dual_mul_f32 v126, v125, v14 :: v_dual_mul_f32 v131, v124, v8
	v_add_co_u32 v14, s29, s61, v16
	s_delay_alu instid0(VALU_DEP_1) | instskip(SKIP_1) | instid1(VALU_DEP_1)
	v_add_co_ci_u32_e64 v17, null, s62, 0, s29
	v_add_co_u32 v16, s29, s49, v16
	v_add_co_ci_u32_e64 v130, null, s74, 0, s29
	s_delay_alu instid0(VALU_DEP_4) | instskip(NEXT) | instid1(VALU_DEP_4)
	v_add_co_u32 v127, vcc_lo, v14, v93
	v_add_co_ci_u32_e32 v128, vcc_lo, 0, v17, vcc_lo
	s_delay_alu instid0(VALU_DEP_4) | instskip(NEXT) | instid1(VALU_DEP_4)
	v_add_co_u32 v129, vcc_lo, v16, v93
	v_add_co_ci_u32_e32 v130, vcc_lo, 0, v130, vcc_lo
	v_cmp_gt_u32_e32 vcc_lo, s41, v18
	s_cmp_lg_u32 s86, 0
	v_cmp_gt_u32_e64 s31, s41, v79
	s_cselect_b32 s51, -1, 0
	s_cmp_eq_u32 s86, s83
	v_cmp_gt_u32_e64 s33, s41, v80
	s_cselect_b32 s87, -1, 0
	s_or_b32 s29, s82, vcc_lo
	v_cmp_gt_u32_e32 vcc_lo, s41, v78
	v_cmp_gt_u32_e64 s34, s41, v81
	v_cmp_gt_u32_e64 s35, s41, v82
	;; [unrolled: 1-line block ×4, first 2 shown]
	s_or_b32 s30, s82, vcc_lo
	v_cmp_gt_u32_e32 vcc_lo, s41, v83
	v_cmp_gt_u32_e64 s39, s41, v86
	v_cmp_gt_u32_e64 s40, s41, v87
	;; [unrolled: 1-line block ×4, first 2 shown]
	s_or_b32 s36, s82, vcc_lo
	v_cmp_gt_u32_e32 vcc_lo, s41, v88
	v_cmp_gt_u32_e64 s44, s41, v91
	v_cmp_gt_u32_e64 s45, s41, v92
	v_dual_mul_f32 v132, v123, v9 :: v_dual_mul_f32 v133, v122, v6
	v_dual_mul_f32 v134, v121, v10 :: v_dual_mul_f32 v135, v116, v5
	;; [unrolled: 1-line block ×7, first 2 shown]
	s_mov_b32 s64, 0
	s_or_b32 s31, s82, s31
	s_or_b32 s33, s82, s33
	;; [unrolled: 1-line block ×8, first 2 shown]
	s_or_b32 s41, s82, vcc_lo
	s_or_b32 s42, s82, s42
	s_or_b32 s43, s82, s43
	;; [unrolled: 1-line block ×4, first 2 shown]
	s_mov_b32 s52, s64
	s_mov_b32 s54, s64
	;; [unrolled: 1-line block ×5, first 2 shown]
	s_branch .LBB56_109
.LBB56_108:                             ;   in Loop: Header=BB56_109 Depth=2
	s_or_b32 exec_lo, exec_lo, s46
	v_cndmask_b32_e64 v9, v175, v11, s12
	v_cndmask_b32_e64 v10, v174, v10, s12
	s_add_i32 s88, s88, -1
	s_add_i32 s89, s89, 8
	s_add_i32 s58, s58, s75
	v_fma_f32 v9, v9, v149, v148
	v_mul_f32_e32 v10, v10, v149
	s_add_i32 s54, s54, s48
	s_add_i32 s52, s52, s60
	;; [unrolled: 1-line block ×3, first 2 shown]
	v_cndmask_b32_e64 v9, v9, v148, s11
	v_cndmask_b32_e64 v10, v10, v149, s11
	s_cmp_eq_u32 s88, 0
	s_waitcnt lgkmcnt(0)
	s_delay_alu instid0(VALU_DEP_1) | instskip(NEXT) | instid1(VALU_DEP_1)
	v_dual_fmac_f32 v9, v8, v10 :: v_dual_and_b32 v10, 0xffff0000, v5
	v_dual_fmac_f32 v12, v9, v151 :: v_dual_lshlrev_b32 v5, 16, v5
	s_delay_alu instid0(VALU_DEP_1) | instskip(NEXT) | instid1(VALU_DEP_1)
	v_fmac_f32_e32 v13, v12, v152
	v_fmac_f32_e32 v14, v13, v154
	s_delay_alu instid0(VALU_DEP_3) | instskip(NEXT) | instid1(VALU_DEP_2)
	v_fmac_f32_e32 v117, v13, v5
	v_fmac_f32_e32 v15, v14, v157
	s_delay_alu instid0(VALU_DEP_1) | instskip(NEXT) | instid1(VALU_DEP_1)
	v_fmac_f32_e32 v146, v15, v158
	v_fmac_f32_e32 v147, v146, v159
	s_delay_alu instid0(VALU_DEP_1) | instskip(NEXT) | instid1(VALU_DEP_1)
	v_fmac_f32_e32 v150, v147, v160
	v_dual_fmac_f32 v153, v150, v162 :: v_dual_and_b32 v8, 0xffff0000, v4
	v_lshlrev_b32_e32 v4, 16, v4
	s_delay_alu instid0(VALU_DEP_2) | instskip(SKIP_1) | instid1(VALU_DEP_3)
	v_dual_fmac_f32 v120, v12, v8 :: v_dual_fmac_f32 v155, v153, v163
	v_and_b32_e32 v11, 0xffff0000, v6
	v_dual_fmac_f32 v119, v9, v4 :: v_dual_and_b32 v16, 0xffff0000, v7
	s_delay_alu instid0(VALU_DEP_3) | instskip(NEXT) | instid1(VALU_DEP_3)
	v_dual_fmac_f32 v156, v155, v164 :: v_dual_lshlrev_b32 v7, 16, v7
	v_dual_fmac_f32 v115, v146, v11 :: v_dual_and_b32 v148, 0xffff0000, v1
	s_delay_alu instid0(VALU_DEP_2) | instskip(NEXT) | instid1(VALU_DEP_3)
	v_dual_fmac_f32 v112, v150, v16 :: v_dual_fmac_f32 v111, v147, v7
	v_dual_fmac_f32 v161, v156, v172 :: v_dual_lshlrev_b32 v6, 16, v6
	v_dual_fmac_f32 v118, v14, v10 :: v_dual_lshlrev_b32 v1, 16, v1
	s_delay_alu instid0(VALU_DEP_2) | instskip(SKIP_3) | instid1(VALU_DEP_4)
	v_fmac_f32_e32 v165, v161, v167
	v_and_b32_e32 v17, 0xffff0000, v0
	v_lshlrev_b32_e32 v0, 16, v0
	v_dual_fmac_f32 v114, v15, v6 :: v_dual_and_b32 v151, 0xffff0000, v3
	v_dual_fmac_f32 v166, v165, v169 :: v_dual_and_b32 v149, 0xffff0000, v2
	v_lshlrev_b32_e32 v2, 16, v2
	v_lshlrev_b32_e32 v3, 16, v3
	v_dual_fmac_f32 v109, v153, v0 :: v_dual_fmac_f32 v110, v155, v17
	s_delay_alu instid0(VALU_DEP_4) | instskip(SKIP_2) | instid1(VALU_DEP_3)
	v_fmac_f32_e32 v168, v166, v171
	v_dual_fmac_f32 v106, v156, v1 :: v_dual_fmac_f32 v107, v161, v148
	v_dual_fmac_f32 v102, v165, v2 :: v_dual_fmac_f32 v103, v166, v149
	v_fmac_f32_e32 v170, v168, v173
	v_fmac_f32_e32 v101, v168, v3
	s_delay_alu instid0(VALU_DEP_2)
	v_fmac_f32_e32 v104, v170, v151
	s_cbranch_scc1 .LBB56_204
.LBB56_109:                             ;   Parent Loop BB56_12 Depth=1
                                        ; =>  This Inner Loop Header: Depth=2
	s_lshl_b64 s[46:47], s[64:65], 2
	s_mov_b32 s53, s65
	s_add_u32 s46, s72, s46
	s_addc_u32 s47, s73, s47
	v_dual_mov_b32 v2, 0 :: v_dual_mov_b32 v3, 0
	global_load_b32 v146, v21, s[46:47]
	s_lshl_b64 s[46:47], s[52:53], 1
	s_delay_alu instid0(SALU_CYCLE_1)
	v_add_co_u32 v0, vcc_lo, v127, s46
	v_add_co_ci_u32_e32 v1, vcc_lo, s47, v128, vcc_lo
	s_and_saveexec_b32 s46, s13
	s_cbranch_execz .LBB56_111
; %bb.110:                              ;   in Loop: Header=BB56_109 Depth=2
	global_load_u16 v3, v[0:1], off
.LBB56_111:                             ;   in Loop: Header=BB56_109 Depth=2
	s_or_b32 exec_lo, exec_lo, s46
	s_and_saveexec_b32 s46, s14
	s_cbranch_execz .LBB56_113
; %bb.112:                              ;   in Loop: Header=BB56_109 Depth=2
	global_load_u16 v2, v[0:1], off offset:64
.LBB56_113:                             ;   in Loop: Header=BB56_109 Depth=2
	s_or_b32 exec_lo, exec_lo, s46
	v_dual_mov_b32 v4, 0 :: v_dual_mov_b32 v5, 0
	s_and_saveexec_b32 s46, s15
	s_cbranch_execz .LBB56_115
; %bb.114:                              ;   in Loop: Header=BB56_109 Depth=2
	global_load_u16 v5, v[0:1], off offset:128
.LBB56_115:                             ;   in Loop: Header=BB56_109 Depth=2
	s_or_b32 exec_lo, exec_lo, s46
	s_and_saveexec_b32 s46, s16
	s_cbranch_execz .LBB56_117
; %bb.116:                              ;   in Loop: Header=BB56_109 Depth=2
	global_load_u16 v4, v[0:1], off offset:192
.LBB56_117:                             ;   in Loop: Header=BB56_109 Depth=2
	s_or_b32 exec_lo, exec_lo, s46
	v_dual_mov_b32 v6, 0 :: v_dual_mov_b32 v7, 0
	s_and_saveexec_b32 s46, s17
	s_cbranch_execz .LBB56_119
; %bb.118:                              ;   in Loop: Header=BB56_109 Depth=2
	global_load_u16 v7, v[0:1], off offset:256
.LBB56_119:                             ;   in Loop: Header=BB56_109 Depth=2
	;; [unrolled: 13-line block ×7, first 2 shown]
	s_or_b32 exec_lo, exec_lo, s46
	s_and_saveexec_b32 s46, s28
	s_cbranch_execz .LBB56_141
; %bb.140:                              ;   in Loop: Header=BB56_109 Depth=2
	global_load_u16 v16, v[0:1], off offset:960
.LBB56_141:                             ;   in Loop: Header=BB56_109 Depth=2
	s_or_b32 exec_lo, exec_lo, s46
	s_waitcnt vmcnt(0)
	ds_store_b16 v37, v3
	ds_store_b16 v37, v2 offset:64
	ds_store_b16 v38, v5 offset:128
	;; [unrolled: 1-line block ×15, first 2 shown]
	; wave barrier
	ds_load_b128 v[12:15], v52
	ds_load_b128 v[8:11], v52 offset:16
	s_mov_b32 s55, s65
	v_dual_mov_b32 v2, 0 :: v_dual_mov_b32 v3, 0
	s_lshl_b64 s[46:47], s[54:55], 1
	s_delay_alu instid0(SALU_CYCLE_1)
	v_add_co_u32 v0, vcc_lo, v129, s46
	v_add_co_ci_u32_e32 v1, vcc_lo, s47, v130, vcc_lo
	s_and_saveexec_b32 s46, s13
	s_cbranch_execz .LBB56_143
; %bb.142:                              ;   in Loop: Header=BB56_109 Depth=2
	global_load_u16 v3, v[0:1], off
.LBB56_143:                             ;   in Loop: Header=BB56_109 Depth=2
	s_or_b32 exec_lo, exec_lo, s46
	s_and_saveexec_b32 s46, s14
	s_cbranch_execz .LBB56_145
; %bb.144:                              ;   in Loop: Header=BB56_109 Depth=2
	global_load_u16 v2, v[0:1], off offset:64
.LBB56_145:                             ;   in Loop: Header=BB56_109 Depth=2
	s_or_b32 exec_lo, exec_lo, s46
	v_dual_mov_b32 v4, 0 :: v_dual_mov_b32 v5, 0
	s_and_saveexec_b32 s46, s15
	s_cbranch_execz .LBB56_147
; %bb.146:                              ;   in Loop: Header=BB56_109 Depth=2
	global_load_u16 v5, v[0:1], off offset:128
.LBB56_147:                             ;   in Loop: Header=BB56_109 Depth=2
	s_or_b32 exec_lo, exec_lo, s46
	s_and_saveexec_b32 s46, s16
	s_cbranch_execz .LBB56_149
; %bb.148:                              ;   in Loop: Header=BB56_109 Depth=2
	global_load_u16 v4, v[0:1], off offset:192
.LBB56_149:                             ;   in Loop: Header=BB56_109 Depth=2
	s_or_b32 exec_lo, exec_lo, s46
	v_dual_mov_b32 v6, 0 :: v_dual_mov_b32 v7, 0
	s_and_saveexec_b32 s46, s17
	s_cbranch_execz .LBB56_151
; %bb.150:                              ;   in Loop: Header=BB56_109 Depth=2
	global_load_u16 v7, v[0:1], off offset:256
.LBB56_151:                             ;   in Loop: Header=BB56_109 Depth=2
	;; [unrolled: 13-line block ×7, first 2 shown]
	s_or_b32 exec_lo, exec_lo, s46
	s_and_saveexec_b32 s46, s28
	s_cbranch_execz .LBB56_173
; %bb.172:                              ;   in Loop: Header=BB56_109 Depth=2
	global_load_u16 v153, v[0:1], off offset:960
.LBB56_173:                             ;   in Loop: Header=BB56_109 Depth=2
	s_or_b32 exec_lo, exec_lo, s46
	s_waitcnt vmcnt(0)
	ds_store_b16 v37, v3 offset:4224
	ds_store_b16 v53, v2 offset:64
	;; [unrolled: 1-line block ×16, first 2 shown]
	; wave barrier
	ds_load_b128 v[4:7], v52 offset:4224
	ds_load_b128 v[0:3], v68 offset:16
	s_and_not1_b32 vcc_lo, exec_lo, s51
	s_cbranch_vccnz .LBB56_175
; %bb.174:                              ;   in Loop: Header=BB56_109 Depth=2
	v_mov_b32_e32 v16, s89
	ds_load_b64 v[16:17], v16
	s_cbranch_execz .LBB56_176
	s_branch .LBB56_179
.LBB56_175:                             ;   in Loop: Header=BB56_109 Depth=2
                                        ; implicit-def: $vgpr16
.LBB56_176:                             ;   in Loop: Header=BB56_109 Depth=2
	s_waitcnt lgkmcnt(0)
	v_mov_b32_e32 v17, 0
	s_and_not1_b32 vcc_lo, exec_lo, s66
	s_cbranch_vccnz .LBB56_178
; %bb.177:                              ;   in Loop: Header=BB56_109 Depth=2
	s_mov_b32 s59, s65
	s_delay_alu instid0(SALU_CYCLE_1) | instskip(NEXT) | instid1(SALU_CYCLE_1)
	s_lshl_b64 s[46:47], s[58:59], 2
	s_add_u32 s46, s76, s46
	s_addc_u32 s47, s77, s47
	global_load_b32 v17, v21, s[46:47]
.LBB56_178:                             ;   in Loop: Header=BB56_109 Depth=2
	v_mov_b32_e32 v16, 1.0
.LBB56_179:                             ;   in Loop: Header=BB56_109 Depth=2
	s_waitcnt lgkmcnt(19)
	v_dual_mul_f32 v168, 0x3fb8aa3b, v146 :: v_dual_lshlrev_b32 v147, 16, v12
	v_and_b32_e32 v12, 0xffff0000, v12
	v_lshlrev_b32_e32 v146, 16, v13
	v_and_b32_e32 v150, 0xffff0000, v13
	v_lshlrev_b32_e32 v153, 16, v14
	v_mul_f32_e32 v13, v168, v94
	v_dual_mul_f32 v14, v168, v95 :: v_dual_and_b32 v155, 0xffff0000, v14
	v_dual_mul_f32 v149, v168, v97 :: v_dual_lshlrev_b32 v156, 16, v15
	s_delay_alu instid0(VALU_DEP_3) | instskip(SKIP_1) | instid1(VALU_DEP_4)
	v_cmp_gt_f32_e32 vcc_lo, 0xc2fc0000, v13
	v_dual_mul_f32 v12, v144, v12 :: v_dual_and_b32 v159, 0xffff0000, v15
	v_cmp_gt_f32_e64 s46, 0xc2fc0000, v14
	v_mul_f32_e32 v15, v168, v96
	v_cndmask_b32_e64 v13, 0, 0x42800000, vcc_lo
	v_cndmask_b32_e64 v148, 1.0, 0x1f800000, vcc_lo
	s_waitcnt lgkmcnt(18)
	v_lshlrev_b32_e32 v165, 16, v10
	v_cndmask_b32_e64 v14, 0, 0x42800000, s46
	v_mul_f32_e32 v147, v145, v147
	v_fmac_f32_e32 v13, v168, v94
	v_dual_mul_f32 v146, v143, v146 :: v_dual_lshlrev_b32 v161, 16, v8
	v_and_b32_e32 v8, 0xffff0000, v8
	v_fmac_f32_e32 v14, v168, v95
	s_delay_alu instid0(VALU_DEP_4) | instskip(SKIP_2) | instid1(VALU_DEP_3)
	v_exp_f32_e32 v13, v13
	v_cmp_gt_f32_e32 vcc_lo, 0xc2fc0000, v15
	v_dual_mul_f32 v155, v140, v155 :: v_dual_and_b32 v10, 0xffff0000, v10
	v_exp_f32_e32 v14, v14
	v_dual_mul_f32 v161, v137, v161 :: v_dual_mul_f32 v8, v136, v8
	v_cndmask_b32_e64 v15, 0, 0x42800000, vcc_lo
	v_lshlrev_b32_e32 v170, 16, v11
	v_and_b32_e32 v11, 0xffff0000, v11
	s_delay_alu instid0(TRANS32_DEP_2)
	v_mul_f32_e32 v13, v13, v148
	v_cndmask_b32_e64 v148, 0, v147, s29
	v_cndmask_b32_e64 v147, 1.0, 0x1f800000, s46
	v_cmp_gt_f32_e64 s46, 0xc2fc0000, v149
	v_fmac_f32_e32 v15, v168, v96
	v_cndmask_b32_e64 v149, 1.0, v13, s29
	v_cndmask_b32_e64 v12, 0, v12, s30
	v_mul_f32_e32 v13, v14, v147
	v_cndmask_b32_e64 v151, 0, 0x42800000, s46
	v_exp_f32_e32 v14, v15
	v_cndmask_b32_e64 v147, 1.0, 0x1f800000, vcc_lo
	v_lshlrev_b32_e32 v163, 16, v9
	v_mul_f32_e32 v15, v168, v98
	v_fmac_f32_e32 v151, v168, v97
	v_and_b32_e32 v9, 0xffff0000, v9
	v_mul_f32_e32 v171, v168, v123
	v_mul_f32_e32 v173, v168, v125
	v_cmp_gt_f32_e32 vcc_lo, 0xc2fc0000, v15
	v_exp_f32_e32 v154, v151
	v_mul_f32_e32 v14, v14, v147
	v_cndmask_b32_e64 v147, 1.0, 0x1f800000, s46
	v_mul_f32_e32 v157, v168, v105
	v_cndmask_b32_e64 v15, 0, 0x42800000, vcc_lo
	v_mul_f32_e32 v160, v168, v108
	v_cndmask_b32_e64 v152, 1.0, v14, s31
	v_mul_f32_e32 v14, v142, v150
	v_mul_f32_e32 v150, v168, v100
	v_fmac_f32_e32 v15, v168, v98
	v_mul_f32_e32 v147, v154, v147
	v_cmp_gt_f32_e64 s47, 0xc2fc0000, v157
	v_cndmask_b32_e64 v14, 0, v14, s33
	v_mul_f32_e32 v162, v168, v116
	v_exp_f32_e32 v15, v15
	v_cndmask_b32_e64 v154, 1.0, v147, s33
	v_cndmask_b32_e64 v147, 1.0, 0x1f800000, vcc_lo
	v_cmp_gt_f32_e32 vcc_lo, 0xc2fc0000, v150
	v_mul_f32_e32 v170, v131, v170
	v_dual_mul_f32 v10, v132, v10 :: v_dual_mul_f32 v11, v126, v11
	v_cndmask_b32_e64 v150, 0, 0x42800000, vcc_lo
	s_delay_alu instid0(TRANS32_DEP_1) | instskip(SKIP_2) | instid1(VALU_DEP_4)
	v_mul_f32_e32 v147, v15, v147
	v_mul_f32_e32 v15, v141, v153
	v_cndmask_b32_e64 v153, 0, 0x42800000, s47
	v_fmac_f32_e32 v150, v168, v100
	v_cndmask_b32_e64 v151, 1.0, v13, s30
	v_cndmask_b32_e64 v13, 0, v146, s31
	v_mul_f32_e32 v146, v168, v99
	v_cndmask_b32_e64 v157, 1.0, v147, s34
	v_exp_f32_e32 v150, v150
	v_fma_f32 v169, v151, v148, v12
	v_cndmask_b32_e64 v15, 0, v15, s34
	v_cmp_gt_f32_e64 s46, 0xc2fc0000, v146
	s_delay_alu instid0(VALU_DEP_1) | instskip(SKIP_1) | instid1(VALU_DEP_2)
	v_cndmask_b32_e64 v146, 0, 0x42800000, s46
	v_cndmask_b32_e64 v158, 1.0, 0x1f800000, s46
	v_fmac_f32_e32 v146, v168, v99
	s_delay_alu instid0(VALU_DEP_1)
	v_exp_f32_e32 v146, v146
	s_waitcnt_depctr 0xfff
	v_mul_f32_e32 v147, v146, v158
	v_cndmask_b32_e64 v146, 0, v155, s35
	v_cndmask_b32_e64 v155, 1.0, 0x1f800000, vcc_lo
	v_cmp_gt_f32_e32 vcc_lo, 0xc2fc0000, v160
	v_mul_f32_e32 v160, v138, v159
	v_cndmask_b32_e64 v158, 1.0, v147, s35
	s_delay_alu instid0(VALU_DEP_4)
	v_dual_mul_f32 v147, v139, v156 :: v_dual_mul_f32 v150, v150, v155
	v_cndmask_b32_e64 v155, 1.0, 0x1f800000, s47
	v_cmp_gt_f32_e64 s47, 0xc2fc0000, v162
	v_mul_f32_e32 v162, v168, v121
	v_cndmask_b32_e64 v156, 0, 0x42800000, vcc_lo
	v_cndmask_b32_e64 v164, 1.0, 0x1f800000, vcc_lo
	v_cndmask_b32_e64 v159, 1.0, v150, s36
	v_cndmask_b32_e64 v150, 0, v160, s37
	v_cmp_gt_f32_e32 vcc_lo, 0xc2fc0000, v162
	v_fmac_f32_e32 v156, v168, v108
	v_cndmask_b32_e64 v147, 0, v147, s36
	v_cndmask_b32_e64 v166, 0, 0x42800000, vcc_lo
	v_cndmask_b32_e64 v167, 1.0, 0x1f800000, vcc_lo
	s_delay_alu instid0(VALU_DEP_2) | instskip(NEXT) | instid1(VALU_DEP_1)
	v_fmac_f32_e32 v166, v168, v121
	v_exp_f32_e32 v166, v166
	v_fmac_f32_e32 v153, v168, v105
	s_delay_alu instid0(VALU_DEP_1) | instskip(SKIP_3) | instid1(VALU_DEP_2)
	v_exp_f32_e32 v153, v153
	s_waitcnt_depctr 0xfff
	v_mul_f32_e32 v153, v153, v155
	v_mul_f32_e32 v155, v168, v113
	v_cndmask_b32_e64 v160, 1.0, v153, s37
	s_delay_alu instid0(VALU_DEP_2) | instskip(SKIP_2) | instid1(VALU_DEP_2)
	v_cmp_gt_f32_e64 s46, 0xc2fc0000, v155
	v_exp_f32_e32 v153, v156
	v_cndmask_b32_e64 v156, 0, 0x42800000, s47
	v_cndmask_b32_e64 v155, 0, 0x42800000, s46
	s_delay_alu instid0(VALU_DEP_2)
	v_fmac_f32_e32 v156, v168, v116
	s_waitcnt_depctr 0xfff
	v_dual_fmac_f32 v155, v168, v113 :: v_dual_mul_f32 v162, v153, v164
	v_cndmask_b32_e64 v153, 0, v161, s38
	v_exp_f32_e32 v156, v156
	v_cndmask_b32_e64 v161, 1.0, 0x1f800000, s46
	s_delay_alu instid0(VALU_DEP_3) | instskip(SKIP_3) | instid1(VALU_DEP_2)
	v_exp_f32_e32 v155, v155
	v_cndmask_b32_e64 v164, 1.0, 0x1f800000, s47
	v_cmp_gt_f32_e64 s46, 0xc2fc0000, v171
	v_cndmask_b32_e64 v162, 1.0, v162, s38
	v_cndmask_b32_e64 v171, 1.0, 0x1f800000, s46
	s_waitcnt_depctr 0xfff
	v_dual_mul_f32 v164, v156, v164 :: v_dual_mul_f32 v161, v155, v161
	v_cndmask_b32_e64 v155, 0, v8, s39
	v_mul_f32_e32 v8, v135, v163
	s_delay_alu instid0(VALU_DEP_3) | instskip(NEXT) | instid1(VALU_DEP_4)
	v_cndmask_b32_e64 v164, 1.0, v164, s40
	v_cndmask_b32_e64 v163, 1.0, v161, s39
	v_mul_f32_e32 v161, v168, v122
	s_delay_alu instid0(VALU_DEP_4) | instskip(SKIP_1) | instid1(VALU_DEP_3)
	v_cndmask_b32_e64 v156, 0, v8, s40
	v_dual_mul_f32 v8, v166, v167 :: v_dual_mul_f32 v167, v151, v149
	v_cmp_gt_f32_e32 vcc_lo, 0xc2fc0000, v161
	s_delay_alu instid0(VALU_DEP_2) | instskip(SKIP_3) | instid1(VALU_DEP_3)
	v_cndmask_b32_e64 v172, 1.0, v8, s41
	v_cndmask_b32_e64 v166, 0, 0x42800000, vcc_lo
	v_mul_f32_e32 v9, v134, v9
	v_cndmask_b32_e64 v8, 1.0, 0x1f800000, vcc_lo
	v_fmac_f32_e32 v166, v168, v122
	s_delay_alu instid0(VALU_DEP_3)
	v_cndmask_b32_e64 v161, 0, v9, s41
	v_mul_f32_e32 v9, v167, v152
	v_fma_f32 v167, v169, v152, v13
	v_cndmask_b32_e64 v169, 0, 0x42800000, s46
	v_exp_f32_e32 v166, v166
	v_cmp_gt_f32_e64 s46, 0xc2fc0000, v173
	v_mul_f32_e32 v9, v9, v154
	v_fma_f32 v167, v167, v154, v14
	v_fmac_f32_e32 v169, v168, v123
	s_delay_alu instid0(VALU_DEP_3) | instskip(NEXT) | instid1(VALU_DEP_3)
	v_mul_f32_e32 v9, v9, v157
	v_fma_f32 v167, v167, v157, v15
	s_delay_alu instid0(VALU_DEP_3)
	v_exp_f32_e32 v169, v169
	s_delay_alu instid0(TRANS32_DEP_2) | instid1(VALU_DEP_2)
	v_dual_mul_f32 v8, v166, v8 :: v_dual_mul_f32 v9, v9, v158
	s_delay_alu instid0(VALU_DEP_2) | instskip(NEXT) | instid1(VALU_DEP_2)
	v_fma_f32 v166, v167, v158, v146
	v_cndmask_b32_e64 v167, 1.0, v8, s42
	s_delay_alu instid0(VALU_DEP_3) | instskip(NEXT) | instid1(VALU_DEP_3)
	v_mul_f32_e32 v8, v9, v159
	v_fma_f32 v9, v166, v159, v147
	v_mul_f32_e32 v166, v168, v124
	s_delay_alu instid0(VALU_DEP_3) | instskip(NEXT) | instid1(VALU_DEP_3)
	v_mul_f32_e32 v8, v8, v160
	v_fma_f32 v9, v9, v160, v150
	s_delay_alu instid0(VALU_DEP_3)
	v_cmp_gt_f32_e32 vcc_lo, 0xc2fc0000, v166
	v_mul_f32_e32 v165, v133, v165
	v_cndmask_b32_e64 v166, 0, v10, s43
	v_mul_f32_e32 v8, v8, v162
	v_fma_f32 v9, v9, v162, v153
	v_cndmask_b32_e64 v10, 0, 0x42800000, s46
	v_mul_f32_e32 v169, v169, v171
	v_cndmask_b32_e64 v171, 0, 0x42800000, vcc_lo
	v_mul_f32_e32 v8, v8, v163
	v_fma_f32 v9, v9, v163, v155
	v_fmac_f32_e32 v10, v168, v125
	v_cndmask_b32_e64 v165, 0, v165, s42
	v_fmac_f32_e32 v171, v168, v124
	v_mul_f32_e32 v8, v8, v164
	v_fma_f32 v9, v9, v164, v156
	v_cndmask_b32_e64 v168, 1.0, 0x1f800000, vcc_lo
	v_exp_f32_e32 v10, v10
	v_exp_f32_e32 v171, v171
	v_mul_f32_e32 v8, v8, v172
	v_fma_f32 v9, v9, v172, v161
	v_cndmask_b32_e64 v169, 1.0, v169, s43
	s_delay_alu instid0(VALU_DEP_3) | instskip(NEXT) | instid1(VALU_DEP_3)
	v_mul_f32_e32 v8, v8, v167
	v_fma_f32 v9, v9, v167, v165
	s_waitcnt_depctr 0xfff
	v_mul_f32_e32 v171, v171, v168
	v_cndmask_b32_e64 v168, 0, v170, s44
	v_cndmask_b32_e64 v170, 1.0, 0x1f800000, s46
	v_mul_f32_e32 v8, v8, v169
	v_fma_f32 v9, v9, v169, v166
	v_cndmask_b32_e64 v171, 1.0, v171, s44
	s_delay_alu instid0(VALU_DEP_4) | instskip(SKIP_1) | instid1(VALU_DEP_3)
	v_mul_f32_e32 v10, v10, v170
	v_cndmask_b32_e64 v170, 0, v11, s45
	v_mul_f32_e32 v8, v8, v171
	v_fma_f32 v9, v9, v171, v168
	s_delay_alu instid0(VALU_DEP_4) | instskip(NEXT) | instid1(VALU_DEP_1)
	v_cndmask_b32_e64 v173, 1.0, v10, s45
	v_mul_f32_e32 v8, v8, v173
	s_delay_alu instid0(VALU_DEP_3) | instskip(NEXT) | instid1(VALU_DEP_2)
	v_fma_f32 v9, v9, v173, v170
	v_mov_b32_dpp v11, v8 row_shr:1 row_mask:0xf bank_mask:0xf
	s_delay_alu instid0(VALU_DEP_2)
	v_mov_b32_dpp v10, v9 row_shr:1 row_mask:0xf bank_mask:0xf
	s_and_saveexec_b32 s46, s0
; %bb.180:                              ;   in Loop: Header=BB56_109 Depth=2
	s_delay_alu instid0(VALU_DEP_2) | instskip(NEXT) | instid1(VALU_DEP_1)
	v_mul_f32_e32 v11, v8, v11
	v_dual_fmac_f32 v9, v8, v10 :: v_dual_mov_b32 v8, v11
; %bb.181:                              ;   in Loop: Header=BB56_109 Depth=2
	s_or_b32 exec_lo, exec_lo, s46
	s_delay_alu instid0(VALU_DEP_1) | instskip(NEXT) | instid1(VALU_DEP_2)
	v_mov_b32_dpp v10, v8 row_shr:2 row_mask:0xf bank_mask:0xf
	v_mov_b32_dpp v11, v9 row_shr:2 row_mask:0xf bank_mask:0xf
	s_and_saveexec_b32 s46, s1
; %bb.182:                              ;   in Loop: Header=BB56_109 Depth=2
	s_delay_alu instid0(VALU_DEP_1) | instskip(NEXT) | instid1(VALU_DEP_3)
	v_fmac_f32_e32 v9, v8, v11
	v_mul_f32_e32 v8, v8, v10
; %bb.183:                              ;   in Loop: Header=BB56_109 Depth=2
	s_or_b32 exec_lo, exec_lo, s46
	s_delay_alu instid0(VALU_DEP_1) | instskip(NEXT) | instid1(VALU_DEP_3)
	v_mov_b32_dpp v10, v8 row_shr:4 row_mask:0xf bank_mask:0xf
	v_mov_b32_dpp v11, v9 row_shr:4 row_mask:0xf bank_mask:0xf
	s_and_saveexec_b32 s46, s2
; %bb.184:                              ;   in Loop: Header=BB56_109 Depth=2
	s_delay_alu instid0(VALU_DEP_1) | instskip(NEXT) | instid1(VALU_DEP_3)
	v_fmac_f32_e32 v9, v8, v11
	v_mul_f32_e32 v8, v8, v10
; %bb.185:                              ;   in Loop: Header=BB56_109 Depth=2
	s_or_b32 exec_lo, exec_lo, s46
	s_delay_alu instid0(VALU_DEP_1) | instskip(NEXT) | instid1(VALU_DEP_3)
	v_mov_b32_dpp v10, v8 row_shr:8 row_mask:0xf bank_mask:0xf
	v_mov_b32_dpp v11, v9 row_shr:8 row_mask:0xf bank_mask:0xf
	s_and_saveexec_b32 s46, s3
; %bb.186:                              ;   in Loop: Header=BB56_109 Depth=2
	s_delay_alu instid0(VALU_DEP_1) | instskip(NEXT) | instid1(VALU_DEP_3)
	v_fmac_f32_e32 v9, v8, v11
	v_mul_f32_e32 v8, v8, v10
; %bb.187:                              ;   in Loop: Header=BB56_109 Depth=2
	s_or_b32 exec_lo, exec_lo, s46
	ds_swizzle_b32 v11, v8 offset:swizzle(BROADCAST,32,15)
	ds_swizzle_b32 v10, v9 offset:swizzle(BROADCAST,32,15)
	s_and_saveexec_b32 s46, s4
	s_cbranch_execz .LBB56_189
; %bb.188:                              ;   in Loop: Header=BB56_109 Depth=2
	s_waitcnt lgkmcnt(1)
	v_mul_f32_e32 v11, v8, v11
	s_waitcnt lgkmcnt(0)
	s_delay_alu instid0(VALU_DEP_1)
	v_dual_fmac_f32 v9, v8, v10 :: v_dual_mov_b32 v8, v11
.LBB56_189:                             ;   in Loop: Header=BB56_109 Depth=2
	s_or_b32 exec_lo, exec_lo, s46
	s_and_saveexec_b32 s46, s5
	s_cbranch_execz .LBB56_191
; %bb.190:                              ;   in Loop: Header=BB56_109 Depth=2
	ds_store_b64 v69, v[8:9] offset:8448
.LBB56_191:                             ;   in Loop: Header=BB56_109 Depth=2
	s_or_b32 exec_lo, exec_lo, s46
	s_waitcnt vmcnt(0) lgkmcnt(0)
	s_waitcnt_vscnt null, 0x0
	s_barrier
	buffer_gl0_inv
	s_and_saveexec_b32 s46, s6
	s_cbranch_execz .LBB56_195
; %bb.192:                              ;   in Loop: Header=BB56_109 Depth=2
	ds_load_b64 v[10:11], v70 offset:8448
	s_waitcnt lgkmcnt(0)
	v_mov_b32_dpp v176, v10 row_shr:1 row_mask:0xf bank_mask:0xf
	v_mov_b32_dpp v175, v11 row_shr:1 row_mask:0xf bank_mask:0xf
	v_mov_b32_e32 v174, v10
	s_and_saveexec_b32 s47, s7
; %bb.193:                              ;   in Loop: Header=BB56_109 Depth=2
	s_delay_alu instid0(VALU_DEP_3) | instskip(NEXT) | instid1(VALU_DEP_3)
	v_mul_f32_e32 v174, v10, v176
	v_fmac_f32_e32 v11, v10, v175
	s_delay_alu instid0(VALU_DEP_2)
	v_mov_b32_e32 v10, v174
; %bb.194:                              ;   in Loop: Header=BB56_109 Depth=2
	s_or_b32 exec_lo, exec_lo, s47
	v_mov_b32_dpp v174, v174 row_shr:2 row_mask:0xf bank_mask:0xf
	s_delay_alu instid0(VALU_DEP_3) | instskip(NEXT) | instid1(VALU_DEP_2)
	v_mov_b32_dpp v175, v11 row_shr:2 row_mask:0xf bank_mask:0xf
	v_mul_f32_e32 v174, v10, v174
	s_delay_alu instid0(VALU_DEP_2) | instskip(NEXT) | instid1(VALU_DEP_2)
	v_fma_f32 v175, v10, v175, v11
	v_cndmask_b32_e64 v10, v10, v174, s8
	s_delay_alu instid0(VALU_DEP_2)
	v_cndmask_b32_e64 v11, v11, v175, s8
	ds_store_b64 v70, v[10:11] offset:8448
.LBB56_195:                             ;   in Loop: Header=BB56_109 Depth=2
	s_or_b32 exec_lo, exec_lo, s46
	s_waitcnt lgkmcnt(0)
	s_barrier
	buffer_gl0_inv
                                        ; implicit-def: $vgpr11
	s_and_saveexec_b32 s46, s10
	s_cbranch_execz .LBB56_197
; %bb.196:                              ;   in Loop: Header=BB56_109 Depth=2
	ds_load_b64 v[10:11], v69 offset:8440
	s_waitcnt lgkmcnt(0)
	v_mul_f32_e32 v174, v8, v10
	s_delay_alu instid0(VALU_DEP_1)
	v_dual_fmac_f32 v9, v8, v11 :: v_dual_mov_b32 v8, v174
.LBB56_197:                             ;   in Loop: Header=BB56_109 Depth=2
	s_or_b32 exec_lo, exec_lo, s46
	ds_bpermute_b32 v174, v71, v8
	ds_bpermute_b32 v175, v71, v9
	s_and_saveexec_b32 s46, s9
	s_cbranch_execz .LBB56_201
; %bb.198:                              ;   in Loop: Header=BB56_109 Depth=2
	ds_load_b64 v[8:9], v21 offset:8472
	s_and_saveexec_b32 s47, s11
	s_cbranch_execz .LBB56_200
; %bb.199:                              ;   in Loop: Header=BB56_109 Depth=2
	ds_store_b64 v21, v[16:17] offset:8472
.LBB56_200:                             ;   in Loop: Header=BB56_109 Depth=2
	s_or_b32 exec_lo, exec_lo, s47
	s_waitcnt lgkmcnt(0)
	v_fmac_f32_e32 v9, v17, v8
	s_delay_alu instid0(VALU_DEP_1)
	v_dual_mul_f32 v16, v16, v8 :: v_dual_mov_b32 v17, v9
.LBB56_201:                             ;   in Loop: Header=BB56_109 Depth=2
	s_or_b32 exec_lo, exec_lo, s46
	s_waitcnt lgkmcnt(0)
	s_barrier
	buffer_gl0_inv
	ds_load_b32 v8, v21 offset:8476
	s_and_saveexec_b32 s46, s11
	s_cbranch_execz .LBB56_108
; %bb.202:                              ;   in Loop: Header=BB56_109 Depth=2
	v_mov_b32_e32 v9, s89
	s_and_not1_b32 vcc_lo, exec_lo, s87
	ds_store_b64 v9, v[16:17]
	s_cbranch_vccnz .LBB56_108
; %bb.203:                              ;   in Loop: Header=BB56_109 Depth=2
	s_mov_b32 s59, s65
	s_delay_alu instid0(SALU_CYCLE_1) | instskip(NEXT) | instid1(SALU_CYCLE_1)
	s_lshl_b64 s[90:91], s[58:59], 2
	s_add_u32 s90, s76, s90
	s_addc_u32 s91, s77, s91
	global_store_b32 v21, v17, s[90:91]
	s_branch .LBB56_108
.LBB56_204:                             ;   in Loop: Header=BB56_12 Depth=1
	v_bfe_u32 v0, v119, 16, 1
	v_bfe_u32 v1, v120, 16, 1
	v_cmp_o_f32_e32 vcc_lo, v119, v119
	v_bfe_u32 v2, v117, 16, 1
	v_bfe_u32 v4, v115, 16, 1
	v_add3_u32 v0, v119, v0, 0x7fff
	v_add3_u32 v1, v120, v1, 0x7fff
	v_bfe_u32 v7, v111, 16, 1
	v_add3_u32 v2, v117, v2, 0x7fff
	v_bfe_u32 v6, v112, 16, 1
	v_lshrrev_b32_e32 v0, 16, v0
	v_lshrrev_b32_e32 v1, 16, v1
	v_add3_u32 v4, v115, v4, 0x7fff
	v_lshrrev_b32_e32 v2, 16, v2
	v_add3_u32 v7, v111, v7, 0x7fff
	v_cndmask_b32_e32 v0, 0x7fc0, v0, vcc_lo
	v_cmp_o_f32_e32 vcc_lo, v120, v120
	v_add3_u32 v6, v112, v6, 0x7fff
	v_bfe_u32 v3, v118, 16, 1
	v_bfe_u32 v10, v107, 16, 1
	v_bfe_u32 v11, v101, 16, 1
	v_cndmask_b32_e32 v5, 0x7fc0, v1, vcc_lo
	v_bfe_u32 v1, v114, 16, 1
	v_cmp_o_f32_e32 vcc_lo, v117, v117
	v_lshrrev_b32_e32 v6, 16, v6
	v_add3_u32 v3, v118, v3, 0x7fff
	v_bfe_u32 v12, v104, 16, 1
	v_add3_u32 v1, v114, v1, 0x7fff
	v_cndmask_b32_e32 v8, 0x7fc0, v2, vcc_lo
	v_cmp_o_f32_e32 vcc_lo, v114, v114
	v_lshrrev_b32_e32 v2, 16, v4
	v_lshrrev_b32_e32 v4, 16, v7
	;; [unrolled: 1-line block ×4, first 2 shown]
	v_bfe_u32 v7, v109, 16, 1
	v_add3_u32 v11, v101, v11, 0x7fff
	v_perm_b32 v0, v5, v0, 0x5040100
	v_cndmask_b32_e32 v1, 0x7fc0, v1, vcc_lo
	v_cmp_o_f32_e32 vcc_lo, v111, v111
	s_waitcnt_vscnt null, 0x0
	s_barrier
	buffer_gl0_inv
	s_mov_b32 s51, s65
	v_cndmask_b32_e32 v4, 0x7fc0, v4, vcc_lo
	v_cmp_o_f32_e32 vcc_lo, v112, v112
	s_lshl_b64 s[34:35], s[50:51], 1
	v_cndmask_b32_e32 v6, 0x7fc0, v6, vcc_lo
	v_cmp_o_f32_e32 vcc_lo, v115, v115
	v_cndmask_b32_e32 v2, 0x7fc0, v2, vcc_lo
	v_cmp_o_f32_e32 vcc_lo, v118, v118
	s_delay_alu instid0(VALU_DEP_2)
	v_perm_b32 v2, v2, v1, 0x5040100
	v_cndmask_b32_e32 v9, 0x7fc0, v3, vcc_lo
	v_perm_b32 v3, v6, v4, 0x5040100
	v_add3_u32 v6, v109, v7, 0x7fff
	v_bfe_u32 v7, v106, 16, 1
	v_cmp_o_f32_e32 vcc_lo, v109, v109
	v_perm_b32 v1, v9, v8, 0x5040100
	v_add3_u32 v8, v107, v10, 0x7fff
	v_lshrrev_b32_e32 v6, 16, v6
	v_add3_u32 v7, v106, v7, 0x7fff
	v_bfe_u32 v10, v103, 16, 1
	v_bfe_u32 v4, v110, 16, 1
	s_delay_alu instid0(VALU_DEP_4) | instskip(NEXT) | instid1(VALU_DEP_4)
	v_cndmask_b32_e32 v9, 0x7fc0, v6, vcc_lo
	v_lshrrev_b32_e32 v6, 16, v7
	v_lshrrev_b32_e32 v7, 16, v8
	v_bfe_u32 v8, v102, 16, 1
	v_cmp_o_f32_e32 vcc_lo, v106, v106
	v_add3_u32 v4, v110, v4, 0x7fff
	s_delay_alu instid0(VALU_DEP_3)
	v_add3_u32 v8, v102, v8, 0x7fff
	v_cndmask_b32_e32 v13, 0x7fc0, v6, vcc_lo
	v_cmp_o_f32_e32 vcc_lo, v107, v107
	v_add3_u32 v6, v103, v10, 0x7fff
	v_add3_u32 v10, v104, v12, 0x7fff
	v_lshrrev_b32_e32 v4, 16, v4
	v_cndmask_b32_e32 v12, 0x7fc0, v7, vcc_lo
	v_lshrrev_b32_e32 v7, 16, v8
	v_cmp_o_f32_e32 vcc_lo, v102, v102
	v_lshrrev_b32_e32 v8, 16, v11
	v_lshrrev_b32_e32 v10, 16, v10
	v_lshrrev_b32_e32 v6, 16, v6
	v_perm_b32 v5, v12, v13, 0x5040100
	v_cndmask_b32_e32 v11, 0x7fc0, v7, vcc_lo
	v_cmp_o_f32_e32 vcc_lo, v101, v101
	v_cndmask_b32_e32 v7, 0x7fc0, v8, vcc_lo
	v_cmp_o_f32_e32 vcc_lo, v104, v104
	;; [unrolled: 2-line block ×3, first 2 shown]
	s_delay_alu instid0(VALU_DEP_2) | instskip(SKIP_2) | instid1(VALU_DEP_2)
	v_perm_b32 v7, v8, v7, 0x5040100
	v_cndmask_b32_e32 v6, 0x7fc0, v6, vcc_lo
	v_cmp_o_f32_e32 vcc_lo, v110, v110
	v_perm_b32 v6, v6, v11, 0x5040100
	v_cndmask_b32_e32 v4, 0x7fc0, v4, vcc_lo
	s_delay_alu instid0(VALU_DEP_1)
	v_perm_b32 v4, v4, v9, 0x5040100
	ds_store_b128 v52, v[0:3]
	ds_store_b128 v52, v[4:7] offset:16
	; wave barrier
	ds_load_u16 v16, v37 offset:64
	ds_load_u16 v15, v38 offset:128
	;; [unrolled: 1-line block ×15, first 2 shown]
	v_add_co_u32 v0, vcc_lo, v72, s34
	v_add_co_ci_u32_e32 v1, vcc_lo, s35, v73, vcc_lo
	s_and_saveexec_b32 s29, s13
	s_cbranch_execnz .LBB56_271
; %bb.205:                              ;   in Loop: Header=BB56_12 Depth=1
	s_or_b32 exec_lo, exec_lo, s29
	s_and_saveexec_b32 s29, s14
	s_cbranch_execnz .LBB56_272
.LBB56_206:                             ;   in Loop: Header=BB56_12 Depth=1
	s_or_b32 exec_lo, exec_lo, s29
	s_and_saveexec_b32 s29, s15
	s_cbranch_execnz .LBB56_273
.LBB56_207:                             ;   in Loop: Header=BB56_12 Depth=1
	s_or_b32 exec_lo, exec_lo, s29
	s_and_saveexec_b32 s29, s16
	s_cbranch_execnz .LBB56_274
.LBB56_208:                             ;   in Loop: Header=BB56_12 Depth=1
	s_or_b32 exec_lo, exec_lo, s29
	s_and_saveexec_b32 s29, s17
	s_cbranch_execnz .LBB56_275
.LBB56_209:                             ;   in Loop: Header=BB56_12 Depth=1
	s_or_b32 exec_lo, exec_lo, s29
	s_and_saveexec_b32 s29, s18
	s_cbranch_execnz .LBB56_276
.LBB56_210:                             ;   in Loop: Header=BB56_12 Depth=1
	s_or_b32 exec_lo, exec_lo, s29
	s_and_saveexec_b32 s29, s19
	s_cbranch_execnz .LBB56_277
.LBB56_211:                             ;   in Loop: Header=BB56_12 Depth=1
	s_or_b32 exec_lo, exec_lo, s29
	s_and_saveexec_b32 s29, s20
	s_cbranch_execnz .LBB56_278
.LBB56_212:                             ;   in Loop: Header=BB56_12 Depth=1
	s_or_b32 exec_lo, exec_lo, s29
	s_and_saveexec_b32 s29, s21
	s_cbranch_execnz .LBB56_279
.LBB56_213:                             ;   in Loop: Header=BB56_12 Depth=1
	s_or_b32 exec_lo, exec_lo, s29
	s_and_saveexec_b32 s29, s22
	s_cbranch_execnz .LBB56_280
.LBB56_214:                             ;   in Loop: Header=BB56_12 Depth=1
	s_or_b32 exec_lo, exec_lo, s29
	s_and_saveexec_b32 s29, s23
	s_cbranch_execnz .LBB56_281
.LBB56_215:                             ;   in Loop: Header=BB56_12 Depth=1
	s_or_b32 exec_lo, exec_lo, s29
	s_and_saveexec_b32 s29, s24
	s_cbranch_execnz .LBB56_282
.LBB56_216:                             ;   in Loop: Header=BB56_12 Depth=1
	s_or_b32 exec_lo, exec_lo, s29
	s_and_saveexec_b32 s29, s25
	s_cbranch_execnz .LBB56_283
.LBB56_217:                             ;   in Loop: Header=BB56_12 Depth=1
	s_or_b32 exec_lo, exec_lo, s29
	s_and_saveexec_b32 s29, s26
	s_cbranch_execnz .LBB56_284
.LBB56_218:                             ;   in Loop: Header=BB56_12 Depth=1
	s_or_b32 exec_lo, exec_lo, s29
	s_and_saveexec_b32 s29, s27
	s_cbranch_execnz .LBB56_285
.LBB56_219:                             ;   in Loop: Header=BB56_12 Depth=1
	s_or_b32 exec_lo, exec_lo, s29
	s_and_saveexec_b32 s29, s28
	s_cbranch_execz .LBB56_221
.LBB56_220:                             ;   in Loop: Header=BB56_12 Depth=1
	s_waitcnt lgkmcnt(0)
	global_store_b16 v[0:1], v2, off offset:960
.LBB56_221:                             ;   in Loop: Header=BB56_12 Depth=1
	s_or_b32 exec_lo, exec_lo, s29
	v_add_co_u32 v0, vcc_lo, v74, s34
	v_add_co_ci_u32_e32 v1, vcc_lo, s35, v75, vcc_lo
	s_waitcnt lgkmcnt(0)
	v_dual_mov_b32 v2, 0 :: v_dual_mov_b32 v3, 0
	s_waitcnt_vscnt null, 0x0
	s_barrier
	buffer_gl0_inv
	s_and_saveexec_b32 s29, s13
	s_cbranch_execz .LBB56_223
; %bb.222:                              ;   in Loop: Header=BB56_12 Depth=1
	global_load_u16 v3, v[0:1], off
.LBB56_223:                             ;   in Loop: Header=BB56_12 Depth=1
	s_or_b32 exec_lo, exec_lo, s29
	s_and_saveexec_b32 s29, s14
	s_cbranch_execz .LBB56_225
; %bb.224:                              ;   in Loop: Header=BB56_12 Depth=1
	global_load_u16 v2, v[0:1], off offset:64
.LBB56_225:                             ;   in Loop: Header=BB56_12 Depth=1
	s_or_b32 exec_lo, exec_lo, s29
	v_dual_mov_b32 v4, 0 :: v_dual_mov_b32 v5, 0
	s_and_saveexec_b32 s29, s15
	s_cbranch_execz .LBB56_227
; %bb.226:                              ;   in Loop: Header=BB56_12 Depth=1
	global_load_u16 v5, v[0:1], off offset:128
.LBB56_227:                             ;   in Loop: Header=BB56_12 Depth=1
	s_or_b32 exec_lo, exec_lo, s29
	s_and_saveexec_b32 s29, s16
	s_cbranch_execz .LBB56_229
; %bb.228:                              ;   in Loop: Header=BB56_12 Depth=1
	global_load_u16 v4, v[0:1], off offset:192
.LBB56_229:                             ;   in Loop: Header=BB56_12 Depth=1
	s_or_b32 exec_lo, exec_lo, s29
	v_dual_mov_b32 v6, 0 :: v_dual_mov_b32 v7, 0
	s_and_saveexec_b32 s29, s17
	s_cbranch_execz .LBB56_231
; %bb.230:                              ;   in Loop: Header=BB56_12 Depth=1
	global_load_u16 v7, v[0:1], off offset:256
.LBB56_231:                             ;   in Loop: Header=BB56_12 Depth=1
	;; [unrolled: 13-line block ×7, first 2 shown]
	s_or_b32 exec_lo, exec_lo, s29
	s_and_saveexec_b32 s29, s28
	s_cbranch_execz .LBB56_253
; %bb.252:                              ;   in Loop: Header=BB56_12 Depth=1
	global_load_u16 v16, v[0:1], off offset:960
.LBB56_253:                             ;   in Loop: Header=BB56_12 Depth=1
	s_or_b32 exec_lo, exec_lo, s29
	s_waitcnt vmcnt(0)
	ds_store_b16 v37, v3
	ds_store_b16 v37, v2 offset:64
	ds_store_b16 v38, v5 offset:128
	;; [unrolled: 1-line block ×15, first 2 shown]
	; wave barrier
	ds_load_b128 v[4:7], v52
	ds_load_b128 v[0:3], v52 offset:16
	s_waitcnt lgkmcnt(0)
	s_barrier
	buffer_gl0_inv
	v_and_b32_e32 v8, 0xffff0000, v4
	v_and_b32_e32 v15, 0xffff0000, v5
	;; [unrolled: 1-line block ×3, first 2 shown]
	v_lshlrev_b32_e32 v5, 16, v5
	s_delay_alu instid0(VALU_DEP_4) | instskip(NEXT) | instid1(VALU_DEP_3)
	v_mul_f32_e32 v9, 0xbfb8aa3b, v8
	v_mul_f32_e32 v17, 0xbfb8aa3b, v16
	s_delay_alu instid0(VALU_DEP_3) | instskip(NEXT) | instid1(VALU_DEP_3)
	v_cmp_nlt_f32_e64 s30, 0x42ce8ed0, v5
	v_fma_f32 v11, 0xbfb8aa3b, v8, -v9
	v_rndne_f32_e32 v12, v9
	s_delay_alu instid0(VALU_DEP_4) | instskip(NEXT) | instid1(VALU_DEP_3)
	v_rndne_f32_e32 v100, v17
	v_fmac_f32_e32 v11, 0xb2a5705f, v8
	s_delay_alu instid0(VALU_DEP_3) | instskip(SKIP_1) | instid1(VALU_DEP_2)
	v_sub_f32_e32 v9, v9, v12
	v_cvt_i32_f32_e32 v12, v12
	v_add_f32_e32 v9, v9, v11
	v_cmp_nlt_f32_e32 vcc_lo, 0x42ce8ed0, v8
	v_lshlrev_b32_e32 v11, 16, v6
	s_delay_alu instid0(VALU_DEP_3) | instskip(SKIP_2) | instid1(VALU_DEP_1)
	v_exp_f32_e32 v9, v9
	s_waitcnt_depctr 0xfff
	v_ldexp_f32 v9, v9, v12
	v_dual_cndmask_b32 v9, 0, v9 :: v_dual_lshlrev_b32 v4, 16, v4
	s_delay_alu instid0(VALU_DEP_1) | instskip(SKIP_1) | instid1(VALU_DEP_2)
	v_mul_f32_e32 v10, 0xbfb8aa3b, v4
	v_cmp_nlt_f32_e32 vcc_lo, 0x42ce8ed0, v4
	v_rndne_f32_e32 v13, v10
	v_fma_f32 v14, 0xbfb8aa3b, v4, -v10
	s_delay_alu instid0(VALU_DEP_2) | instskip(NEXT) | instid1(VALU_DEP_2)
	v_sub_f32_e32 v10, v10, v13
	v_fmac_f32_e32 v14, 0xb2a5705f, v4
	v_cvt_i32_f32_e32 v13, v13
	s_delay_alu instid0(VALU_DEP_2) | instskip(SKIP_2) | instid1(VALU_DEP_3)
	v_add_f32_e32 v6, v10, v14
	v_mul_f32_e32 v14, 0xbfb8aa3b, v5
	v_mul_f32_e32 v10, 0xbfb8aa3b, v15
	v_exp_f32_e32 v6, v6
	s_delay_alu instid0(VALU_DEP_1) | instskip(SKIP_1) | instid1(VALU_DEP_2)
	v_fma_f32 v94, 0xbfb8aa3b, v15, -v10
	v_rndne_f32_e32 v95, v10
	v_fmac_f32_e32 v94, 0xb2a5705f, v15
	s_waitcnt_depctr 0xfff
	v_ldexp_f32 v6, v6, v13
	v_mul_f32_e32 v13, 0xbfb8aa3b, v11
	v_rndne_f32_e32 v96, v14
	v_fma_f32 v97, 0xbfb8aa3b, v5, -v14
	v_sub_f32_e32 v10, v10, v95
	v_cndmask_b32_e32 v6, 0, v6, vcc_lo
	v_cmp_ngt_f32_e32 vcc_lo, 0xc2b17218, v8
	s_delay_alu instid0(VALU_DEP_4) | instskip(SKIP_4) | instid1(VALU_DEP_2)
	v_dual_sub_f32 v12, v14, v96 :: v_dual_fmac_f32 v97, 0xb2a5705f, v5
	v_cvt_i32_f32_e32 v95, v95
	v_cvt_i32_f32_e32 v96, v96
	v_cndmask_b32_e32 v9, 0x7f800000, v9, vcc_lo
	v_cmp_ngt_f32_e32 vcc_lo, 0xc2b17218, v4
	v_dual_add_f32 v9, 1.0, v9 :: v_dual_cndmask_b32 v6, 0x7f800000, v6
	v_cmp_nlt_f32_e32 vcc_lo, 0x42ce8ed0, v15
	s_delay_alu instid0(VALU_DEP_2) | instskip(NEXT) | instid1(VALU_DEP_3)
	v_div_scale_f32 v14, null, v9, v9, v8
	v_add_f32_e32 v6, 1.0, v6
	s_delay_alu instid0(VALU_DEP_2) | instskip(NEXT) | instid1(VALU_DEP_1)
	v_rcp_f32_e32 v98, v14
	v_div_scale_f32 v113, s29, v4, v6, v4
	v_add_f32_e32 v12, v12, v97
	v_fma_f32 v97, 0xbfb8aa3b, v16, -v17
	v_dual_add_f32 v10, v10, v94 :: v_dual_sub_f32 v17, v17, v100
	v_div_scale_f32 v94, null, v6, v6, v4
	s_delay_alu instid0(VALU_DEP_3) | instskip(NEXT) | instid1(VALU_DEP_3)
	v_fmac_f32_e32 v97, 0xb2a5705f, v16
	v_exp_f32_e32 v10, v10
	v_cvt_i32_f32_e32 v100, v100
	s_delay_alu instid0(VALU_DEP_3) | instskip(NEXT) | instid1(VALU_DEP_2)
	v_rcp_f32_e32 v99, v94
	v_add_f32_e32 v17, v17, v97
	s_waitcnt_depctr 0xfff
	v_ldexp_f32 v10, v10, v95
	v_rndne_f32_e32 v95, v13
	v_fma_f32 v105, -v94, v99, 1.0
	s_delay_alu instid0(VALU_DEP_1) | instskip(NEXT) | instid1(VALU_DEP_1)
	v_fmac_f32_e32 v99, v105, v99
	v_mul_f32_e32 v105, v113, v99
	v_exp_f32_e32 v12, v12
	s_delay_alu instid0(VALU_DEP_1) | instskip(SKIP_2) | instid1(VALU_DEP_3)
	v_fma_f32 v121, -v94, v105, v113
	v_cndmask_b32_e32 v10, 0, v10, vcc_lo
	v_div_scale_f32 v108, vcc_lo, v8, v9, v8
	v_fmac_f32_e32 v105, v121, v99
	s_waitcnt_depctr 0xfff
	v_ldexp_f32 v12, v12, v96
	v_fma_f32 v96, -v14, v98, 1.0
	v_fma_f32 v94, -v94, v105, v113
	s_delay_alu instid0(VALU_DEP_3) | instskip(SKIP_1) | instid1(VALU_DEP_4)
	v_cndmask_b32_e64 v12, 0, v12, s30
	v_cmp_ngt_f32_e64 s30, 0xc2b17218, v15
	v_fmac_f32_e32 v98, v96, v98
	s_delay_alu instid0(VALU_DEP_2) | instskip(SKIP_1) | instid1(VALU_DEP_2)
	v_cndmask_b32_e64 v10, 0x7f800000, v10, s30
	v_cmp_ngt_f32_e64 s30, 0xc2b17218, v5
	v_add_f32_e32 v10, 1.0, v10
	s_delay_alu instid0(VALU_DEP_2) | instskip(SKIP_1) | instid1(VALU_DEP_3)
	v_cndmask_b32_e64 v12, 0x7f800000, v12, s30
	v_cmp_nlt_f32_e64 s30, 0x42ce8ed0, v16
	v_div_scale_f32 v122, null, v10, v10, v15
	s_delay_alu instid0(VALU_DEP_1) | instskip(SKIP_1) | instid1(VALU_DEP_1)
	v_rcp_f32_e32 v121, v122
	v_mul_f32_e32 v96, v108, v98
	v_fma_f32 v116, -v14, v96, v108
	s_delay_alu instid0(VALU_DEP_1) | instskip(NEXT) | instid1(VALU_DEP_1)
	v_fmac_f32_e32 v96, v116, v98
	v_fma_f32 v14, -v14, v96, v108
	v_sub_f32_e32 v108, v13, v95
	v_fma_f32 v13, 0xbfb8aa3b, v11, -v13
	v_add_f32_e32 v12, 1.0, v12
	v_cvt_i32_f32_e32 v95, v95
	v_div_fmas_f32 v14, v14, v98, v96
	s_mov_b32 vcc_lo, s29
	v_fmac_f32_e32 v13, 0xb2a5705f, v11
	v_div_scale_f32 v116, null, v12, v12, v5
	v_div_fmas_f32 v94, v94, v99, v105
	v_div_fixup_f32 v8, v14, v9, v8
	v_fma_f32 v9, -v122, v121, 1.0
	s_delay_alu instid0(VALU_DEP_4) | instskip(SKIP_2) | instid1(VALU_DEP_3)
	v_rcp_f32_e32 v96, v116
	v_div_scale_f32 v98, s29, v5, v12, v5
	v_div_fixup_f32 v4, v94, v6, v4
	v_fmac_f32_e32 v121, v9, v121
	s_delay_alu instid0(VALU_DEP_2)
	v_mul_f32_e32 v9, v119, v4
	v_div_scale_f32 v6, vcc_lo, v15, v10, v15
	s_waitcnt_depctr 0xfff
	v_fma_f32 v14, -v116, v96, 1.0
	v_exp_f32_e32 v4, v17
	v_bfe_u32 v97, v9, 16, 1
	s_delay_alu instid0(VALU_DEP_2) | instskip(NEXT) | instid1(VALU_DEP_2)
	v_fmac_f32_e32 v96, v14, v96
	v_add3_u32 v14, v9, v97, 0x7fff
	s_delay_alu instid0(VALU_DEP_2) | instskip(SKIP_2) | instid1(VALU_DEP_4)
	v_mul_f32_e32 v97, v98, v96
	v_add_f32_e32 v13, v108, v13
	v_mul_f32_e32 v94, v6, v121
	v_lshrrev_b32_e32 v14, 16, v14
	s_delay_alu instid0(TRANS32_DEP_1) | instskip(NEXT) | instid1(VALU_DEP_4)
	v_ldexp_f32 v4, v4, v100
	v_exp_f32_e32 v13, v13
	s_delay_alu instid0(VALU_DEP_3) | instskip(NEXT) | instid1(VALU_DEP_2)
	v_fma_f32 v99, -v122, v94, v6
	v_cndmask_b32_e64 v4, 0, v4, s30
	s_delay_alu instid0(VALU_DEP_2) | instskip(SKIP_1) | instid1(VALU_DEP_2)
	v_fmac_f32_e32 v94, v99, v121
	v_fma_f32 v99, -v116, v97, v98
	v_fma_f32 v6, -v122, v94, v6
	s_delay_alu instid0(VALU_DEP_2) | instskip(SKIP_1) | instid1(VALU_DEP_3)
	v_fmac_f32_e32 v97, v99, v96
	v_lshlrev_b32_e32 v99, 16, v7
	v_div_fmas_f32 v6, v6, v121, v94
	v_cmp_ngt_f32_e32 vcc_lo, 0xc2b17218, v16
	s_delay_alu instid0(VALU_DEP_3) | instskip(NEXT) | instid1(VALU_DEP_3)
	v_mul_f32_e32 v100, 0xbfb8aa3b, v99
	v_div_fixup_f32 v6, v6, v10, v15
	v_cndmask_b32_e32 v94, 0x7f800000, v4, vcc_lo
	v_mul_f32_e32 v8, v120, v8
	v_ldexp_f32 v10, v13, v95
	v_fma_f32 v113, 0xbfb8aa3b, v99, -v100
	s_delay_alu instid0(VALU_DEP_4) | instskip(NEXT) | instid1(VALU_DEP_4)
	v_add_f32_e32 v13, 1.0, v94
	v_bfe_u32 v17, v8, 16, 1
	v_cmp_o_f32_e32 vcc_lo, v8, v8
	s_delay_alu instid0(VALU_DEP_4) | instskip(NEXT) | instid1(VALU_DEP_4)
	v_fmac_f32_e32 v113, 0xb2a5705f, v99
	v_div_scale_f32 v15, null, v13, v13, v16
	s_delay_alu instid0(VALU_DEP_4) | instskip(SKIP_1) | instid1(VALU_DEP_2)
	v_add3_u32 v17, v8, v17, 0x7fff
	v_fma_f32 v8, -v116, v97, v98
	v_lshrrev_b32_e32 v17, 16, v17
	s_delay_alu instid0(VALU_DEP_1) | instskip(SKIP_1) | instid1(VALU_DEP_3)
	v_cndmask_b32_e32 v4, 0x7fc0, v17, vcc_lo
	s_mov_b32 vcc_lo, s29
	v_div_fmas_f32 v8, v8, v96, v97
	v_cmp_nlt_f32_e32 vcc_lo, 0x42ce8ed0, v11
	s_delay_alu instid0(VALU_DEP_2) | instskip(SKIP_3) | instid1(VALU_DEP_3)
	v_div_fixup_f32 v5, v8, v12, v5
	v_cndmask_b32_e32 v10, 0, v10, vcc_lo
	v_cmp_ngt_f32_e32 vcc_lo, 0xc2b17218, v11
	v_rcp_f32_e32 v8, v15
	v_mul_f32_e32 v12, v117, v5
	s_delay_alu instid0(VALU_DEP_3)
	v_cndmask_b32_e32 v10, 0x7f800000, v10, vcc_lo
	v_cmp_o_f32_e32 vcc_lo, v9, v9
	v_cndmask_b32_e32 v5, 0x7fc0, v14, vcc_lo
	v_and_b32_e32 v14, 0xffff0000, v7
	s_waitcnt_depctr 0xfff
	v_fma_f32 v94, -v15, v8, 1.0
	v_div_scale_f32 v7, vcc_lo, v16, v13, v16
	v_mul_f32_e32 v96, 0xbfb8aa3b, v14
	s_delay_alu instid0(VALU_DEP_3) | instskip(NEXT) | instid1(VALU_DEP_2)
	v_fmac_f32_e32 v8, v94, v8
	v_fma_f32 v97, 0xbfb8aa3b, v14, -v96
	v_rndne_f32_e32 v98, v96
	s_delay_alu instid0(VALU_DEP_3) | instskip(NEXT) | instid1(VALU_DEP_3)
	v_mul_f32_e32 v105, v7, v8
	v_fmac_f32_e32 v97, 0xb2a5705f, v14
	v_bfe_u32 v17, v12, 16, 1
	s_delay_alu instid0(VALU_DEP_3) | instskip(SKIP_1) | instid1(VALU_DEP_3)
	v_fma_f32 v116, -v15, v105, v7
	v_mul_f32_e32 v6, v118, v6
	v_add3_u32 v17, v12, v17, 0x7fff
	s_delay_alu instid0(VALU_DEP_3) | instskip(NEXT) | instid1(VALU_DEP_3)
	v_fmac_f32_e32 v105, v116, v8
	v_bfe_u32 v9, v6, 16, 1
	v_cmp_o_f32_e64 s30, v6, v6
	s_delay_alu instid0(VALU_DEP_4) | instskip(SKIP_1) | instid1(VALU_DEP_4)
	v_lshrrev_b32_e32 v17, 16, v17
	v_sub_f32_e32 v96, v96, v98
	v_add3_u32 v9, v6, v9, 0x7fff
	v_cvt_i32_f32_e32 v98, v98
	v_fma_f32 v7, -v15, v105, v7
	s_delay_alu instid0(VALU_DEP_4) | instskip(NEXT) | instid1(VALU_DEP_4)
	v_add_f32_e32 v96, v96, v97
	v_lshrrev_b32_e32 v9, 16, v9
	v_rndne_f32_e32 v97, v100
	s_delay_alu instid0(VALU_DEP_4)
	v_div_fmas_f32 v7, v7, v8, v105
	v_cmp_ngt_f32_e32 vcc_lo, 0xc2b17218, v14
	v_exp_f32_e32 v96, v96
	v_cndmask_b32_e64 v6, 0x7fc0, v9, s30
	v_cmp_nlt_f32_e64 s30, 0x42ce8ed0, v14
	v_sub_f32_e32 v100, v100, v97
	v_cvt_i32_f32_e32 v97, v97
	v_div_fixup_f32 v13, v7, v13, v16
	s_delay_alu instid0(VALU_DEP_3) | instskip(NEXT) | instid1(TRANS32_DEP_1)
	v_add_f32_e32 v100, v100, v113
	v_ldexp_f32 v9, v96, v98
	s_delay_alu instid0(VALU_DEP_2) | instskip(NEXT) | instid1(VALU_DEP_1)
	v_exp_f32_e32 v96, v100
	v_cndmask_b32_e64 v9, 0, v9, s30
	s_delay_alu instid0(VALU_DEP_1) | instskip(NEXT) | instid1(VALU_DEP_1)
	v_dual_add_f32 v10, 1.0, v10 :: v_dual_cndmask_b32 v9, 0x7f800000, v9
	v_div_scale_f32 v95, null, v10, v10, v11
	s_waitcnt_depctr 0xfff
	v_ldexp_f32 v8, v96, v97
	v_cmp_nlt_f32_e32 vcc_lo, 0x42ce8ed0, v99
	v_add_f32_e32 v9, 1.0, v9
	v_rcp_f32_e32 v94, v95
	s_delay_alu instid0(VALU_DEP_3) | instskip(SKIP_2) | instid1(VALU_DEP_1)
	v_cndmask_b32_e32 v8, 0, v8, vcc_lo
	s_waitcnt_depctr 0xfff
	v_fma_f32 v108, -v95, v94, 1.0
	v_fmac_f32_e32 v94, v108, v94
	v_div_scale_f32 v108, s29, v11, v10, v11
	s_delay_alu instid0(VALU_DEP_1) | instskip(NEXT) | instid1(VALU_DEP_1)
	s_mov_b32 vcc_lo, s29
	v_mul_f32_e32 v113, v108, v94
	v_div_scale_f32 v16, null, v9, v9, v14
	s_delay_alu instid0(VALU_DEP_2) | instskip(NEXT) | instid1(VALU_DEP_1)
	v_fma_f32 v15, -v95, v113, v108
	v_fmac_f32_e32 v113, v15, v94
	s_delay_alu instid0(VALU_DEP_1) | instskip(NEXT) | instid1(VALU_DEP_1)
	v_fma_f32 v7, -v95, v113, v108
	v_div_fmas_f32 v15, v7, v94, v113
	v_cmp_ngt_f32_e32 vcc_lo, 0xc2b17218, v99
	s_delay_alu instid0(VALU_DEP_2)
	v_div_fixup_f32 v10, v15, v10, v11
	v_cndmask_b32_e32 v8, 0x7f800000, v8, vcc_lo
	v_cmp_o_f32_e32 vcc_lo, v12, v12
	v_mul_f32_e32 v11, v115, v13
	v_rcp_f32_e32 v12, v16
	v_and_b32_e32 v13, 0xffff0000, v0
	v_dual_cndmask_b32 v7, 0x7fc0, v17 :: v_dual_lshlrev_b32 v0, 16, v0
	v_div_scale_f32 v105, vcc_lo, v14, v9, v14
	s_delay_alu instid0(VALU_DEP_3) | instskip(SKIP_3) | instid1(TRANS32_DEP_1)
	v_mul_f32_e32 v94, 0xbfb8aa3b, v13
	v_mul_f32_e32 v10, v114, v10
	v_cmp_nlt_f32_e64 s30, 0x42ce8ed0, v13
	v_bfe_u32 v15, v11, 16, 1
	v_fma_f32 v96, -v16, v12, 1.0
	v_fma_f32 v98, 0xbfb8aa3b, v13, -v94
	v_rndne_f32_e32 v100, v94
	s_delay_alu instid0(VALU_DEP_4) | instskip(NEXT) | instid1(VALU_DEP_4)
	v_add3_u32 v15, v11, v15, 0x7fff
	v_fmac_f32_e32 v12, v96, v12
	s_delay_alu instid0(VALU_DEP_4) | instskip(NEXT) | instid1(VALU_DEP_4)
	v_fmac_f32_e32 v98, 0xb2a5705f, v13
	v_sub_f32_e32 v94, v94, v100
	v_mul_f32_e32 v96, 0xbfb8aa3b, v0
	v_cvt_i32_f32_e32 v100, v100
	v_lshrrev_b32_e32 v15, 16, v15
	s_delay_alu instid0(VALU_DEP_4) | instskip(NEXT) | instid1(VALU_DEP_4)
	v_add_f32_e32 v94, v94, v98
	v_rndne_f32_e32 v98, v96
	v_fma_f32 v113, 0xbfb8aa3b, v0, -v96
	s_delay_alu instid0(VALU_DEP_1) | instskip(SKIP_1) | instid1(VALU_DEP_2)
	v_dual_sub_f32 v96, v96, v98 :: v_dual_fmac_f32 v113, 0xb2a5705f, v0
	v_cvt_i32_f32_e32 v98, v98
	v_add_f32_e32 v96, v96, v113
	s_delay_alu instid0(VALU_DEP_1) | instskip(SKIP_4) | instid1(VALU_DEP_1)
	v_exp_f32_e32 v96, v96
	s_waitcnt_depctr 0xfff
	v_ldexp_f32 v96, v96, v98
	v_and_b32_e32 v98, 0xffff0000, v1
	v_dual_mul_f32 v114, v105, v12 :: v_dual_lshlrev_b32 v1, 16, v1
	v_fma_f32 v113, -v16, v114, v105
	s_delay_alu instid0(VALU_DEP_1) | instskip(NEXT) | instid1(VALU_DEP_1)
	v_fmac_f32_e32 v114, v113, v12
	v_fma_f32 v16, -v16, v114, v105
	s_delay_alu instid0(VALU_DEP_1) | instskip(SKIP_1) | instid1(VALU_DEP_2)
	v_div_fmas_f32 v12, v16, v12, v114
	v_cmp_nlt_f32_e32 vcc_lo, 0x42ce8ed0, v0
	v_div_fixup_f32 v9, v12, v9, v14
	s_delay_alu instid0(VALU_DEP_1) | instskip(NEXT) | instid1(VALU_DEP_1)
	v_dual_add_f32 v8, 1.0, v8 :: v_dual_mul_f32 v9, v112, v9
	v_div_scale_f32 v17, null, v8, v8, v99
	v_mul_f32_e32 v112, 0xbfb8aa3b, v1
	s_delay_alu instid0(VALU_DEP_2) | instskip(NEXT) | instid1(VALU_DEP_1)
	v_rcp_f32_e32 v97, v17
	v_fma_f32 v113, 0xbfb8aa3b, v1, -v112
	s_delay_alu instid0(VALU_DEP_1) | instskip(SKIP_3) | instid1(VALU_DEP_1)
	v_fmac_f32_e32 v113, 0xb2a5705f, v1
	v_exp_f32_e32 v94, v94
	s_waitcnt_depctr 0xfff
	v_fma_f32 v108, -v17, v97, 1.0
	v_fmac_f32_e32 v97, v108, v97
	v_div_scale_f32 v108, s29, v99, v8, v99
	v_ldexp_f32 v94, v94, v100
	s_delay_alu instid0(VALU_DEP_2) | instskip(NEXT) | instid1(VALU_DEP_2)
	v_mul_f32_e32 v115, v108, v97
	v_cndmask_b32_e64 v94, 0, v94, s30
	v_cmp_ngt_f32_e64 s30, 0xc2b17218, v13
	s_delay_alu instid0(VALU_DEP_3) | instskip(NEXT) | instid1(VALU_DEP_2)
	v_fma_f32 v100, -v17, v115, v108
	v_cndmask_b32_e64 v94, 0x7f800000, v94, s30
	v_cmp_nlt_f32_e64 s30, 0x42ce8ed0, v98
	s_delay_alu instid0(VALU_DEP_3) | instskip(NEXT) | instid1(VALU_DEP_3)
	v_dual_fmac_f32 v115, v100, v97 :: v_dual_mul_f32 v100, 0xbfb8aa3b, v98
	v_add_f32_e32 v16, 1.0, v94
	v_cndmask_b32_e32 v94, 0, v96, vcc_lo
	s_delay_alu instid0(VALU_DEP_3) | instskip(SKIP_3) | instid1(VALU_DEP_3)
	v_fma_f32 v17, -v17, v115, v108
	s_mov_b32 vcc_lo, s29
	v_fma_f32 v14, 0xbfb8aa3b, v98, -v100
	v_div_scale_f32 v96, null, v16, v16, v13
	v_div_fmas_f32 v17, v17, v97, v115
	v_cmp_ngt_f32_e32 vcc_lo, 0xc2b17218, v0
	s_delay_alu instid0(VALU_DEP_4) | instskip(NEXT) | instid1(VALU_DEP_4)
	v_fmac_f32_e32 v14, 0xb2a5705f, v98
	v_rcp_f32_e32 v97, v96
	s_delay_alu instid0(VALU_DEP_3) | instskip(SKIP_2) | instid1(VALU_DEP_3)
	v_div_fixup_f32 v8, v17, v8, v99
	v_cndmask_b32_e32 v94, 0x7f800000, v94, vcc_lo
	v_cmp_o_f32_e32 vcc_lo, v11, v11
	v_mul_f32_e32 v8, v111, v8
	s_delay_alu instid0(VALU_DEP_3) | instskip(SKIP_1) | instid1(TRANS32_DEP_1)
	v_dual_add_f32 v12, 1.0, v94 :: v_dual_cndmask_b32 v11, 0x7fc0, v15
	v_rndne_f32_e32 v15, v100
	v_fma_f32 v17, -v96, v97, 1.0
	s_delay_alu instid0(VALU_DEP_2) | instskip(NEXT) | instid1(VALU_DEP_2)
	v_sub_f32_e32 v99, v100, v15
	v_fmac_f32_e32 v97, v17, v97
	v_bfe_u32 v95, v10, 16, 1
	v_cmp_o_f32_e64 s29, v10, v10
	v_cvt_i32_f32_e32 v15, v15
	v_add_f32_e32 v14, v99, v14
	v_div_scale_f32 v99, vcc_lo, v13, v16, v13
	v_add3_u32 v95, v10, v95, 0x7fff
	v_bfe_u32 v100, v8, 16, 1
	s_delay_alu instid0(VALU_DEP_4) | instskip(NEXT) | instid1(VALU_DEP_3)
	v_exp_f32_e32 v14, v14
	v_mul_f32_e32 v105, v99, v97
	v_div_scale_f32 v94, null, v12, v12, v0
	v_lshrrev_b32_e32 v95, 16, v95
	v_add3_u32 v100, v8, v100, 0x7fff
	s_delay_alu instid0(VALU_DEP_4) | instskip(NEXT) | instid1(VALU_DEP_4)
	v_fma_f32 v111, -v96, v105, v99
	v_rcp_f32_e32 v17, v94
	s_delay_alu instid0(VALU_DEP_3) | instskip(NEXT) | instid1(TRANS32_DEP_2)
	v_cndmask_b32_e64 v10, 0x7fc0, v95, s29
	v_ldexp_f32 v14, v14, v15
	v_div_scale_f32 v15, s29, v0, v12, v0
	v_fmac_f32_e32 v105, v111, v97
	v_bfe_u32 v95, v9, 16, 1
	s_delay_alu instid0(VALU_DEP_4) | instskip(SKIP_1) | instid1(TRANS32_DEP_1)
	v_cndmask_b32_e64 v14, 0, v14, s30
	v_cmp_ngt_f32_e64 s30, 0xc2b17218, v98
	v_fma_f32 v108, -v94, v17, 1.0
	v_fma_f32 v96, -v96, v105, v99
	v_add3_u32 v95, v9, v95, 0x7fff
	s_delay_alu instid0(VALU_DEP_4) | instskip(NEXT) | instid1(VALU_DEP_4)
	v_cndmask_b32_e64 v14, 0x7f800000, v14, s30
	v_fmac_f32_e32 v17, v108, v17
	v_rndne_f32_e32 v108, v112
	v_div_fmas_f32 v96, v96, v97, v105
	s_mov_b32 vcc_lo, s29
	v_add_f32_e32 v14, 1.0, v14
	v_mul_f32_e32 v114, v15, v17
	v_sub_f32_e32 v112, v112, v108
	v_div_fixup_f32 v13, v96, v16, v13
	v_lshrrev_b32_e32 v16, 16, v95
	v_cmp_o_f32_e64 s29, v9, v9
	v_fma_f32 v111, -v94, v114, v15
	v_add_f32_e32 v112, v112, v113
	s_delay_alu instid0(VALU_DEP_3) | instskip(NEXT) | instid1(VALU_DEP_3)
	v_cndmask_b32_e64 v9, 0x7fc0, v16, s29
	v_fmac_f32_e32 v114, v111, v17
	s_delay_alu instid0(VALU_DEP_3) | instskip(SKIP_2) | instid1(VALU_DEP_3)
	v_exp_f32_e32 v99, v112
	v_div_scale_f32 v111, null, v14, v14, v98
	v_cmp_o_f32_e64 s29, v8, v8
	v_fma_f32 v15, -v94, v114, v15
	v_cvt_i32_f32_e32 v94, v108
	s_delay_alu instid0(VALU_DEP_4) | instskip(NEXT) | instid1(VALU_DEP_2)
	v_rcp_f32_e32 v97, v111
	v_div_fmas_f32 v15, v15, v17, v114
	s_delay_alu instid0(TRANS32_DEP_2) | instid1(VALU_DEP_2)
	v_ldexp_f32 v17, v99, v94
	v_cmp_nlt_f32_e32 vcc_lo, 0x42ce8ed0, v1
	v_lshrrev_b32_e32 v94, 16, v100
	v_and_b32_e32 v100, 0xffff0000, v2
	v_div_fixup_f32 v0, v15, v12, v0
	v_mul_f32_e32 v12, v110, v13
	v_cndmask_b32_e32 v13, 0, v17, vcc_lo
	v_cmp_ngt_f32_e32 vcc_lo, 0xc2b17218, v1
	v_fma_f32 v15, -v111, v97, 1.0
	v_mul_f32_e32 v0, v109, v0
	v_bfe_u32 v17, v12, 16, 1
	v_cndmask_b32_e64 v8, 0x7fc0, v94, s29
	v_cndmask_b32_e32 v13, 0x7f800000, v13, vcc_lo
	v_fmac_f32_e32 v97, v15, v97
	v_div_scale_f32 v15, vcc_lo, v98, v14, v98
	v_add3_u32 v17, v12, v17, 0x7fff
	s_delay_alu instid0(VALU_DEP_4) | instskip(SKIP_1) | instid1(VALU_DEP_4)
	v_add_f32_e32 v13, 1.0, v13
	v_bfe_u32 v16, v0, 16, 1
	v_mul_f32_e32 v95, v15, v97
	v_cmp_o_f32_e64 s29, v12, v12
	v_lshrrev_b32_e32 v17, 16, v17
	v_div_scale_f32 v96, null, v13, v13, v1
	s_delay_alu instid0(VALU_DEP_4) | instskip(SKIP_1) | instid1(VALU_DEP_4)
	v_fma_f32 v94, -v111, v95, v15
	v_add3_u32 v16, v0, v16, 0x7fff
	v_cndmask_b32_e64 v12, 0x7fc0, v17, s29
	s_delay_alu instid0(VALU_DEP_4) | instskip(SKIP_4) | instid1(VALU_DEP_3)
	v_rcp_f32_e32 v99, v96
	v_cmp_o_f32_e64 s29, v0, v0
	v_fmac_f32_e32 v95, v94, v97
	v_mul_f32_e32 v17, 0xbfb8aa3b, v100
	v_lshrrev_b32_e32 v16, 16, v16
	v_fma_f32 v0, -v111, v95, v15
	s_delay_alu instid0(VALU_DEP_3) | instskip(SKIP_1) | instid1(TRANS32_DEP_1)
	v_fma_f32 v94, 0xbfb8aa3b, v100, -v17
	v_rndne_f32_e32 v105, v17
	v_fma_f32 v15, -v96, v99, 1.0
	v_cndmask_b32_e64 v16, 0x7fc0, v16, s29
	v_div_fmas_f32 v0, v0, v97, v95
	v_div_scale_f32 v95, vcc_lo, v1, v13, v1
	s_delay_alu instid0(VALU_DEP_4) | instskip(SKIP_3) | instid1(VALU_DEP_4)
	v_dual_fmac_f32 v99, v15, v99 :: v_dual_fmac_f32 v94, 0xb2a5705f, v100
	v_sub_f32_e32 v17, v17, v105
	v_cvt_i32_f32_e32 v105, v105
	v_cmp_nlt_f32_e64 s29, 0x42ce8ed0, v100
	v_mul_f32_e32 v97, v95, v99
	v_div_fixup_f32 v0, v0, v14, v98
	v_dual_add_f32 v17, v17, v94 :: v_dual_and_b32 v98, 0xffff0000, v3
	v_lshlrev_b32_e32 v3, 16, v3
	s_delay_alu instid0(VALU_DEP_4) | instskip(NEXT) | instid1(VALU_DEP_4)
	v_fma_f32 v108, -v96, v97, v95
	v_mul_f32_e32 v0, v107, v0
	s_delay_alu instid0(VALU_DEP_4) | instskip(SKIP_1) | instid1(VALU_DEP_3)
	v_exp_f32_e32 v17, v17
	v_mul_f32_e32 v109, 0xbfb8aa3b, v98
	v_fmac_f32_e32 v97, v108, v99
	s_delay_alu instid0(VALU_DEP_2) | instskip(NEXT) | instid1(VALU_DEP_2)
	v_rndne_f32_e32 v108, v109
	v_fma_f32 v95, -v96, v97, v95
	s_waitcnt_depctr 0xfff
	v_ldexp_f32 v17, v17, v105
	v_mul_f32_e32 v105, 0xbfb8aa3b, v3
	v_div_fmas_f32 v95, v95, v99, v97
	s_delay_alu instid0(VALU_DEP_3) | instskip(SKIP_1) | instid1(VALU_DEP_4)
	v_cndmask_b32_e64 v17, 0, v17, s29
	v_cmp_ngt_f32_e64 s29, 0xc2b17218, v100
	v_rndne_f32_e32 v110, v105
	s_delay_alu instid0(VALU_DEP_4)
	v_div_fixup_f32 v1, v95, v13, v1
	v_lshlrev_b32_e32 v2, 16, v2
	v_fma_f32 v111, 0xbfb8aa3b, v3, -v105
	v_cndmask_b32_e64 v17, 0x7f800000, v17, s29
	v_sub_f32_e32 v105, v105, v110
	v_mul_f32_e32 v1, v106, v1
	v_mul_f32_e32 v15, 0xbfb8aa3b, v2
	v_fmac_f32_e32 v111, 0xb2a5705f, v3
	v_add_f32_e32 v17, 1.0, v17
	v_cmp_nlt_f32_e64 s29, 0x42ce8ed0, v2
	v_bfe_u32 v116, v1, 16, 1
	v_rndne_f32_e32 v14, v15
	v_fma_f32 v94, 0xbfb8aa3b, v2, -v15
	v_div_scale_f32 v99, vcc_lo, v100, v17, v100
	s_delay_alu instid0(VALU_DEP_3) | instskip(NEXT) | instid1(VALU_DEP_3)
	v_sub_f32_e32 v15, v15, v14
	v_fmac_f32_e32 v94, 0xb2a5705f, v2
	v_cvt_i32_f32_e32 v14, v14
	s_delay_alu instid0(VALU_DEP_2) | instskip(SKIP_2) | instid1(VALU_DEP_3)
	v_add_f32_e32 v15, v15, v94
	v_fma_f32 v94, 0xbfb8aa3b, v98, -v109
	v_sub_f32_e32 v109, v109, v108
	v_exp_f32_e32 v15, v15
	s_delay_alu instid0(VALU_DEP_2)
	v_fmac_f32_e32 v94, 0xb2a5705f, v98
	s_waitcnt_depctr 0xfff
	v_ldexp_f32 v14, v15, v14
	v_add_f32_e32 v15, v109, v94
	v_add_f32_e32 v94, v105, v111
	v_cvt_i32_f32_e32 v105, v108
	v_div_scale_f32 v108, null, v17, v17, v100
	v_cvt_i32_f32_e32 v109, v110
	s_delay_alu instid0(VALU_DEP_4) | instskip(SKIP_1) | instid1(VALU_DEP_2)
	v_exp_f32_e32 v94, v94
	v_exp_f32_e32 v15, v15
	v_rcp_f32_e32 v96, v108
	v_cndmask_b32_e64 v14, 0, v14, s29
	v_cmp_ngt_f32_e64 s29, 0xc2b17218, v2
	s_delay_alu instid0(VALU_DEP_1) | instskip(NEXT) | instid1(TRANS32_DEP_3)
	v_cndmask_b32_e64 v14, 0x7f800000, v14, s29
	v_ldexp_f32 v94, v94, v109
	s_waitcnt_depctr 0xfff
	v_ldexp_f32 v15, v15, v105
	v_fma_f32 v109, -v108, v96, 1.0
	s_delay_alu instid0(VALU_DEP_1) | instskip(NEXT) | instid1(VALU_DEP_1)
	v_fmac_f32_e32 v96, v109, v96
	v_mul_f32_e32 v13, v99, v96
	s_delay_alu instid0(VALU_DEP_1) | instskip(NEXT) | instid1(VALU_DEP_1)
	v_fma_f32 v113, -v108, v13, v99
	v_fmac_f32_e32 v13, v113, v96
	v_cmp_nlt_f32_e64 s29, 0x42ce8ed0, v98
	s_delay_alu instid0(VALU_DEP_2) | instskip(NEXT) | instid1(VALU_DEP_2)
	v_fma_f32 v99, -v108, v13, v99
	v_cndmask_b32_e64 v15, 0, v15, s29
	v_cmp_nlt_f32_e64 s29, 0x42ce8ed0, v3
	s_delay_alu instid0(VALU_DEP_1) | instskip(SKIP_1) | instid1(VALU_DEP_1)
	v_cndmask_b32_e64 v94, 0, v94, s29
	v_cmp_ngt_f32_e64 s29, 0xc2b17218, v98
	v_cndmask_b32_e64 v15, 0x7f800000, v15, s29
	v_cmp_ngt_f32_e64 s29, 0xc2b17218, v3
	s_delay_alu instid0(VALU_DEP_2) | instskip(NEXT) | instid1(VALU_DEP_2)
	v_add_f32_e32 v15, 1.0, v15
	v_cndmask_b32_e64 v94, 0x7f800000, v94, s29
	s_delay_alu instid0(VALU_DEP_2) | instskip(NEXT) | instid1(VALU_DEP_2)
	v_div_scale_f32 v97, null, v15, v15, v98
	v_add_f32_e32 v94, 1.0, v94
	s_delay_alu instid0(VALU_DEP_2) | instskip(NEXT) | instid1(VALU_DEP_1)
	v_rcp_f32_e32 v111, v97
	v_div_scale_f32 v112, null, v94, v94, v3
	s_delay_alu instid0(VALU_DEP_1) | instskip(SKIP_2) | instid1(VALU_DEP_1)
	v_rcp_f32_e32 v95, v112
	s_waitcnt_depctr 0xfff
	v_fma_f32 v115, -v112, v95, 1.0
	v_fmac_f32_e32 v95, v115, v95
	v_div_scale_f32 v115, s31, v3, v94, v3
	v_add_f32_e32 v14, 1.0, v14
	s_delay_alu instid0(VALU_DEP_1) | instskip(SKIP_1) | instid1(VALU_DEP_2)
	v_div_scale_f32 v105, null, v14, v14, v2
	v_div_scale_f32 v107, s29, v2, v14, v2
	v_rcp_f32_e32 v110, v105
	s_waitcnt_depctr 0xfff
	v_fma_f32 v109, -v105, v110, 1.0
	s_delay_alu instid0(VALU_DEP_1) | instskip(SKIP_1) | instid1(VALU_DEP_1)
	v_fmac_f32_e32 v110, v109, v110
	v_fma_f32 v109, -v97, v111, 1.0
	v_dual_mul_f32 v114, v107, v110 :: v_dual_fmac_f32 v111, v109, v111
	v_div_scale_f32 v109, s30, v98, v15, v98
	s_delay_alu instid0(VALU_DEP_2) | instskip(NEXT) | instid1(VALU_DEP_2)
	v_fma_f32 v113, -v105, v114, v107
	v_mul_f32_e32 v117, v109, v111
	s_delay_alu instid0(VALU_DEP_2) | instskip(NEXT) | instid1(VALU_DEP_2)
	v_dual_fmac_f32 v114, v113, v110 :: v_dual_mul_f32 v113, v115, v95
	v_fma_f32 v108, -v97, v117, v109
	s_delay_alu instid0(VALU_DEP_1) | instskip(SKIP_1) | instid1(VALU_DEP_4)
	v_fmac_f32_e32 v117, v108, v111
	v_div_fmas_f32 v13, v99, v96, v13
	v_fma_f32 v96, -v105, v114, v107
	s_mov_b32 vcc_lo, s29
	v_fma_f32 v99, -v112, v113, v115
	s_delay_alu instid0(VALU_DEP_3)
	v_div_fixup_f32 v13, v13, v17, v100
	v_fma_f32 v17, -v97, v117, v109
	v_div_fmas_f32 v96, v96, v110, v114
	s_mov_b32 vcc_lo, s30
	v_fmac_f32_e32 v113, v99, v95
	v_mul_f32_e32 v13, v103, v13
	v_div_fmas_f32 v17, v17, v111, v117
	v_div_fixup_f32 v2, v96, v14, v2
	s_mov_b32 vcc_lo, s31
	v_fma_f32 v14, -v112, v113, v115
	v_add3_u32 v99, v1, v116, 0x7fff
	v_div_fixup_f32 v15, v17, v15, v98
	v_mul_f32_e32 v2, v102, v2
	v_bfe_u32 v17, v13, 16, 1
	v_div_fmas_f32 v14, v14, v95, v113
	s_delay_alu instid0(VALU_DEP_4) | instskip(SKIP_2) | instid1(VALU_DEP_4)
	v_mul_f32_e32 v15, v104, v15
	v_bfe_u32 v106, v0, 16, 1
	v_cmp_o_f32_e32 vcc_lo, v0, v0
	v_div_fixup_f32 v3, v14, v94, v3
	v_lshrrev_b32_e32 v14, 16, v99
	v_bfe_u32 v94, v2, 16, 1
	v_add3_u32 v106, v0, v106, 0x7fff
	v_add3_u32 v0, v13, v17, 0x7fff
	v_mul_f32_e32 v3, v101, v3
	s_delay_alu instid0(VALU_DEP_4) | instskip(NEXT) | instid1(VALU_DEP_4)
	v_add3_u32 v17, v2, v94, 0x7fff
	v_lshrrev_b32_e32 v95, 16, v106
	v_bfe_u32 v94, v15, 16, 1
	v_lshrrev_b32_e32 v0, 16, v0
	v_bfe_u32 v96, v3, 16, 1
	v_lshrrev_b32_e32 v17, 16, v17
	v_cndmask_b32_e32 v95, 0x7fc0, v95, vcc_lo
	v_cmp_o_f32_e32 vcc_lo, v1, v1
	v_add3_u32 v1, v15, v94, 0x7fff
	v_add3_u32 v94, v3, v96, 0x7fff
	v_cndmask_b32_e32 v14, 0x7fc0, v14, vcc_lo
	v_cmp_o_f32_e32 vcc_lo, v13, v13
	v_cndmask_b32_e32 v13, 0x7fc0, v0, vcc_lo
	v_cmp_o_f32_e32 vcc_lo, v2, v2
	v_lshrrev_b32_e32 v0, 16, v1
	v_lshrrev_b32_e32 v1, 16, v94
	v_perm_b32 v2, v11, v10, 0x5040100
	v_cndmask_b32_e32 v17, 0x7fc0, v17, vcc_lo
	v_cmp_o_f32_e32 vcc_lo, v15, v15
	v_cndmask_b32_e32 v15, 0x7fc0, v0, vcc_lo
	v_cmp_o_f32_e32 vcc_lo, v3, v3
	v_perm_b32 v3, v9, v8, 0x5040100
	v_perm_b32 v0, v4, v5, 0x5040100
	;; [unrolled: 1-line block ×4, first 2 shown]
	v_cndmask_b32_e32 v94, 0x7fc0, v1, vcc_lo
	v_perm_b32 v1, v6, v7, 0x5040100
	v_perm_b32 v6, v13, v17, 0x5040100
	s_delay_alu instid0(VALU_DEP_3)
	v_perm_b32 v7, v15, v94, 0x5040100
	ds_store_b128 v52, v[0:3]
	ds_store_b128 v52, v[4:7] offset:16
	; wave barrier
	ds_load_u16 v16, v37 offset:64
	ds_load_u16 v15, v38 offset:128
	;; [unrolled: 1-line block ×15, first 2 shown]
	v_add_co_u32 v0, vcc_lo, v76, s34
	v_add_co_ci_u32_e32 v1, vcc_lo, s35, v77, vcc_lo
	s_and_saveexec_b32 s29, s13
	s_cbranch_execnz .LBB56_286
; %bb.254:                              ;   in Loop: Header=BB56_12 Depth=1
	s_or_b32 exec_lo, exec_lo, s29
	s_and_saveexec_b32 s13, s14
	s_cbranch_execnz .LBB56_287
.LBB56_255:                             ;   in Loop: Header=BB56_12 Depth=1
	s_or_b32 exec_lo, exec_lo, s13
	s_and_saveexec_b32 s13, s15
	s_cbranch_execnz .LBB56_288
.LBB56_256:                             ;   in Loop: Header=BB56_12 Depth=1
	s_or_b32 exec_lo, exec_lo, s13
	s_and_saveexec_b32 s13, s16
	s_cbranch_execnz .LBB56_289
.LBB56_257:                             ;   in Loop: Header=BB56_12 Depth=1
	s_or_b32 exec_lo, exec_lo, s13
	s_and_saveexec_b32 s13, s17
	s_cbranch_execnz .LBB56_290
.LBB56_258:                             ;   in Loop: Header=BB56_12 Depth=1
	s_or_b32 exec_lo, exec_lo, s13
	s_and_saveexec_b32 s13, s18
	s_cbranch_execnz .LBB56_291
.LBB56_259:                             ;   in Loop: Header=BB56_12 Depth=1
	s_or_b32 exec_lo, exec_lo, s13
	s_and_saveexec_b32 s13, s19
	s_cbranch_execnz .LBB56_292
.LBB56_260:                             ;   in Loop: Header=BB56_12 Depth=1
	s_or_b32 exec_lo, exec_lo, s13
	s_and_saveexec_b32 s13, s20
	s_cbranch_execnz .LBB56_293
.LBB56_261:                             ;   in Loop: Header=BB56_12 Depth=1
	s_or_b32 exec_lo, exec_lo, s13
	s_and_saveexec_b32 s13, s21
	s_cbranch_execnz .LBB56_294
.LBB56_262:                             ;   in Loop: Header=BB56_12 Depth=1
	s_or_b32 exec_lo, exec_lo, s13
	s_and_saveexec_b32 s13, s22
	s_cbranch_execnz .LBB56_295
.LBB56_263:                             ;   in Loop: Header=BB56_12 Depth=1
	s_or_b32 exec_lo, exec_lo, s13
	s_and_saveexec_b32 s13, s23
	s_cbranch_execnz .LBB56_296
.LBB56_264:                             ;   in Loop: Header=BB56_12 Depth=1
	s_or_b32 exec_lo, exec_lo, s13
	s_and_saveexec_b32 s13, s24
	s_cbranch_execnz .LBB56_297
.LBB56_265:                             ;   in Loop: Header=BB56_12 Depth=1
	s_or_b32 exec_lo, exec_lo, s13
	s_and_saveexec_b32 s13, s25
	s_cbranch_execnz .LBB56_298
.LBB56_266:                             ;   in Loop: Header=BB56_12 Depth=1
	s_or_b32 exec_lo, exec_lo, s13
	s_and_saveexec_b32 s13, s26
	s_cbranch_execnz .LBB56_299
.LBB56_267:                             ;   in Loop: Header=BB56_12 Depth=1
	s_or_b32 exec_lo, exec_lo, s13
	s_and_saveexec_b32 s13, s27
	s_cbranch_execnz .LBB56_300
.LBB56_268:                             ;   in Loop: Header=BB56_12 Depth=1
	s_or_b32 exec_lo, exec_lo, s13
	s_and_saveexec_b32 s13, s28
	s_cbranch_execz .LBB56_11
	s_branch .LBB56_301
.LBB56_269:                             ;   in Loop: Header=BB56_12 Depth=1
	global_load_u16 v101, v[8:9], off offset:832
	s_or_b32 exec_lo, exec_lo, s29
	s_and_saveexec_b32 s29, s27
	s_cbranch_execz .LBB56_72
.LBB56_270:                             ;   in Loop: Header=BB56_12 Depth=1
	global_load_u16 v100, v[8:9], off offset:896
	s_or_b32 exec_lo, exec_lo, s29
	v_mov_b32_e32 v102, 0
	s_and_saveexec_b32 s29, s28
	s_cbranch_execnz .LBB56_73
	s_branch .LBB56_74
.LBB56_271:                             ;   in Loop: Header=BB56_12 Depth=1
	ds_load_u16 v17, v37
	s_waitcnt lgkmcnt(0)
	global_store_b16 v[0:1], v17, off
	s_or_b32 exec_lo, exec_lo, s29
	s_and_saveexec_b32 s29, s14
	s_cbranch_execz .LBB56_206
.LBB56_272:                             ;   in Loop: Header=BB56_12 Depth=1
	s_waitcnt lgkmcnt(14)
	global_store_b16 v[0:1], v16, off offset:64
	s_or_b32 exec_lo, exec_lo, s29
	s_and_saveexec_b32 s29, s15
	s_cbranch_execz .LBB56_207
.LBB56_273:                             ;   in Loop: Header=BB56_12 Depth=1
	s_waitcnt lgkmcnt(13)
	global_store_b16 v[0:1], v15, off offset:128
	s_or_b32 exec_lo, exec_lo, s29
	s_and_saveexec_b32 s29, s16
	s_cbranch_execz .LBB56_208
.LBB56_274:                             ;   in Loop: Header=BB56_12 Depth=1
	s_waitcnt lgkmcnt(12)
	global_store_b16 v[0:1], v14, off offset:192
	s_or_b32 exec_lo, exec_lo, s29
	s_and_saveexec_b32 s29, s17
	s_cbranch_execz .LBB56_209
.LBB56_275:                             ;   in Loop: Header=BB56_12 Depth=1
	s_waitcnt lgkmcnt(11)
	global_store_b16 v[0:1], v13, off offset:256
	s_or_b32 exec_lo, exec_lo, s29
	s_and_saveexec_b32 s29, s18
	s_cbranch_execz .LBB56_210
.LBB56_276:                             ;   in Loop: Header=BB56_12 Depth=1
	s_waitcnt lgkmcnt(10)
	global_store_b16 v[0:1], v12, off offset:320
	s_or_b32 exec_lo, exec_lo, s29
	s_and_saveexec_b32 s29, s19
	s_cbranch_execz .LBB56_211
.LBB56_277:                             ;   in Loop: Header=BB56_12 Depth=1
	s_waitcnt lgkmcnt(9)
	global_store_b16 v[0:1], v11, off offset:384
	s_or_b32 exec_lo, exec_lo, s29
	s_and_saveexec_b32 s29, s20
	s_cbranch_execz .LBB56_212
.LBB56_278:                             ;   in Loop: Header=BB56_12 Depth=1
	s_waitcnt lgkmcnt(8)
	global_store_b16 v[0:1], v10, off offset:448
	s_or_b32 exec_lo, exec_lo, s29
	s_and_saveexec_b32 s29, s21
	s_cbranch_execz .LBB56_213
.LBB56_279:                             ;   in Loop: Header=BB56_12 Depth=1
	s_waitcnt lgkmcnt(7)
	global_store_b16 v[0:1], v9, off offset:512
	s_or_b32 exec_lo, exec_lo, s29
	s_and_saveexec_b32 s29, s22
	s_cbranch_execz .LBB56_214
.LBB56_280:                             ;   in Loop: Header=BB56_12 Depth=1
	s_waitcnt lgkmcnt(6)
	global_store_b16 v[0:1], v8, off offset:576
	s_or_b32 exec_lo, exec_lo, s29
	s_and_saveexec_b32 s29, s23
	s_cbranch_execz .LBB56_215
.LBB56_281:                             ;   in Loop: Header=BB56_12 Depth=1
	s_waitcnt lgkmcnt(5)
	global_store_b16 v[0:1], v7, off offset:640
	s_or_b32 exec_lo, exec_lo, s29
	s_and_saveexec_b32 s29, s24
	s_cbranch_execz .LBB56_216
.LBB56_282:                             ;   in Loop: Header=BB56_12 Depth=1
	s_waitcnt lgkmcnt(4)
	global_store_b16 v[0:1], v6, off offset:704
	s_or_b32 exec_lo, exec_lo, s29
	s_and_saveexec_b32 s29, s25
	s_cbranch_execz .LBB56_217
.LBB56_283:                             ;   in Loop: Header=BB56_12 Depth=1
	s_waitcnt lgkmcnt(3)
	global_store_b16 v[0:1], v5, off offset:768
	s_or_b32 exec_lo, exec_lo, s29
	s_and_saveexec_b32 s29, s26
	s_cbranch_execz .LBB56_218
.LBB56_284:                             ;   in Loop: Header=BB56_12 Depth=1
	s_waitcnt lgkmcnt(2)
	global_store_b16 v[0:1], v4, off offset:832
	s_or_b32 exec_lo, exec_lo, s29
	s_and_saveexec_b32 s29, s27
	s_cbranch_execz .LBB56_219
.LBB56_285:                             ;   in Loop: Header=BB56_12 Depth=1
	s_waitcnt lgkmcnt(1)
	global_store_b16 v[0:1], v3, off offset:896
	s_or_b32 exec_lo, exec_lo, s29
	s_and_saveexec_b32 s29, s28
	s_cbranch_execnz .LBB56_220
	s_branch .LBB56_221
.LBB56_286:                             ;   in Loop: Header=BB56_12 Depth=1
	ds_load_u16 v17, v37
	s_waitcnt lgkmcnt(0)
	global_store_b16 v[0:1], v17, off
	s_or_b32 exec_lo, exec_lo, s29
	s_and_saveexec_b32 s13, s14
	s_cbranch_execz .LBB56_255
.LBB56_287:                             ;   in Loop: Header=BB56_12 Depth=1
	s_waitcnt lgkmcnt(14)
	global_store_b16 v[0:1], v16, off offset:64
	s_or_b32 exec_lo, exec_lo, s13
	s_and_saveexec_b32 s13, s15
	s_cbranch_execz .LBB56_256
.LBB56_288:                             ;   in Loop: Header=BB56_12 Depth=1
	s_waitcnt lgkmcnt(13)
	global_store_b16 v[0:1], v15, off offset:128
	s_or_b32 exec_lo, exec_lo, s13
	s_and_saveexec_b32 s13, s16
	s_cbranch_execz .LBB56_257
.LBB56_289:                             ;   in Loop: Header=BB56_12 Depth=1
	s_waitcnt lgkmcnt(12)
	global_store_b16 v[0:1], v14, off offset:192
	s_or_b32 exec_lo, exec_lo, s13
	s_and_saveexec_b32 s13, s17
	s_cbranch_execz .LBB56_258
.LBB56_290:                             ;   in Loop: Header=BB56_12 Depth=1
	s_waitcnt lgkmcnt(11)
	global_store_b16 v[0:1], v13, off offset:256
	s_or_b32 exec_lo, exec_lo, s13
	s_and_saveexec_b32 s13, s18
	s_cbranch_execz .LBB56_259
.LBB56_291:                             ;   in Loop: Header=BB56_12 Depth=1
	s_waitcnt lgkmcnt(10)
	global_store_b16 v[0:1], v12, off offset:320
	s_or_b32 exec_lo, exec_lo, s13
	s_and_saveexec_b32 s13, s19
	s_cbranch_execz .LBB56_260
.LBB56_292:                             ;   in Loop: Header=BB56_12 Depth=1
	s_waitcnt lgkmcnt(9)
	global_store_b16 v[0:1], v11, off offset:384
	s_or_b32 exec_lo, exec_lo, s13
	s_and_saveexec_b32 s13, s20
	s_cbranch_execz .LBB56_261
.LBB56_293:                             ;   in Loop: Header=BB56_12 Depth=1
	s_waitcnt lgkmcnt(8)
	global_store_b16 v[0:1], v10, off offset:448
	s_or_b32 exec_lo, exec_lo, s13
	s_and_saveexec_b32 s13, s21
	s_cbranch_execz .LBB56_262
.LBB56_294:                             ;   in Loop: Header=BB56_12 Depth=1
	s_waitcnt lgkmcnt(7)
	global_store_b16 v[0:1], v9, off offset:512
	s_or_b32 exec_lo, exec_lo, s13
	s_and_saveexec_b32 s13, s22
	s_cbranch_execz .LBB56_263
.LBB56_295:                             ;   in Loop: Header=BB56_12 Depth=1
	s_waitcnt lgkmcnt(6)
	global_store_b16 v[0:1], v8, off offset:576
	s_or_b32 exec_lo, exec_lo, s13
	s_and_saveexec_b32 s13, s23
	s_cbranch_execz .LBB56_264
.LBB56_296:                             ;   in Loop: Header=BB56_12 Depth=1
	s_waitcnt lgkmcnt(5)
	global_store_b16 v[0:1], v7, off offset:640
	s_or_b32 exec_lo, exec_lo, s13
	s_and_saveexec_b32 s13, s24
	s_cbranch_execz .LBB56_265
.LBB56_297:                             ;   in Loop: Header=BB56_12 Depth=1
	s_waitcnt lgkmcnt(4)
	global_store_b16 v[0:1], v6, off offset:704
	s_or_b32 exec_lo, exec_lo, s13
	s_and_saveexec_b32 s13, s25
	s_cbranch_execz .LBB56_266
.LBB56_298:                             ;   in Loop: Header=BB56_12 Depth=1
	s_waitcnt lgkmcnt(3)
	global_store_b16 v[0:1], v5, off offset:768
	s_or_b32 exec_lo, exec_lo, s13
	s_and_saveexec_b32 s13, s26
	s_cbranch_execz .LBB56_267
.LBB56_299:                             ;   in Loop: Header=BB56_12 Depth=1
	s_waitcnt lgkmcnt(2)
	global_store_b16 v[0:1], v4, off offset:832
	s_or_b32 exec_lo, exec_lo, s13
	s_and_saveexec_b32 s13, s27
	s_cbranch_execz .LBB56_268
.LBB56_300:                             ;   in Loop: Header=BB56_12 Depth=1
	s_waitcnt lgkmcnt(1)
	global_store_b16 v[0:1], v3, off offset:896
	s_or_b32 exec_lo, exec_lo, s13
	s_and_saveexec_b32 s13, s28
	s_cbranch_execz .LBB56_11
.LBB56_301:                             ;   in Loop: Header=BB56_12 Depth=1
	s_waitcnt lgkmcnt(0)
	global_store_b16 v[0:1], v2, off offset:960
	s_branch .LBB56_11
.LBB56_302:
	s_nop 0
	s_sendmsg sendmsg(MSG_DEALLOC_VGPRS)
	s_endpgm
	.section	.rodata,"a",@progbits
	.p2align	6, 0x0
	.amdhsa_kernel _Z25selective_scan_fwd_kernelI32Selective_Scan_fwd_kernel_traitsILi128ELi16ELi1ELb1ELb1ELb1ELb1ELb1EN3c108BFloat16EffEEv13SSMParamsBase
		.amdhsa_group_segment_fixed_size 0
		.amdhsa_private_segment_fixed_size 0
		.amdhsa_kernarg_size 248
		.amdhsa_user_sgpr_count 14
		.amdhsa_user_sgpr_dispatch_ptr 0
		.amdhsa_user_sgpr_queue_ptr 0
		.amdhsa_user_sgpr_kernarg_segment_ptr 1
		.amdhsa_user_sgpr_dispatch_id 0
		.amdhsa_user_sgpr_private_segment_size 0
		.amdhsa_wavefront_size32 1
		.amdhsa_uses_dynamic_stack 0
		.amdhsa_enable_private_segment 0
		.amdhsa_system_sgpr_workgroup_id_x 1
		.amdhsa_system_sgpr_workgroup_id_y 1
		.amdhsa_system_sgpr_workgroup_id_z 0
		.amdhsa_system_sgpr_workgroup_info 0
		.amdhsa_system_vgpr_workitem_id 0
		.amdhsa_next_free_vgpr 177
		.amdhsa_next_free_sgpr 92
		.amdhsa_reserve_vcc 1
		.amdhsa_float_round_mode_32 0
		.amdhsa_float_round_mode_16_64 0
		.amdhsa_float_denorm_mode_32 3
		.amdhsa_float_denorm_mode_16_64 3
		.amdhsa_dx10_clamp 1
		.amdhsa_ieee_mode 1
		.amdhsa_fp16_overflow 0
		.amdhsa_workgroup_processor_mode 1
		.amdhsa_memory_ordered 1
		.amdhsa_forward_progress 0
		.amdhsa_shared_vgpr_count 0
		.amdhsa_exception_fp_ieee_invalid_op 0
		.amdhsa_exception_fp_denorm_src 0
		.amdhsa_exception_fp_ieee_div_zero 0
		.amdhsa_exception_fp_ieee_overflow 0
		.amdhsa_exception_fp_ieee_underflow 0
		.amdhsa_exception_fp_ieee_inexact 0
		.amdhsa_exception_int_div_zero 0
	.end_amdhsa_kernel
	.section	.text._Z25selective_scan_fwd_kernelI32Selective_Scan_fwd_kernel_traitsILi128ELi16ELi1ELb1ELb1ELb1ELb1ELb1EN3c108BFloat16EffEEv13SSMParamsBase,"axG",@progbits,_Z25selective_scan_fwd_kernelI32Selective_Scan_fwd_kernel_traitsILi128ELi16ELi1ELb1ELb1ELb1ELb1ELb1EN3c108BFloat16EffEEv13SSMParamsBase,comdat
.Lfunc_end56:
	.size	_Z25selective_scan_fwd_kernelI32Selective_Scan_fwd_kernel_traitsILi128ELi16ELi1ELb1ELb1ELb1ELb1ELb1EN3c108BFloat16EffEEv13SSMParamsBase, .Lfunc_end56-_Z25selective_scan_fwd_kernelI32Selective_Scan_fwd_kernel_traitsILi128ELi16ELi1ELb1ELb1ELb1ELb1ELb1EN3c108BFloat16EffEEv13SSMParamsBase
                                        ; -- End function
	.section	.AMDGPU.csdata,"",@progbits
; Kernel info:
; codeLenInByte = 27028
; NumSgprs: 94
; NumVgprs: 177
; ScratchSize: 0
; MemoryBound: 0
; FloatMode: 240
; IeeeMode: 1
; LDSByteSize: 0 bytes/workgroup (compile time only)
; SGPRBlocks: 11
; VGPRBlocks: 22
; NumSGPRsForWavesPerEU: 94
; NumVGPRsForWavesPerEU: 177
; Occupancy: 8
; WaveLimiterHint : 1
; COMPUTE_PGM_RSRC2:SCRATCH_EN: 0
; COMPUTE_PGM_RSRC2:USER_SGPR: 14
; COMPUTE_PGM_RSRC2:TRAP_HANDLER: 0
; COMPUTE_PGM_RSRC2:TGID_X_EN: 1
; COMPUTE_PGM_RSRC2:TGID_Y_EN: 1
; COMPUTE_PGM_RSRC2:TGID_Z_EN: 0
; COMPUTE_PGM_RSRC2:TIDIG_COMP_CNT: 0
	.section	.text._Z25selective_scan_fwd_kernelI32Selective_Scan_fwd_kernel_traitsILi128ELi16ELi1ELb1ELb1ELb1ELb1ELb0EN3c108BFloat16EffEEv13SSMParamsBase,"axG",@progbits,_Z25selective_scan_fwd_kernelI32Selective_Scan_fwd_kernel_traitsILi128ELi16ELi1ELb1ELb1ELb1ELb1ELb0EN3c108BFloat16EffEEv13SSMParamsBase,comdat
	.protected	_Z25selective_scan_fwd_kernelI32Selective_Scan_fwd_kernel_traitsILi128ELi16ELi1ELb1ELb1ELb1ELb1ELb0EN3c108BFloat16EffEEv13SSMParamsBase ; -- Begin function _Z25selective_scan_fwd_kernelI32Selective_Scan_fwd_kernel_traitsILi128ELi16ELi1ELb1ELb1ELb1ELb1ELb0EN3c108BFloat16EffEEv13SSMParamsBase
	.globl	_Z25selective_scan_fwd_kernelI32Selective_Scan_fwd_kernel_traitsILi128ELi16ELi1ELb1ELb1ELb1ELb1ELb0EN3c108BFloat16EffEEv13SSMParamsBase
	.p2align	8
	.type	_Z25selective_scan_fwd_kernelI32Selective_Scan_fwd_kernel_traitsILi128ELi16ELi1ELb1ELb1ELb1ELb1ELb0EN3c108BFloat16EffEEv13SSMParamsBase,@function
_Z25selective_scan_fwd_kernelI32Selective_Scan_fwd_kernel_traitsILi128ELi16ELi1ELb1ELb1ELb1ELb1ELb0EN3c108BFloat16EffEEv13SSMParamsBase: ; @_Z25selective_scan_fwd_kernelI32Selective_Scan_fwd_kernel_traitsILi128ELi16ELi1ELb1ELb1ELb1ELb1ELb0EN3c108BFloat16EffEEv13SSMParamsBase
; %bb.0:
	s_clause 0x1
	s_load_b32 s9, s[0:1], 0x18
	s_load_b128 s[4:7], s[0:1], 0xe8
	s_mov_b32 s54, s15
	s_mov_b32 s56, 0
	s_waitcnt lgkmcnt(0)
	s_abs_i32 s8, s9
	s_cmp_eq_u64 s[6:7], 0
	v_cvt_f32_u32_e32 v1, s8
	s_delay_alu instid0(VALU_DEP_1) | instskip(SKIP_2) | instid1(VALU_DEP_1)
	v_rcp_iflag_f32_e32 v1, v1
	s_waitcnt_depctr 0xfff
	v_mul_f32_e32 v1, 0x4f7ffffe, v1
	v_cvt_u32_f32_e32 v1, v1
	s_delay_alu instid0(VALU_DEP_1)
	v_readfirstlane_b32 s10, v1
	s_cbranch_scc1 .LBB57_2
; %bb.1:
	v_mov_b32_e32 v1, 0
	s_ashr_i32 s3, s14, 31
	s_add_u32 s2, s6, s14
	s_addc_u32 s3, s7, s3
	global_load_u8 v1, v1, s[2:3]
	s_waitcnt vmcnt(0)
	v_and_b32_e32 v1, 1, v1
	s_delay_alu instid0(VALU_DEP_1)
	v_cmp_eq_u32_e64 s56, 1, v1
.LBB57_2:
	s_load_b64 s[6:7], s[0:1], 0x20
	s_cmp_eq_u64 s[4:5], 0
	s_cbranch_scc1 .LBB57_4
; %bb.3:
	s_ashr_i32 s15, s14, 31
	s_delay_alu instid0(SALU_CYCLE_1) | instskip(NEXT) | instid1(SALU_CYCLE_1)
	s_lshl_b64 s[2:3], s[14:15], 2
	s_add_u32 s2, s4, s2
	s_addc_u32 s3, s5, s3
	s_load_b32 s2, s[2:3], 0x0
	s_waitcnt lgkmcnt(0)
	s_ashr_i32 s3, s2, 31
	s_delay_alu instid0(SALU_CYCLE_1)
	s_cmp_eq_u64 s[6:7], s[2:3]
	s_cbranch_scc0 .LBB57_5
	s_branch .LBB57_90
.LBB57_4:
	s_mov_b32 s2, s14
	s_delay_alu instid0(SALU_CYCLE_1)
	s_ashr_i32 s3, s2, 31
	s_waitcnt lgkmcnt(0)
	s_cmp_eq_u64 s[6:7], s[2:3]
	s_cbranch_scc1 .LBB57_90
.LBB57_5:
	s_clause 0x1
	s_load_b512 s[16:31], s[0:1], 0x88
	s_load_b64 s[34:35], s[0:1], 0x8
	s_mov_b32 s57, 0
	s_mov_b32 s58, 0
	s_waitcnt lgkmcnt(0)
	s_cmp_eq_u64 s[22:23], 0
	s_cbranch_scc1 .LBB57_7
; %bb.6:
	s_ashr_i32 s55, s54, 31
	s_delay_alu instid0(SALU_CYCLE_1) | instskip(NEXT) | instid1(SALU_CYCLE_1)
	s_lshl_b64 s[4:5], s[54:55], 2
	s_add_u32 s4, s22, s4
	s_addc_u32 s5, s23, s5
	s_load_b32 s58, s[4:5], 0x0
.LBB57_7:
	s_cmp_eq_u64 s[28:29], 0
	s_cbranch_scc1 .LBB57_9
; %bb.8:
	s_ashr_i32 s55, s54, 31
	s_delay_alu instid0(SALU_CYCLE_1) | instskip(NEXT) | instid1(SALU_CYCLE_1)
	s_lshl_b64 s[4:5], s[54:55], 2
	s_add_u32 s4, s28, s4
	s_addc_u32 s5, s29, s5
	s_load_b32 s57, s[4:5], 0x0
.LBB57_9:
	s_cmp_lt_i32 s34, 1
	s_cbranch_scc1 .LBB57_90
; %bb.10:
	s_sub_i32 s3, 0, s8
	s_load_b256 s[36:43], s[0:1], 0x4c
	s_mul_i32 s3, s3, s10
	s_abs_i32 s4, s54
	s_mul_hi_u32 s3, s10, s3
	s_ashr_i32 s6, s9, 31
	s_add_i32 s10, s10, s3
	s_ashr_i32 s3, s54, 31
	s_mul_hi_u32 s5, s4, s10
	s_xor_b32 s3, s3, s6
	s_mul_i32 s7, s5, s8
	s_add_i32 s6, s5, 1
	s_sub_i32 s4, s4, s7
	s_load_b256 s[44:51], s[0:1], 0x2c
	s_sub_i32 s7, s4, s8
	s_cmp_ge_u32 s4, s8
	s_mov_b32 s53, 0
	s_cselect_b32 s5, s6, s5
	s_cselect_b32 s4, s7, s4
	s_add_i32 s6, s5, 1
	s_cmp_ge_u32 s4, s8
	s_waitcnt lgkmcnt(0)
	s_mul_i32 s52, s38, s14
	s_cselect_b32 s6, s6, s5
	s_lshl_b64 s[4:5], s[52:53], 1
	s_xor_b32 s6, s6, s3
	s_mul_i32 s52, s39, s54
	s_sub_i32 s3, s6, s3
	s_add_u32 s6, s24, s4
	s_addc_u32 s7, s25, s5
	s_lshl_b64 s[4:5], s[52:53], 1
	s_mul_i32 s52, s40, s14
	s_add_u32 s51, s6, s4
	s_addc_u32 s55, s7, s5
	s_lshl_b64 s[4:5], s[52:53], 1
	s_mul_i32 s52, s41, s54
	;; [unrolled: 4-line block ×3, first 2 shown]
	s_add_u32 s59, s6, s4
	s_addc_u32 s44, s7, s5
	s_clause 0x1
	s_load_b64 s[6:7], s[0:1], 0x7c
	s_load_b32 s63, s[0:1], 0x84
	s_lshl_b64 s[4:5], s[52:53], 2
	s_mul_i32 s52, s46, s14
	s_add_u32 s60, s16, s4
	s_addc_u32 s61, s17, s5
	s_lshl_b64 s[4:5], s[52:53], 1
	s_mul_i32 s52, s3, s49
	s_load_b128 s[24:27], s[0:1], 0xc8
	s_add_u32 s8, s18, s4
	s_addc_u32 s9, s19, s5
	s_lshl_b64 s[4:5], s[52:53], 1
	s_mul_i32 s52, s50, s14
	s_add_u32 s49, s8, s4
	v_dual_mov_b32 v42, 0 :: v_dual_lshlrev_b32 v1, 1, v0
	s_addc_u32 s50, s9, s5
	s_lshl_b64 s[4:5], s[52:53], 1
	s_mul_i32 s52, s3, s37
	s_add_u32 s8, s20, s4
	s_addc_u32 s3, s21, s5
	s_lshl_b64 s[4:5], s[52:53], 1
	s_load_b128 s[16:19], s[0:1], 0x6c
	s_waitcnt lgkmcnt(0)
	s_mul_i32 s52, s2, s6
	s_load_b32 s6, s[0:1], 0x28
	v_mbcnt_lo_u32_b32 v2, -1, 0
	v_and_b32_e32 v1, 0xc0, v1
	s_add_u32 s37, s8, s4
	s_addc_u32 s62, s3, s5
	s_lshl_b64 s[2:3], s[52:53], 2
	v_and_b32_e32 v4, 0x60, v0
	v_or_b32_e32 v3, v2, v1
	s_mul_i32 s52, s7, s54
	s_load_b64 s[20:21], s[0:1], 0xd8
	s_add_u32 s4, s24, s2
	s_addc_u32 s5, s25, s3
	v_or_b32_e32 v6, 32, v3
	s_lshl_b64 s[2:3], s[52:53], 2
	v_lshrrev_b32_e32 v5, 5, v1
	s_add_u32 s64, s4, s2
	v_or_b32_e32 v7, v2, v4
	v_lshrrev_b32_e32 v8, 5, v6
	s_addc_u32 s65, s5, s3
	s_add_i32 s2, s34, 0x7ff
	v_cmp_gt_u32_e64 s0, 0x100, v3
	s_lshr_b32 s66, s2, 11
	s_waitcnt lgkmcnt(0)
	s_bitcmp1_b32 s6, 0
	v_add_nc_u32_e32 v5, v5, v3
	v_lshlrev_b32_e32 v9, 1, v7
	v_bfe_u32 v7, v7, 4, 27
	v_add_lshl_u32 v3, v8, v3, 4
	s_cselect_b32 s67, -1, 0
	s_cmp_gt_i32 s35, 0
	v_lshl_add_u32 v43, v5, 4, 0
	s_cselect_b32 s68, -1, 0
	s_add_i32 s2, 0, 0x1080
	v_add_lshl_u32 v5, v7, v9, 4
	v_add_nc_u32_e32 v44, 0, v3
	v_add_nc_u32_e32 v46, s2, v3
	v_and_b32_e32 v3, 15, v2
	s_and_b32 s3, s34, 0x7ff
	v_add_nc_u32_e32 v47, s2, v5
	s_cmp_eq_u32 s3, 0
	s_mul_i32 s52, s16, s14
	v_cmp_ne_u32_e64 s2, 0, v3
	v_cmp_lt_u32_e64 s3, 1, v3
	v_cmp_lt_u32_e64 s4, 3, v3
	;; [unrolled: 1-line block ×3, first 2 shown]
	v_add_nc_u32_e32 v3, -1, v2
	s_cselect_b32 s69, -1, 0
	s_lshl_b64 s[22:23], s[52:53], 1
	s_add_i32 s70, s66, -1
	s_mul_i32 s52, s17, s54
	v_cmp_gt_i32_e32 vcc_lo, 0, v3
	v_add_nc_u32_e32 v45, 0, v5
	v_lshrrev_b32_e32 v5, 2, v0
	s_add_u32 s22, s30, s22
	s_addc_u32 s23, s31, s23
	v_cndmask_b32_e32 v3, v3, v2, vcc_lo
	v_or_b32_e32 v4, 31, v4
	s_lshl_b64 s[16:17], s[52:53], 1
	v_lshlrev_b32_e32 v48, 4, v0
	v_cmp_gt_u32_e64 s8, 4, v0
	v_lshl_add_u32 v50, v0, 3, 0
	v_cmp_eq_u32_e64 s7, v4, v0
	v_cmp_gt_u32_e64 s11, 32, v0
	v_cmp_lt_u32_e64 s12, 31, v0
	v_cmp_eq_u32_e64 s13, 0, v0
	s_mul_i32 s52, s42, s14
	v_lshlrev_b32_e32 v0, 4, v2
	s_add_u32 s22, s22, s16
	v_and_b32_e32 v4, 3, v2
	s_addc_u32 s23, s23, s17
	s_lshl_b64 s[16:17], s[52:53], 1
	v_and_b32_e32 v5, 24, v5
	s_mul_i32 s52, s43, s54
	s_add_u32 s24, s26, s16
	v_lshlrev_b32_e32 v51, 2, v3
	s_addc_u32 s25, s27, s17
	s_lshl_b64 s[16:17], s[52:53], 1
	v_add_co_u32 v3, s22, s22, v0
	s_mul_i32 s52, s18, s14
	v_cmp_ne_u32_e64 s9, 0, v4
	v_cmp_lt_u32_e64 s10, 1, v4
	v_add_co_ci_u32_e64 v4, null, s23, 0, s22
	s_add_u32 s22, s24, s16
	v_add_nc_u32_e32 v49, 0, v5
	s_addc_u32 s14, s25, s17
	s_lshl_b64 s[16:17], s[52:53], 1
	v_lshlrev_b32_e32 v5, 4, v1
	s_mul_i32 s52, s19, s54
	s_add_u32 s18, s20, s16
	s_addc_u32 s19, s21, s17
	s_lshl_b64 s[16:17], s[52:53], 1
	v_cmp_gt_u32_e64 s1, 0x100, v6
	v_and_b32_e32 v6, 16, v2
	v_add_co_u32 v52, vcc_lo, v3, v5
	s_add_u32 s16, s18, s16
	v_add_co_u32 v3, s18, s22, v0
	v_add_co_ci_u32_e32 v53, vcc_lo, 0, v4, vcc_lo
	v_add_co_ci_u32_e64 v4, null, s14, 0, s18
	s_addc_u32 s17, s19, s17
	v_add_co_u32 v0, s14, s16, v0
	v_cmp_ne_u32_e64 s6, 0, v6
	v_add_co_ci_u32_e64 v6, null, s17, 0, s14
	v_add_co_u32 v54, vcc_lo, v3, v5
	v_add_co_ci_u32_e32 v55, vcc_lo, 0, v4, vcc_lo
	v_add_co_u32 v56, vcc_lo, v0, v5
	v_cmp_eq_u32_e64 s15, 0, v2
	v_add_co_ci_u32_e32 v57, vcc_lo, 0, v6, vcc_lo
	v_or_b32_e32 v58, 1, v48
	v_or_b32_e32 v59, 2, v48
	;; [unrolled: 1-line block ×15, first 2 shown]
	v_lshlrev_b32_e32 v73, 4, v2
	v_lshlrev_b32_e32 v74, 4, v1
	s_mov_b32 s54, 0x3e9b6dac
	s_add_i32 s71, 0, 0x2120
	s_mov_b32 s72, 0
                                        ; implicit-def: $vgpr4
                                        ; implicit-def: $vgpr0
                                        ; implicit-def: $vgpr12
                                        ; implicit-def: $vgpr8
                                        ; implicit-def: $vgpr20
                                        ; implicit-def: $vgpr16
	s_branch .LBB57_12
.LBB57_11:                              ;   in Loop: Header=BB57_12 Depth=1
	s_or_b32 exec_lo, exec_lo, s14
	s_waitcnt vmcnt(0)
	ds_store_b128 v43, v[4:7]
	ds_store_b128 v44, v[0:3] offset:512
	; wave barrier
	ds_load_b128 v[4:7], v45
	ds_load_b128 v[0:3], v45 offset:16
	s_waitcnt lgkmcnt(0)
	s_barrier
	buffer_gl0_inv
	s_add_u32 s59, s59, 0x1000
	s_addc_u32 s44, s44, 0
	s_add_u32 s51, s51, 0x1000
	s_addc_u32 s55, s55, 0
	;; [unrolled: 2-line block ×4, first 2 shown]
	s_add_i32 s72, s72, 1
	s_delay_alu instid0(SALU_CYCLE_1) | instskip(SKIP_1) | instid1(VALU_DEP_1)
	s_cmp_eq_u32 s72, s66
	v_and_b32_e32 v26, 0xffff0000, v5
	v_dual_mul_f32 v32, 0xbfb8aa3b, v26 :: v_dual_lshlrev_b32 v25, 16, v4
	s_delay_alu instid0(VALU_DEP_1) | instskip(NEXT) | instid1(VALU_DEP_2)
	v_mul_f32_e32 v31, 0xbfb8aa3b, v25
	v_rndne_f32_e32 v41, v32
	s_delay_alu instid0(VALU_DEP_2) | instskip(SKIP_2) | instid1(VALU_DEP_3)
	v_rndne_f32_e32 v38, v31
	v_and_b32_e32 v24, 0xffff0000, v4
	v_fma_f32 v39, 0xbfb8aa3b, v25, -v31
	v_sub_f32_e32 v31, v31, v38
	s_delay_alu instid0(VALU_DEP_3) | instskip(SKIP_1) | instid1(VALU_DEP_4)
	v_dual_mul_f32 v30, 0xbfb8aa3b, v24 :: v_dual_lshlrev_b32 v27, 16, v5
	v_cmp_nlt_f32_e32 vcc_lo, 0x42ce8ed0, v24
	v_fmac_f32_e32 v39, 0xb2a5705f, v25
	s_delay_alu instid0(VALU_DEP_3) | instskip(SKIP_2) | instid1(VALU_DEP_4)
	v_fma_f32 v36, 0xbfb8aa3b, v24, -v30
	v_rndne_f32_e32 v37, v30
	v_mul_f32_e32 v33, 0xbfb8aa3b, v27
	v_add_f32_e32 v31, v31, v39
	v_fma_f32 v40, 0xbfb8aa3b, v26, -v32
	v_fmac_f32_e32 v36, 0xb2a5705f, v24
	v_sub_f32_e32 v30, v30, v37
	v_rndne_f32_e32 v75, v33
	v_and_b32_e32 v28, 0xffff0000, v6
	v_fma_f32 v76, 0xbfb8aa3b, v27, -v33
	v_exp_f32_e32 v31, v31
	s_delay_alu instid0(VALU_DEP_3) | instskip(NEXT) | instid1(VALU_DEP_3)
	v_dual_add_f32 v30, v30, v36 :: v_dual_sub_f32 v33, v33, v75
	v_dual_mul_f32 v34, 0xbfb8aa3b, v28 :: v_dual_lshlrev_b32 v29, 16, v6
	v_cvt_i32_f32_e32 v36, v37
	s_delay_alu instid0(VALU_DEP_3)
	v_exp_f32_e32 v30, v30
	v_cvt_i32_f32_e32 v37, v38
	v_fmac_f32_e32 v76, 0xb2a5705f, v27
	v_fma_f32 v77, 0xbfb8aa3b, v28, -v34
	v_fmac_f32_e32 v40, 0xb2a5705f, v26
	v_sub_f32_e32 v32, v32, v41
	v_rndne_f32_e32 v78, v34
	v_add_f32_e32 v33, v33, v76
	v_fmac_f32_e32 v77, 0xb2a5705f, v28
	s_delay_alu instid0(VALU_DEP_4) | instskip(SKIP_3) | instid1(VALU_DEP_4)
	v_dual_mul_f32 v35, 0xbfb8aa3b, v29 :: v_dual_add_f32 v32, v32, v40
	v_ldexp_f32 v30, v30, v36
	v_ldexp_f32 v31, v31, v37
	v_cvt_i32_f32_e32 v38, v41
	v_rndne_f32_e32 v79, v35
	v_exp_f32_e32 v32, v32
	v_cndmask_b32_e32 v30, 0, v30, vcc_lo
	v_cmp_nlt_f32_e32 vcc_lo, 0x42ce8ed0, v25
	v_sub_f32_e32 v34, v34, v78
	v_exp_f32_e32 v33, v33
	v_cvt_i32_f32_e32 v39, v75
	v_fma_f32 v80, 0xbfb8aa3b, v29, -v35
	v_cndmask_b32_e32 v31, 0, v31, vcc_lo
	v_cmp_ngt_f32_e32 vcc_lo, 0xc2b17218, v24
	v_add_f32_e32 v34, v34, v77
	v_ldexp_f32 v32, v32, v38
	v_sub_f32_e32 v35, v35, v79
	v_cvt_i32_f32_e32 v36, v78
	v_cndmask_b32_e32 v30, 0x7f800000, v30, vcc_lo
	v_cmp_ngt_f32_e32 vcc_lo, 0xc2b17218, v25
	v_ldexp_f32 v33, v33, v39
	v_cvt_i32_f32_e32 v79, v79
	v_exp_f32_e32 v34, v34
	v_cndmask_b32_e32 v31, 0x7f800000, v31, vcc_lo
	v_cmp_nlt_f32_e32 vcc_lo, 0x42ce8ed0, v26
	s_delay_alu instid0(VALU_DEP_2)
	v_dual_add_f32 v31, 1.0, v31 :: v_dual_cndmask_b32 v32, 0, v32
	v_cmp_nlt_f32_e32 vcc_lo, 0x42ce8ed0, v27
	s_waitcnt_depctr 0xfff
	v_ldexp_f32 v34, v34, v36
	v_div_scale_f32 v38, null, v31, v31, v25
	v_cndmask_b32_e32 v33, 0, v33, vcc_lo
	v_cmp_ngt_f32_e32 vcc_lo, 0xc2b17218, v26
	v_div_scale_f32 v77, s14, v25, v31, v25
	s_delay_alu instid0(VALU_DEP_4) | instskip(SKIP_3) | instid1(VALU_DEP_1)
	v_rcp_f32_e32 v40, v38
	v_cndmask_b32_e32 v32, 0x7f800000, v32, vcc_lo
	v_cmp_ngt_f32_e32 vcc_lo, 0xc2b17218, v27
	v_dual_add_f32 v30, 1.0, v30 :: v_dual_cndmask_b32 v33, 0x7f800000, v33
	v_div_scale_f32 v37, null, v30, v30, v24
	s_waitcnt_depctr 0xfff
	v_fma_f32 v75, -v38, v40, 1.0
	v_div_scale_f32 v76, vcc_lo, v24, v30, v24
	v_rcp_f32_e32 v39, v37
	s_delay_alu instid0(VALU_DEP_2) | instskip(SKIP_1) | instid1(VALU_DEP_2)
	v_dual_add_f32 v33, 1.0, v33 :: v_dual_fmac_f32 v40, v75, v40
	v_fmac_f32_e32 v80, 0xb2a5705f, v29
	v_div_scale_f32 v75, null, v33, v33, v27
	s_delay_alu instid0(VALU_DEP_3) | instskip(NEXT) | instid1(VALU_DEP_3)
	v_mul_f32_e32 v81, v77, v40
	v_add_f32_e32 v35, v35, v80
	s_waitcnt_depctr 0xfff
	v_fma_f32 v41, -v37, v39, 1.0
	v_rcp_f32_e32 v82, v75
	v_fma_f32 v90, -v38, v81, v77
	v_exp_f32_e32 v35, v35
	s_delay_alu instid0(VALU_DEP_2) | instskip(NEXT) | instid1(VALU_DEP_1)
	v_fmac_f32_e32 v39, v41, v39
	v_dual_fmac_f32 v81, v90, v40 :: v_dual_mul_f32 v78, v76, v39
	s_delay_alu instid0(VALU_DEP_1) | instskip(NEXT) | instid1(VALU_DEP_2)
	v_fma_f32 v38, -v38, v81, v77
	v_fma_f32 v83, -v37, v78, v76
	s_delay_alu instid0(VALU_DEP_1) | instskip(NEXT) | instid1(VALU_DEP_1)
	v_fmac_f32_e32 v78, v83, v39
	v_fma_f32 v37, -v37, v78, v76
	s_delay_alu instid0(TRANS32_DEP_2) | instskip(NEXT) | instid1(VALU_DEP_2)
	v_fma_f32 v76, -v75, v82, 1.0
	v_div_fmas_f32 v37, v37, v39, v78
	s_mov_b32 vcc_lo, s14
	s_delay_alu instid0(VALU_DEP_2)
	v_fmac_f32_e32 v82, v76, v82
	v_div_fmas_f32 v38, v38, v40, v81
	v_cmp_nlt_f32_e32 vcc_lo, 0x42ce8ed0, v28
	v_div_fixup_f32 v24, v37, v30, v24
	v_div_scale_f32 v30, s14, v27, v33, v27
	v_add_f32_e32 v32, 1.0, v32
	v_div_fixup_f32 v25, v38, v31, v25
	v_ldexp_f32 v31, v35, v79
	s_delay_alu instid0(VALU_DEP_4) | instskip(SKIP_3) | instid1(VALU_DEP_4)
	v_mul_f32_e32 v35, v30, v82
	v_cndmask_b32_e32 v34, 0, v34, vcc_lo
	v_div_scale_f32 v41, null, v32, v32, v26
	v_div_scale_f32 v36, s16, v26, v32, v26
	v_fma_f32 v40, -v75, v35, v30
	s_delay_alu instid0(VALU_DEP_3) | instskip(SKIP_2) | instid1(VALU_DEP_3)
	v_rcp_f32_e32 v80, v41
	v_cmp_ngt_f32_e32 vcc_lo, 0xc2b17218, v28
	v_mul_f32_e32 v25, v102, v25
	v_fmac_f32_e32 v35, v40, v82
	v_cndmask_b32_e32 v34, 0x7f800000, v34, vcc_lo
	v_cmp_nlt_f32_e32 vcc_lo, 0x42ce8ed0, v29
	v_mul_f32_e32 v24, v103, v24
	s_delay_alu instid0(VALU_DEP_4) | instskip(NEXT) | instid1(TRANS32_DEP_1)
	v_fma_f32 v30, -v75, v35, v30
	v_fma_f32 v83, -v41, v80, 1.0
	v_cndmask_b32_e32 v31, 0, v31, vcc_lo
	s_mov_b32 vcc_lo, s16
	v_bfe_u32 v39, v24, 16, 1
	s_delay_alu instid0(VALU_DEP_3) | instskip(NEXT) | instid1(VALU_DEP_2)
	v_fmac_f32_e32 v80, v83, v80
	v_add3_u32 v39, v24, v39, 0x7fff
	s_delay_alu instid0(VALU_DEP_2) | instskip(NEXT) | instid1(VALU_DEP_2)
	v_mul_f32_e32 v37, v36, v80
	v_lshrrev_b32_e32 v39, 16, v39
	s_delay_alu instid0(VALU_DEP_2) | instskip(NEXT) | instid1(VALU_DEP_1)
	v_fma_f32 v38, -v41, v37, v36
	v_fmac_f32_e32 v37, v38, v80
	v_bfe_u32 v38, v25, 16, 1
	s_delay_alu instid0(VALU_DEP_2) | instskip(NEXT) | instid1(VALU_DEP_2)
	v_fma_f32 v36, -v41, v37, v36
	v_add3_u32 v38, v25, v38, 0x7fff
	s_delay_alu instid0(VALU_DEP_2) | instskip(SKIP_1) | instid1(VALU_DEP_2)
	v_div_fmas_f32 v36, v36, v80, v37
	v_cmp_ngt_f32_e32 vcc_lo, 0xc2b17218, v29
	v_div_fixup_f32 v26, v36, v32, v26
	v_cndmask_b32_e32 v31, 0x7f800000, v31, vcc_lo
	s_mov_b32 vcc_lo, s14
	v_div_fmas_f32 v30, v30, v82, v35
	s_delay_alu instid0(VALU_DEP_2) | instskip(SKIP_2) | instid1(VALU_DEP_4)
	v_dual_mul_f32 v26, v100, v26 :: v_dual_add_f32 v31, 1.0, v31
	v_lshrrev_b32_e32 v35, 16, v38
	v_cmp_o_f32_e32 vcc_lo, v24, v24
	v_div_fixup_f32 v27, v30, v33, v27
	v_add_f32_e32 v34, 1.0, v34
	v_div_scale_f32 v30, null, v31, v31, v29
	v_div_scale_f32 v78, s14, v29, v31, v29
	s_delay_alu instid0(VALU_DEP_4) | instskip(NEXT) | instid1(VALU_DEP_4)
	v_mul_f32_e32 v27, v99, v27
	v_div_scale_f32 v37, null, v34, v34, v28
	s_delay_alu instid0(VALU_DEP_4) | instskip(NEXT) | instid1(VALU_DEP_2)
	v_rcp_f32_e32 v32, v30
	v_bfe_u32 v36, v27, 16, 1
	s_delay_alu instid0(VALU_DEP_2) | instskip(NEXT) | instid1(VALU_DEP_1)
	v_rcp_f32_e32 v38, v37
	v_add3_u32 v36, v27, v36, 0x7fff
	s_waitcnt_depctr 0xfff
	v_fma_f32 v40, -v30, v32, 1.0
	v_lshrrev_b32_e32 v36, 16, v36
	v_fma_f32 v33, -v37, v38, 1.0
	s_delay_alu instid0(VALU_DEP_3) | instskip(SKIP_1) | instid1(VALU_DEP_3)
	v_fmac_f32_e32 v32, v40, v32
	v_lshlrev_b32_e32 v40, 16, v7
	v_dual_fmac_f32 v38, v33, v38 :: v_dual_and_b32 v33, 0xffff0000, v7
	v_cndmask_b32_e32 v24, 0x7fc0, v39, vcc_lo
	v_cmp_o_f32_e32 vcc_lo, v25, v25
	v_mul_f32_e32 v81, v78, v32
	s_delay_alu instid0(VALU_DEP_4) | instskip(SKIP_2) | instid1(VALU_DEP_3)
	v_mul_f32_e32 v41, 0xbfb8aa3b, v33
	v_cndmask_b32_e32 v25, 0x7fc0, v35, vcc_lo
	v_div_scale_f32 v39, vcc_lo, v28, v34, v28
	v_fma_f32 v76, 0xbfb8aa3b, v33, -v41
	v_rndne_f32_e32 v77, v41
	v_bfe_u32 v35, v26, 16, 1
	s_delay_alu instid0(VALU_DEP_4)
	v_mul_f32_e32 v75, v39, v38
	v_perm_b32 v25, v24, v25, 0x5040100
	v_fmac_f32_e32 v76, 0xb2a5705f, v33
	v_sub_f32_e32 v41, v41, v77
	v_add3_u32 v35, v26, v35, 0x7fff
	v_fma_f32 v80, -v37, v75, v39
	s_delay_alu instid0(VALU_DEP_3) | instskip(SKIP_1) | instid1(VALU_DEP_3)
	v_add_f32_e32 v41, v41, v76
	v_fma_f32 v76, -v30, v81, v78
	v_fmac_f32_e32 v75, v80, v38
	v_lshrrev_b32_e32 v35, 16, v35
	s_delay_alu instid0(VALU_DEP_4) | instskip(NEXT) | instid1(VALU_DEP_3)
	v_exp_f32_e32 v41, v41
	v_fmac_f32_e32 v81, v76, v32
	s_delay_alu instid0(VALU_DEP_3) | instskip(SKIP_1) | instid1(VALU_DEP_3)
	v_fma_f32 v37, -v37, v75, v39
	v_cvt_i32_f32_e32 v76, v77
	v_fma_f32 v30, -v30, v81, v78
	s_delay_alu instid0(VALU_DEP_3) | instskip(SKIP_1) | instid1(VALU_DEP_2)
	v_div_fmas_f32 v37, v37, v38, v75
	s_mov_b32 vcc_lo, s14
	v_div_fmas_f32 v30, v30, v32, v81
	v_cmp_nlt_f32_e32 vcc_lo, 0x42ce8ed0, v33
	v_mul_f32_e32 v79, 0xbfb8aa3b, v40
	v_div_fixup_f32 v28, v37, v34, v28
	s_delay_alu instid0(VALU_DEP_4) | instskip(NEXT) | instid1(VALU_DEP_3)
	v_div_fixup_f32 v29, v30, v31, v29
	v_rndne_f32_e32 v82, v79
	v_fma_f32 v83, 0xbfb8aa3b, v40, -v79
	s_delay_alu instid0(VALU_DEP_2) | instskip(NEXT) | instid1(VALU_DEP_2)
	v_dual_mul_f32 v28, v97, v28 :: v_dual_sub_f32 v79, v79, v82
	v_fmac_f32_e32 v83, 0xb2a5705f, v40
	s_delay_alu instid0(VALU_DEP_1) | instskip(NEXT) | instid1(VALU_DEP_1)
	v_add_f32_e32 v39, v79, v83
	v_exp_f32_e32 v38, v39
	v_ldexp_f32 v39, v41, v76
	v_cvt_i32_f32_e32 v41, v82
	s_delay_alu instid0(VALU_DEP_2)
	v_cndmask_b32_e32 v32, 0, v39, vcc_lo
	v_cmp_ngt_f32_e32 vcc_lo, 0xc2b17218, v33
	s_waitcnt_depctr 0xfff
	v_ldexp_f32 v34, v38, v41
	v_cndmask_b32_e32 v30, 0x7f800000, v32, vcc_lo
	v_cmp_nlt_f32_e32 vcc_lo, 0x42ce8ed0, v40
	v_bfe_u32 v32, v28, 16, 1
	s_delay_alu instid0(VALU_DEP_3) | instskip(SKIP_2) | instid1(VALU_DEP_4)
	v_add_f32_e32 v30, 1.0, v30
	v_cndmask_b32_e32 v31, 0, v34, vcc_lo
	v_cmp_ngt_f32_e32 vcc_lo, 0xc2b17218, v40
	v_add3_u32 v32, v28, v32, 0x7fff
	s_delay_alu instid0(VALU_DEP_4) | instskip(NEXT) | instid1(VALU_DEP_4)
	v_div_scale_f32 v34, null, v30, v30, v33
	v_cndmask_b32_e32 v31, 0x7f800000, v31, vcc_lo
	v_cmp_o_f32_e32 vcc_lo, v26, v26
	s_delay_alu instid0(VALU_DEP_4) | instskip(NEXT) | instid1(VALU_DEP_4)
	v_lshrrev_b32_e32 v32, 16, v32
	v_rcp_f32_e32 v38, v34
	v_cndmask_b32_e32 v26, 0x7fc0, v35, vcc_lo
	v_cmp_o_f32_e32 vcc_lo, v27, v27
	v_cndmask_b32_e32 v36, 0x7fc0, v36, vcc_lo
	v_cmp_o_f32_e32 vcc_lo, v28, v28
	v_dual_mul_f32 v29, v98, v29 :: v_dual_and_b32 v28, 0xffff0000, v0
	s_waitcnt_depctr 0xfff
	v_fma_f32 v27, -v34, v38, 1.0
	v_perm_b32 v26, v26, v36, 0x5040100
	v_cndmask_b32_e32 v32, 0x7fc0, v32, vcc_lo
	v_mul_f32_e32 v75, 0xbfb8aa3b, v28
	v_bfe_u32 v37, v29, 16, 1
	v_fmac_f32_e32 v38, v27, v38
	v_div_scale_f32 v27, vcc_lo, v33, v30, v33
	s_delay_alu instid0(VALU_DEP_4)
	v_fma_f32 v76, 0xbfb8aa3b, v28, -v75
	v_add_f32_e32 v31, 1.0, v31
	v_add3_u32 v35, v29, v37, 0x7fff
	v_cmp_o_f32_e64 s14, v29, v29
	v_rndne_f32_e32 v77, v75
	v_fmac_f32_e32 v76, 0xb2a5705f, v28
	v_div_scale_f32 v39, null, v31, v31, v40
	v_lshrrev_b32_e32 v35, 16, v35
	s_delay_alu instid0(VALU_DEP_4) | instskip(NEXT) | instid1(VALU_DEP_3)
	v_sub_f32_e32 v75, v75, v77
	v_rcp_f32_e32 v37, v39
	s_delay_alu instid0(VALU_DEP_2) | instskip(SKIP_3) | instid1(VALU_DEP_3)
	v_cndmask_b32_e64 v29, 0x7fc0, v35, s14
	v_mul_f32_e32 v35, v27, v38
	v_div_scale_f32 v78, s14, v40, v31, v40
	v_add_f32_e32 v75, v75, v76
	v_fma_f32 v80, -v34, v35, v27
	s_waitcnt_depctr 0xfff
	v_fma_f32 v41, -v39, v37, 1.0
	v_fmac_f32_e32 v35, v80, v38
	s_delay_alu instid0(VALU_DEP_2) | instskip(NEXT) | instid1(VALU_DEP_2)
	v_fmac_f32_e32 v37, v41, v37
	v_fma_f32 v27, -v34, v35, v27
	v_cvt_i32_f32_e32 v34, v77
	s_delay_alu instid0(VALU_DEP_3) | instskip(NEXT) | instid1(VALU_DEP_3)
	v_mul_f32_e32 v81, v78, v37
	v_div_fmas_f32 v27, v27, v38, v35
	s_mov_b32 vcc_lo, s14
	s_delay_alu instid0(VALU_DEP_2) | instskip(NEXT) | instid1(VALU_DEP_2)
	v_fma_f32 v76, -v39, v81, v78
	v_div_fixup_f32 v27, v27, v30, v33
	s_delay_alu instid0(VALU_DEP_2) | instskip(NEXT) | instid1(VALU_DEP_1)
	v_fmac_f32_e32 v81, v76, v37
	v_fma_f32 v35, -v39, v81, v78
	v_lshlrev_b32_e32 v78, 16, v1
	v_exp_f32_e32 v75, v75
	s_delay_alu instid0(VALU_DEP_1) | instskip(NEXT) | instid1(VALU_DEP_3)
	v_mul_f32_e32 v80, 0xbfb8aa3b, v78
	v_div_fmas_f32 v35, v35, v37, v81
	v_cmp_nlt_f32_e32 vcc_lo, 0x42ce8ed0, v28
	s_delay_alu instid0(VALU_DEP_3) | instskip(SKIP_4) | instid1(VALU_DEP_3)
	v_rndne_f32_e32 v81, v80
	s_waitcnt_depctr 0xfff
	v_ldexp_f32 v34, v75, v34
	v_lshlrev_b32_e32 v41, 16, v0
	v_div_fixup_f32 v30, v35, v31, v40
	v_cndmask_b32_e32 v34, 0, v34, vcc_lo
	v_cmp_ngt_f32_e32 vcc_lo, 0xc2b17218, v28
	s_delay_alu instid0(VALU_DEP_3) | instskip(NEXT) | instid1(VALU_DEP_3)
	v_mul_f32_e32 v30, v94, v30
	v_cndmask_b32_e32 v33, 0x7f800000, v34, vcc_lo
	v_and_b32_e32 v34, 0xffff0000, v1
	s_delay_alu instid0(VALU_DEP_3) | instskip(NEXT) | instid1(VALU_DEP_3)
	v_bfe_u32 v39, v30, 16, 1
	v_add_f32_e32 v33, 1.0, v33
	s_delay_alu instid0(VALU_DEP_3) | instskip(NEXT) | instid1(VALU_DEP_3)
	v_cmp_nlt_f32_e64 s16, 0x42ce8ed0, v34
	v_add3_u32 v39, v30, v39, 0x7fff
	s_delay_alu instid0(VALU_DEP_3) | instskip(NEXT) | instid1(VALU_DEP_2)
	v_div_scale_f32 v35, null, v33, v33, v28
	v_lshrrev_b32_e32 v39, 16, v39
	s_delay_alu instid0(VALU_DEP_2) | instskip(SKIP_1) | instid1(VALU_DEP_1)
	v_rcp_f32_e32 v40, v35
	v_mul_f32_e32 v79, 0xbfb8aa3b, v41
	v_rndne_f32_e32 v82, v79
	v_fma_f32 v83, 0xbfb8aa3b, v41, -v79
	s_delay_alu instid0(VALU_DEP_2)
	v_sub_f32_e32 v79, v79, v82
	v_cvt_i32_f32_e32 v37, v82
	v_fma_f32 v82, 0xbfb8aa3b, v78, -v80
	v_sub_f32_e32 v80, v80, v81
	v_fmac_f32_e32 v83, 0xb2a5705f, v41
	v_cmp_nlt_f32_e32 vcc_lo, 0x42ce8ed0, v41
	v_cvt_i32_f32_e32 v81, v81
	v_fmac_f32_e32 v82, 0xb2a5705f, v78
	s_delay_alu instid0(VALU_DEP_4) | instskip(NEXT) | instid1(VALU_DEP_1)
	v_add_f32_e32 v76, v79, v83
	v_exp_f32_e32 v38, v76
	s_waitcnt_depctr 0xfff
	v_ldexp_f32 v31, v38, v37
	v_mul_f32_e32 v37, 0xbfb8aa3b, v34
	s_delay_alu instid0(VALU_DEP_2) | instskip(SKIP_1) | instid1(VALU_DEP_3)
	v_cndmask_b32_e32 v31, 0, v31, vcc_lo
	v_cmp_ngt_f32_e32 vcc_lo, 0xc2b17218, v41
	v_fma_f32 v75, 0xbfb8aa3b, v34, -v37
	v_rndne_f32_e32 v76, v37
	s_delay_alu instid0(VALU_DEP_4) | instskip(NEXT) | instid1(VALU_DEP_3)
	v_cndmask_b32_e32 v31, 0x7f800000, v31, vcc_lo
	v_fmac_f32_e32 v75, 0xb2a5705f, v34
	s_delay_alu instid0(VALU_DEP_3) | instskip(SKIP_3) | instid1(VALU_DEP_4)
	v_sub_f32_e32 v37, v37, v76
	v_cvt_i32_f32_e32 v76, v76
	v_div_scale_f32 v83, vcc_lo, v28, v33, v28
	v_add_f32_e32 v31, 1.0, v31
	v_add_f32_e32 v37, v37, v75
	v_fma_f32 v75, -v35, v40, 1.0
	s_delay_alu instid0(VALU_DEP_3) | instskip(NEXT) | instid1(VALU_DEP_3)
	v_div_scale_f32 v77, null, v31, v31, v41
	v_exp_f32_e32 v37, v37
	s_delay_alu instid0(VALU_DEP_2) | instskip(NEXT) | instid1(VALU_DEP_2)
	v_fmac_f32_e32 v40, v75, v40
	v_rcp_f32_e32 v79, v77
	s_waitcnt_depctr 0xfff
	v_ldexp_f32 v37, v37, v76
	v_div_scale_f32 v76, s14, v41, v31, v41
	v_fma_f32 v75, -v77, v79, 1.0
	s_delay_alu instid0(VALU_DEP_3) | instskip(SKIP_1) | instid1(VALU_DEP_3)
	v_cndmask_b32_e64 v37, 0, v37, s16
	v_cmp_ngt_f32_e64 s16, 0xc2b17218, v34
	v_fmac_f32_e32 v79, v75, v79
	v_dual_add_f32 v75, v80, v82 :: v_dual_mul_f32 v80, v83, v40
	s_delay_alu instid0(VALU_DEP_3) | instskip(SKIP_1) | instid1(VALU_DEP_4)
	v_cndmask_b32_e64 v37, 0x7f800000, v37, s16
	v_cmp_nlt_f32_e64 s16, 0x42ce8ed0, v78
	v_mul_f32_e32 v82, v76, v79
	s_delay_alu instid0(VALU_DEP_4) | instskip(SKIP_2) | instid1(VALU_DEP_3)
	v_exp_f32_e32 v75, v75
	v_fma_f32 v90, -v35, v80, v83
	v_add_f32_e32 v37, 1.0, v37
	v_fma_f32 v93, -v77, v82, v76
	s_delay_alu instid0(VALU_DEP_3) | instskip(NEXT) | instid1(VALU_DEP_2)
	v_fmac_f32_e32 v80, v90, v40
	v_fmac_f32_e32 v82, v93, v79
	s_waitcnt_depctr 0xfff
	v_ldexp_f32 v75, v75, v81
	v_fma_f32 v35, -v35, v80, v83
	v_div_scale_f32 v81, null, v37, v37, v34
	v_fma_f32 v76, -v77, v82, v76
	s_delay_alu instid0(VALU_DEP_4)
	v_cndmask_b32_e64 v75, 0, v75, s16
	v_cmp_ngt_f32_e64 s16, 0xc2b17218, v78
	v_div_fmas_f32 v35, v35, v40, v80
	s_mov_b32 vcc_lo, s14
	v_cmp_o_f32_e64 s14, v30, v30
	v_rcp_f32_e32 v77, v81
	v_cndmask_b32_e64 v75, 0x7f800000, v75, s16
	v_div_fixup_f32 v28, v35, v33, v28
	s_delay_alu instid0(VALU_DEP_3) | instskip(NEXT) | instid1(VALU_DEP_3)
	v_cndmask_b32_e64 v30, 0x7fc0, v39, s14
	v_add_f32_e32 v40, 1.0, v75
	v_div_fmas_f32 v75, v76, v79, v82
	s_waitcnt_depctr 0xfff
	v_fma_f32 v79, -v81, v77, 1.0
	v_div_scale_f32 v76, null, v40, v40, v78
	v_div_fixup_f32 v31, v75, v31, v41
	s_delay_alu instid0(VALU_DEP_3) | instskip(NEXT) | instid1(VALU_DEP_3)
	v_fmac_f32_e32 v77, v79, v77
	v_rcp_f32_e32 v33, v76
	s_delay_alu instid0(VALU_DEP_2) | instskip(NEXT) | instid1(VALU_DEP_1)
	v_mul_f32_e32 v31, v91, v31
	v_bfe_u32 v75, v31, 16, 1
	s_waitcnt_depctr 0xfff
	v_fma_f32 v41, -v76, v33, 1.0
	s_delay_alu instid0(VALU_DEP_1) | instskip(SKIP_2) | instid1(VALU_DEP_1)
	v_fmac_f32_e32 v33, v41, v33
	v_div_scale_f32 v41, s14, v78, v40, v78
	v_mul_f32_e32 v27, v95, v27
	v_bfe_u32 v38, v27, 16, 1
	v_cmp_o_f32_e32 vcc_lo, v27, v27
	s_delay_alu instid0(VALU_DEP_2) | instskip(NEXT) | instid1(VALU_DEP_1)
	v_add3_u32 v38, v27, v38, 0x7fff
	v_lshrrev_b32_e32 v38, 16, v38
	s_delay_alu instid0(VALU_DEP_1) | instskip(SKIP_2) | instid1(VALU_DEP_3)
	v_cndmask_b32_e32 v27, 0x7fc0, v38, vcc_lo
	v_div_scale_f32 v35, vcc_lo, v34, v37, v34
	v_mul_f32_e32 v38, v92, v28
	v_perm_b32 v28, v27, v30, 0x5040100
	s_delay_alu instid0(VALU_DEP_3) | instskip(SKIP_1) | instid1(VALU_DEP_4)
	v_mul_f32_e32 v39, v35, v77
	v_perm_b32 v27, v32, v29, 0x5040100
	v_bfe_u32 v30, v38, 16, 1
	v_mul_f32_e32 v32, v41, v33
	s_delay_alu instid0(VALU_DEP_4) | instskip(NEXT) | instid1(VALU_DEP_3)
	v_fma_f32 v79, -v81, v39, v35
	v_add3_u32 v29, v38, v30, 0x7fff
	v_add3_u32 v30, v31, v75, 0x7fff
	s_delay_alu instid0(VALU_DEP_4) | instskip(NEXT) | instid1(VALU_DEP_4)
	v_fma_f32 v36, -v76, v32, v41
	v_fmac_f32_e32 v39, v79, v77
	v_and_b32_e32 v75, 0xffff0000, v2
	v_lshrrev_b32_e32 v29, 16, v29
	s_delay_alu instid0(VALU_DEP_4) | instskip(NEXT) | instid1(VALU_DEP_4)
	v_dual_fmac_f32 v32, v36, v33 :: v_dual_and_b32 v79, 0xffff0000, v3
	v_fma_f32 v35, -v81, v39, v35
	s_delay_alu instid0(VALU_DEP_4) | instskip(SKIP_1) | instid1(VALU_DEP_4)
	v_mul_f32_e32 v36, 0xbfb8aa3b, v75
	v_lshrrev_b32_e32 v30, 16, v30
	v_mul_f32_e32 v80, 0xbfb8aa3b, v79
	s_delay_alu instid0(VALU_DEP_4) | instskip(SKIP_2) | instid1(VALU_DEP_3)
	v_div_fmas_f32 v35, v35, v77, v39
	v_lshlrev_b32_e32 v39, 16, v2
	v_cmp_o_f32_e32 vcc_lo, v38, v38
	v_div_fixup_f32 v34, v35, v37, v34
	s_delay_alu instid0(VALU_DEP_3)
	v_mul_f32_e32 v38, 0xbfb8aa3b, v39
	v_fma_f32 v35, -v76, v32, v41
	v_fma_f32 v37, 0xbfb8aa3b, v75, -v36
	v_rndne_f32_e32 v41, v36
	v_cndmask_b32_e32 v29, 0x7fc0, v29, vcc_lo
	v_rndne_f32_e32 v76, v38
	v_fma_f32 v77, 0xbfb8aa3b, v39, -v38
	s_delay_alu instid0(VALU_DEP_4) | instskip(SKIP_1) | instid1(VALU_DEP_2)
	v_dual_fmac_f32 v37, 0xb2a5705f, v75 :: v_dual_sub_f32 v36, v36, v41
	s_mov_b32 vcc_lo, s14
	v_dual_sub_f32 v38, v38, v76 :: v_dual_fmac_f32 v77, 0xb2a5705f, v39
	v_div_fmas_f32 v32, v35, v33, v32
	s_delay_alu instid0(VALU_DEP_3) | instskip(SKIP_1) | instid1(VALU_DEP_4)
	v_dual_add_f32 v33, v36, v37 :: v_dual_lshlrev_b32 v36, 16, v3
	v_fma_f32 v37, 0xbfb8aa3b, v79, -v80
	v_add_f32_e32 v35, v38, v77
	v_rndne_f32_e32 v38, v80
	s_delay_alu instid0(VALU_DEP_4)
	v_exp_f32_e32 v33, v33
	v_cvt_i32_f32_e32 v41, v41
	v_mul_f32_e32 v77, 0xbfb8aa3b, v36
	v_exp_f32_e32 v35, v35
	v_dual_fmac_f32 v37, 0xb2a5705f, v79 :: v_dual_sub_f32 v80, v80, v38
	v_cvt_i32_f32_e32 v76, v76
	v_cmp_nlt_f32_e32 vcc_lo, 0x42ce8ed0, v75
	v_rndne_f32_e32 v81, v77
	v_fma_f32 v82, 0xbfb8aa3b, v36, -v77
	s_delay_alu instid0(TRANS32_DEP_2) | instskip(SKIP_2) | instid1(TRANS32_DEP_1)
	v_ldexp_f32 v33, v33, v41
	v_add_f32_e32 v37, v80, v37
	v_cvt_i32_f32_e32 v38, v38
	v_ldexp_f32 v35, v35, v76
	v_sub_f32_e32 v41, v77, v81
	v_cndmask_b32_e32 v33, 0, v33, vcc_lo
	v_cmp_nlt_f32_e32 vcc_lo, 0x42ce8ed0, v39
	v_fmac_f32_e32 v82, 0xb2a5705f, v36
	v_exp_f32_e32 v37, v37
	v_div_fixup_f32 v32, v32, v40, v78
	v_dual_mul_f32 v34, v89, v34 :: v_dual_cndmask_b32 v35, 0, v35
	v_cmp_ngt_f32_e32 vcc_lo, 0xc2b17218, v75
	s_delay_alu instid0(VALU_DEP_3) | instskip(NEXT) | instid1(VALU_DEP_3)
	v_dual_add_f32 v41, v41, v82 :: v_dual_mul_f32 v32, v88, v32
	v_bfe_u32 v92, v34, 16, 1
	v_cndmask_b32_e32 v33, 0x7f800000, v33, vcc_lo
	v_cmp_ngt_f32_e32 vcc_lo, 0xc2b17218, v39
	s_delay_alu instid0(VALU_DEP_4) | instskip(NEXT) | instid1(TRANS32_DEP_2)
	v_exp_f32_e32 v41, v41
	v_ldexp_f32 v37, v37, v38
	v_cvt_i32_f32_e32 v38, v81
	v_add_f32_e32 v33, 1.0, v33
	v_cndmask_b32_e32 v35, 0x7f800000, v35, vcc_lo
	v_cmp_nlt_f32_e32 vcc_lo, 0x42ce8ed0, v79
	v_bfe_u32 v96, v32, 16, 1
	v_add3_u32 v92, v34, v92, 0x7fff
	s_delay_alu instid0(VALU_DEP_4) | instskip(SKIP_3) | instid1(VALU_DEP_4)
	v_add_f32_e32 v35, 1.0, v35
	v_cndmask_b32_e32 v37, 0, v37, vcc_lo
	v_cmp_ngt_f32_e32 vcc_lo, 0xc2b17218, v79
	v_ldexp_f32 v38, v41, v38
	v_div_scale_f32 v77, null, v35, v35, v39
	s_delay_alu instid0(VALU_DEP_4) | instskip(SKIP_1) | instid1(VALU_DEP_3)
	v_cndmask_b32_e32 v37, 0x7f800000, v37, vcc_lo
	v_cmp_nlt_f32_e32 vcc_lo, 0x42ce8ed0, v36
	v_rcp_f32_e32 v40, v77
	s_delay_alu instid0(VALU_DEP_2) | instskip(SKIP_1) | instid1(VALU_DEP_2)
	v_dual_add_f32 v37, 1.0, v37 :: v_dual_cndmask_b32 v38, 0, v38
	v_cmp_ngt_f32_e32 vcc_lo, 0xc2b17218, v36
	v_cndmask_b32_e32 v38, 0x7f800000, v38, vcc_lo
	s_waitcnt_depctr 0xfff
	v_fma_f32 v83, -v77, v40, 1.0
	v_add_f32_e32 v38, 1.0, v38
	s_delay_alu instid0(VALU_DEP_2) | instskip(SKIP_1) | instid1(VALU_DEP_3)
	v_fmac_f32_e32 v40, v83, v40
	v_div_scale_f32 v83, s14, v39, v35, v39
	v_div_scale_f32 v82, null, v38, v38, v36
	s_delay_alu instid0(VALU_DEP_2) | instskip(SKIP_1) | instid1(VALU_DEP_3)
	v_mul_f32_e32 v94, v83, v40
	v_div_scale_f32 v76, null, v33, v33, v75
	v_rcp_f32_e32 v89, v82
	s_delay_alu instid0(VALU_DEP_1) | instskip(SKIP_3) | instid1(VALU_DEP_2)
	v_rcp_f32_e32 v41, v76
	s_waitcnt_depctr 0xfff
	v_fma_f32 v91, -v82, v89, 1.0
	v_fma_f32 v78, -v76, v41, 1.0
	v_fmac_f32_e32 v89, v91, v89
	v_div_scale_f32 v91, s17, v36, v38, v36
	s_delay_alu instid0(VALU_DEP_3) | instskip(SKIP_1) | instid1(VALU_DEP_3)
	v_fmac_f32_e32 v41, v78, v41
	v_div_scale_f32 v78, vcc_lo, v75, v33, v75
	v_mul_f32_e32 v98, v91, v89
	v_div_scale_f32 v80, null, v37, v37, v79
	s_delay_alu instid0(VALU_DEP_3) | instskip(NEXT) | instid1(VALU_DEP_2)
	v_mul_f32_e32 v90, v78, v41
	v_rcp_f32_e32 v81, v80
	s_delay_alu instid0(VALU_DEP_1) | instskip(NEXT) | instid1(VALU_DEP_1)
	v_fma_f32 v93, -v76, v90, v78
	v_fmac_f32_e32 v90, v93, v41
	v_fma_f32 v93, -v77, v94, v83
	s_waitcnt_depctr 0xfff
	v_fma_f32 v88, -v80, v81, 1.0
	v_fma_f32 v76, -v76, v90, v78
	v_fmac_f32_e32 v94, v93, v40
	v_fma_f32 v78, -v82, v98, v91
	s_delay_alu instid0(VALU_DEP_4) | instskip(SKIP_4) | instid1(VALU_DEP_4)
	v_fmac_f32_e32 v81, v88, v81
	v_div_scale_f32 v88, s16, v79, v37, v79
	v_div_fmas_f32 v41, v76, v41, v90
	v_fma_f32 v76, -v77, v94, v83
	v_fmac_f32_e32 v98, v78, v89
	v_mul_f32_e32 v95, v88, v81
	s_mov_b32 vcc_lo, s14
	v_div_fixup_f32 v33, v41, v33, v75
	v_div_fmas_f32 v40, v76, v40, v94
	s_mov_b32 vcc_lo, s16
	v_fma_f32 v97, -v80, v95, v88
	v_fma_f32 v76, -v82, v98, v91
	v_mul_f32_e32 v33, v86, v33
	v_div_fixup_f32 v35, v40, v35, v39
	v_add3_u32 v78, v32, v96, 0x7fff
	v_fmac_f32_e32 v95, v97, v81
	s_delay_alu instid0(VALU_DEP_4) | instskip(NEXT) | instid1(VALU_DEP_4)
	v_bfe_u32 v40, v33, 16, 1
	v_mul_f32_e32 v35, v85, v35
	s_delay_alu instid0(VALU_DEP_4) | instskip(NEXT) | instid1(VALU_DEP_4)
	v_lshrrev_b32_e32 v39, 16, v78
	v_fma_f32 v77, -v80, v95, v88
	s_delay_alu instid0(VALU_DEP_3) | instskip(NEXT) | instid1(VALU_DEP_2)
	v_bfe_u32 v41, v35, 16, 1
	v_div_fmas_f32 v77, v77, v81, v95
	s_mov_b32 vcc_lo, s17
	v_div_fmas_f32 v76, v76, v89, v98
	v_cmp_o_f32_e32 vcc_lo, v34, v34
	s_delay_alu instid0(VALU_DEP_3) | instskip(NEXT) | instid1(VALU_DEP_3)
	v_div_fixup_f32 v37, v77, v37, v79
	v_div_fixup_f32 v36, v76, v38, v36
	v_lshrrev_b32_e32 v38, 16, v92
	s_delay_alu instid0(VALU_DEP_2) | instskip(NEXT) | instid1(VALU_DEP_2)
	v_dual_mul_f32 v37, v87, v37 :: v_dual_mul_f32 v36, v84, v36
	v_cndmask_b32_e32 v34, 0x7fc0, v38, vcc_lo
	s_delay_alu instid0(VALU_DEP_2)
	v_bfe_u32 v75, v37, 16, 1
	v_add3_u32 v38, v33, v40, 0x7fff
	v_cmp_o_f32_e32 vcc_lo, v32, v32
	v_bfe_u32 v76, v36, 16, 1
	v_add3_u32 v40, v35, v41, 0x7fff
	v_add3_u32 v41, v37, v75, 0x7fff
	v_lshrrev_b32_e32 v32, 16, v38
	v_cndmask_b32_e32 v39, 0x7fc0, v39, vcc_lo
	v_cmp_o_f32_e32 vcc_lo, v33, v33
	v_add3_u32 v75, v36, v76, 0x7fff
	v_lshrrev_b32_e32 v38, 16, v40
	v_lshrrev_b32_e32 v40, 16, v41
	v_cndmask_b32_e32 v33, 0x7fc0, v32, vcc_lo
	v_cmp_o_f32_e32 vcc_lo, v37, v37
	v_lshrrev_b32_e32 v41, 16, v75
	s_delay_alu instid0(VALU_DEP_4) | instskip(SKIP_1) | instid1(VALU_DEP_3)
	v_cndmask_b32_e32 v32, 0x7fc0, v40, vcc_lo
	v_cmp_o_f32_e32 vcc_lo, v36, v36
	v_cndmask_b32_e32 v36, 0x7fc0, v41, vcc_lo
	v_cmp_o_f32_e32 vcc_lo, v35, v35
	s_delay_alu instid0(VALU_DEP_2) | instskip(SKIP_2) | instid1(VALU_DEP_2)
	v_perm_b32 v32, v32, v36, 0x5040100
	v_cndmask_b32_e32 v35, 0x7fc0, v38, vcc_lo
	v_cmp_o_f32_e32 vcc_lo, v31, v31
	v_perm_b32 v31, v33, v35, 0x5040100
	v_cndmask_b32_e32 v37, 0x7fc0, v30, vcc_lo
	v_perm_b32 v30, v34, v39, 0x5040100
	s_delay_alu instid0(VALU_DEP_2)
	v_perm_b32 v29, v29, v37, 0x5040100
	ds_store_b128 v45, v[25:28]
	ds_store_b128 v45, v[29:32] offset:16
	; wave barrier
	ds_load_b128 v[24:27], v43
	ds_load_b128 v[28:31], v44 offset:512
	v_add_co_u32 v32, vcc_lo, v56, s18
	v_add_co_ci_u32_e32 v33, vcc_lo, s19, v57, vcc_lo
	s_waitcnt lgkmcnt(1)
	v_alignbit_b32 v35, v26, v25, 16
	v_alignbit_b32 v34, v25, v24, 16
	v_alignbit_b32 v25, v27, v26, 16
	s_clause 0x3
	global_store_b16 v[32:33], v24, off
	global_store_d16_hi_b16 v[32:33], v27, off offset:14
	global_store_b32 v[32:33], v25, off offset:10
	global_store_b64 v[32:33], v[34:35], off offset:2
	s_waitcnt lgkmcnt(0)
	global_store_b128 v[32:33], v[28:31], off offset:512
	s_cbranch_scc1 .LBB57_90
.LBB57_12:                              ; =>This Loop Header: Depth=1
                                        ;     Child Loop BB57_55 Depth 2
	v_add_co_u32 v24, s14, s51, v73
	s_delay_alu instid0(VALU_DEP_1) | instskip(NEXT) | instid1(VALU_DEP_2)
	v_add_co_ci_u32_e64 v25, null, s55, 0, s14
	v_add_co_u32 v24, vcc_lo, v24, v74
	s_delay_alu instid0(VALU_DEP_2)
	v_add_co_ci_u32_e32 v25, vcc_lo, 0, v25, vcc_lo
	s_waitcnt_vscnt null, 0x0
	s_barrier
	buffer_gl0_inv
	s_and_saveexec_b32 s14, s0
	s_cbranch_execz .LBB57_14
; %bb.13:                               ;   in Loop: Header=BB57_12 Depth=1
	global_load_b128 v[20:23], v[24:25], off
.LBB57_14:                              ;   in Loop: Header=BB57_12 Depth=1
	s_or_b32 exec_lo, exec_lo, s14
	s_and_saveexec_b32 s14, s1
	s_cbranch_execz .LBB57_16
; %bb.15:                               ;   in Loop: Header=BB57_12 Depth=1
	global_load_b128 v[16:19], v[24:25], off offset:512
.LBB57_16:                              ;   in Loop: Header=BB57_12 Depth=1
	s_or_b32 exec_lo, exec_lo, s14
	s_waitcnt vmcnt(0)
	ds_store_b128 v43, v[20:23]
	ds_store_b128 v44, v[16:19] offset:512
	; wave barrier
	ds_load_b128 v[20:23], v45
	ds_load_b128 v[16:19], v45 offset:16
	v_add_co_u32 v24, s14, s59, v73
	s_delay_alu instid0(VALU_DEP_1) | instskip(SKIP_1) | instid1(VALU_DEP_2)
	v_add_co_ci_u32_e64 v25, null, s44, 0, s14
	s_waitcnt lgkmcnt(0)
	v_add_co_u32 v24, vcc_lo, v24, v74
	s_delay_alu instid0(VALU_DEP_2)
	v_add_co_ci_u32_e32 v25, vcc_lo, 0, v25, vcc_lo
	s_barrier
	buffer_gl0_inv
	s_and_saveexec_b32 s14, s0
	s_cbranch_execz .LBB57_18
; %bb.17:                               ;   in Loop: Header=BB57_12 Depth=1
	global_load_b128 v[12:15], v[24:25], off
.LBB57_18:                              ;   in Loop: Header=BB57_12 Depth=1
	s_or_b32 exec_lo, exec_lo, s14
	s_and_saveexec_b32 s14, s1
	s_cbranch_execz .LBB57_20
; %bb.19:                               ;   in Loop: Header=BB57_12 Depth=1
	global_load_b128 v[8:11], v[24:25], off offset:512
.LBB57_20:                              ;   in Loop: Header=BB57_12 Depth=1
	s_or_b32 exec_lo, exec_lo, s14
	s_waitcnt vmcnt(0)
	ds_store_b128 v43, v[12:15]
	ds_store_b128 v44, v[8:11] offset:512
	; wave barrier
	ds_load_b128 v[12:15], v45
	ds_load_b128 v[8:11], v45 offset:16
	s_waitcnt lgkmcnt(1)
	v_lshlrev_b32_e32 v24, 16, v12
	s_delay_alu instid0(VALU_DEP_1) | instskip(NEXT) | instid1(VALU_DEP_1)
	v_add_f32_e32 v75, s57, v24
	v_cmp_ge_f32_e32 vcc_lo, 0x41a00000, v75
	s_and_b32 s14, s67, vcc_lo
	s_delay_alu instid0(SALU_CYCLE_1)
	s_and_saveexec_b32 s16, s14
	s_cbranch_execz .LBB57_22
; %bb.21:                               ;   in Loop: Header=BB57_12 Depth=1
	v_mul_f32_e32 v24, 0x3fb8aa3b, v75
	v_cmp_ngt_f32_e32 vcc_lo, 0xc2ce8ed0, v75
	s_delay_alu instid0(VALU_DEP_2) | instskip(SKIP_1) | instid1(VALU_DEP_2)
	v_rndne_f32_e32 v25, v24
	v_fma_f32 v26, 0x3fb8aa3b, v75, -v24
	v_sub_f32_e32 v24, v24, v25
	s_delay_alu instid0(VALU_DEP_2) | instskip(SKIP_1) | instid1(VALU_DEP_2)
	v_fmac_f32_e32 v26, 0x32a5705f, v75
	v_cvt_i32_f32_e32 v25, v25
	v_add_f32_e32 v24, v24, v26
	s_delay_alu instid0(VALU_DEP_1) | instskip(SKIP_2) | instid1(VALU_DEP_1)
	v_exp_f32_e32 v24, v24
	s_waitcnt_depctr 0xfff
	v_ldexp_f32 v24, v24, v25
	v_cndmask_b32_e32 v24, 0, v24, vcc_lo
	v_cmp_nlt_f32_e32 vcc_lo, 0x42b17218, v75
	s_delay_alu instid0(VALU_DEP_2) | instskip(NEXT) | instid1(VALU_DEP_1)
	v_cndmask_b32_e32 v26, 0x7f800000, v24, vcc_lo
	v_add_f32_e32 v27, 1.0, v26
	s_delay_alu instid0(VALU_DEP_1) | instskip(NEXT) | instid1(VALU_DEP_1)
	v_cvt_f64_f32_e32 v[24:25], v27
	v_frexp_exp_i32_f64_e32 v24, v[24:25]
	v_frexp_mant_f32_e32 v25, v27
	s_delay_alu instid0(VALU_DEP_1) | instskip(SKIP_1) | instid1(VALU_DEP_1)
	v_cmp_gt_f32_e32 vcc_lo, 0x3f2aaaab, v25
	v_add_f32_e32 v25, -1.0, v27
	v_sub_f32_e32 v29, v25, v27
	v_sub_f32_e32 v25, v26, v25
	s_delay_alu instid0(VALU_DEP_2) | instskip(NEXT) | instid1(VALU_DEP_1)
	v_add_f32_e32 v29, 1.0, v29
	v_add_f32_e32 v25, v25, v29
	v_cmp_gt_f32_e64 s14, 0x33800000, v26
	v_subrev_co_ci_u32_e32 v24, vcc_lo, 0, v24, vcc_lo
	v_cmp_eq_f32_e32 vcc_lo, 0x7f800000, v26
	s_delay_alu instid0(VALU_DEP_2) | instskip(SKIP_2) | instid1(VALU_DEP_2)
	v_sub_nc_u32_e32 v28, 0, v24
	v_cvt_f32_i32_e32 v24, v24
	s_or_b32 vcc_lo, s14, vcc_lo
	v_ldexp_f32 v27, v27, v28
	v_ldexp_f32 v25, v25, v28
	s_delay_alu instid0(VALU_DEP_2) | instskip(NEXT) | instid1(VALU_DEP_1)
	v_add_f32_e32 v30, 1.0, v27
	v_dual_add_f32 v28, -1.0, v27 :: v_dual_add_f32 v29, -1.0, v30
	s_delay_alu instid0(VALU_DEP_1) | instskip(NEXT) | instid1(VALU_DEP_2)
	v_add_f32_e32 v31, 1.0, v28
	v_sub_f32_e32 v29, v27, v29
	s_delay_alu instid0(VALU_DEP_2) | instskip(NEXT) | instid1(VALU_DEP_2)
	v_sub_f32_e32 v27, v27, v31
	v_add_f32_e32 v29, v25, v29
	s_delay_alu instid0(VALU_DEP_2) | instskip(NEXT) | instid1(VALU_DEP_1)
	v_add_f32_e32 v25, v25, v27
	v_add_f32_e32 v32, v28, v25
	s_delay_alu instid0(VALU_DEP_1) | instskip(NEXT) | instid1(VALU_DEP_1)
	v_dual_add_f32 v31, v30, v29 :: v_dual_sub_f32 v28, v28, v32
	v_rcp_f32_e32 v27, v31
	v_sub_f32_e32 v30, v30, v31
	s_delay_alu instid0(VALU_DEP_1) | instskip(SKIP_2) | instid1(VALU_DEP_1)
	v_add_f32_e32 v29, v29, v30
	s_waitcnt_depctr 0xfff
	v_mul_f32_e32 v33, v32, v27
	v_mul_f32_e32 v34, v31, v33
	s_delay_alu instid0(VALU_DEP_1) | instskip(NEXT) | instid1(VALU_DEP_1)
	v_fma_f32 v30, v33, v31, -v34
	v_fmac_f32_e32 v30, v33, v29
	s_delay_alu instid0(VALU_DEP_1) | instskip(NEXT) | instid1(VALU_DEP_1)
	v_add_f32_e32 v35, v34, v30
	v_sub_f32_e32 v36, v32, v35
	s_delay_alu instid0(VALU_DEP_1) | instskip(SKIP_1) | instid1(VALU_DEP_2)
	v_sub_f32_e32 v32, v32, v36
	v_dual_add_f32 v25, v25, v28 :: v_dual_sub_f32 v28, v35, v34
	v_sub_f32_e32 v32, v32, v35
	s_delay_alu instid0(VALU_DEP_1) | instskip(NEXT) | instid1(VALU_DEP_1)
	v_dual_sub_f32 v28, v28, v30 :: v_dual_add_f32 v25, v25, v32
	v_add_f32_e32 v25, v28, v25
	s_delay_alu instid0(VALU_DEP_1) | instskip(NEXT) | instid1(VALU_DEP_1)
	v_add_f32_e32 v28, v36, v25
	v_mul_f32_e32 v30, v27, v28
	s_delay_alu instid0(VALU_DEP_1) | instskip(NEXT) | instid1(VALU_DEP_1)
	v_dual_sub_f32 v35, v36, v28 :: v_dual_mul_f32 v32, v31, v30
	v_add_f32_e32 v25, v25, v35
	s_delay_alu instid0(VALU_DEP_2) | instskip(NEXT) | instid1(VALU_DEP_1)
	v_fma_f32 v31, v30, v31, -v32
	v_fmac_f32_e32 v31, v30, v29
	s_delay_alu instid0(VALU_DEP_1) | instskip(NEXT) | instid1(VALU_DEP_1)
	v_add_f32_e32 v29, v32, v31
	v_sub_f32_e32 v34, v28, v29
	s_delay_alu instid0(VALU_DEP_1) | instskip(NEXT) | instid1(VALU_DEP_1)
	v_sub_f32_e32 v28, v28, v34
	v_sub_f32_e32 v28, v28, v29
	s_delay_alu instid0(VALU_DEP_1) | instskip(SKIP_2) | instid1(VALU_DEP_1)
	v_add_f32_e32 v25, v25, v28
	v_add_f32_e32 v28, v33, v30
	v_sub_f32_e32 v32, v29, v32
	v_sub_f32_e32 v29, v32, v31
	s_delay_alu instid0(VALU_DEP_1) | instskip(NEXT) | instid1(VALU_DEP_4)
	v_add_f32_e32 v25, v29, v25
	v_sub_f32_e32 v29, v28, v33
	s_delay_alu instid0(VALU_DEP_2) | instskip(NEXT) | instid1(VALU_DEP_2)
	v_add_f32_e32 v25, v34, v25
	v_sub_f32_e32 v29, v30, v29
	s_delay_alu instid0(VALU_DEP_2) | instskip(NEXT) | instid1(VALU_DEP_1)
	v_mul_f32_e32 v25, v27, v25
	v_add_f32_e32 v25, v29, v25
	s_delay_alu instid0(VALU_DEP_1) | instskip(NEXT) | instid1(VALU_DEP_1)
	v_add_f32_e32 v27, v28, v25
	v_mul_f32_e32 v29, v27, v27
	s_delay_alu instid0(VALU_DEP_1) | instskip(SKIP_1) | instid1(VALU_DEP_2)
	v_fmaak_f32 v30, s54, v29, 0x3ecc95a3
	v_mul_f32_e32 v31, v27, v29
	v_fmaak_f32 v29, v29, v30, 0x3f2aaada
	v_ldexp_f32 v30, v27, 1
	s_delay_alu instid0(VALU_DEP_2) | instskip(SKIP_1) | instid1(VALU_DEP_2)
	v_mul_f32_e32 v29, v31, v29
	v_sub_f32_e32 v27, v27, v28
	v_dual_mul_f32 v31, 0x3f317218, v24 :: v_dual_add_f32 v28, v30, v29
	s_delay_alu instid0(VALU_DEP_2) | instskip(NEXT) | instid1(VALU_DEP_2)
	v_sub_f32_e32 v25, v25, v27
	v_sub_f32_e32 v27, v28, v30
	s_delay_alu instid0(VALU_DEP_3) | instskip(NEXT) | instid1(VALU_DEP_3)
	v_fma_f32 v30, 0x3f317218, v24, -v31
	v_ldexp_f32 v25, v25, 1
	s_delay_alu instid0(VALU_DEP_2) | instskip(NEXT) | instid1(VALU_DEP_1)
	v_dual_sub_f32 v27, v29, v27 :: v_dual_fmac_f32 v30, 0xb102e308, v24
	v_dual_add_f32 v24, v25, v27 :: v_dual_add_f32 v25, v31, v30
	s_delay_alu instid0(VALU_DEP_1) | instskip(NEXT) | instid1(VALU_DEP_1)
	v_add_f32_e32 v27, v28, v24
	v_dual_add_f32 v29, v25, v27 :: v_dual_sub_f32 v28, v27, v28
	s_delay_alu instid0(VALU_DEP_1) | instskip(NEXT) | instid1(VALU_DEP_2)
	v_sub_f32_e32 v32, v29, v25
	v_dual_sub_f32 v31, v25, v31 :: v_dual_sub_f32 v24, v24, v28
	s_delay_alu instid0(VALU_DEP_1) | instskip(SKIP_1) | instid1(VALU_DEP_2)
	v_dual_sub_f32 v33, v29, v32 :: v_dual_sub_f32 v30, v30, v31
	v_sub_f32_e32 v27, v27, v32
	v_dual_sub_f32 v25, v25, v33 :: v_dual_add_f32 v28, v30, v24
	s_delay_alu instid0(VALU_DEP_1) | instskip(NEXT) | instid1(VALU_DEP_2)
	v_add_f32_e32 v25, v27, v25
	v_sub_f32_e32 v27, v28, v30
	s_delay_alu instid0(VALU_DEP_2) | instskip(NEXT) | instid1(VALU_DEP_2)
	v_add_f32_e32 v25, v28, v25
	v_sub_f32_e32 v28, v28, v27
	s_delay_alu instid0(VALU_DEP_2) | instskip(NEXT) | instid1(VALU_DEP_1)
	v_dual_sub_f32 v24, v24, v27 :: v_dual_add_f32 v31, v29, v25
	v_dual_sub_f32 v28, v30, v28 :: v_dual_sub_f32 v27, v31, v29
	s_delay_alu instid0(VALU_DEP_1) | instskip(NEXT) | instid1(VALU_DEP_1)
	v_dual_add_f32 v24, v24, v28 :: v_dual_sub_f32 v25, v25, v27
	v_add_f32_e32 v24, v24, v25
	s_delay_alu instid0(VALU_DEP_1) | instskip(NEXT) | instid1(VALU_DEP_1)
	v_add_f32_e32 v24, v31, v24
	v_cndmask_b32_e32 v75, v24, v26, vcc_lo
.LBB57_22:                              ;   in Loop: Header=BB57_12 Depth=1
	s_or_b32 exec_lo, exec_lo, s16
	v_and_b32_e32 v24, 0xffff0000, v12
	s_delay_alu instid0(VALU_DEP_1) | instskip(NEXT) | instid1(VALU_DEP_1)
	v_add_f32_e32 v76, s57, v24
	v_cmp_ge_f32_e32 vcc_lo, 0x41a00000, v76
	s_and_b32 s14, s67, vcc_lo
	s_delay_alu instid0(SALU_CYCLE_1)
	s_and_saveexec_b32 s16, s14
	s_cbranch_execz .LBB57_24
; %bb.23:                               ;   in Loop: Header=BB57_12 Depth=1
	v_mul_f32_e32 v24, 0x3fb8aa3b, v76
	v_cmp_ngt_f32_e32 vcc_lo, 0xc2ce8ed0, v76
	s_delay_alu instid0(VALU_DEP_2) | instskip(SKIP_1) | instid1(VALU_DEP_2)
	v_rndne_f32_e32 v25, v24
	v_fma_f32 v26, 0x3fb8aa3b, v76, -v24
	v_sub_f32_e32 v24, v24, v25
	s_delay_alu instid0(VALU_DEP_2) | instskip(SKIP_1) | instid1(VALU_DEP_2)
	v_fmac_f32_e32 v26, 0x32a5705f, v76
	v_cvt_i32_f32_e32 v25, v25
	v_add_f32_e32 v24, v24, v26
	s_delay_alu instid0(VALU_DEP_1) | instskip(SKIP_2) | instid1(VALU_DEP_1)
	v_exp_f32_e32 v24, v24
	s_waitcnt_depctr 0xfff
	v_ldexp_f32 v24, v24, v25
	v_cndmask_b32_e32 v24, 0, v24, vcc_lo
	v_cmp_nlt_f32_e32 vcc_lo, 0x42b17218, v76
	s_delay_alu instid0(VALU_DEP_2) | instskip(NEXT) | instid1(VALU_DEP_1)
	v_cndmask_b32_e32 v26, 0x7f800000, v24, vcc_lo
	v_add_f32_e32 v27, 1.0, v26
	s_delay_alu instid0(VALU_DEP_1) | instskip(NEXT) | instid1(VALU_DEP_1)
	v_cvt_f64_f32_e32 v[24:25], v27
	v_frexp_exp_i32_f64_e32 v24, v[24:25]
	v_frexp_mant_f32_e32 v25, v27
	s_delay_alu instid0(VALU_DEP_1) | instskip(SKIP_1) | instid1(VALU_DEP_1)
	v_cmp_gt_f32_e32 vcc_lo, 0x3f2aaaab, v25
	v_add_f32_e32 v25, -1.0, v27
	v_sub_f32_e32 v29, v25, v27
	v_sub_f32_e32 v25, v26, v25
	s_delay_alu instid0(VALU_DEP_2) | instskip(NEXT) | instid1(VALU_DEP_1)
	v_add_f32_e32 v29, 1.0, v29
	v_add_f32_e32 v25, v25, v29
	v_cmp_gt_f32_e64 s14, 0x33800000, v26
	v_subrev_co_ci_u32_e32 v24, vcc_lo, 0, v24, vcc_lo
	v_cmp_eq_f32_e32 vcc_lo, 0x7f800000, v26
	s_delay_alu instid0(VALU_DEP_2) | instskip(SKIP_2) | instid1(VALU_DEP_2)
	v_sub_nc_u32_e32 v28, 0, v24
	v_cvt_f32_i32_e32 v24, v24
	s_or_b32 vcc_lo, s14, vcc_lo
	v_ldexp_f32 v27, v27, v28
	v_ldexp_f32 v25, v25, v28
	s_delay_alu instid0(VALU_DEP_2) | instskip(NEXT) | instid1(VALU_DEP_1)
	v_add_f32_e32 v30, 1.0, v27
	v_dual_add_f32 v28, -1.0, v27 :: v_dual_add_f32 v29, -1.0, v30
	s_delay_alu instid0(VALU_DEP_1) | instskip(NEXT) | instid1(VALU_DEP_2)
	v_add_f32_e32 v31, 1.0, v28
	v_sub_f32_e32 v29, v27, v29
	s_delay_alu instid0(VALU_DEP_2) | instskip(NEXT) | instid1(VALU_DEP_2)
	v_sub_f32_e32 v27, v27, v31
	v_add_f32_e32 v29, v25, v29
	s_delay_alu instid0(VALU_DEP_2) | instskip(NEXT) | instid1(VALU_DEP_1)
	v_add_f32_e32 v25, v25, v27
	v_add_f32_e32 v32, v28, v25
	s_delay_alu instid0(VALU_DEP_1) | instskip(NEXT) | instid1(VALU_DEP_1)
	v_dual_add_f32 v31, v30, v29 :: v_dual_sub_f32 v28, v28, v32
	v_rcp_f32_e32 v27, v31
	v_sub_f32_e32 v30, v30, v31
	s_delay_alu instid0(VALU_DEP_1) | instskip(SKIP_2) | instid1(VALU_DEP_1)
	v_add_f32_e32 v29, v29, v30
	s_waitcnt_depctr 0xfff
	v_mul_f32_e32 v33, v32, v27
	v_mul_f32_e32 v34, v31, v33
	s_delay_alu instid0(VALU_DEP_1) | instskip(NEXT) | instid1(VALU_DEP_1)
	v_fma_f32 v30, v33, v31, -v34
	v_fmac_f32_e32 v30, v33, v29
	s_delay_alu instid0(VALU_DEP_1) | instskip(NEXT) | instid1(VALU_DEP_1)
	v_add_f32_e32 v35, v34, v30
	v_sub_f32_e32 v36, v32, v35
	s_delay_alu instid0(VALU_DEP_1) | instskip(SKIP_1) | instid1(VALU_DEP_2)
	v_sub_f32_e32 v32, v32, v36
	v_dual_add_f32 v25, v25, v28 :: v_dual_sub_f32 v28, v35, v34
	v_sub_f32_e32 v32, v32, v35
	s_delay_alu instid0(VALU_DEP_1) | instskip(NEXT) | instid1(VALU_DEP_1)
	v_dual_sub_f32 v28, v28, v30 :: v_dual_add_f32 v25, v25, v32
	v_add_f32_e32 v25, v28, v25
	s_delay_alu instid0(VALU_DEP_1) | instskip(NEXT) | instid1(VALU_DEP_1)
	v_add_f32_e32 v28, v36, v25
	v_mul_f32_e32 v30, v27, v28
	s_delay_alu instid0(VALU_DEP_1) | instskip(NEXT) | instid1(VALU_DEP_1)
	v_dual_sub_f32 v35, v36, v28 :: v_dual_mul_f32 v32, v31, v30
	v_add_f32_e32 v25, v25, v35
	s_delay_alu instid0(VALU_DEP_2) | instskip(NEXT) | instid1(VALU_DEP_1)
	v_fma_f32 v31, v30, v31, -v32
	v_fmac_f32_e32 v31, v30, v29
	s_delay_alu instid0(VALU_DEP_1) | instskip(NEXT) | instid1(VALU_DEP_1)
	v_add_f32_e32 v29, v32, v31
	v_sub_f32_e32 v34, v28, v29
	s_delay_alu instid0(VALU_DEP_1) | instskip(NEXT) | instid1(VALU_DEP_1)
	v_sub_f32_e32 v28, v28, v34
	v_sub_f32_e32 v28, v28, v29
	s_delay_alu instid0(VALU_DEP_1) | instskip(SKIP_2) | instid1(VALU_DEP_1)
	v_add_f32_e32 v25, v25, v28
	v_add_f32_e32 v28, v33, v30
	v_sub_f32_e32 v32, v29, v32
	v_sub_f32_e32 v29, v32, v31
	s_delay_alu instid0(VALU_DEP_1) | instskip(NEXT) | instid1(VALU_DEP_4)
	v_add_f32_e32 v25, v29, v25
	v_sub_f32_e32 v29, v28, v33
	s_delay_alu instid0(VALU_DEP_2) | instskip(NEXT) | instid1(VALU_DEP_2)
	v_add_f32_e32 v25, v34, v25
	v_sub_f32_e32 v29, v30, v29
	s_delay_alu instid0(VALU_DEP_2) | instskip(NEXT) | instid1(VALU_DEP_1)
	v_mul_f32_e32 v25, v27, v25
	v_add_f32_e32 v25, v29, v25
	s_delay_alu instid0(VALU_DEP_1) | instskip(NEXT) | instid1(VALU_DEP_1)
	v_add_f32_e32 v27, v28, v25
	v_mul_f32_e32 v29, v27, v27
	s_delay_alu instid0(VALU_DEP_1) | instskip(SKIP_1) | instid1(VALU_DEP_2)
	v_fmaak_f32 v30, s54, v29, 0x3ecc95a3
	v_mul_f32_e32 v31, v27, v29
	v_fmaak_f32 v29, v29, v30, 0x3f2aaada
	v_ldexp_f32 v30, v27, 1
	s_delay_alu instid0(VALU_DEP_2) | instskip(SKIP_1) | instid1(VALU_DEP_2)
	v_mul_f32_e32 v29, v31, v29
	v_sub_f32_e32 v27, v27, v28
	v_dual_mul_f32 v31, 0x3f317218, v24 :: v_dual_add_f32 v28, v30, v29
	s_delay_alu instid0(VALU_DEP_2) | instskip(NEXT) | instid1(VALU_DEP_2)
	v_sub_f32_e32 v25, v25, v27
	v_sub_f32_e32 v27, v28, v30
	s_delay_alu instid0(VALU_DEP_3) | instskip(NEXT) | instid1(VALU_DEP_3)
	v_fma_f32 v30, 0x3f317218, v24, -v31
	v_ldexp_f32 v25, v25, 1
	s_delay_alu instid0(VALU_DEP_2) | instskip(NEXT) | instid1(VALU_DEP_1)
	v_dual_sub_f32 v27, v29, v27 :: v_dual_fmac_f32 v30, 0xb102e308, v24
	v_dual_add_f32 v24, v25, v27 :: v_dual_add_f32 v25, v31, v30
	s_delay_alu instid0(VALU_DEP_1) | instskip(NEXT) | instid1(VALU_DEP_1)
	v_add_f32_e32 v27, v28, v24
	v_dual_add_f32 v29, v25, v27 :: v_dual_sub_f32 v28, v27, v28
	s_delay_alu instid0(VALU_DEP_1) | instskip(NEXT) | instid1(VALU_DEP_2)
	v_sub_f32_e32 v32, v29, v25
	v_dual_sub_f32 v31, v25, v31 :: v_dual_sub_f32 v24, v24, v28
	s_delay_alu instid0(VALU_DEP_1) | instskip(SKIP_1) | instid1(VALU_DEP_2)
	v_dual_sub_f32 v33, v29, v32 :: v_dual_sub_f32 v30, v30, v31
	v_sub_f32_e32 v27, v27, v32
	v_dual_sub_f32 v25, v25, v33 :: v_dual_add_f32 v28, v30, v24
	s_delay_alu instid0(VALU_DEP_1) | instskip(NEXT) | instid1(VALU_DEP_2)
	v_add_f32_e32 v25, v27, v25
	v_sub_f32_e32 v27, v28, v30
	s_delay_alu instid0(VALU_DEP_2) | instskip(NEXT) | instid1(VALU_DEP_2)
	v_add_f32_e32 v25, v28, v25
	v_sub_f32_e32 v28, v28, v27
	s_delay_alu instid0(VALU_DEP_2) | instskip(NEXT) | instid1(VALU_DEP_1)
	v_dual_sub_f32 v24, v24, v27 :: v_dual_add_f32 v31, v29, v25
	v_dual_sub_f32 v28, v30, v28 :: v_dual_sub_f32 v27, v31, v29
	s_delay_alu instid0(VALU_DEP_1) | instskip(NEXT) | instid1(VALU_DEP_1)
	v_dual_add_f32 v24, v24, v28 :: v_dual_sub_f32 v25, v25, v27
	v_add_f32_e32 v24, v24, v25
	s_delay_alu instid0(VALU_DEP_1) | instskip(NEXT) | instid1(VALU_DEP_1)
	v_add_f32_e32 v24, v31, v24
	v_cndmask_b32_e32 v76, v24, v26, vcc_lo
.LBB57_24:                              ;   in Loop: Header=BB57_12 Depth=1
	s_or_b32 exec_lo, exec_lo, s16
	v_lshlrev_b32_e32 v24, 16, v13
	s_delay_alu instid0(VALU_DEP_1) | instskip(NEXT) | instid1(VALU_DEP_1)
	v_add_f32_e32 v77, s57, v24
	v_cmp_ge_f32_e32 vcc_lo, 0x41a00000, v77
	s_and_b32 s14, s67, vcc_lo
	s_delay_alu instid0(SALU_CYCLE_1)
	s_and_saveexec_b32 s16, s14
	s_cbranch_execz .LBB57_26
; %bb.25:                               ;   in Loop: Header=BB57_12 Depth=1
	v_mul_f32_e32 v24, 0x3fb8aa3b, v77
	v_cmp_ngt_f32_e32 vcc_lo, 0xc2ce8ed0, v77
	s_delay_alu instid0(VALU_DEP_2) | instskip(SKIP_1) | instid1(VALU_DEP_2)
	v_rndne_f32_e32 v25, v24
	v_fma_f32 v26, 0x3fb8aa3b, v77, -v24
	v_sub_f32_e32 v24, v24, v25
	s_delay_alu instid0(VALU_DEP_2) | instskip(SKIP_1) | instid1(VALU_DEP_2)
	v_fmac_f32_e32 v26, 0x32a5705f, v77
	v_cvt_i32_f32_e32 v25, v25
	v_add_f32_e32 v24, v24, v26
	s_delay_alu instid0(VALU_DEP_1) | instskip(SKIP_2) | instid1(VALU_DEP_1)
	v_exp_f32_e32 v24, v24
	s_waitcnt_depctr 0xfff
	v_ldexp_f32 v24, v24, v25
	v_cndmask_b32_e32 v24, 0, v24, vcc_lo
	v_cmp_nlt_f32_e32 vcc_lo, 0x42b17218, v77
	s_delay_alu instid0(VALU_DEP_2) | instskip(NEXT) | instid1(VALU_DEP_1)
	v_cndmask_b32_e32 v26, 0x7f800000, v24, vcc_lo
	v_add_f32_e32 v27, 1.0, v26
	s_delay_alu instid0(VALU_DEP_1) | instskip(NEXT) | instid1(VALU_DEP_1)
	v_cvt_f64_f32_e32 v[24:25], v27
	v_frexp_exp_i32_f64_e32 v24, v[24:25]
	v_frexp_mant_f32_e32 v25, v27
	s_delay_alu instid0(VALU_DEP_1) | instskip(SKIP_1) | instid1(VALU_DEP_1)
	v_cmp_gt_f32_e32 vcc_lo, 0x3f2aaaab, v25
	v_add_f32_e32 v25, -1.0, v27
	v_sub_f32_e32 v29, v25, v27
	v_sub_f32_e32 v25, v26, v25
	s_delay_alu instid0(VALU_DEP_2) | instskip(NEXT) | instid1(VALU_DEP_1)
	v_add_f32_e32 v29, 1.0, v29
	v_add_f32_e32 v25, v25, v29
	v_cmp_gt_f32_e64 s14, 0x33800000, v26
	v_subrev_co_ci_u32_e32 v24, vcc_lo, 0, v24, vcc_lo
	v_cmp_eq_f32_e32 vcc_lo, 0x7f800000, v26
	s_delay_alu instid0(VALU_DEP_2) | instskip(SKIP_2) | instid1(VALU_DEP_2)
	v_sub_nc_u32_e32 v28, 0, v24
	v_cvt_f32_i32_e32 v24, v24
	s_or_b32 vcc_lo, s14, vcc_lo
	v_ldexp_f32 v27, v27, v28
	v_ldexp_f32 v25, v25, v28
	s_delay_alu instid0(VALU_DEP_2) | instskip(NEXT) | instid1(VALU_DEP_1)
	v_add_f32_e32 v30, 1.0, v27
	v_dual_add_f32 v28, -1.0, v27 :: v_dual_add_f32 v29, -1.0, v30
	s_delay_alu instid0(VALU_DEP_1) | instskip(NEXT) | instid1(VALU_DEP_2)
	v_add_f32_e32 v31, 1.0, v28
	v_sub_f32_e32 v29, v27, v29
	s_delay_alu instid0(VALU_DEP_2) | instskip(NEXT) | instid1(VALU_DEP_2)
	v_sub_f32_e32 v27, v27, v31
	v_add_f32_e32 v29, v25, v29
	s_delay_alu instid0(VALU_DEP_2) | instskip(NEXT) | instid1(VALU_DEP_1)
	v_add_f32_e32 v25, v25, v27
	v_add_f32_e32 v32, v28, v25
	s_delay_alu instid0(VALU_DEP_1) | instskip(NEXT) | instid1(VALU_DEP_1)
	v_dual_add_f32 v31, v30, v29 :: v_dual_sub_f32 v28, v28, v32
	v_rcp_f32_e32 v27, v31
	v_sub_f32_e32 v30, v30, v31
	s_delay_alu instid0(VALU_DEP_1) | instskip(SKIP_2) | instid1(VALU_DEP_1)
	v_add_f32_e32 v29, v29, v30
	s_waitcnt_depctr 0xfff
	v_mul_f32_e32 v33, v32, v27
	v_mul_f32_e32 v34, v31, v33
	s_delay_alu instid0(VALU_DEP_1) | instskip(NEXT) | instid1(VALU_DEP_1)
	v_fma_f32 v30, v33, v31, -v34
	v_fmac_f32_e32 v30, v33, v29
	s_delay_alu instid0(VALU_DEP_1) | instskip(NEXT) | instid1(VALU_DEP_1)
	v_add_f32_e32 v35, v34, v30
	v_sub_f32_e32 v36, v32, v35
	s_delay_alu instid0(VALU_DEP_1) | instskip(SKIP_1) | instid1(VALU_DEP_2)
	v_sub_f32_e32 v32, v32, v36
	v_dual_add_f32 v25, v25, v28 :: v_dual_sub_f32 v28, v35, v34
	v_sub_f32_e32 v32, v32, v35
	s_delay_alu instid0(VALU_DEP_1) | instskip(NEXT) | instid1(VALU_DEP_1)
	v_dual_sub_f32 v28, v28, v30 :: v_dual_add_f32 v25, v25, v32
	v_add_f32_e32 v25, v28, v25
	s_delay_alu instid0(VALU_DEP_1) | instskip(NEXT) | instid1(VALU_DEP_1)
	v_add_f32_e32 v28, v36, v25
	v_mul_f32_e32 v30, v27, v28
	s_delay_alu instid0(VALU_DEP_1) | instskip(NEXT) | instid1(VALU_DEP_1)
	v_dual_sub_f32 v35, v36, v28 :: v_dual_mul_f32 v32, v31, v30
	v_add_f32_e32 v25, v25, v35
	s_delay_alu instid0(VALU_DEP_2) | instskip(NEXT) | instid1(VALU_DEP_1)
	v_fma_f32 v31, v30, v31, -v32
	v_fmac_f32_e32 v31, v30, v29
	s_delay_alu instid0(VALU_DEP_1) | instskip(NEXT) | instid1(VALU_DEP_1)
	v_add_f32_e32 v29, v32, v31
	v_sub_f32_e32 v34, v28, v29
	s_delay_alu instid0(VALU_DEP_1) | instskip(NEXT) | instid1(VALU_DEP_1)
	v_sub_f32_e32 v28, v28, v34
	v_sub_f32_e32 v28, v28, v29
	s_delay_alu instid0(VALU_DEP_1) | instskip(SKIP_2) | instid1(VALU_DEP_1)
	v_add_f32_e32 v25, v25, v28
	v_add_f32_e32 v28, v33, v30
	v_sub_f32_e32 v32, v29, v32
	v_sub_f32_e32 v29, v32, v31
	s_delay_alu instid0(VALU_DEP_1) | instskip(NEXT) | instid1(VALU_DEP_4)
	v_add_f32_e32 v25, v29, v25
	v_sub_f32_e32 v29, v28, v33
	s_delay_alu instid0(VALU_DEP_2) | instskip(NEXT) | instid1(VALU_DEP_2)
	v_add_f32_e32 v25, v34, v25
	v_sub_f32_e32 v29, v30, v29
	s_delay_alu instid0(VALU_DEP_2) | instskip(NEXT) | instid1(VALU_DEP_1)
	v_mul_f32_e32 v25, v27, v25
	v_add_f32_e32 v25, v29, v25
	s_delay_alu instid0(VALU_DEP_1) | instskip(NEXT) | instid1(VALU_DEP_1)
	v_add_f32_e32 v27, v28, v25
	v_mul_f32_e32 v29, v27, v27
	s_delay_alu instid0(VALU_DEP_1) | instskip(SKIP_1) | instid1(VALU_DEP_2)
	v_fmaak_f32 v30, s54, v29, 0x3ecc95a3
	v_mul_f32_e32 v31, v27, v29
	v_fmaak_f32 v29, v29, v30, 0x3f2aaada
	v_ldexp_f32 v30, v27, 1
	s_delay_alu instid0(VALU_DEP_2) | instskip(SKIP_1) | instid1(VALU_DEP_2)
	v_mul_f32_e32 v29, v31, v29
	v_sub_f32_e32 v27, v27, v28
	v_dual_mul_f32 v31, 0x3f317218, v24 :: v_dual_add_f32 v28, v30, v29
	s_delay_alu instid0(VALU_DEP_2) | instskip(NEXT) | instid1(VALU_DEP_2)
	v_sub_f32_e32 v25, v25, v27
	v_sub_f32_e32 v27, v28, v30
	s_delay_alu instid0(VALU_DEP_3) | instskip(NEXT) | instid1(VALU_DEP_3)
	v_fma_f32 v30, 0x3f317218, v24, -v31
	v_ldexp_f32 v25, v25, 1
	s_delay_alu instid0(VALU_DEP_2) | instskip(NEXT) | instid1(VALU_DEP_1)
	v_dual_sub_f32 v27, v29, v27 :: v_dual_fmac_f32 v30, 0xb102e308, v24
	v_dual_add_f32 v24, v25, v27 :: v_dual_add_f32 v25, v31, v30
	s_delay_alu instid0(VALU_DEP_1) | instskip(NEXT) | instid1(VALU_DEP_1)
	v_add_f32_e32 v27, v28, v24
	v_dual_add_f32 v29, v25, v27 :: v_dual_sub_f32 v28, v27, v28
	s_delay_alu instid0(VALU_DEP_1) | instskip(NEXT) | instid1(VALU_DEP_2)
	v_sub_f32_e32 v32, v29, v25
	v_dual_sub_f32 v31, v25, v31 :: v_dual_sub_f32 v24, v24, v28
	s_delay_alu instid0(VALU_DEP_1) | instskip(SKIP_1) | instid1(VALU_DEP_2)
	v_dual_sub_f32 v33, v29, v32 :: v_dual_sub_f32 v30, v30, v31
	v_sub_f32_e32 v27, v27, v32
	v_dual_sub_f32 v25, v25, v33 :: v_dual_add_f32 v28, v30, v24
	s_delay_alu instid0(VALU_DEP_1) | instskip(NEXT) | instid1(VALU_DEP_2)
	v_add_f32_e32 v25, v27, v25
	v_sub_f32_e32 v27, v28, v30
	s_delay_alu instid0(VALU_DEP_2) | instskip(NEXT) | instid1(VALU_DEP_2)
	v_add_f32_e32 v25, v28, v25
	v_sub_f32_e32 v28, v28, v27
	s_delay_alu instid0(VALU_DEP_2) | instskip(NEXT) | instid1(VALU_DEP_1)
	v_dual_sub_f32 v24, v24, v27 :: v_dual_add_f32 v31, v29, v25
	v_dual_sub_f32 v28, v30, v28 :: v_dual_sub_f32 v27, v31, v29
	s_delay_alu instid0(VALU_DEP_1) | instskip(NEXT) | instid1(VALU_DEP_1)
	v_dual_add_f32 v24, v24, v28 :: v_dual_sub_f32 v25, v25, v27
	v_add_f32_e32 v24, v24, v25
	s_delay_alu instid0(VALU_DEP_1) | instskip(NEXT) | instid1(VALU_DEP_1)
	v_add_f32_e32 v24, v31, v24
	v_cndmask_b32_e32 v77, v24, v26, vcc_lo
.LBB57_26:                              ;   in Loop: Header=BB57_12 Depth=1
	s_or_b32 exec_lo, exec_lo, s16
	v_and_b32_e32 v24, 0xffff0000, v13
	s_delay_alu instid0(VALU_DEP_1) | instskip(NEXT) | instid1(VALU_DEP_1)
	v_add_f32_e32 v78, s57, v24
	v_cmp_ge_f32_e32 vcc_lo, 0x41a00000, v78
	s_and_b32 s14, s67, vcc_lo
	s_delay_alu instid0(SALU_CYCLE_1)
	s_and_saveexec_b32 s16, s14
	s_cbranch_execz .LBB57_28
; %bb.27:                               ;   in Loop: Header=BB57_12 Depth=1
	v_mul_f32_e32 v24, 0x3fb8aa3b, v78
	v_cmp_ngt_f32_e32 vcc_lo, 0xc2ce8ed0, v78
	s_delay_alu instid0(VALU_DEP_2) | instskip(SKIP_1) | instid1(VALU_DEP_2)
	v_rndne_f32_e32 v25, v24
	v_fma_f32 v26, 0x3fb8aa3b, v78, -v24
	v_sub_f32_e32 v24, v24, v25
	s_delay_alu instid0(VALU_DEP_2) | instskip(SKIP_1) | instid1(VALU_DEP_2)
	v_fmac_f32_e32 v26, 0x32a5705f, v78
	v_cvt_i32_f32_e32 v25, v25
	v_add_f32_e32 v24, v24, v26
	s_delay_alu instid0(VALU_DEP_1) | instskip(SKIP_2) | instid1(VALU_DEP_1)
	v_exp_f32_e32 v24, v24
	s_waitcnt_depctr 0xfff
	v_ldexp_f32 v24, v24, v25
	v_cndmask_b32_e32 v24, 0, v24, vcc_lo
	v_cmp_nlt_f32_e32 vcc_lo, 0x42b17218, v78
	s_delay_alu instid0(VALU_DEP_2) | instskip(NEXT) | instid1(VALU_DEP_1)
	v_cndmask_b32_e32 v26, 0x7f800000, v24, vcc_lo
	v_add_f32_e32 v27, 1.0, v26
	s_delay_alu instid0(VALU_DEP_1) | instskip(NEXT) | instid1(VALU_DEP_1)
	v_cvt_f64_f32_e32 v[24:25], v27
	v_frexp_exp_i32_f64_e32 v24, v[24:25]
	v_frexp_mant_f32_e32 v25, v27
	s_delay_alu instid0(VALU_DEP_1) | instskip(SKIP_1) | instid1(VALU_DEP_1)
	v_cmp_gt_f32_e32 vcc_lo, 0x3f2aaaab, v25
	v_add_f32_e32 v25, -1.0, v27
	v_sub_f32_e32 v29, v25, v27
	v_sub_f32_e32 v25, v26, v25
	s_delay_alu instid0(VALU_DEP_2) | instskip(NEXT) | instid1(VALU_DEP_1)
	v_add_f32_e32 v29, 1.0, v29
	v_add_f32_e32 v25, v25, v29
	v_cmp_gt_f32_e64 s14, 0x33800000, v26
	v_subrev_co_ci_u32_e32 v24, vcc_lo, 0, v24, vcc_lo
	v_cmp_eq_f32_e32 vcc_lo, 0x7f800000, v26
	s_delay_alu instid0(VALU_DEP_2) | instskip(SKIP_2) | instid1(VALU_DEP_2)
	v_sub_nc_u32_e32 v28, 0, v24
	v_cvt_f32_i32_e32 v24, v24
	s_or_b32 vcc_lo, s14, vcc_lo
	v_ldexp_f32 v27, v27, v28
	v_ldexp_f32 v25, v25, v28
	s_delay_alu instid0(VALU_DEP_2) | instskip(NEXT) | instid1(VALU_DEP_1)
	v_add_f32_e32 v30, 1.0, v27
	v_dual_add_f32 v28, -1.0, v27 :: v_dual_add_f32 v29, -1.0, v30
	s_delay_alu instid0(VALU_DEP_1) | instskip(NEXT) | instid1(VALU_DEP_2)
	v_add_f32_e32 v31, 1.0, v28
	v_sub_f32_e32 v29, v27, v29
	s_delay_alu instid0(VALU_DEP_2) | instskip(NEXT) | instid1(VALU_DEP_2)
	v_sub_f32_e32 v27, v27, v31
	v_add_f32_e32 v29, v25, v29
	s_delay_alu instid0(VALU_DEP_2) | instskip(NEXT) | instid1(VALU_DEP_1)
	v_add_f32_e32 v25, v25, v27
	v_add_f32_e32 v32, v28, v25
	s_delay_alu instid0(VALU_DEP_1) | instskip(NEXT) | instid1(VALU_DEP_1)
	v_dual_add_f32 v31, v30, v29 :: v_dual_sub_f32 v28, v28, v32
	v_rcp_f32_e32 v27, v31
	v_sub_f32_e32 v30, v30, v31
	s_delay_alu instid0(VALU_DEP_1) | instskip(SKIP_2) | instid1(VALU_DEP_1)
	v_add_f32_e32 v29, v29, v30
	s_waitcnt_depctr 0xfff
	v_mul_f32_e32 v33, v32, v27
	v_mul_f32_e32 v34, v31, v33
	s_delay_alu instid0(VALU_DEP_1) | instskip(NEXT) | instid1(VALU_DEP_1)
	v_fma_f32 v30, v33, v31, -v34
	v_fmac_f32_e32 v30, v33, v29
	s_delay_alu instid0(VALU_DEP_1) | instskip(NEXT) | instid1(VALU_DEP_1)
	v_add_f32_e32 v35, v34, v30
	v_sub_f32_e32 v36, v32, v35
	s_delay_alu instid0(VALU_DEP_1) | instskip(SKIP_1) | instid1(VALU_DEP_2)
	v_sub_f32_e32 v32, v32, v36
	v_dual_add_f32 v25, v25, v28 :: v_dual_sub_f32 v28, v35, v34
	v_sub_f32_e32 v32, v32, v35
	s_delay_alu instid0(VALU_DEP_1) | instskip(NEXT) | instid1(VALU_DEP_1)
	v_dual_sub_f32 v28, v28, v30 :: v_dual_add_f32 v25, v25, v32
	v_add_f32_e32 v25, v28, v25
	s_delay_alu instid0(VALU_DEP_1) | instskip(NEXT) | instid1(VALU_DEP_1)
	v_add_f32_e32 v28, v36, v25
	v_mul_f32_e32 v30, v27, v28
	s_delay_alu instid0(VALU_DEP_1) | instskip(NEXT) | instid1(VALU_DEP_1)
	v_dual_sub_f32 v35, v36, v28 :: v_dual_mul_f32 v32, v31, v30
	v_add_f32_e32 v25, v25, v35
	s_delay_alu instid0(VALU_DEP_2) | instskip(NEXT) | instid1(VALU_DEP_1)
	v_fma_f32 v31, v30, v31, -v32
	v_fmac_f32_e32 v31, v30, v29
	s_delay_alu instid0(VALU_DEP_1) | instskip(NEXT) | instid1(VALU_DEP_1)
	v_add_f32_e32 v29, v32, v31
	v_sub_f32_e32 v34, v28, v29
	s_delay_alu instid0(VALU_DEP_1) | instskip(NEXT) | instid1(VALU_DEP_1)
	v_sub_f32_e32 v28, v28, v34
	v_sub_f32_e32 v28, v28, v29
	s_delay_alu instid0(VALU_DEP_1) | instskip(SKIP_2) | instid1(VALU_DEP_1)
	v_add_f32_e32 v25, v25, v28
	v_add_f32_e32 v28, v33, v30
	v_sub_f32_e32 v32, v29, v32
	v_sub_f32_e32 v29, v32, v31
	s_delay_alu instid0(VALU_DEP_1) | instskip(NEXT) | instid1(VALU_DEP_4)
	v_add_f32_e32 v25, v29, v25
	v_sub_f32_e32 v29, v28, v33
	s_delay_alu instid0(VALU_DEP_2) | instskip(NEXT) | instid1(VALU_DEP_2)
	v_add_f32_e32 v25, v34, v25
	v_sub_f32_e32 v29, v30, v29
	s_delay_alu instid0(VALU_DEP_2) | instskip(NEXT) | instid1(VALU_DEP_1)
	v_mul_f32_e32 v25, v27, v25
	v_add_f32_e32 v25, v29, v25
	s_delay_alu instid0(VALU_DEP_1) | instskip(NEXT) | instid1(VALU_DEP_1)
	v_add_f32_e32 v27, v28, v25
	v_mul_f32_e32 v29, v27, v27
	s_delay_alu instid0(VALU_DEP_1) | instskip(SKIP_1) | instid1(VALU_DEP_2)
	v_fmaak_f32 v30, s54, v29, 0x3ecc95a3
	v_mul_f32_e32 v31, v27, v29
	v_fmaak_f32 v29, v29, v30, 0x3f2aaada
	v_ldexp_f32 v30, v27, 1
	s_delay_alu instid0(VALU_DEP_2) | instskip(SKIP_1) | instid1(VALU_DEP_2)
	v_mul_f32_e32 v29, v31, v29
	v_sub_f32_e32 v27, v27, v28
	v_dual_mul_f32 v31, 0x3f317218, v24 :: v_dual_add_f32 v28, v30, v29
	s_delay_alu instid0(VALU_DEP_2) | instskip(NEXT) | instid1(VALU_DEP_2)
	v_sub_f32_e32 v25, v25, v27
	v_sub_f32_e32 v27, v28, v30
	s_delay_alu instid0(VALU_DEP_3) | instskip(NEXT) | instid1(VALU_DEP_3)
	v_fma_f32 v30, 0x3f317218, v24, -v31
	v_ldexp_f32 v25, v25, 1
	s_delay_alu instid0(VALU_DEP_2) | instskip(NEXT) | instid1(VALU_DEP_1)
	v_dual_sub_f32 v27, v29, v27 :: v_dual_fmac_f32 v30, 0xb102e308, v24
	v_dual_add_f32 v24, v25, v27 :: v_dual_add_f32 v25, v31, v30
	s_delay_alu instid0(VALU_DEP_1) | instskip(NEXT) | instid1(VALU_DEP_1)
	v_add_f32_e32 v27, v28, v24
	v_dual_add_f32 v29, v25, v27 :: v_dual_sub_f32 v28, v27, v28
	s_delay_alu instid0(VALU_DEP_1) | instskip(NEXT) | instid1(VALU_DEP_2)
	v_sub_f32_e32 v32, v29, v25
	v_dual_sub_f32 v31, v25, v31 :: v_dual_sub_f32 v24, v24, v28
	s_delay_alu instid0(VALU_DEP_1) | instskip(SKIP_1) | instid1(VALU_DEP_2)
	v_dual_sub_f32 v33, v29, v32 :: v_dual_sub_f32 v30, v30, v31
	v_sub_f32_e32 v27, v27, v32
	v_dual_sub_f32 v25, v25, v33 :: v_dual_add_f32 v28, v30, v24
	s_delay_alu instid0(VALU_DEP_1) | instskip(NEXT) | instid1(VALU_DEP_2)
	v_add_f32_e32 v25, v27, v25
	v_sub_f32_e32 v27, v28, v30
	s_delay_alu instid0(VALU_DEP_2) | instskip(NEXT) | instid1(VALU_DEP_2)
	v_add_f32_e32 v25, v28, v25
	v_sub_f32_e32 v28, v28, v27
	s_delay_alu instid0(VALU_DEP_2) | instskip(NEXT) | instid1(VALU_DEP_1)
	v_dual_sub_f32 v24, v24, v27 :: v_dual_add_f32 v31, v29, v25
	v_dual_sub_f32 v28, v30, v28 :: v_dual_sub_f32 v27, v31, v29
	s_delay_alu instid0(VALU_DEP_1) | instskip(NEXT) | instid1(VALU_DEP_1)
	v_dual_add_f32 v24, v24, v28 :: v_dual_sub_f32 v25, v25, v27
	v_add_f32_e32 v24, v24, v25
	s_delay_alu instid0(VALU_DEP_1) | instskip(NEXT) | instid1(VALU_DEP_1)
	v_add_f32_e32 v24, v31, v24
	v_cndmask_b32_e32 v78, v24, v26, vcc_lo
.LBB57_28:                              ;   in Loop: Header=BB57_12 Depth=1
	s_or_b32 exec_lo, exec_lo, s16
	v_lshlrev_b32_e32 v24, 16, v14
	s_delay_alu instid0(VALU_DEP_1) | instskip(NEXT) | instid1(VALU_DEP_1)
	v_add_f32_e32 v79, s57, v24
	v_cmp_ge_f32_e32 vcc_lo, 0x41a00000, v79
	s_and_b32 s14, s67, vcc_lo
	s_delay_alu instid0(SALU_CYCLE_1)
	s_and_saveexec_b32 s16, s14
	s_cbranch_execz .LBB57_30
; %bb.29:                               ;   in Loop: Header=BB57_12 Depth=1
	v_mul_f32_e32 v24, 0x3fb8aa3b, v79
	v_cmp_ngt_f32_e32 vcc_lo, 0xc2ce8ed0, v79
	s_delay_alu instid0(VALU_DEP_2) | instskip(SKIP_1) | instid1(VALU_DEP_2)
	v_rndne_f32_e32 v25, v24
	v_fma_f32 v26, 0x3fb8aa3b, v79, -v24
	v_sub_f32_e32 v24, v24, v25
	s_delay_alu instid0(VALU_DEP_2) | instskip(SKIP_1) | instid1(VALU_DEP_2)
	v_fmac_f32_e32 v26, 0x32a5705f, v79
	v_cvt_i32_f32_e32 v25, v25
	v_add_f32_e32 v24, v24, v26
	s_delay_alu instid0(VALU_DEP_1) | instskip(SKIP_2) | instid1(VALU_DEP_1)
	v_exp_f32_e32 v24, v24
	s_waitcnt_depctr 0xfff
	v_ldexp_f32 v24, v24, v25
	v_cndmask_b32_e32 v24, 0, v24, vcc_lo
	v_cmp_nlt_f32_e32 vcc_lo, 0x42b17218, v79
	s_delay_alu instid0(VALU_DEP_2) | instskip(NEXT) | instid1(VALU_DEP_1)
	v_cndmask_b32_e32 v26, 0x7f800000, v24, vcc_lo
	v_add_f32_e32 v27, 1.0, v26
	s_delay_alu instid0(VALU_DEP_1) | instskip(NEXT) | instid1(VALU_DEP_1)
	v_cvt_f64_f32_e32 v[24:25], v27
	v_frexp_exp_i32_f64_e32 v24, v[24:25]
	v_frexp_mant_f32_e32 v25, v27
	s_delay_alu instid0(VALU_DEP_1) | instskip(SKIP_1) | instid1(VALU_DEP_1)
	v_cmp_gt_f32_e32 vcc_lo, 0x3f2aaaab, v25
	v_add_f32_e32 v25, -1.0, v27
	v_sub_f32_e32 v29, v25, v27
	v_sub_f32_e32 v25, v26, v25
	s_delay_alu instid0(VALU_DEP_2) | instskip(NEXT) | instid1(VALU_DEP_1)
	v_add_f32_e32 v29, 1.0, v29
	v_add_f32_e32 v25, v25, v29
	v_cmp_gt_f32_e64 s14, 0x33800000, v26
	v_subrev_co_ci_u32_e32 v24, vcc_lo, 0, v24, vcc_lo
	v_cmp_eq_f32_e32 vcc_lo, 0x7f800000, v26
	s_delay_alu instid0(VALU_DEP_2) | instskip(SKIP_2) | instid1(VALU_DEP_2)
	v_sub_nc_u32_e32 v28, 0, v24
	v_cvt_f32_i32_e32 v24, v24
	s_or_b32 vcc_lo, s14, vcc_lo
	v_ldexp_f32 v27, v27, v28
	v_ldexp_f32 v25, v25, v28
	s_delay_alu instid0(VALU_DEP_2) | instskip(NEXT) | instid1(VALU_DEP_1)
	v_add_f32_e32 v30, 1.0, v27
	v_dual_add_f32 v28, -1.0, v27 :: v_dual_add_f32 v29, -1.0, v30
	s_delay_alu instid0(VALU_DEP_1) | instskip(NEXT) | instid1(VALU_DEP_2)
	v_add_f32_e32 v31, 1.0, v28
	v_sub_f32_e32 v29, v27, v29
	s_delay_alu instid0(VALU_DEP_2) | instskip(NEXT) | instid1(VALU_DEP_2)
	v_sub_f32_e32 v27, v27, v31
	v_add_f32_e32 v29, v25, v29
	s_delay_alu instid0(VALU_DEP_2) | instskip(NEXT) | instid1(VALU_DEP_1)
	v_add_f32_e32 v25, v25, v27
	v_add_f32_e32 v32, v28, v25
	s_delay_alu instid0(VALU_DEP_1) | instskip(NEXT) | instid1(VALU_DEP_1)
	v_dual_add_f32 v31, v30, v29 :: v_dual_sub_f32 v28, v28, v32
	v_rcp_f32_e32 v27, v31
	v_sub_f32_e32 v30, v30, v31
	s_delay_alu instid0(VALU_DEP_1) | instskip(SKIP_2) | instid1(VALU_DEP_1)
	v_add_f32_e32 v29, v29, v30
	s_waitcnt_depctr 0xfff
	v_mul_f32_e32 v33, v32, v27
	v_mul_f32_e32 v34, v31, v33
	s_delay_alu instid0(VALU_DEP_1) | instskip(NEXT) | instid1(VALU_DEP_1)
	v_fma_f32 v30, v33, v31, -v34
	v_fmac_f32_e32 v30, v33, v29
	s_delay_alu instid0(VALU_DEP_1) | instskip(NEXT) | instid1(VALU_DEP_1)
	v_add_f32_e32 v35, v34, v30
	v_sub_f32_e32 v36, v32, v35
	s_delay_alu instid0(VALU_DEP_1) | instskip(SKIP_1) | instid1(VALU_DEP_2)
	v_sub_f32_e32 v32, v32, v36
	v_dual_add_f32 v25, v25, v28 :: v_dual_sub_f32 v28, v35, v34
	v_sub_f32_e32 v32, v32, v35
	s_delay_alu instid0(VALU_DEP_1) | instskip(NEXT) | instid1(VALU_DEP_1)
	v_dual_sub_f32 v28, v28, v30 :: v_dual_add_f32 v25, v25, v32
	v_add_f32_e32 v25, v28, v25
	s_delay_alu instid0(VALU_DEP_1) | instskip(NEXT) | instid1(VALU_DEP_1)
	v_add_f32_e32 v28, v36, v25
	v_mul_f32_e32 v30, v27, v28
	s_delay_alu instid0(VALU_DEP_1) | instskip(NEXT) | instid1(VALU_DEP_1)
	v_dual_sub_f32 v35, v36, v28 :: v_dual_mul_f32 v32, v31, v30
	v_add_f32_e32 v25, v25, v35
	s_delay_alu instid0(VALU_DEP_2) | instskip(NEXT) | instid1(VALU_DEP_1)
	v_fma_f32 v31, v30, v31, -v32
	v_fmac_f32_e32 v31, v30, v29
	s_delay_alu instid0(VALU_DEP_1) | instskip(NEXT) | instid1(VALU_DEP_1)
	v_add_f32_e32 v29, v32, v31
	v_sub_f32_e32 v34, v28, v29
	s_delay_alu instid0(VALU_DEP_1) | instskip(NEXT) | instid1(VALU_DEP_1)
	v_sub_f32_e32 v28, v28, v34
	v_sub_f32_e32 v28, v28, v29
	s_delay_alu instid0(VALU_DEP_1) | instskip(SKIP_2) | instid1(VALU_DEP_1)
	v_add_f32_e32 v25, v25, v28
	v_add_f32_e32 v28, v33, v30
	v_sub_f32_e32 v32, v29, v32
	v_sub_f32_e32 v29, v32, v31
	s_delay_alu instid0(VALU_DEP_1) | instskip(NEXT) | instid1(VALU_DEP_4)
	v_add_f32_e32 v25, v29, v25
	v_sub_f32_e32 v29, v28, v33
	s_delay_alu instid0(VALU_DEP_2) | instskip(NEXT) | instid1(VALU_DEP_2)
	v_add_f32_e32 v25, v34, v25
	v_sub_f32_e32 v29, v30, v29
	s_delay_alu instid0(VALU_DEP_2) | instskip(NEXT) | instid1(VALU_DEP_1)
	v_mul_f32_e32 v25, v27, v25
	v_add_f32_e32 v25, v29, v25
	s_delay_alu instid0(VALU_DEP_1) | instskip(NEXT) | instid1(VALU_DEP_1)
	v_add_f32_e32 v27, v28, v25
	v_mul_f32_e32 v29, v27, v27
	s_delay_alu instid0(VALU_DEP_1) | instskip(SKIP_1) | instid1(VALU_DEP_2)
	v_fmaak_f32 v30, s54, v29, 0x3ecc95a3
	v_mul_f32_e32 v31, v27, v29
	v_fmaak_f32 v29, v29, v30, 0x3f2aaada
	v_ldexp_f32 v30, v27, 1
	s_delay_alu instid0(VALU_DEP_2) | instskip(SKIP_1) | instid1(VALU_DEP_2)
	v_mul_f32_e32 v29, v31, v29
	v_sub_f32_e32 v27, v27, v28
	v_dual_mul_f32 v31, 0x3f317218, v24 :: v_dual_add_f32 v28, v30, v29
	s_delay_alu instid0(VALU_DEP_2) | instskip(NEXT) | instid1(VALU_DEP_2)
	v_sub_f32_e32 v25, v25, v27
	v_sub_f32_e32 v27, v28, v30
	s_delay_alu instid0(VALU_DEP_3) | instskip(NEXT) | instid1(VALU_DEP_3)
	v_fma_f32 v30, 0x3f317218, v24, -v31
	v_ldexp_f32 v25, v25, 1
	s_delay_alu instid0(VALU_DEP_2) | instskip(NEXT) | instid1(VALU_DEP_1)
	v_dual_sub_f32 v27, v29, v27 :: v_dual_fmac_f32 v30, 0xb102e308, v24
	v_dual_add_f32 v24, v25, v27 :: v_dual_add_f32 v25, v31, v30
	s_delay_alu instid0(VALU_DEP_1) | instskip(NEXT) | instid1(VALU_DEP_1)
	v_add_f32_e32 v27, v28, v24
	v_dual_add_f32 v29, v25, v27 :: v_dual_sub_f32 v28, v27, v28
	s_delay_alu instid0(VALU_DEP_1) | instskip(NEXT) | instid1(VALU_DEP_2)
	v_sub_f32_e32 v32, v29, v25
	v_dual_sub_f32 v31, v25, v31 :: v_dual_sub_f32 v24, v24, v28
	s_delay_alu instid0(VALU_DEP_1) | instskip(SKIP_1) | instid1(VALU_DEP_2)
	v_dual_sub_f32 v33, v29, v32 :: v_dual_sub_f32 v30, v30, v31
	v_sub_f32_e32 v27, v27, v32
	v_dual_sub_f32 v25, v25, v33 :: v_dual_add_f32 v28, v30, v24
	s_delay_alu instid0(VALU_DEP_1) | instskip(NEXT) | instid1(VALU_DEP_2)
	v_add_f32_e32 v25, v27, v25
	v_sub_f32_e32 v27, v28, v30
	s_delay_alu instid0(VALU_DEP_2) | instskip(NEXT) | instid1(VALU_DEP_2)
	v_add_f32_e32 v25, v28, v25
	v_sub_f32_e32 v28, v28, v27
	s_delay_alu instid0(VALU_DEP_2) | instskip(NEXT) | instid1(VALU_DEP_1)
	v_dual_sub_f32 v24, v24, v27 :: v_dual_add_f32 v31, v29, v25
	v_dual_sub_f32 v28, v30, v28 :: v_dual_sub_f32 v27, v31, v29
	s_delay_alu instid0(VALU_DEP_1) | instskip(NEXT) | instid1(VALU_DEP_1)
	v_dual_add_f32 v24, v24, v28 :: v_dual_sub_f32 v25, v25, v27
	v_add_f32_e32 v24, v24, v25
	s_delay_alu instid0(VALU_DEP_1) | instskip(NEXT) | instid1(VALU_DEP_1)
	v_add_f32_e32 v24, v31, v24
	v_cndmask_b32_e32 v79, v24, v26, vcc_lo
.LBB57_30:                              ;   in Loop: Header=BB57_12 Depth=1
	s_or_b32 exec_lo, exec_lo, s16
	v_and_b32_e32 v24, 0xffff0000, v14
	s_delay_alu instid0(VALU_DEP_1) | instskip(NEXT) | instid1(VALU_DEP_1)
	v_add_f32_e32 v80, s57, v24
	v_cmp_ge_f32_e32 vcc_lo, 0x41a00000, v80
	s_and_b32 s14, s67, vcc_lo
	s_delay_alu instid0(SALU_CYCLE_1)
	s_and_saveexec_b32 s16, s14
	s_cbranch_execz .LBB57_32
; %bb.31:                               ;   in Loop: Header=BB57_12 Depth=1
	v_mul_f32_e32 v24, 0x3fb8aa3b, v80
	v_cmp_ngt_f32_e32 vcc_lo, 0xc2ce8ed0, v80
	s_delay_alu instid0(VALU_DEP_2) | instskip(SKIP_1) | instid1(VALU_DEP_2)
	v_rndne_f32_e32 v25, v24
	v_fma_f32 v26, 0x3fb8aa3b, v80, -v24
	v_sub_f32_e32 v24, v24, v25
	s_delay_alu instid0(VALU_DEP_2) | instskip(SKIP_1) | instid1(VALU_DEP_2)
	v_fmac_f32_e32 v26, 0x32a5705f, v80
	v_cvt_i32_f32_e32 v25, v25
	v_add_f32_e32 v24, v24, v26
	s_delay_alu instid0(VALU_DEP_1) | instskip(SKIP_2) | instid1(VALU_DEP_1)
	v_exp_f32_e32 v24, v24
	s_waitcnt_depctr 0xfff
	v_ldexp_f32 v24, v24, v25
	v_cndmask_b32_e32 v24, 0, v24, vcc_lo
	v_cmp_nlt_f32_e32 vcc_lo, 0x42b17218, v80
	s_delay_alu instid0(VALU_DEP_2) | instskip(NEXT) | instid1(VALU_DEP_1)
	v_cndmask_b32_e32 v26, 0x7f800000, v24, vcc_lo
	v_add_f32_e32 v27, 1.0, v26
	s_delay_alu instid0(VALU_DEP_1) | instskip(NEXT) | instid1(VALU_DEP_1)
	v_cvt_f64_f32_e32 v[24:25], v27
	v_frexp_exp_i32_f64_e32 v24, v[24:25]
	v_frexp_mant_f32_e32 v25, v27
	s_delay_alu instid0(VALU_DEP_1) | instskip(SKIP_1) | instid1(VALU_DEP_1)
	v_cmp_gt_f32_e32 vcc_lo, 0x3f2aaaab, v25
	v_add_f32_e32 v25, -1.0, v27
	v_sub_f32_e32 v29, v25, v27
	v_sub_f32_e32 v25, v26, v25
	s_delay_alu instid0(VALU_DEP_2) | instskip(NEXT) | instid1(VALU_DEP_1)
	v_add_f32_e32 v29, 1.0, v29
	v_add_f32_e32 v25, v25, v29
	v_cmp_gt_f32_e64 s14, 0x33800000, v26
	v_subrev_co_ci_u32_e32 v24, vcc_lo, 0, v24, vcc_lo
	v_cmp_eq_f32_e32 vcc_lo, 0x7f800000, v26
	s_delay_alu instid0(VALU_DEP_2) | instskip(SKIP_2) | instid1(VALU_DEP_2)
	v_sub_nc_u32_e32 v28, 0, v24
	v_cvt_f32_i32_e32 v24, v24
	s_or_b32 vcc_lo, s14, vcc_lo
	v_ldexp_f32 v27, v27, v28
	v_ldexp_f32 v25, v25, v28
	s_delay_alu instid0(VALU_DEP_2) | instskip(NEXT) | instid1(VALU_DEP_1)
	v_add_f32_e32 v30, 1.0, v27
	v_dual_add_f32 v28, -1.0, v27 :: v_dual_add_f32 v29, -1.0, v30
	s_delay_alu instid0(VALU_DEP_1) | instskip(NEXT) | instid1(VALU_DEP_2)
	v_add_f32_e32 v31, 1.0, v28
	v_sub_f32_e32 v29, v27, v29
	s_delay_alu instid0(VALU_DEP_2) | instskip(NEXT) | instid1(VALU_DEP_2)
	v_sub_f32_e32 v27, v27, v31
	v_add_f32_e32 v29, v25, v29
	s_delay_alu instid0(VALU_DEP_2) | instskip(NEXT) | instid1(VALU_DEP_1)
	v_add_f32_e32 v25, v25, v27
	v_add_f32_e32 v32, v28, v25
	s_delay_alu instid0(VALU_DEP_1) | instskip(NEXT) | instid1(VALU_DEP_1)
	v_dual_add_f32 v31, v30, v29 :: v_dual_sub_f32 v28, v28, v32
	v_rcp_f32_e32 v27, v31
	v_sub_f32_e32 v30, v30, v31
	s_delay_alu instid0(VALU_DEP_1) | instskip(SKIP_2) | instid1(VALU_DEP_1)
	v_add_f32_e32 v29, v29, v30
	s_waitcnt_depctr 0xfff
	v_mul_f32_e32 v33, v32, v27
	v_mul_f32_e32 v34, v31, v33
	s_delay_alu instid0(VALU_DEP_1) | instskip(NEXT) | instid1(VALU_DEP_1)
	v_fma_f32 v30, v33, v31, -v34
	v_fmac_f32_e32 v30, v33, v29
	s_delay_alu instid0(VALU_DEP_1) | instskip(NEXT) | instid1(VALU_DEP_1)
	v_add_f32_e32 v35, v34, v30
	v_sub_f32_e32 v36, v32, v35
	s_delay_alu instid0(VALU_DEP_1) | instskip(SKIP_1) | instid1(VALU_DEP_2)
	v_sub_f32_e32 v32, v32, v36
	v_dual_add_f32 v25, v25, v28 :: v_dual_sub_f32 v28, v35, v34
	v_sub_f32_e32 v32, v32, v35
	s_delay_alu instid0(VALU_DEP_1) | instskip(NEXT) | instid1(VALU_DEP_1)
	v_dual_sub_f32 v28, v28, v30 :: v_dual_add_f32 v25, v25, v32
	v_add_f32_e32 v25, v28, v25
	s_delay_alu instid0(VALU_DEP_1) | instskip(NEXT) | instid1(VALU_DEP_1)
	v_add_f32_e32 v28, v36, v25
	v_mul_f32_e32 v30, v27, v28
	s_delay_alu instid0(VALU_DEP_1) | instskip(NEXT) | instid1(VALU_DEP_1)
	v_dual_sub_f32 v35, v36, v28 :: v_dual_mul_f32 v32, v31, v30
	v_add_f32_e32 v25, v25, v35
	s_delay_alu instid0(VALU_DEP_2) | instskip(NEXT) | instid1(VALU_DEP_1)
	v_fma_f32 v31, v30, v31, -v32
	v_fmac_f32_e32 v31, v30, v29
	s_delay_alu instid0(VALU_DEP_1) | instskip(NEXT) | instid1(VALU_DEP_1)
	v_add_f32_e32 v29, v32, v31
	v_sub_f32_e32 v34, v28, v29
	s_delay_alu instid0(VALU_DEP_1) | instskip(NEXT) | instid1(VALU_DEP_1)
	v_sub_f32_e32 v28, v28, v34
	v_sub_f32_e32 v28, v28, v29
	s_delay_alu instid0(VALU_DEP_1) | instskip(SKIP_2) | instid1(VALU_DEP_1)
	v_add_f32_e32 v25, v25, v28
	v_add_f32_e32 v28, v33, v30
	v_sub_f32_e32 v32, v29, v32
	v_sub_f32_e32 v29, v32, v31
	s_delay_alu instid0(VALU_DEP_1) | instskip(NEXT) | instid1(VALU_DEP_4)
	v_add_f32_e32 v25, v29, v25
	v_sub_f32_e32 v29, v28, v33
	s_delay_alu instid0(VALU_DEP_2) | instskip(NEXT) | instid1(VALU_DEP_2)
	v_add_f32_e32 v25, v34, v25
	v_sub_f32_e32 v29, v30, v29
	s_delay_alu instid0(VALU_DEP_2) | instskip(NEXT) | instid1(VALU_DEP_1)
	v_mul_f32_e32 v25, v27, v25
	v_add_f32_e32 v25, v29, v25
	s_delay_alu instid0(VALU_DEP_1) | instskip(NEXT) | instid1(VALU_DEP_1)
	v_add_f32_e32 v27, v28, v25
	v_mul_f32_e32 v29, v27, v27
	s_delay_alu instid0(VALU_DEP_1) | instskip(SKIP_1) | instid1(VALU_DEP_2)
	v_fmaak_f32 v30, s54, v29, 0x3ecc95a3
	v_mul_f32_e32 v31, v27, v29
	v_fmaak_f32 v29, v29, v30, 0x3f2aaada
	v_ldexp_f32 v30, v27, 1
	s_delay_alu instid0(VALU_DEP_2) | instskip(SKIP_1) | instid1(VALU_DEP_2)
	v_mul_f32_e32 v29, v31, v29
	v_sub_f32_e32 v27, v27, v28
	v_dual_mul_f32 v31, 0x3f317218, v24 :: v_dual_add_f32 v28, v30, v29
	s_delay_alu instid0(VALU_DEP_2) | instskip(NEXT) | instid1(VALU_DEP_2)
	v_sub_f32_e32 v25, v25, v27
	v_sub_f32_e32 v27, v28, v30
	s_delay_alu instid0(VALU_DEP_3) | instskip(NEXT) | instid1(VALU_DEP_3)
	v_fma_f32 v30, 0x3f317218, v24, -v31
	v_ldexp_f32 v25, v25, 1
	s_delay_alu instid0(VALU_DEP_2) | instskip(NEXT) | instid1(VALU_DEP_1)
	v_dual_sub_f32 v27, v29, v27 :: v_dual_fmac_f32 v30, 0xb102e308, v24
	v_dual_add_f32 v24, v25, v27 :: v_dual_add_f32 v25, v31, v30
	s_delay_alu instid0(VALU_DEP_1) | instskip(NEXT) | instid1(VALU_DEP_1)
	v_add_f32_e32 v27, v28, v24
	v_dual_add_f32 v29, v25, v27 :: v_dual_sub_f32 v28, v27, v28
	s_delay_alu instid0(VALU_DEP_1) | instskip(NEXT) | instid1(VALU_DEP_2)
	v_sub_f32_e32 v32, v29, v25
	v_dual_sub_f32 v31, v25, v31 :: v_dual_sub_f32 v24, v24, v28
	s_delay_alu instid0(VALU_DEP_1) | instskip(SKIP_1) | instid1(VALU_DEP_2)
	v_dual_sub_f32 v33, v29, v32 :: v_dual_sub_f32 v30, v30, v31
	v_sub_f32_e32 v27, v27, v32
	v_dual_sub_f32 v25, v25, v33 :: v_dual_add_f32 v28, v30, v24
	s_delay_alu instid0(VALU_DEP_1) | instskip(NEXT) | instid1(VALU_DEP_2)
	v_add_f32_e32 v25, v27, v25
	v_sub_f32_e32 v27, v28, v30
	s_delay_alu instid0(VALU_DEP_2) | instskip(NEXT) | instid1(VALU_DEP_2)
	v_add_f32_e32 v25, v28, v25
	v_sub_f32_e32 v28, v28, v27
	s_delay_alu instid0(VALU_DEP_2) | instskip(NEXT) | instid1(VALU_DEP_1)
	v_dual_sub_f32 v24, v24, v27 :: v_dual_add_f32 v31, v29, v25
	v_dual_sub_f32 v28, v30, v28 :: v_dual_sub_f32 v27, v31, v29
	s_delay_alu instid0(VALU_DEP_1) | instskip(NEXT) | instid1(VALU_DEP_1)
	v_dual_add_f32 v24, v24, v28 :: v_dual_sub_f32 v25, v25, v27
	v_add_f32_e32 v24, v24, v25
	s_delay_alu instid0(VALU_DEP_1) | instskip(NEXT) | instid1(VALU_DEP_1)
	v_add_f32_e32 v24, v31, v24
	v_cndmask_b32_e32 v80, v24, v26, vcc_lo
.LBB57_32:                              ;   in Loop: Header=BB57_12 Depth=1
	s_or_b32 exec_lo, exec_lo, s16
	v_lshlrev_b32_e32 v24, 16, v15
	s_delay_alu instid0(VALU_DEP_1) | instskip(NEXT) | instid1(VALU_DEP_1)
	v_add_f32_e32 v81, s57, v24
	v_cmp_ge_f32_e32 vcc_lo, 0x41a00000, v81
	s_and_b32 s14, s67, vcc_lo
	s_delay_alu instid0(SALU_CYCLE_1)
	s_and_saveexec_b32 s16, s14
	s_cbranch_execz .LBB57_34
; %bb.33:                               ;   in Loop: Header=BB57_12 Depth=1
	v_mul_f32_e32 v24, 0x3fb8aa3b, v81
	v_cmp_ngt_f32_e32 vcc_lo, 0xc2ce8ed0, v81
	s_delay_alu instid0(VALU_DEP_2) | instskip(SKIP_1) | instid1(VALU_DEP_2)
	v_rndne_f32_e32 v25, v24
	v_fma_f32 v26, 0x3fb8aa3b, v81, -v24
	v_sub_f32_e32 v24, v24, v25
	s_delay_alu instid0(VALU_DEP_2) | instskip(SKIP_1) | instid1(VALU_DEP_2)
	v_fmac_f32_e32 v26, 0x32a5705f, v81
	v_cvt_i32_f32_e32 v25, v25
	v_add_f32_e32 v24, v24, v26
	s_delay_alu instid0(VALU_DEP_1) | instskip(SKIP_2) | instid1(VALU_DEP_1)
	v_exp_f32_e32 v24, v24
	s_waitcnt_depctr 0xfff
	v_ldexp_f32 v24, v24, v25
	v_cndmask_b32_e32 v24, 0, v24, vcc_lo
	v_cmp_nlt_f32_e32 vcc_lo, 0x42b17218, v81
	s_delay_alu instid0(VALU_DEP_2) | instskip(NEXT) | instid1(VALU_DEP_1)
	v_cndmask_b32_e32 v26, 0x7f800000, v24, vcc_lo
	v_add_f32_e32 v27, 1.0, v26
	s_delay_alu instid0(VALU_DEP_1) | instskip(NEXT) | instid1(VALU_DEP_1)
	v_cvt_f64_f32_e32 v[24:25], v27
	v_frexp_exp_i32_f64_e32 v24, v[24:25]
	v_frexp_mant_f32_e32 v25, v27
	s_delay_alu instid0(VALU_DEP_1) | instskip(SKIP_1) | instid1(VALU_DEP_1)
	v_cmp_gt_f32_e32 vcc_lo, 0x3f2aaaab, v25
	v_add_f32_e32 v25, -1.0, v27
	v_sub_f32_e32 v29, v25, v27
	v_sub_f32_e32 v25, v26, v25
	s_delay_alu instid0(VALU_DEP_2) | instskip(NEXT) | instid1(VALU_DEP_1)
	v_add_f32_e32 v29, 1.0, v29
	v_add_f32_e32 v25, v25, v29
	v_cmp_gt_f32_e64 s14, 0x33800000, v26
	v_subrev_co_ci_u32_e32 v24, vcc_lo, 0, v24, vcc_lo
	v_cmp_eq_f32_e32 vcc_lo, 0x7f800000, v26
	s_delay_alu instid0(VALU_DEP_2) | instskip(SKIP_2) | instid1(VALU_DEP_2)
	v_sub_nc_u32_e32 v28, 0, v24
	v_cvt_f32_i32_e32 v24, v24
	s_or_b32 vcc_lo, s14, vcc_lo
	v_ldexp_f32 v27, v27, v28
	v_ldexp_f32 v25, v25, v28
	s_delay_alu instid0(VALU_DEP_2) | instskip(NEXT) | instid1(VALU_DEP_1)
	v_add_f32_e32 v30, 1.0, v27
	v_dual_add_f32 v28, -1.0, v27 :: v_dual_add_f32 v29, -1.0, v30
	s_delay_alu instid0(VALU_DEP_1) | instskip(NEXT) | instid1(VALU_DEP_2)
	v_add_f32_e32 v31, 1.0, v28
	v_sub_f32_e32 v29, v27, v29
	s_delay_alu instid0(VALU_DEP_2) | instskip(NEXT) | instid1(VALU_DEP_2)
	v_sub_f32_e32 v27, v27, v31
	v_add_f32_e32 v29, v25, v29
	s_delay_alu instid0(VALU_DEP_2) | instskip(NEXT) | instid1(VALU_DEP_1)
	v_add_f32_e32 v25, v25, v27
	v_add_f32_e32 v32, v28, v25
	s_delay_alu instid0(VALU_DEP_1) | instskip(NEXT) | instid1(VALU_DEP_1)
	v_dual_add_f32 v31, v30, v29 :: v_dual_sub_f32 v28, v28, v32
	v_rcp_f32_e32 v27, v31
	v_sub_f32_e32 v30, v30, v31
	s_delay_alu instid0(VALU_DEP_1) | instskip(SKIP_2) | instid1(VALU_DEP_1)
	v_add_f32_e32 v29, v29, v30
	s_waitcnt_depctr 0xfff
	v_mul_f32_e32 v33, v32, v27
	v_mul_f32_e32 v34, v31, v33
	s_delay_alu instid0(VALU_DEP_1) | instskip(NEXT) | instid1(VALU_DEP_1)
	v_fma_f32 v30, v33, v31, -v34
	v_fmac_f32_e32 v30, v33, v29
	s_delay_alu instid0(VALU_DEP_1) | instskip(NEXT) | instid1(VALU_DEP_1)
	v_add_f32_e32 v35, v34, v30
	v_sub_f32_e32 v36, v32, v35
	s_delay_alu instid0(VALU_DEP_1) | instskip(SKIP_1) | instid1(VALU_DEP_2)
	v_sub_f32_e32 v32, v32, v36
	v_dual_add_f32 v25, v25, v28 :: v_dual_sub_f32 v28, v35, v34
	v_sub_f32_e32 v32, v32, v35
	s_delay_alu instid0(VALU_DEP_1) | instskip(NEXT) | instid1(VALU_DEP_1)
	v_dual_sub_f32 v28, v28, v30 :: v_dual_add_f32 v25, v25, v32
	v_add_f32_e32 v25, v28, v25
	s_delay_alu instid0(VALU_DEP_1) | instskip(NEXT) | instid1(VALU_DEP_1)
	v_add_f32_e32 v28, v36, v25
	v_mul_f32_e32 v30, v27, v28
	s_delay_alu instid0(VALU_DEP_1) | instskip(NEXT) | instid1(VALU_DEP_1)
	v_dual_sub_f32 v35, v36, v28 :: v_dual_mul_f32 v32, v31, v30
	v_add_f32_e32 v25, v25, v35
	s_delay_alu instid0(VALU_DEP_2) | instskip(NEXT) | instid1(VALU_DEP_1)
	v_fma_f32 v31, v30, v31, -v32
	v_fmac_f32_e32 v31, v30, v29
	s_delay_alu instid0(VALU_DEP_1) | instskip(NEXT) | instid1(VALU_DEP_1)
	v_add_f32_e32 v29, v32, v31
	v_sub_f32_e32 v34, v28, v29
	s_delay_alu instid0(VALU_DEP_1) | instskip(NEXT) | instid1(VALU_DEP_1)
	v_sub_f32_e32 v28, v28, v34
	v_sub_f32_e32 v28, v28, v29
	s_delay_alu instid0(VALU_DEP_1) | instskip(SKIP_2) | instid1(VALU_DEP_1)
	v_add_f32_e32 v25, v25, v28
	v_add_f32_e32 v28, v33, v30
	v_sub_f32_e32 v32, v29, v32
	v_sub_f32_e32 v29, v32, v31
	s_delay_alu instid0(VALU_DEP_1) | instskip(NEXT) | instid1(VALU_DEP_4)
	v_add_f32_e32 v25, v29, v25
	v_sub_f32_e32 v29, v28, v33
	s_delay_alu instid0(VALU_DEP_2) | instskip(NEXT) | instid1(VALU_DEP_2)
	v_add_f32_e32 v25, v34, v25
	v_sub_f32_e32 v29, v30, v29
	s_delay_alu instid0(VALU_DEP_2) | instskip(NEXT) | instid1(VALU_DEP_1)
	v_mul_f32_e32 v25, v27, v25
	v_add_f32_e32 v25, v29, v25
	s_delay_alu instid0(VALU_DEP_1) | instskip(NEXT) | instid1(VALU_DEP_1)
	v_add_f32_e32 v27, v28, v25
	v_mul_f32_e32 v29, v27, v27
	s_delay_alu instid0(VALU_DEP_1) | instskip(SKIP_1) | instid1(VALU_DEP_2)
	v_fmaak_f32 v30, s54, v29, 0x3ecc95a3
	v_mul_f32_e32 v31, v27, v29
	v_fmaak_f32 v29, v29, v30, 0x3f2aaada
	v_ldexp_f32 v30, v27, 1
	s_delay_alu instid0(VALU_DEP_2) | instskip(SKIP_1) | instid1(VALU_DEP_2)
	v_mul_f32_e32 v29, v31, v29
	v_sub_f32_e32 v27, v27, v28
	v_dual_mul_f32 v31, 0x3f317218, v24 :: v_dual_add_f32 v28, v30, v29
	s_delay_alu instid0(VALU_DEP_2) | instskip(NEXT) | instid1(VALU_DEP_2)
	v_sub_f32_e32 v25, v25, v27
	v_sub_f32_e32 v27, v28, v30
	s_delay_alu instid0(VALU_DEP_3) | instskip(NEXT) | instid1(VALU_DEP_3)
	v_fma_f32 v30, 0x3f317218, v24, -v31
	v_ldexp_f32 v25, v25, 1
	s_delay_alu instid0(VALU_DEP_2) | instskip(NEXT) | instid1(VALU_DEP_1)
	v_dual_sub_f32 v27, v29, v27 :: v_dual_fmac_f32 v30, 0xb102e308, v24
	v_dual_add_f32 v24, v25, v27 :: v_dual_add_f32 v25, v31, v30
	s_delay_alu instid0(VALU_DEP_1) | instskip(NEXT) | instid1(VALU_DEP_1)
	v_add_f32_e32 v27, v28, v24
	v_dual_add_f32 v29, v25, v27 :: v_dual_sub_f32 v28, v27, v28
	s_delay_alu instid0(VALU_DEP_1) | instskip(NEXT) | instid1(VALU_DEP_2)
	v_sub_f32_e32 v32, v29, v25
	v_dual_sub_f32 v31, v25, v31 :: v_dual_sub_f32 v24, v24, v28
	s_delay_alu instid0(VALU_DEP_1) | instskip(SKIP_1) | instid1(VALU_DEP_2)
	v_dual_sub_f32 v33, v29, v32 :: v_dual_sub_f32 v30, v30, v31
	v_sub_f32_e32 v27, v27, v32
	v_dual_sub_f32 v25, v25, v33 :: v_dual_add_f32 v28, v30, v24
	s_delay_alu instid0(VALU_DEP_1) | instskip(NEXT) | instid1(VALU_DEP_2)
	v_add_f32_e32 v25, v27, v25
	v_sub_f32_e32 v27, v28, v30
	s_delay_alu instid0(VALU_DEP_2) | instskip(NEXT) | instid1(VALU_DEP_2)
	v_add_f32_e32 v25, v28, v25
	v_sub_f32_e32 v28, v28, v27
	s_delay_alu instid0(VALU_DEP_2) | instskip(NEXT) | instid1(VALU_DEP_1)
	v_dual_sub_f32 v24, v24, v27 :: v_dual_add_f32 v31, v29, v25
	v_dual_sub_f32 v28, v30, v28 :: v_dual_sub_f32 v27, v31, v29
	s_delay_alu instid0(VALU_DEP_1) | instskip(NEXT) | instid1(VALU_DEP_1)
	v_dual_add_f32 v24, v24, v28 :: v_dual_sub_f32 v25, v25, v27
	v_add_f32_e32 v24, v24, v25
	s_delay_alu instid0(VALU_DEP_1) | instskip(NEXT) | instid1(VALU_DEP_1)
	v_add_f32_e32 v24, v31, v24
	v_cndmask_b32_e32 v81, v24, v26, vcc_lo
.LBB57_34:                              ;   in Loop: Header=BB57_12 Depth=1
	s_or_b32 exec_lo, exec_lo, s16
	v_and_b32_e32 v24, 0xffff0000, v15
	s_delay_alu instid0(VALU_DEP_1) | instskip(NEXT) | instid1(VALU_DEP_1)
	v_add_f32_e32 v82, s57, v24
	v_cmp_ge_f32_e32 vcc_lo, 0x41a00000, v82
	s_and_b32 s14, s67, vcc_lo
	s_delay_alu instid0(SALU_CYCLE_1)
	s_and_saveexec_b32 s16, s14
	s_cbranch_execz .LBB57_36
; %bb.35:                               ;   in Loop: Header=BB57_12 Depth=1
	v_mul_f32_e32 v24, 0x3fb8aa3b, v82
	v_cmp_ngt_f32_e32 vcc_lo, 0xc2ce8ed0, v82
	s_delay_alu instid0(VALU_DEP_2) | instskip(SKIP_1) | instid1(VALU_DEP_2)
	v_rndne_f32_e32 v25, v24
	v_fma_f32 v26, 0x3fb8aa3b, v82, -v24
	v_sub_f32_e32 v24, v24, v25
	s_delay_alu instid0(VALU_DEP_2) | instskip(SKIP_1) | instid1(VALU_DEP_2)
	v_fmac_f32_e32 v26, 0x32a5705f, v82
	v_cvt_i32_f32_e32 v25, v25
	v_add_f32_e32 v24, v24, v26
	s_delay_alu instid0(VALU_DEP_1) | instskip(SKIP_2) | instid1(VALU_DEP_1)
	v_exp_f32_e32 v24, v24
	s_waitcnt_depctr 0xfff
	v_ldexp_f32 v24, v24, v25
	v_cndmask_b32_e32 v24, 0, v24, vcc_lo
	v_cmp_nlt_f32_e32 vcc_lo, 0x42b17218, v82
	s_delay_alu instid0(VALU_DEP_2) | instskip(NEXT) | instid1(VALU_DEP_1)
	v_cndmask_b32_e32 v26, 0x7f800000, v24, vcc_lo
	v_add_f32_e32 v27, 1.0, v26
	s_delay_alu instid0(VALU_DEP_1) | instskip(NEXT) | instid1(VALU_DEP_1)
	v_cvt_f64_f32_e32 v[24:25], v27
	v_frexp_exp_i32_f64_e32 v24, v[24:25]
	v_frexp_mant_f32_e32 v25, v27
	s_delay_alu instid0(VALU_DEP_1) | instskip(SKIP_1) | instid1(VALU_DEP_1)
	v_cmp_gt_f32_e32 vcc_lo, 0x3f2aaaab, v25
	v_add_f32_e32 v25, -1.0, v27
	v_sub_f32_e32 v29, v25, v27
	v_sub_f32_e32 v25, v26, v25
	s_delay_alu instid0(VALU_DEP_2) | instskip(NEXT) | instid1(VALU_DEP_1)
	v_add_f32_e32 v29, 1.0, v29
	v_add_f32_e32 v25, v25, v29
	v_cmp_gt_f32_e64 s14, 0x33800000, v26
	v_subrev_co_ci_u32_e32 v24, vcc_lo, 0, v24, vcc_lo
	v_cmp_eq_f32_e32 vcc_lo, 0x7f800000, v26
	s_delay_alu instid0(VALU_DEP_2) | instskip(SKIP_2) | instid1(VALU_DEP_2)
	v_sub_nc_u32_e32 v28, 0, v24
	v_cvt_f32_i32_e32 v24, v24
	s_or_b32 vcc_lo, s14, vcc_lo
	v_ldexp_f32 v27, v27, v28
	v_ldexp_f32 v25, v25, v28
	s_delay_alu instid0(VALU_DEP_2) | instskip(NEXT) | instid1(VALU_DEP_1)
	v_add_f32_e32 v30, 1.0, v27
	v_dual_add_f32 v28, -1.0, v27 :: v_dual_add_f32 v29, -1.0, v30
	s_delay_alu instid0(VALU_DEP_1) | instskip(NEXT) | instid1(VALU_DEP_2)
	v_add_f32_e32 v31, 1.0, v28
	v_sub_f32_e32 v29, v27, v29
	s_delay_alu instid0(VALU_DEP_2) | instskip(NEXT) | instid1(VALU_DEP_2)
	v_sub_f32_e32 v27, v27, v31
	v_add_f32_e32 v29, v25, v29
	s_delay_alu instid0(VALU_DEP_2) | instskip(NEXT) | instid1(VALU_DEP_1)
	v_add_f32_e32 v25, v25, v27
	v_add_f32_e32 v32, v28, v25
	s_delay_alu instid0(VALU_DEP_1) | instskip(NEXT) | instid1(VALU_DEP_1)
	v_dual_add_f32 v31, v30, v29 :: v_dual_sub_f32 v28, v28, v32
	v_rcp_f32_e32 v27, v31
	v_sub_f32_e32 v30, v30, v31
	s_delay_alu instid0(VALU_DEP_1) | instskip(SKIP_2) | instid1(VALU_DEP_1)
	v_add_f32_e32 v29, v29, v30
	s_waitcnt_depctr 0xfff
	v_mul_f32_e32 v33, v32, v27
	v_mul_f32_e32 v34, v31, v33
	s_delay_alu instid0(VALU_DEP_1) | instskip(NEXT) | instid1(VALU_DEP_1)
	v_fma_f32 v30, v33, v31, -v34
	v_fmac_f32_e32 v30, v33, v29
	s_delay_alu instid0(VALU_DEP_1) | instskip(NEXT) | instid1(VALU_DEP_1)
	v_add_f32_e32 v35, v34, v30
	v_sub_f32_e32 v36, v32, v35
	s_delay_alu instid0(VALU_DEP_1) | instskip(SKIP_1) | instid1(VALU_DEP_2)
	v_sub_f32_e32 v32, v32, v36
	v_dual_add_f32 v25, v25, v28 :: v_dual_sub_f32 v28, v35, v34
	v_sub_f32_e32 v32, v32, v35
	s_delay_alu instid0(VALU_DEP_1) | instskip(NEXT) | instid1(VALU_DEP_1)
	v_dual_sub_f32 v28, v28, v30 :: v_dual_add_f32 v25, v25, v32
	v_add_f32_e32 v25, v28, v25
	s_delay_alu instid0(VALU_DEP_1) | instskip(NEXT) | instid1(VALU_DEP_1)
	v_add_f32_e32 v28, v36, v25
	v_mul_f32_e32 v30, v27, v28
	s_delay_alu instid0(VALU_DEP_1) | instskip(NEXT) | instid1(VALU_DEP_1)
	v_dual_sub_f32 v35, v36, v28 :: v_dual_mul_f32 v32, v31, v30
	v_add_f32_e32 v25, v25, v35
	s_delay_alu instid0(VALU_DEP_2) | instskip(NEXT) | instid1(VALU_DEP_1)
	v_fma_f32 v31, v30, v31, -v32
	v_fmac_f32_e32 v31, v30, v29
	s_delay_alu instid0(VALU_DEP_1) | instskip(NEXT) | instid1(VALU_DEP_1)
	v_add_f32_e32 v29, v32, v31
	v_sub_f32_e32 v34, v28, v29
	s_delay_alu instid0(VALU_DEP_1) | instskip(NEXT) | instid1(VALU_DEP_1)
	v_sub_f32_e32 v28, v28, v34
	v_sub_f32_e32 v28, v28, v29
	s_delay_alu instid0(VALU_DEP_1) | instskip(SKIP_2) | instid1(VALU_DEP_1)
	v_add_f32_e32 v25, v25, v28
	v_add_f32_e32 v28, v33, v30
	v_sub_f32_e32 v32, v29, v32
	v_sub_f32_e32 v29, v32, v31
	s_delay_alu instid0(VALU_DEP_1) | instskip(NEXT) | instid1(VALU_DEP_4)
	v_add_f32_e32 v25, v29, v25
	v_sub_f32_e32 v29, v28, v33
	s_delay_alu instid0(VALU_DEP_2) | instskip(NEXT) | instid1(VALU_DEP_2)
	v_add_f32_e32 v25, v34, v25
	v_sub_f32_e32 v29, v30, v29
	s_delay_alu instid0(VALU_DEP_2) | instskip(NEXT) | instid1(VALU_DEP_1)
	v_mul_f32_e32 v25, v27, v25
	v_add_f32_e32 v25, v29, v25
	s_delay_alu instid0(VALU_DEP_1) | instskip(NEXT) | instid1(VALU_DEP_1)
	v_add_f32_e32 v27, v28, v25
	v_mul_f32_e32 v29, v27, v27
	s_delay_alu instid0(VALU_DEP_1) | instskip(SKIP_1) | instid1(VALU_DEP_2)
	v_fmaak_f32 v30, s54, v29, 0x3ecc95a3
	v_mul_f32_e32 v31, v27, v29
	v_fmaak_f32 v29, v29, v30, 0x3f2aaada
	v_ldexp_f32 v30, v27, 1
	s_delay_alu instid0(VALU_DEP_2) | instskip(SKIP_1) | instid1(VALU_DEP_2)
	v_mul_f32_e32 v29, v31, v29
	v_sub_f32_e32 v27, v27, v28
	v_dual_mul_f32 v31, 0x3f317218, v24 :: v_dual_add_f32 v28, v30, v29
	s_delay_alu instid0(VALU_DEP_2) | instskip(NEXT) | instid1(VALU_DEP_2)
	v_sub_f32_e32 v25, v25, v27
	v_sub_f32_e32 v27, v28, v30
	s_delay_alu instid0(VALU_DEP_3) | instskip(NEXT) | instid1(VALU_DEP_3)
	v_fma_f32 v30, 0x3f317218, v24, -v31
	v_ldexp_f32 v25, v25, 1
	s_delay_alu instid0(VALU_DEP_2) | instskip(NEXT) | instid1(VALU_DEP_1)
	v_dual_sub_f32 v27, v29, v27 :: v_dual_fmac_f32 v30, 0xb102e308, v24
	v_dual_add_f32 v24, v25, v27 :: v_dual_add_f32 v25, v31, v30
	s_delay_alu instid0(VALU_DEP_1) | instskip(NEXT) | instid1(VALU_DEP_1)
	v_add_f32_e32 v27, v28, v24
	v_dual_add_f32 v29, v25, v27 :: v_dual_sub_f32 v28, v27, v28
	s_delay_alu instid0(VALU_DEP_1) | instskip(NEXT) | instid1(VALU_DEP_2)
	v_sub_f32_e32 v32, v29, v25
	v_dual_sub_f32 v31, v25, v31 :: v_dual_sub_f32 v24, v24, v28
	s_delay_alu instid0(VALU_DEP_1) | instskip(SKIP_1) | instid1(VALU_DEP_2)
	v_dual_sub_f32 v33, v29, v32 :: v_dual_sub_f32 v30, v30, v31
	v_sub_f32_e32 v27, v27, v32
	v_dual_sub_f32 v25, v25, v33 :: v_dual_add_f32 v28, v30, v24
	s_delay_alu instid0(VALU_DEP_1) | instskip(NEXT) | instid1(VALU_DEP_2)
	v_add_f32_e32 v25, v27, v25
	v_sub_f32_e32 v27, v28, v30
	s_delay_alu instid0(VALU_DEP_2) | instskip(NEXT) | instid1(VALU_DEP_2)
	v_add_f32_e32 v25, v28, v25
	v_sub_f32_e32 v28, v28, v27
	s_delay_alu instid0(VALU_DEP_2) | instskip(NEXT) | instid1(VALU_DEP_1)
	v_dual_sub_f32 v24, v24, v27 :: v_dual_add_f32 v31, v29, v25
	v_dual_sub_f32 v28, v30, v28 :: v_dual_sub_f32 v27, v31, v29
	s_delay_alu instid0(VALU_DEP_1) | instskip(NEXT) | instid1(VALU_DEP_1)
	v_dual_add_f32 v24, v24, v28 :: v_dual_sub_f32 v25, v25, v27
	v_add_f32_e32 v24, v24, v25
	s_delay_alu instid0(VALU_DEP_1) | instskip(NEXT) | instid1(VALU_DEP_1)
	v_add_f32_e32 v24, v31, v24
	v_cndmask_b32_e32 v82, v24, v26, vcc_lo
.LBB57_36:                              ;   in Loop: Header=BB57_12 Depth=1
	s_or_b32 exec_lo, exec_lo, s16
	s_waitcnt lgkmcnt(0)
	v_lshlrev_b32_e32 v24, 16, v8
	s_delay_alu instid0(VALU_DEP_1) | instskip(NEXT) | instid1(VALU_DEP_1)
	v_add_f32_e32 v83, s57, v24
	v_cmp_ge_f32_e32 vcc_lo, 0x41a00000, v83
	s_and_b32 s14, s67, vcc_lo
	s_delay_alu instid0(SALU_CYCLE_1)
	s_and_saveexec_b32 s16, s14
	s_cbranch_execz .LBB57_38
; %bb.37:                               ;   in Loop: Header=BB57_12 Depth=1
	v_mul_f32_e32 v24, 0x3fb8aa3b, v83
	v_cmp_ngt_f32_e32 vcc_lo, 0xc2ce8ed0, v83
	s_delay_alu instid0(VALU_DEP_2) | instskip(SKIP_1) | instid1(VALU_DEP_2)
	v_rndne_f32_e32 v25, v24
	v_fma_f32 v26, 0x3fb8aa3b, v83, -v24
	v_sub_f32_e32 v24, v24, v25
	s_delay_alu instid0(VALU_DEP_2) | instskip(SKIP_1) | instid1(VALU_DEP_2)
	v_fmac_f32_e32 v26, 0x32a5705f, v83
	v_cvt_i32_f32_e32 v25, v25
	v_add_f32_e32 v24, v24, v26
	s_delay_alu instid0(VALU_DEP_1) | instskip(SKIP_2) | instid1(VALU_DEP_1)
	v_exp_f32_e32 v24, v24
	s_waitcnt_depctr 0xfff
	v_ldexp_f32 v24, v24, v25
	v_cndmask_b32_e32 v24, 0, v24, vcc_lo
	v_cmp_nlt_f32_e32 vcc_lo, 0x42b17218, v83
	s_delay_alu instid0(VALU_DEP_2) | instskip(NEXT) | instid1(VALU_DEP_1)
	v_cndmask_b32_e32 v26, 0x7f800000, v24, vcc_lo
	v_add_f32_e32 v27, 1.0, v26
	s_delay_alu instid0(VALU_DEP_1) | instskip(NEXT) | instid1(VALU_DEP_1)
	v_cvt_f64_f32_e32 v[24:25], v27
	v_frexp_exp_i32_f64_e32 v24, v[24:25]
	v_frexp_mant_f32_e32 v25, v27
	s_delay_alu instid0(VALU_DEP_1) | instskip(SKIP_1) | instid1(VALU_DEP_1)
	v_cmp_gt_f32_e32 vcc_lo, 0x3f2aaaab, v25
	v_add_f32_e32 v25, -1.0, v27
	v_sub_f32_e32 v29, v25, v27
	v_sub_f32_e32 v25, v26, v25
	s_delay_alu instid0(VALU_DEP_2) | instskip(NEXT) | instid1(VALU_DEP_1)
	v_add_f32_e32 v29, 1.0, v29
	v_add_f32_e32 v25, v25, v29
	v_cmp_gt_f32_e64 s14, 0x33800000, v26
	v_subrev_co_ci_u32_e32 v24, vcc_lo, 0, v24, vcc_lo
	v_cmp_eq_f32_e32 vcc_lo, 0x7f800000, v26
	s_delay_alu instid0(VALU_DEP_2) | instskip(SKIP_2) | instid1(VALU_DEP_2)
	v_sub_nc_u32_e32 v28, 0, v24
	v_cvt_f32_i32_e32 v24, v24
	s_or_b32 vcc_lo, s14, vcc_lo
	v_ldexp_f32 v27, v27, v28
	v_ldexp_f32 v25, v25, v28
	s_delay_alu instid0(VALU_DEP_2) | instskip(NEXT) | instid1(VALU_DEP_1)
	v_add_f32_e32 v30, 1.0, v27
	v_dual_add_f32 v28, -1.0, v27 :: v_dual_add_f32 v29, -1.0, v30
	s_delay_alu instid0(VALU_DEP_1) | instskip(NEXT) | instid1(VALU_DEP_2)
	v_add_f32_e32 v31, 1.0, v28
	v_sub_f32_e32 v29, v27, v29
	s_delay_alu instid0(VALU_DEP_2) | instskip(NEXT) | instid1(VALU_DEP_2)
	v_sub_f32_e32 v27, v27, v31
	v_add_f32_e32 v29, v25, v29
	s_delay_alu instid0(VALU_DEP_2) | instskip(NEXT) | instid1(VALU_DEP_1)
	v_add_f32_e32 v25, v25, v27
	v_add_f32_e32 v32, v28, v25
	s_delay_alu instid0(VALU_DEP_1) | instskip(NEXT) | instid1(VALU_DEP_1)
	v_dual_add_f32 v31, v30, v29 :: v_dual_sub_f32 v28, v28, v32
	v_rcp_f32_e32 v27, v31
	v_sub_f32_e32 v30, v30, v31
	s_delay_alu instid0(VALU_DEP_1) | instskip(SKIP_2) | instid1(VALU_DEP_1)
	v_add_f32_e32 v29, v29, v30
	s_waitcnt_depctr 0xfff
	v_mul_f32_e32 v33, v32, v27
	v_mul_f32_e32 v34, v31, v33
	s_delay_alu instid0(VALU_DEP_1) | instskip(NEXT) | instid1(VALU_DEP_1)
	v_fma_f32 v30, v33, v31, -v34
	v_fmac_f32_e32 v30, v33, v29
	s_delay_alu instid0(VALU_DEP_1) | instskip(NEXT) | instid1(VALU_DEP_1)
	v_add_f32_e32 v35, v34, v30
	v_sub_f32_e32 v36, v32, v35
	s_delay_alu instid0(VALU_DEP_1) | instskip(SKIP_1) | instid1(VALU_DEP_2)
	v_sub_f32_e32 v32, v32, v36
	v_dual_add_f32 v25, v25, v28 :: v_dual_sub_f32 v28, v35, v34
	v_sub_f32_e32 v32, v32, v35
	s_delay_alu instid0(VALU_DEP_1) | instskip(NEXT) | instid1(VALU_DEP_1)
	v_dual_sub_f32 v28, v28, v30 :: v_dual_add_f32 v25, v25, v32
	v_add_f32_e32 v25, v28, v25
	s_delay_alu instid0(VALU_DEP_1) | instskip(NEXT) | instid1(VALU_DEP_1)
	v_add_f32_e32 v28, v36, v25
	v_mul_f32_e32 v30, v27, v28
	s_delay_alu instid0(VALU_DEP_1) | instskip(NEXT) | instid1(VALU_DEP_1)
	v_dual_sub_f32 v35, v36, v28 :: v_dual_mul_f32 v32, v31, v30
	v_add_f32_e32 v25, v25, v35
	s_delay_alu instid0(VALU_DEP_2) | instskip(NEXT) | instid1(VALU_DEP_1)
	v_fma_f32 v31, v30, v31, -v32
	v_fmac_f32_e32 v31, v30, v29
	s_delay_alu instid0(VALU_DEP_1) | instskip(NEXT) | instid1(VALU_DEP_1)
	v_add_f32_e32 v29, v32, v31
	v_sub_f32_e32 v34, v28, v29
	s_delay_alu instid0(VALU_DEP_1) | instskip(NEXT) | instid1(VALU_DEP_1)
	v_sub_f32_e32 v28, v28, v34
	v_sub_f32_e32 v28, v28, v29
	s_delay_alu instid0(VALU_DEP_1) | instskip(SKIP_2) | instid1(VALU_DEP_1)
	v_add_f32_e32 v25, v25, v28
	v_add_f32_e32 v28, v33, v30
	v_sub_f32_e32 v32, v29, v32
	v_sub_f32_e32 v29, v32, v31
	s_delay_alu instid0(VALU_DEP_1) | instskip(NEXT) | instid1(VALU_DEP_4)
	v_add_f32_e32 v25, v29, v25
	v_sub_f32_e32 v29, v28, v33
	s_delay_alu instid0(VALU_DEP_2) | instskip(NEXT) | instid1(VALU_DEP_2)
	v_add_f32_e32 v25, v34, v25
	v_sub_f32_e32 v29, v30, v29
	s_delay_alu instid0(VALU_DEP_2) | instskip(NEXT) | instid1(VALU_DEP_1)
	v_mul_f32_e32 v25, v27, v25
	v_add_f32_e32 v25, v29, v25
	s_delay_alu instid0(VALU_DEP_1) | instskip(NEXT) | instid1(VALU_DEP_1)
	v_add_f32_e32 v27, v28, v25
	v_mul_f32_e32 v29, v27, v27
	s_delay_alu instid0(VALU_DEP_1) | instskip(SKIP_1) | instid1(VALU_DEP_2)
	v_fmaak_f32 v30, s54, v29, 0x3ecc95a3
	v_mul_f32_e32 v31, v27, v29
	v_fmaak_f32 v29, v29, v30, 0x3f2aaada
	v_ldexp_f32 v30, v27, 1
	s_delay_alu instid0(VALU_DEP_2) | instskip(SKIP_1) | instid1(VALU_DEP_2)
	v_mul_f32_e32 v29, v31, v29
	v_sub_f32_e32 v27, v27, v28
	v_dual_mul_f32 v31, 0x3f317218, v24 :: v_dual_add_f32 v28, v30, v29
	s_delay_alu instid0(VALU_DEP_2) | instskip(NEXT) | instid1(VALU_DEP_2)
	v_sub_f32_e32 v25, v25, v27
	v_sub_f32_e32 v27, v28, v30
	s_delay_alu instid0(VALU_DEP_3) | instskip(NEXT) | instid1(VALU_DEP_3)
	v_fma_f32 v30, 0x3f317218, v24, -v31
	v_ldexp_f32 v25, v25, 1
	s_delay_alu instid0(VALU_DEP_2) | instskip(NEXT) | instid1(VALU_DEP_1)
	v_dual_sub_f32 v27, v29, v27 :: v_dual_fmac_f32 v30, 0xb102e308, v24
	v_dual_add_f32 v24, v25, v27 :: v_dual_add_f32 v25, v31, v30
	s_delay_alu instid0(VALU_DEP_1) | instskip(NEXT) | instid1(VALU_DEP_1)
	v_add_f32_e32 v27, v28, v24
	v_dual_add_f32 v29, v25, v27 :: v_dual_sub_f32 v28, v27, v28
	s_delay_alu instid0(VALU_DEP_1) | instskip(NEXT) | instid1(VALU_DEP_2)
	v_sub_f32_e32 v32, v29, v25
	v_dual_sub_f32 v31, v25, v31 :: v_dual_sub_f32 v24, v24, v28
	s_delay_alu instid0(VALU_DEP_1) | instskip(SKIP_1) | instid1(VALU_DEP_2)
	v_dual_sub_f32 v33, v29, v32 :: v_dual_sub_f32 v30, v30, v31
	v_sub_f32_e32 v27, v27, v32
	v_dual_sub_f32 v25, v25, v33 :: v_dual_add_f32 v28, v30, v24
	s_delay_alu instid0(VALU_DEP_1) | instskip(NEXT) | instid1(VALU_DEP_2)
	v_add_f32_e32 v25, v27, v25
	v_sub_f32_e32 v27, v28, v30
	s_delay_alu instid0(VALU_DEP_2) | instskip(NEXT) | instid1(VALU_DEP_2)
	v_add_f32_e32 v25, v28, v25
	v_sub_f32_e32 v28, v28, v27
	s_delay_alu instid0(VALU_DEP_2) | instskip(NEXT) | instid1(VALU_DEP_1)
	v_dual_sub_f32 v24, v24, v27 :: v_dual_add_f32 v31, v29, v25
	v_dual_sub_f32 v28, v30, v28 :: v_dual_sub_f32 v27, v31, v29
	s_delay_alu instid0(VALU_DEP_1) | instskip(NEXT) | instid1(VALU_DEP_1)
	v_dual_add_f32 v24, v24, v28 :: v_dual_sub_f32 v25, v25, v27
	v_add_f32_e32 v24, v24, v25
	s_delay_alu instid0(VALU_DEP_1) | instskip(NEXT) | instid1(VALU_DEP_1)
	v_add_f32_e32 v24, v31, v24
	v_cndmask_b32_e32 v83, v24, v26, vcc_lo
.LBB57_38:                              ;   in Loop: Header=BB57_12 Depth=1
	s_or_b32 exec_lo, exec_lo, s16
	v_and_b32_e32 v24, 0xffff0000, v8
	s_delay_alu instid0(VALU_DEP_1) | instskip(NEXT) | instid1(VALU_DEP_1)
	v_add_f32_e32 v90, s57, v24
	v_cmp_ge_f32_e32 vcc_lo, 0x41a00000, v90
	s_and_b32 s14, s67, vcc_lo
	s_delay_alu instid0(SALU_CYCLE_1)
	s_and_saveexec_b32 s16, s14
	s_cbranch_execz .LBB57_40
; %bb.39:                               ;   in Loop: Header=BB57_12 Depth=1
	v_mul_f32_e32 v24, 0x3fb8aa3b, v90
	v_cmp_ngt_f32_e32 vcc_lo, 0xc2ce8ed0, v90
	s_delay_alu instid0(VALU_DEP_2) | instskip(SKIP_1) | instid1(VALU_DEP_2)
	v_rndne_f32_e32 v25, v24
	v_fma_f32 v26, 0x3fb8aa3b, v90, -v24
	v_sub_f32_e32 v24, v24, v25
	s_delay_alu instid0(VALU_DEP_2) | instskip(SKIP_1) | instid1(VALU_DEP_2)
	v_fmac_f32_e32 v26, 0x32a5705f, v90
	v_cvt_i32_f32_e32 v25, v25
	v_add_f32_e32 v24, v24, v26
	s_delay_alu instid0(VALU_DEP_1) | instskip(SKIP_2) | instid1(VALU_DEP_1)
	v_exp_f32_e32 v24, v24
	s_waitcnt_depctr 0xfff
	v_ldexp_f32 v24, v24, v25
	v_cndmask_b32_e32 v24, 0, v24, vcc_lo
	v_cmp_nlt_f32_e32 vcc_lo, 0x42b17218, v90
	s_delay_alu instid0(VALU_DEP_2) | instskip(NEXT) | instid1(VALU_DEP_1)
	v_cndmask_b32_e32 v26, 0x7f800000, v24, vcc_lo
	v_add_f32_e32 v27, 1.0, v26
	s_delay_alu instid0(VALU_DEP_1) | instskip(NEXT) | instid1(VALU_DEP_1)
	v_cvt_f64_f32_e32 v[24:25], v27
	v_frexp_exp_i32_f64_e32 v24, v[24:25]
	v_frexp_mant_f32_e32 v25, v27
	s_delay_alu instid0(VALU_DEP_1) | instskip(SKIP_1) | instid1(VALU_DEP_1)
	v_cmp_gt_f32_e32 vcc_lo, 0x3f2aaaab, v25
	v_add_f32_e32 v25, -1.0, v27
	v_sub_f32_e32 v29, v25, v27
	v_sub_f32_e32 v25, v26, v25
	s_delay_alu instid0(VALU_DEP_2) | instskip(NEXT) | instid1(VALU_DEP_1)
	v_add_f32_e32 v29, 1.0, v29
	v_add_f32_e32 v25, v25, v29
	v_cmp_gt_f32_e64 s14, 0x33800000, v26
	v_subrev_co_ci_u32_e32 v24, vcc_lo, 0, v24, vcc_lo
	v_cmp_eq_f32_e32 vcc_lo, 0x7f800000, v26
	s_delay_alu instid0(VALU_DEP_2) | instskip(SKIP_2) | instid1(VALU_DEP_2)
	v_sub_nc_u32_e32 v28, 0, v24
	v_cvt_f32_i32_e32 v24, v24
	s_or_b32 vcc_lo, s14, vcc_lo
	v_ldexp_f32 v27, v27, v28
	v_ldexp_f32 v25, v25, v28
	s_delay_alu instid0(VALU_DEP_2) | instskip(NEXT) | instid1(VALU_DEP_1)
	v_add_f32_e32 v30, 1.0, v27
	v_dual_add_f32 v28, -1.0, v27 :: v_dual_add_f32 v29, -1.0, v30
	s_delay_alu instid0(VALU_DEP_1) | instskip(NEXT) | instid1(VALU_DEP_2)
	v_add_f32_e32 v31, 1.0, v28
	v_sub_f32_e32 v29, v27, v29
	s_delay_alu instid0(VALU_DEP_2) | instskip(NEXT) | instid1(VALU_DEP_2)
	v_sub_f32_e32 v27, v27, v31
	v_add_f32_e32 v29, v25, v29
	s_delay_alu instid0(VALU_DEP_2) | instskip(NEXT) | instid1(VALU_DEP_1)
	v_add_f32_e32 v25, v25, v27
	v_add_f32_e32 v32, v28, v25
	s_delay_alu instid0(VALU_DEP_1) | instskip(NEXT) | instid1(VALU_DEP_1)
	v_dual_add_f32 v31, v30, v29 :: v_dual_sub_f32 v28, v28, v32
	v_rcp_f32_e32 v27, v31
	v_sub_f32_e32 v30, v30, v31
	s_delay_alu instid0(VALU_DEP_1) | instskip(SKIP_2) | instid1(VALU_DEP_1)
	v_add_f32_e32 v29, v29, v30
	s_waitcnt_depctr 0xfff
	v_mul_f32_e32 v33, v32, v27
	v_mul_f32_e32 v34, v31, v33
	s_delay_alu instid0(VALU_DEP_1) | instskip(NEXT) | instid1(VALU_DEP_1)
	v_fma_f32 v30, v33, v31, -v34
	v_fmac_f32_e32 v30, v33, v29
	s_delay_alu instid0(VALU_DEP_1) | instskip(NEXT) | instid1(VALU_DEP_1)
	v_add_f32_e32 v35, v34, v30
	v_sub_f32_e32 v36, v32, v35
	s_delay_alu instid0(VALU_DEP_1) | instskip(SKIP_1) | instid1(VALU_DEP_2)
	v_sub_f32_e32 v32, v32, v36
	v_dual_add_f32 v25, v25, v28 :: v_dual_sub_f32 v28, v35, v34
	v_sub_f32_e32 v32, v32, v35
	s_delay_alu instid0(VALU_DEP_1) | instskip(NEXT) | instid1(VALU_DEP_1)
	v_dual_sub_f32 v28, v28, v30 :: v_dual_add_f32 v25, v25, v32
	v_add_f32_e32 v25, v28, v25
	s_delay_alu instid0(VALU_DEP_1) | instskip(NEXT) | instid1(VALU_DEP_1)
	v_add_f32_e32 v28, v36, v25
	v_mul_f32_e32 v30, v27, v28
	s_delay_alu instid0(VALU_DEP_1) | instskip(NEXT) | instid1(VALU_DEP_1)
	v_dual_sub_f32 v35, v36, v28 :: v_dual_mul_f32 v32, v31, v30
	v_add_f32_e32 v25, v25, v35
	s_delay_alu instid0(VALU_DEP_2) | instskip(NEXT) | instid1(VALU_DEP_1)
	v_fma_f32 v31, v30, v31, -v32
	v_fmac_f32_e32 v31, v30, v29
	s_delay_alu instid0(VALU_DEP_1) | instskip(NEXT) | instid1(VALU_DEP_1)
	v_add_f32_e32 v29, v32, v31
	v_sub_f32_e32 v34, v28, v29
	s_delay_alu instid0(VALU_DEP_1) | instskip(NEXT) | instid1(VALU_DEP_1)
	v_sub_f32_e32 v28, v28, v34
	v_sub_f32_e32 v28, v28, v29
	s_delay_alu instid0(VALU_DEP_1) | instskip(SKIP_2) | instid1(VALU_DEP_1)
	v_add_f32_e32 v25, v25, v28
	v_add_f32_e32 v28, v33, v30
	v_sub_f32_e32 v32, v29, v32
	v_sub_f32_e32 v29, v32, v31
	s_delay_alu instid0(VALU_DEP_1) | instskip(NEXT) | instid1(VALU_DEP_4)
	v_add_f32_e32 v25, v29, v25
	v_sub_f32_e32 v29, v28, v33
	s_delay_alu instid0(VALU_DEP_2) | instskip(NEXT) | instid1(VALU_DEP_2)
	v_add_f32_e32 v25, v34, v25
	v_sub_f32_e32 v29, v30, v29
	s_delay_alu instid0(VALU_DEP_2) | instskip(NEXT) | instid1(VALU_DEP_1)
	v_mul_f32_e32 v25, v27, v25
	v_add_f32_e32 v25, v29, v25
	s_delay_alu instid0(VALU_DEP_1) | instskip(NEXT) | instid1(VALU_DEP_1)
	v_add_f32_e32 v27, v28, v25
	v_mul_f32_e32 v29, v27, v27
	s_delay_alu instid0(VALU_DEP_1) | instskip(SKIP_1) | instid1(VALU_DEP_2)
	v_fmaak_f32 v30, s54, v29, 0x3ecc95a3
	v_mul_f32_e32 v31, v27, v29
	v_fmaak_f32 v29, v29, v30, 0x3f2aaada
	v_ldexp_f32 v30, v27, 1
	s_delay_alu instid0(VALU_DEP_2) | instskip(SKIP_1) | instid1(VALU_DEP_2)
	v_mul_f32_e32 v29, v31, v29
	v_sub_f32_e32 v27, v27, v28
	v_dual_mul_f32 v31, 0x3f317218, v24 :: v_dual_add_f32 v28, v30, v29
	s_delay_alu instid0(VALU_DEP_2) | instskip(NEXT) | instid1(VALU_DEP_2)
	v_sub_f32_e32 v25, v25, v27
	v_sub_f32_e32 v27, v28, v30
	s_delay_alu instid0(VALU_DEP_3) | instskip(NEXT) | instid1(VALU_DEP_3)
	v_fma_f32 v30, 0x3f317218, v24, -v31
	v_ldexp_f32 v25, v25, 1
	s_delay_alu instid0(VALU_DEP_2) | instskip(NEXT) | instid1(VALU_DEP_1)
	v_dual_sub_f32 v27, v29, v27 :: v_dual_fmac_f32 v30, 0xb102e308, v24
	v_dual_add_f32 v24, v25, v27 :: v_dual_add_f32 v25, v31, v30
	s_delay_alu instid0(VALU_DEP_1) | instskip(NEXT) | instid1(VALU_DEP_1)
	v_add_f32_e32 v27, v28, v24
	v_dual_add_f32 v29, v25, v27 :: v_dual_sub_f32 v28, v27, v28
	s_delay_alu instid0(VALU_DEP_1) | instskip(NEXT) | instid1(VALU_DEP_2)
	v_sub_f32_e32 v32, v29, v25
	v_dual_sub_f32 v31, v25, v31 :: v_dual_sub_f32 v24, v24, v28
	s_delay_alu instid0(VALU_DEP_1) | instskip(SKIP_1) | instid1(VALU_DEP_2)
	v_dual_sub_f32 v33, v29, v32 :: v_dual_sub_f32 v30, v30, v31
	v_sub_f32_e32 v27, v27, v32
	v_dual_sub_f32 v25, v25, v33 :: v_dual_add_f32 v28, v30, v24
	s_delay_alu instid0(VALU_DEP_1) | instskip(NEXT) | instid1(VALU_DEP_2)
	v_add_f32_e32 v25, v27, v25
	v_sub_f32_e32 v27, v28, v30
	s_delay_alu instid0(VALU_DEP_2) | instskip(NEXT) | instid1(VALU_DEP_2)
	v_add_f32_e32 v25, v28, v25
	v_sub_f32_e32 v28, v28, v27
	s_delay_alu instid0(VALU_DEP_2) | instskip(NEXT) | instid1(VALU_DEP_1)
	v_dual_sub_f32 v24, v24, v27 :: v_dual_add_f32 v31, v29, v25
	v_dual_sub_f32 v28, v30, v28 :: v_dual_sub_f32 v27, v31, v29
	s_delay_alu instid0(VALU_DEP_1) | instskip(NEXT) | instid1(VALU_DEP_1)
	v_dual_add_f32 v24, v24, v28 :: v_dual_sub_f32 v25, v25, v27
	v_add_f32_e32 v24, v24, v25
	s_delay_alu instid0(VALU_DEP_1) | instskip(NEXT) | instid1(VALU_DEP_1)
	v_add_f32_e32 v24, v31, v24
	v_cndmask_b32_e32 v90, v24, v26, vcc_lo
.LBB57_40:                              ;   in Loop: Header=BB57_12 Depth=1
	s_or_b32 exec_lo, exec_lo, s16
	v_lshlrev_b32_e32 v24, 16, v9
	s_delay_alu instid0(VALU_DEP_1) | instskip(NEXT) | instid1(VALU_DEP_1)
	v_add_f32_e32 v93, s57, v24
	v_cmp_ge_f32_e32 vcc_lo, 0x41a00000, v93
	s_and_b32 s14, s67, vcc_lo
	s_delay_alu instid0(SALU_CYCLE_1)
	s_and_saveexec_b32 s16, s14
	s_cbranch_execz .LBB57_42
; %bb.41:                               ;   in Loop: Header=BB57_12 Depth=1
	v_mul_f32_e32 v24, 0x3fb8aa3b, v93
	v_cmp_ngt_f32_e32 vcc_lo, 0xc2ce8ed0, v93
	s_delay_alu instid0(VALU_DEP_2) | instskip(SKIP_1) | instid1(VALU_DEP_2)
	v_rndne_f32_e32 v25, v24
	v_fma_f32 v26, 0x3fb8aa3b, v93, -v24
	v_sub_f32_e32 v24, v24, v25
	s_delay_alu instid0(VALU_DEP_2) | instskip(SKIP_1) | instid1(VALU_DEP_2)
	v_fmac_f32_e32 v26, 0x32a5705f, v93
	v_cvt_i32_f32_e32 v25, v25
	v_add_f32_e32 v24, v24, v26
	s_delay_alu instid0(VALU_DEP_1) | instskip(SKIP_2) | instid1(VALU_DEP_1)
	v_exp_f32_e32 v24, v24
	s_waitcnt_depctr 0xfff
	v_ldexp_f32 v24, v24, v25
	v_cndmask_b32_e32 v24, 0, v24, vcc_lo
	v_cmp_nlt_f32_e32 vcc_lo, 0x42b17218, v93
	s_delay_alu instid0(VALU_DEP_2) | instskip(NEXT) | instid1(VALU_DEP_1)
	v_cndmask_b32_e32 v26, 0x7f800000, v24, vcc_lo
	v_add_f32_e32 v27, 1.0, v26
	s_delay_alu instid0(VALU_DEP_1) | instskip(NEXT) | instid1(VALU_DEP_1)
	v_cvt_f64_f32_e32 v[24:25], v27
	v_frexp_exp_i32_f64_e32 v24, v[24:25]
	v_frexp_mant_f32_e32 v25, v27
	s_delay_alu instid0(VALU_DEP_1) | instskip(SKIP_1) | instid1(VALU_DEP_1)
	v_cmp_gt_f32_e32 vcc_lo, 0x3f2aaaab, v25
	v_add_f32_e32 v25, -1.0, v27
	v_sub_f32_e32 v29, v25, v27
	v_sub_f32_e32 v25, v26, v25
	s_delay_alu instid0(VALU_DEP_2) | instskip(NEXT) | instid1(VALU_DEP_1)
	v_add_f32_e32 v29, 1.0, v29
	v_add_f32_e32 v25, v25, v29
	v_cmp_gt_f32_e64 s14, 0x33800000, v26
	v_subrev_co_ci_u32_e32 v24, vcc_lo, 0, v24, vcc_lo
	v_cmp_eq_f32_e32 vcc_lo, 0x7f800000, v26
	s_delay_alu instid0(VALU_DEP_2) | instskip(SKIP_2) | instid1(VALU_DEP_2)
	v_sub_nc_u32_e32 v28, 0, v24
	v_cvt_f32_i32_e32 v24, v24
	s_or_b32 vcc_lo, s14, vcc_lo
	v_ldexp_f32 v27, v27, v28
	v_ldexp_f32 v25, v25, v28
	s_delay_alu instid0(VALU_DEP_2) | instskip(NEXT) | instid1(VALU_DEP_1)
	v_add_f32_e32 v30, 1.0, v27
	v_dual_add_f32 v28, -1.0, v27 :: v_dual_add_f32 v29, -1.0, v30
	s_delay_alu instid0(VALU_DEP_1) | instskip(NEXT) | instid1(VALU_DEP_2)
	v_add_f32_e32 v31, 1.0, v28
	v_sub_f32_e32 v29, v27, v29
	s_delay_alu instid0(VALU_DEP_2) | instskip(NEXT) | instid1(VALU_DEP_2)
	v_sub_f32_e32 v27, v27, v31
	v_add_f32_e32 v29, v25, v29
	s_delay_alu instid0(VALU_DEP_2) | instskip(NEXT) | instid1(VALU_DEP_1)
	v_add_f32_e32 v25, v25, v27
	v_add_f32_e32 v32, v28, v25
	s_delay_alu instid0(VALU_DEP_1) | instskip(NEXT) | instid1(VALU_DEP_1)
	v_dual_add_f32 v31, v30, v29 :: v_dual_sub_f32 v28, v28, v32
	v_rcp_f32_e32 v27, v31
	v_sub_f32_e32 v30, v30, v31
	s_delay_alu instid0(VALU_DEP_1) | instskip(SKIP_2) | instid1(VALU_DEP_1)
	v_add_f32_e32 v29, v29, v30
	s_waitcnt_depctr 0xfff
	v_mul_f32_e32 v33, v32, v27
	v_mul_f32_e32 v34, v31, v33
	s_delay_alu instid0(VALU_DEP_1) | instskip(NEXT) | instid1(VALU_DEP_1)
	v_fma_f32 v30, v33, v31, -v34
	v_fmac_f32_e32 v30, v33, v29
	s_delay_alu instid0(VALU_DEP_1) | instskip(NEXT) | instid1(VALU_DEP_1)
	v_add_f32_e32 v35, v34, v30
	v_sub_f32_e32 v36, v32, v35
	s_delay_alu instid0(VALU_DEP_1) | instskip(SKIP_1) | instid1(VALU_DEP_2)
	v_sub_f32_e32 v32, v32, v36
	v_dual_add_f32 v25, v25, v28 :: v_dual_sub_f32 v28, v35, v34
	v_sub_f32_e32 v32, v32, v35
	s_delay_alu instid0(VALU_DEP_1) | instskip(NEXT) | instid1(VALU_DEP_1)
	v_dual_sub_f32 v28, v28, v30 :: v_dual_add_f32 v25, v25, v32
	v_add_f32_e32 v25, v28, v25
	s_delay_alu instid0(VALU_DEP_1) | instskip(NEXT) | instid1(VALU_DEP_1)
	v_add_f32_e32 v28, v36, v25
	v_mul_f32_e32 v30, v27, v28
	s_delay_alu instid0(VALU_DEP_1) | instskip(NEXT) | instid1(VALU_DEP_1)
	v_dual_sub_f32 v35, v36, v28 :: v_dual_mul_f32 v32, v31, v30
	v_add_f32_e32 v25, v25, v35
	s_delay_alu instid0(VALU_DEP_2) | instskip(NEXT) | instid1(VALU_DEP_1)
	v_fma_f32 v31, v30, v31, -v32
	v_fmac_f32_e32 v31, v30, v29
	s_delay_alu instid0(VALU_DEP_1) | instskip(NEXT) | instid1(VALU_DEP_1)
	v_add_f32_e32 v29, v32, v31
	v_sub_f32_e32 v34, v28, v29
	s_delay_alu instid0(VALU_DEP_1) | instskip(NEXT) | instid1(VALU_DEP_1)
	v_sub_f32_e32 v28, v28, v34
	v_sub_f32_e32 v28, v28, v29
	s_delay_alu instid0(VALU_DEP_1) | instskip(SKIP_2) | instid1(VALU_DEP_1)
	v_add_f32_e32 v25, v25, v28
	v_add_f32_e32 v28, v33, v30
	v_sub_f32_e32 v32, v29, v32
	v_sub_f32_e32 v29, v32, v31
	s_delay_alu instid0(VALU_DEP_1) | instskip(NEXT) | instid1(VALU_DEP_4)
	v_add_f32_e32 v25, v29, v25
	v_sub_f32_e32 v29, v28, v33
	s_delay_alu instid0(VALU_DEP_2) | instskip(NEXT) | instid1(VALU_DEP_2)
	v_add_f32_e32 v25, v34, v25
	v_sub_f32_e32 v29, v30, v29
	s_delay_alu instid0(VALU_DEP_2) | instskip(NEXT) | instid1(VALU_DEP_1)
	v_mul_f32_e32 v25, v27, v25
	v_add_f32_e32 v25, v29, v25
	s_delay_alu instid0(VALU_DEP_1) | instskip(NEXT) | instid1(VALU_DEP_1)
	v_add_f32_e32 v27, v28, v25
	v_mul_f32_e32 v29, v27, v27
	s_delay_alu instid0(VALU_DEP_1) | instskip(SKIP_1) | instid1(VALU_DEP_2)
	v_fmaak_f32 v30, s54, v29, 0x3ecc95a3
	v_mul_f32_e32 v31, v27, v29
	v_fmaak_f32 v29, v29, v30, 0x3f2aaada
	v_ldexp_f32 v30, v27, 1
	s_delay_alu instid0(VALU_DEP_2) | instskip(SKIP_1) | instid1(VALU_DEP_2)
	v_mul_f32_e32 v29, v31, v29
	v_sub_f32_e32 v27, v27, v28
	v_dual_mul_f32 v31, 0x3f317218, v24 :: v_dual_add_f32 v28, v30, v29
	s_delay_alu instid0(VALU_DEP_2) | instskip(NEXT) | instid1(VALU_DEP_2)
	v_sub_f32_e32 v25, v25, v27
	v_sub_f32_e32 v27, v28, v30
	s_delay_alu instid0(VALU_DEP_3) | instskip(NEXT) | instid1(VALU_DEP_3)
	v_fma_f32 v30, 0x3f317218, v24, -v31
	v_ldexp_f32 v25, v25, 1
	s_delay_alu instid0(VALU_DEP_2) | instskip(NEXT) | instid1(VALU_DEP_1)
	v_dual_sub_f32 v27, v29, v27 :: v_dual_fmac_f32 v30, 0xb102e308, v24
	v_dual_add_f32 v24, v25, v27 :: v_dual_add_f32 v25, v31, v30
	s_delay_alu instid0(VALU_DEP_1) | instskip(NEXT) | instid1(VALU_DEP_1)
	v_add_f32_e32 v27, v28, v24
	v_dual_add_f32 v29, v25, v27 :: v_dual_sub_f32 v28, v27, v28
	s_delay_alu instid0(VALU_DEP_1) | instskip(NEXT) | instid1(VALU_DEP_2)
	v_sub_f32_e32 v32, v29, v25
	v_dual_sub_f32 v31, v25, v31 :: v_dual_sub_f32 v24, v24, v28
	s_delay_alu instid0(VALU_DEP_1) | instskip(SKIP_1) | instid1(VALU_DEP_2)
	v_dual_sub_f32 v33, v29, v32 :: v_dual_sub_f32 v30, v30, v31
	v_sub_f32_e32 v27, v27, v32
	v_dual_sub_f32 v25, v25, v33 :: v_dual_add_f32 v28, v30, v24
	s_delay_alu instid0(VALU_DEP_1) | instskip(NEXT) | instid1(VALU_DEP_2)
	v_add_f32_e32 v25, v27, v25
	v_sub_f32_e32 v27, v28, v30
	s_delay_alu instid0(VALU_DEP_2) | instskip(NEXT) | instid1(VALU_DEP_2)
	v_add_f32_e32 v25, v28, v25
	v_sub_f32_e32 v28, v28, v27
	s_delay_alu instid0(VALU_DEP_2) | instskip(NEXT) | instid1(VALU_DEP_1)
	v_dual_sub_f32 v24, v24, v27 :: v_dual_add_f32 v31, v29, v25
	v_dual_sub_f32 v28, v30, v28 :: v_dual_sub_f32 v27, v31, v29
	s_delay_alu instid0(VALU_DEP_1) | instskip(NEXT) | instid1(VALU_DEP_1)
	v_dual_add_f32 v24, v24, v28 :: v_dual_sub_f32 v25, v25, v27
	v_add_f32_e32 v24, v24, v25
	s_delay_alu instid0(VALU_DEP_1) | instskip(NEXT) | instid1(VALU_DEP_1)
	v_add_f32_e32 v24, v31, v24
	v_cndmask_b32_e32 v93, v24, v26, vcc_lo
.LBB57_42:                              ;   in Loop: Header=BB57_12 Depth=1
	s_or_b32 exec_lo, exec_lo, s16
	v_and_b32_e32 v24, 0xffff0000, v9
	s_delay_alu instid0(VALU_DEP_1) | instskip(NEXT) | instid1(VALU_DEP_1)
	v_add_f32_e32 v96, s57, v24
	v_cmp_ge_f32_e32 vcc_lo, 0x41a00000, v96
	s_and_b32 s14, s67, vcc_lo
	s_delay_alu instid0(SALU_CYCLE_1)
	s_and_saveexec_b32 s16, s14
	s_cbranch_execz .LBB57_44
; %bb.43:                               ;   in Loop: Header=BB57_12 Depth=1
	v_mul_f32_e32 v24, 0x3fb8aa3b, v96
	v_cmp_ngt_f32_e32 vcc_lo, 0xc2ce8ed0, v96
	s_delay_alu instid0(VALU_DEP_2) | instskip(SKIP_1) | instid1(VALU_DEP_2)
	v_rndne_f32_e32 v25, v24
	v_fma_f32 v26, 0x3fb8aa3b, v96, -v24
	v_sub_f32_e32 v24, v24, v25
	s_delay_alu instid0(VALU_DEP_2) | instskip(SKIP_1) | instid1(VALU_DEP_2)
	v_fmac_f32_e32 v26, 0x32a5705f, v96
	v_cvt_i32_f32_e32 v25, v25
	v_add_f32_e32 v24, v24, v26
	s_delay_alu instid0(VALU_DEP_1) | instskip(SKIP_2) | instid1(VALU_DEP_1)
	v_exp_f32_e32 v24, v24
	s_waitcnt_depctr 0xfff
	v_ldexp_f32 v24, v24, v25
	v_cndmask_b32_e32 v24, 0, v24, vcc_lo
	v_cmp_nlt_f32_e32 vcc_lo, 0x42b17218, v96
	s_delay_alu instid0(VALU_DEP_2) | instskip(NEXT) | instid1(VALU_DEP_1)
	v_cndmask_b32_e32 v26, 0x7f800000, v24, vcc_lo
	v_add_f32_e32 v27, 1.0, v26
	s_delay_alu instid0(VALU_DEP_1) | instskip(NEXT) | instid1(VALU_DEP_1)
	v_cvt_f64_f32_e32 v[24:25], v27
	v_frexp_exp_i32_f64_e32 v24, v[24:25]
	v_frexp_mant_f32_e32 v25, v27
	s_delay_alu instid0(VALU_DEP_1) | instskip(SKIP_1) | instid1(VALU_DEP_1)
	v_cmp_gt_f32_e32 vcc_lo, 0x3f2aaaab, v25
	v_add_f32_e32 v25, -1.0, v27
	v_sub_f32_e32 v29, v25, v27
	v_sub_f32_e32 v25, v26, v25
	s_delay_alu instid0(VALU_DEP_2) | instskip(NEXT) | instid1(VALU_DEP_1)
	v_add_f32_e32 v29, 1.0, v29
	v_add_f32_e32 v25, v25, v29
	v_cmp_gt_f32_e64 s14, 0x33800000, v26
	v_subrev_co_ci_u32_e32 v24, vcc_lo, 0, v24, vcc_lo
	v_cmp_eq_f32_e32 vcc_lo, 0x7f800000, v26
	s_delay_alu instid0(VALU_DEP_2) | instskip(SKIP_2) | instid1(VALU_DEP_2)
	v_sub_nc_u32_e32 v28, 0, v24
	v_cvt_f32_i32_e32 v24, v24
	s_or_b32 vcc_lo, s14, vcc_lo
	v_ldexp_f32 v27, v27, v28
	v_ldexp_f32 v25, v25, v28
	s_delay_alu instid0(VALU_DEP_2) | instskip(NEXT) | instid1(VALU_DEP_1)
	v_add_f32_e32 v30, 1.0, v27
	v_dual_add_f32 v28, -1.0, v27 :: v_dual_add_f32 v29, -1.0, v30
	s_delay_alu instid0(VALU_DEP_1) | instskip(NEXT) | instid1(VALU_DEP_2)
	v_add_f32_e32 v31, 1.0, v28
	v_sub_f32_e32 v29, v27, v29
	s_delay_alu instid0(VALU_DEP_2) | instskip(NEXT) | instid1(VALU_DEP_2)
	v_sub_f32_e32 v27, v27, v31
	v_add_f32_e32 v29, v25, v29
	s_delay_alu instid0(VALU_DEP_2) | instskip(NEXT) | instid1(VALU_DEP_1)
	v_add_f32_e32 v25, v25, v27
	v_add_f32_e32 v32, v28, v25
	s_delay_alu instid0(VALU_DEP_1) | instskip(NEXT) | instid1(VALU_DEP_1)
	v_dual_add_f32 v31, v30, v29 :: v_dual_sub_f32 v28, v28, v32
	v_rcp_f32_e32 v27, v31
	v_sub_f32_e32 v30, v30, v31
	s_delay_alu instid0(VALU_DEP_1) | instskip(SKIP_2) | instid1(VALU_DEP_1)
	v_add_f32_e32 v29, v29, v30
	s_waitcnt_depctr 0xfff
	v_mul_f32_e32 v33, v32, v27
	v_mul_f32_e32 v34, v31, v33
	s_delay_alu instid0(VALU_DEP_1) | instskip(NEXT) | instid1(VALU_DEP_1)
	v_fma_f32 v30, v33, v31, -v34
	v_fmac_f32_e32 v30, v33, v29
	s_delay_alu instid0(VALU_DEP_1) | instskip(NEXT) | instid1(VALU_DEP_1)
	v_add_f32_e32 v35, v34, v30
	v_sub_f32_e32 v36, v32, v35
	s_delay_alu instid0(VALU_DEP_1) | instskip(SKIP_1) | instid1(VALU_DEP_2)
	v_sub_f32_e32 v32, v32, v36
	v_dual_add_f32 v25, v25, v28 :: v_dual_sub_f32 v28, v35, v34
	v_sub_f32_e32 v32, v32, v35
	s_delay_alu instid0(VALU_DEP_1) | instskip(NEXT) | instid1(VALU_DEP_1)
	v_dual_sub_f32 v28, v28, v30 :: v_dual_add_f32 v25, v25, v32
	v_add_f32_e32 v25, v28, v25
	s_delay_alu instid0(VALU_DEP_1) | instskip(NEXT) | instid1(VALU_DEP_1)
	v_add_f32_e32 v28, v36, v25
	v_mul_f32_e32 v30, v27, v28
	s_delay_alu instid0(VALU_DEP_1) | instskip(NEXT) | instid1(VALU_DEP_1)
	v_dual_sub_f32 v35, v36, v28 :: v_dual_mul_f32 v32, v31, v30
	v_add_f32_e32 v25, v25, v35
	s_delay_alu instid0(VALU_DEP_2) | instskip(NEXT) | instid1(VALU_DEP_1)
	v_fma_f32 v31, v30, v31, -v32
	v_fmac_f32_e32 v31, v30, v29
	s_delay_alu instid0(VALU_DEP_1) | instskip(NEXT) | instid1(VALU_DEP_1)
	v_add_f32_e32 v29, v32, v31
	v_sub_f32_e32 v34, v28, v29
	s_delay_alu instid0(VALU_DEP_1) | instskip(NEXT) | instid1(VALU_DEP_1)
	v_sub_f32_e32 v28, v28, v34
	v_sub_f32_e32 v28, v28, v29
	s_delay_alu instid0(VALU_DEP_1) | instskip(SKIP_2) | instid1(VALU_DEP_1)
	v_add_f32_e32 v25, v25, v28
	v_add_f32_e32 v28, v33, v30
	v_sub_f32_e32 v32, v29, v32
	v_sub_f32_e32 v29, v32, v31
	s_delay_alu instid0(VALU_DEP_1) | instskip(NEXT) | instid1(VALU_DEP_4)
	v_add_f32_e32 v25, v29, v25
	v_sub_f32_e32 v29, v28, v33
	s_delay_alu instid0(VALU_DEP_2) | instskip(NEXT) | instid1(VALU_DEP_2)
	v_add_f32_e32 v25, v34, v25
	v_sub_f32_e32 v29, v30, v29
	s_delay_alu instid0(VALU_DEP_2) | instskip(NEXT) | instid1(VALU_DEP_1)
	v_mul_f32_e32 v25, v27, v25
	v_add_f32_e32 v25, v29, v25
	s_delay_alu instid0(VALU_DEP_1) | instskip(NEXT) | instid1(VALU_DEP_1)
	v_add_f32_e32 v27, v28, v25
	v_mul_f32_e32 v29, v27, v27
	s_delay_alu instid0(VALU_DEP_1) | instskip(SKIP_1) | instid1(VALU_DEP_2)
	v_fmaak_f32 v30, s54, v29, 0x3ecc95a3
	v_mul_f32_e32 v31, v27, v29
	v_fmaak_f32 v29, v29, v30, 0x3f2aaada
	v_ldexp_f32 v30, v27, 1
	s_delay_alu instid0(VALU_DEP_2) | instskip(SKIP_1) | instid1(VALU_DEP_2)
	v_mul_f32_e32 v29, v31, v29
	v_sub_f32_e32 v27, v27, v28
	v_dual_mul_f32 v31, 0x3f317218, v24 :: v_dual_add_f32 v28, v30, v29
	s_delay_alu instid0(VALU_DEP_2) | instskip(NEXT) | instid1(VALU_DEP_2)
	v_sub_f32_e32 v25, v25, v27
	v_sub_f32_e32 v27, v28, v30
	s_delay_alu instid0(VALU_DEP_3) | instskip(NEXT) | instid1(VALU_DEP_3)
	v_fma_f32 v30, 0x3f317218, v24, -v31
	v_ldexp_f32 v25, v25, 1
	s_delay_alu instid0(VALU_DEP_2) | instskip(NEXT) | instid1(VALU_DEP_1)
	v_dual_sub_f32 v27, v29, v27 :: v_dual_fmac_f32 v30, 0xb102e308, v24
	v_dual_add_f32 v24, v25, v27 :: v_dual_add_f32 v25, v31, v30
	s_delay_alu instid0(VALU_DEP_1) | instskip(NEXT) | instid1(VALU_DEP_1)
	v_add_f32_e32 v27, v28, v24
	v_dual_add_f32 v29, v25, v27 :: v_dual_sub_f32 v28, v27, v28
	s_delay_alu instid0(VALU_DEP_1) | instskip(NEXT) | instid1(VALU_DEP_2)
	v_sub_f32_e32 v32, v29, v25
	v_dual_sub_f32 v31, v25, v31 :: v_dual_sub_f32 v24, v24, v28
	s_delay_alu instid0(VALU_DEP_1) | instskip(SKIP_1) | instid1(VALU_DEP_2)
	v_dual_sub_f32 v33, v29, v32 :: v_dual_sub_f32 v30, v30, v31
	v_sub_f32_e32 v27, v27, v32
	v_dual_sub_f32 v25, v25, v33 :: v_dual_add_f32 v28, v30, v24
	s_delay_alu instid0(VALU_DEP_1) | instskip(NEXT) | instid1(VALU_DEP_2)
	v_add_f32_e32 v25, v27, v25
	v_sub_f32_e32 v27, v28, v30
	s_delay_alu instid0(VALU_DEP_2) | instskip(NEXT) | instid1(VALU_DEP_2)
	v_add_f32_e32 v25, v28, v25
	v_sub_f32_e32 v28, v28, v27
	s_delay_alu instid0(VALU_DEP_2) | instskip(NEXT) | instid1(VALU_DEP_1)
	v_dual_sub_f32 v24, v24, v27 :: v_dual_add_f32 v31, v29, v25
	v_dual_sub_f32 v28, v30, v28 :: v_dual_sub_f32 v27, v31, v29
	s_delay_alu instid0(VALU_DEP_1) | instskip(NEXT) | instid1(VALU_DEP_1)
	v_dual_add_f32 v24, v24, v28 :: v_dual_sub_f32 v25, v25, v27
	v_add_f32_e32 v24, v24, v25
	s_delay_alu instid0(VALU_DEP_1) | instskip(NEXT) | instid1(VALU_DEP_1)
	v_add_f32_e32 v24, v31, v24
	v_cndmask_b32_e32 v96, v24, v26, vcc_lo
.LBB57_44:                              ;   in Loop: Header=BB57_12 Depth=1
	s_or_b32 exec_lo, exec_lo, s16
	v_lshlrev_b32_e32 v24, 16, v10
	s_delay_alu instid0(VALU_DEP_1) | instskip(NEXT) | instid1(VALU_DEP_1)
	v_add_f32_e32 v101, s57, v24
	v_cmp_ge_f32_e32 vcc_lo, 0x41a00000, v101
	s_and_b32 s14, s67, vcc_lo
	s_delay_alu instid0(SALU_CYCLE_1)
	s_and_saveexec_b32 s16, s14
	s_cbranch_execz .LBB57_46
; %bb.45:                               ;   in Loop: Header=BB57_12 Depth=1
	v_mul_f32_e32 v24, 0x3fb8aa3b, v101
	v_cmp_ngt_f32_e32 vcc_lo, 0xc2ce8ed0, v101
	s_delay_alu instid0(VALU_DEP_2) | instskip(SKIP_1) | instid1(VALU_DEP_2)
	v_rndne_f32_e32 v25, v24
	v_fma_f32 v26, 0x3fb8aa3b, v101, -v24
	v_sub_f32_e32 v24, v24, v25
	s_delay_alu instid0(VALU_DEP_2) | instskip(SKIP_1) | instid1(VALU_DEP_2)
	v_fmac_f32_e32 v26, 0x32a5705f, v101
	v_cvt_i32_f32_e32 v25, v25
	v_add_f32_e32 v24, v24, v26
	s_delay_alu instid0(VALU_DEP_1) | instskip(SKIP_2) | instid1(VALU_DEP_1)
	v_exp_f32_e32 v24, v24
	s_waitcnt_depctr 0xfff
	v_ldexp_f32 v24, v24, v25
	v_cndmask_b32_e32 v24, 0, v24, vcc_lo
	v_cmp_nlt_f32_e32 vcc_lo, 0x42b17218, v101
	s_delay_alu instid0(VALU_DEP_2) | instskip(NEXT) | instid1(VALU_DEP_1)
	v_cndmask_b32_e32 v26, 0x7f800000, v24, vcc_lo
	v_add_f32_e32 v27, 1.0, v26
	s_delay_alu instid0(VALU_DEP_1) | instskip(NEXT) | instid1(VALU_DEP_1)
	v_cvt_f64_f32_e32 v[24:25], v27
	v_frexp_exp_i32_f64_e32 v24, v[24:25]
	v_frexp_mant_f32_e32 v25, v27
	s_delay_alu instid0(VALU_DEP_1) | instskip(SKIP_1) | instid1(VALU_DEP_1)
	v_cmp_gt_f32_e32 vcc_lo, 0x3f2aaaab, v25
	v_add_f32_e32 v25, -1.0, v27
	v_sub_f32_e32 v29, v25, v27
	v_sub_f32_e32 v25, v26, v25
	s_delay_alu instid0(VALU_DEP_2) | instskip(NEXT) | instid1(VALU_DEP_1)
	v_add_f32_e32 v29, 1.0, v29
	v_add_f32_e32 v25, v25, v29
	v_cmp_gt_f32_e64 s14, 0x33800000, v26
	v_subrev_co_ci_u32_e32 v24, vcc_lo, 0, v24, vcc_lo
	v_cmp_eq_f32_e32 vcc_lo, 0x7f800000, v26
	s_delay_alu instid0(VALU_DEP_2) | instskip(SKIP_2) | instid1(VALU_DEP_2)
	v_sub_nc_u32_e32 v28, 0, v24
	v_cvt_f32_i32_e32 v24, v24
	s_or_b32 vcc_lo, s14, vcc_lo
	v_ldexp_f32 v27, v27, v28
	v_ldexp_f32 v25, v25, v28
	s_delay_alu instid0(VALU_DEP_2) | instskip(NEXT) | instid1(VALU_DEP_1)
	v_add_f32_e32 v30, 1.0, v27
	v_dual_add_f32 v28, -1.0, v27 :: v_dual_add_f32 v29, -1.0, v30
	s_delay_alu instid0(VALU_DEP_1) | instskip(NEXT) | instid1(VALU_DEP_2)
	v_add_f32_e32 v31, 1.0, v28
	v_sub_f32_e32 v29, v27, v29
	s_delay_alu instid0(VALU_DEP_2) | instskip(NEXT) | instid1(VALU_DEP_2)
	v_sub_f32_e32 v27, v27, v31
	v_add_f32_e32 v29, v25, v29
	s_delay_alu instid0(VALU_DEP_2) | instskip(NEXT) | instid1(VALU_DEP_1)
	v_add_f32_e32 v25, v25, v27
	v_add_f32_e32 v32, v28, v25
	s_delay_alu instid0(VALU_DEP_1) | instskip(NEXT) | instid1(VALU_DEP_1)
	v_dual_add_f32 v31, v30, v29 :: v_dual_sub_f32 v28, v28, v32
	v_rcp_f32_e32 v27, v31
	v_sub_f32_e32 v30, v30, v31
	s_delay_alu instid0(VALU_DEP_1) | instskip(SKIP_2) | instid1(VALU_DEP_1)
	v_add_f32_e32 v29, v29, v30
	s_waitcnt_depctr 0xfff
	v_mul_f32_e32 v33, v32, v27
	v_mul_f32_e32 v34, v31, v33
	s_delay_alu instid0(VALU_DEP_1) | instskip(NEXT) | instid1(VALU_DEP_1)
	v_fma_f32 v30, v33, v31, -v34
	v_fmac_f32_e32 v30, v33, v29
	s_delay_alu instid0(VALU_DEP_1) | instskip(NEXT) | instid1(VALU_DEP_1)
	v_add_f32_e32 v35, v34, v30
	v_sub_f32_e32 v36, v32, v35
	s_delay_alu instid0(VALU_DEP_1) | instskip(SKIP_1) | instid1(VALU_DEP_2)
	v_sub_f32_e32 v32, v32, v36
	v_dual_add_f32 v25, v25, v28 :: v_dual_sub_f32 v28, v35, v34
	v_sub_f32_e32 v32, v32, v35
	s_delay_alu instid0(VALU_DEP_1) | instskip(NEXT) | instid1(VALU_DEP_1)
	v_dual_sub_f32 v28, v28, v30 :: v_dual_add_f32 v25, v25, v32
	v_add_f32_e32 v25, v28, v25
	s_delay_alu instid0(VALU_DEP_1) | instskip(NEXT) | instid1(VALU_DEP_1)
	v_add_f32_e32 v28, v36, v25
	v_mul_f32_e32 v30, v27, v28
	s_delay_alu instid0(VALU_DEP_1) | instskip(NEXT) | instid1(VALU_DEP_1)
	v_dual_sub_f32 v35, v36, v28 :: v_dual_mul_f32 v32, v31, v30
	v_add_f32_e32 v25, v25, v35
	s_delay_alu instid0(VALU_DEP_2) | instskip(NEXT) | instid1(VALU_DEP_1)
	v_fma_f32 v31, v30, v31, -v32
	v_fmac_f32_e32 v31, v30, v29
	s_delay_alu instid0(VALU_DEP_1) | instskip(NEXT) | instid1(VALU_DEP_1)
	v_add_f32_e32 v29, v32, v31
	v_sub_f32_e32 v34, v28, v29
	s_delay_alu instid0(VALU_DEP_1) | instskip(NEXT) | instid1(VALU_DEP_1)
	v_sub_f32_e32 v28, v28, v34
	v_sub_f32_e32 v28, v28, v29
	s_delay_alu instid0(VALU_DEP_1) | instskip(SKIP_2) | instid1(VALU_DEP_1)
	v_add_f32_e32 v25, v25, v28
	v_add_f32_e32 v28, v33, v30
	v_sub_f32_e32 v32, v29, v32
	v_sub_f32_e32 v29, v32, v31
	s_delay_alu instid0(VALU_DEP_1) | instskip(NEXT) | instid1(VALU_DEP_4)
	v_add_f32_e32 v25, v29, v25
	v_sub_f32_e32 v29, v28, v33
	s_delay_alu instid0(VALU_DEP_2) | instskip(NEXT) | instid1(VALU_DEP_2)
	v_add_f32_e32 v25, v34, v25
	v_sub_f32_e32 v29, v30, v29
	s_delay_alu instid0(VALU_DEP_2) | instskip(NEXT) | instid1(VALU_DEP_1)
	v_mul_f32_e32 v25, v27, v25
	v_add_f32_e32 v25, v29, v25
	s_delay_alu instid0(VALU_DEP_1) | instskip(NEXT) | instid1(VALU_DEP_1)
	v_add_f32_e32 v27, v28, v25
	v_mul_f32_e32 v29, v27, v27
	s_delay_alu instid0(VALU_DEP_1) | instskip(SKIP_1) | instid1(VALU_DEP_2)
	v_fmaak_f32 v30, s54, v29, 0x3ecc95a3
	v_mul_f32_e32 v31, v27, v29
	v_fmaak_f32 v29, v29, v30, 0x3f2aaada
	v_ldexp_f32 v30, v27, 1
	s_delay_alu instid0(VALU_DEP_2) | instskip(SKIP_1) | instid1(VALU_DEP_2)
	v_mul_f32_e32 v29, v31, v29
	v_sub_f32_e32 v27, v27, v28
	v_dual_mul_f32 v31, 0x3f317218, v24 :: v_dual_add_f32 v28, v30, v29
	s_delay_alu instid0(VALU_DEP_2) | instskip(NEXT) | instid1(VALU_DEP_2)
	v_sub_f32_e32 v25, v25, v27
	v_sub_f32_e32 v27, v28, v30
	s_delay_alu instid0(VALU_DEP_3) | instskip(NEXT) | instid1(VALU_DEP_3)
	v_fma_f32 v30, 0x3f317218, v24, -v31
	v_ldexp_f32 v25, v25, 1
	s_delay_alu instid0(VALU_DEP_2) | instskip(NEXT) | instid1(VALU_DEP_1)
	v_dual_sub_f32 v27, v29, v27 :: v_dual_fmac_f32 v30, 0xb102e308, v24
	v_dual_add_f32 v24, v25, v27 :: v_dual_add_f32 v25, v31, v30
	s_delay_alu instid0(VALU_DEP_1) | instskip(NEXT) | instid1(VALU_DEP_1)
	v_add_f32_e32 v27, v28, v24
	v_dual_add_f32 v29, v25, v27 :: v_dual_sub_f32 v28, v27, v28
	s_delay_alu instid0(VALU_DEP_1) | instskip(NEXT) | instid1(VALU_DEP_2)
	v_sub_f32_e32 v32, v29, v25
	v_dual_sub_f32 v31, v25, v31 :: v_dual_sub_f32 v24, v24, v28
	s_delay_alu instid0(VALU_DEP_1) | instskip(SKIP_1) | instid1(VALU_DEP_2)
	v_dual_sub_f32 v33, v29, v32 :: v_dual_sub_f32 v30, v30, v31
	v_sub_f32_e32 v27, v27, v32
	v_dual_sub_f32 v25, v25, v33 :: v_dual_add_f32 v28, v30, v24
	s_delay_alu instid0(VALU_DEP_1) | instskip(NEXT) | instid1(VALU_DEP_2)
	v_add_f32_e32 v25, v27, v25
	v_sub_f32_e32 v27, v28, v30
	s_delay_alu instid0(VALU_DEP_2) | instskip(NEXT) | instid1(VALU_DEP_2)
	v_add_f32_e32 v25, v28, v25
	v_sub_f32_e32 v28, v28, v27
	s_delay_alu instid0(VALU_DEP_2) | instskip(NEXT) | instid1(VALU_DEP_1)
	v_dual_sub_f32 v24, v24, v27 :: v_dual_add_f32 v31, v29, v25
	v_dual_sub_f32 v28, v30, v28 :: v_dual_sub_f32 v27, v31, v29
	s_delay_alu instid0(VALU_DEP_1) | instskip(NEXT) | instid1(VALU_DEP_1)
	v_dual_add_f32 v24, v24, v28 :: v_dual_sub_f32 v25, v25, v27
	v_add_f32_e32 v24, v24, v25
	s_delay_alu instid0(VALU_DEP_1) | instskip(NEXT) | instid1(VALU_DEP_1)
	v_add_f32_e32 v24, v31, v24
	v_cndmask_b32_e32 v101, v24, v26, vcc_lo
.LBB57_46:                              ;   in Loop: Header=BB57_12 Depth=1
	s_or_b32 exec_lo, exec_lo, s16
	v_and_b32_e32 v24, 0xffff0000, v10
	s_delay_alu instid0(VALU_DEP_1) | instskip(NEXT) | instid1(VALU_DEP_1)
	v_add_f32_e32 v104, s57, v24
	v_cmp_ge_f32_e32 vcc_lo, 0x41a00000, v104
	s_and_b32 s14, s67, vcc_lo
	s_delay_alu instid0(SALU_CYCLE_1)
	s_and_saveexec_b32 s16, s14
	s_cbranch_execz .LBB57_48
; %bb.47:                               ;   in Loop: Header=BB57_12 Depth=1
	v_mul_f32_e32 v24, 0x3fb8aa3b, v104
	v_cmp_ngt_f32_e32 vcc_lo, 0xc2ce8ed0, v104
	s_delay_alu instid0(VALU_DEP_2) | instskip(SKIP_1) | instid1(VALU_DEP_2)
	v_rndne_f32_e32 v25, v24
	v_fma_f32 v26, 0x3fb8aa3b, v104, -v24
	v_sub_f32_e32 v24, v24, v25
	s_delay_alu instid0(VALU_DEP_2) | instskip(SKIP_1) | instid1(VALU_DEP_2)
	v_fmac_f32_e32 v26, 0x32a5705f, v104
	v_cvt_i32_f32_e32 v25, v25
	v_add_f32_e32 v24, v24, v26
	s_delay_alu instid0(VALU_DEP_1) | instskip(SKIP_2) | instid1(VALU_DEP_1)
	v_exp_f32_e32 v24, v24
	s_waitcnt_depctr 0xfff
	v_ldexp_f32 v24, v24, v25
	v_cndmask_b32_e32 v24, 0, v24, vcc_lo
	v_cmp_nlt_f32_e32 vcc_lo, 0x42b17218, v104
	s_delay_alu instid0(VALU_DEP_2) | instskip(NEXT) | instid1(VALU_DEP_1)
	v_cndmask_b32_e32 v26, 0x7f800000, v24, vcc_lo
	v_add_f32_e32 v27, 1.0, v26
	s_delay_alu instid0(VALU_DEP_1) | instskip(NEXT) | instid1(VALU_DEP_1)
	v_cvt_f64_f32_e32 v[24:25], v27
	v_frexp_exp_i32_f64_e32 v24, v[24:25]
	v_frexp_mant_f32_e32 v25, v27
	s_delay_alu instid0(VALU_DEP_1) | instskip(SKIP_1) | instid1(VALU_DEP_1)
	v_cmp_gt_f32_e32 vcc_lo, 0x3f2aaaab, v25
	v_add_f32_e32 v25, -1.0, v27
	v_sub_f32_e32 v29, v25, v27
	v_sub_f32_e32 v25, v26, v25
	s_delay_alu instid0(VALU_DEP_2) | instskip(NEXT) | instid1(VALU_DEP_1)
	v_add_f32_e32 v29, 1.0, v29
	v_add_f32_e32 v25, v25, v29
	v_cmp_gt_f32_e64 s14, 0x33800000, v26
	v_subrev_co_ci_u32_e32 v24, vcc_lo, 0, v24, vcc_lo
	v_cmp_eq_f32_e32 vcc_lo, 0x7f800000, v26
	s_delay_alu instid0(VALU_DEP_2) | instskip(SKIP_2) | instid1(VALU_DEP_2)
	v_sub_nc_u32_e32 v28, 0, v24
	v_cvt_f32_i32_e32 v24, v24
	s_or_b32 vcc_lo, s14, vcc_lo
	v_ldexp_f32 v27, v27, v28
	v_ldexp_f32 v25, v25, v28
	s_delay_alu instid0(VALU_DEP_2) | instskip(NEXT) | instid1(VALU_DEP_1)
	v_add_f32_e32 v30, 1.0, v27
	v_dual_add_f32 v28, -1.0, v27 :: v_dual_add_f32 v29, -1.0, v30
	s_delay_alu instid0(VALU_DEP_1) | instskip(NEXT) | instid1(VALU_DEP_2)
	v_add_f32_e32 v31, 1.0, v28
	v_sub_f32_e32 v29, v27, v29
	s_delay_alu instid0(VALU_DEP_2) | instskip(NEXT) | instid1(VALU_DEP_2)
	v_sub_f32_e32 v27, v27, v31
	v_add_f32_e32 v29, v25, v29
	s_delay_alu instid0(VALU_DEP_2) | instskip(NEXT) | instid1(VALU_DEP_1)
	v_add_f32_e32 v25, v25, v27
	v_add_f32_e32 v32, v28, v25
	s_delay_alu instid0(VALU_DEP_1) | instskip(NEXT) | instid1(VALU_DEP_1)
	v_dual_add_f32 v31, v30, v29 :: v_dual_sub_f32 v28, v28, v32
	v_rcp_f32_e32 v27, v31
	v_sub_f32_e32 v30, v30, v31
	s_delay_alu instid0(VALU_DEP_1) | instskip(SKIP_2) | instid1(VALU_DEP_1)
	v_add_f32_e32 v29, v29, v30
	s_waitcnt_depctr 0xfff
	v_mul_f32_e32 v33, v32, v27
	v_mul_f32_e32 v34, v31, v33
	s_delay_alu instid0(VALU_DEP_1) | instskip(NEXT) | instid1(VALU_DEP_1)
	v_fma_f32 v30, v33, v31, -v34
	v_fmac_f32_e32 v30, v33, v29
	s_delay_alu instid0(VALU_DEP_1) | instskip(NEXT) | instid1(VALU_DEP_1)
	v_add_f32_e32 v35, v34, v30
	v_sub_f32_e32 v36, v32, v35
	s_delay_alu instid0(VALU_DEP_1) | instskip(SKIP_1) | instid1(VALU_DEP_2)
	v_sub_f32_e32 v32, v32, v36
	v_dual_add_f32 v25, v25, v28 :: v_dual_sub_f32 v28, v35, v34
	v_sub_f32_e32 v32, v32, v35
	s_delay_alu instid0(VALU_DEP_1) | instskip(NEXT) | instid1(VALU_DEP_1)
	v_dual_sub_f32 v28, v28, v30 :: v_dual_add_f32 v25, v25, v32
	v_add_f32_e32 v25, v28, v25
	s_delay_alu instid0(VALU_DEP_1) | instskip(NEXT) | instid1(VALU_DEP_1)
	v_add_f32_e32 v28, v36, v25
	v_mul_f32_e32 v30, v27, v28
	s_delay_alu instid0(VALU_DEP_1) | instskip(NEXT) | instid1(VALU_DEP_1)
	v_dual_sub_f32 v35, v36, v28 :: v_dual_mul_f32 v32, v31, v30
	v_add_f32_e32 v25, v25, v35
	s_delay_alu instid0(VALU_DEP_2) | instskip(NEXT) | instid1(VALU_DEP_1)
	v_fma_f32 v31, v30, v31, -v32
	v_fmac_f32_e32 v31, v30, v29
	s_delay_alu instid0(VALU_DEP_1) | instskip(NEXT) | instid1(VALU_DEP_1)
	v_add_f32_e32 v29, v32, v31
	v_sub_f32_e32 v34, v28, v29
	s_delay_alu instid0(VALU_DEP_1) | instskip(NEXT) | instid1(VALU_DEP_1)
	v_sub_f32_e32 v28, v28, v34
	v_sub_f32_e32 v28, v28, v29
	s_delay_alu instid0(VALU_DEP_1) | instskip(SKIP_2) | instid1(VALU_DEP_1)
	v_add_f32_e32 v25, v25, v28
	v_add_f32_e32 v28, v33, v30
	v_sub_f32_e32 v32, v29, v32
	v_sub_f32_e32 v29, v32, v31
	s_delay_alu instid0(VALU_DEP_1) | instskip(NEXT) | instid1(VALU_DEP_4)
	v_add_f32_e32 v25, v29, v25
	v_sub_f32_e32 v29, v28, v33
	s_delay_alu instid0(VALU_DEP_2) | instskip(NEXT) | instid1(VALU_DEP_2)
	v_add_f32_e32 v25, v34, v25
	v_sub_f32_e32 v29, v30, v29
	s_delay_alu instid0(VALU_DEP_2) | instskip(NEXT) | instid1(VALU_DEP_1)
	v_mul_f32_e32 v25, v27, v25
	v_add_f32_e32 v25, v29, v25
	s_delay_alu instid0(VALU_DEP_1) | instskip(NEXT) | instid1(VALU_DEP_1)
	v_add_f32_e32 v27, v28, v25
	v_mul_f32_e32 v29, v27, v27
	s_delay_alu instid0(VALU_DEP_1) | instskip(SKIP_1) | instid1(VALU_DEP_2)
	v_fmaak_f32 v30, s54, v29, 0x3ecc95a3
	v_mul_f32_e32 v31, v27, v29
	v_fmaak_f32 v29, v29, v30, 0x3f2aaada
	v_ldexp_f32 v30, v27, 1
	s_delay_alu instid0(VALU_DEP_2) | instskip(SKIP_1) | instid1(VALU_DEP_2)
	v_mul_f32_e32 v29, v31, v29
	v_sub_f32_e32 v27, v27, v28
	v_dual_mul_f32 v31, 0x3f317218, v24 :: v_dual_add_f32 v28, v30, v29
	s_delay_alu instid0(VALU_DEP_2) | instskip(NEXT) | instid1(VALU_DEP_2)
	v_sub_f32_e32 v25, v25, v27
	v_sub_f32_e32 v27, v28, v30
	s_delay_alu instid0(VALU_DEP_3) | instskip(NEXT) | instid1(VALU_DEP_3)
	v_fma_f32 v30, 0x3f317218, v24, -v31
	v_ldexp_f32 v25, v25, 1
	s_delay_alu instid0(VALU_DEP_2) | instskip(NEXT) | instid1(VALU_DEP_1)
	v_dual_sub_f32 v27, v29, v27 :: v_dual_fmac_f32 v30, 0xb102e308, v24
	v_dual_add_f32 v24, v25, v27 :: v_dual_add_f32 v25, v31, v30
	s_delay_alu instid0(VALU_DEP_1) | instskip(NEXT) | instid1(VALU_DEP_1)
	v_add_f32_e32 v27, v28, v24
	v_dual_add_f32 v29, v25, v27 :: v_dual_sub_f32 v28, v27, v28
	s_delay_alu instid0(VALU_DEP_1) | instskip(NEXT) | instid1(VALU_DEP_2)
	v_sub_f32_e32 v32, v29, v25
	v_dual_sub_f32 v31, v25, v31 :: v_dual_sub_f32 v24, v24, v28
	s_delay_alu instid0(VALU_DEP_1) | instskip(SKIP_1) | instid1(VALU_DEP_2)
	v_dual_sub_f32 v33, v29, v32 :: v_dual_sub_f32 v30, v30, v31
	v_sub_f32_e32 v27, v27, v32
	v_dual_sub_f32 v25, v25, v33 :: v_dual_add_f32 v28, v30, v24
	s_delay_alu instid0(VALU_DEP_1) | instskip(NEXT) | instid1(VALU_DEP_2)
	v_add_f32_e32 v25, v27, v25
	v_sub_f32_e32 v27, v28, v30
	s_delay_alu instid0(VALU_DEP_2) | instskip(NEXT) | instid1(VALU_DEP_2)
	v_add_f32_e32 v25, v28, v25
	v_sub_f32_e32 v28, v28, v27
	s_delay_alu instid0(VALU_DEP_2) | instskip(NEXT) | instid1(VALU_DEP_1)
	v_dual_sub_f32 v24, v24, v27 :: v_dual_add_f32 v31, v29, v25
	v_dual_sub_f32 v28, v30, v28 :: v_dual_sub_f32 v27, v31, v29
	s_delay_alu instid0(VALU_DEP_1) | instskip(NEXT) | instid1(VALU_DEP_1)
	v_dual_add_f32 v24, v24, v28 :: v_dual_sub_f32 v25, v25, v27
	v_add_f32_e32 v24, v24, v25
	s_delay_alu instid0(VALU_DEP_1) | instskip(NEXT) | instid1(VALU_DEP_1)
	v_add_f32_e32 v24, v31, v24
	v_cndmask_b32_e32 v104, v24, v26, vcc_lo
.LBB57_48:                              ;   in Loop: Header=BB57_12 Depth=1
	s_or_b32 exec_lo, exec_lo, s16
	v_lshlrev_b32_e32 v24, 16, v11
	s_delay_alu instid0(VALU_DEP_1) | instskip(NEXT) | instid1(VALU_DEP_1)
	v_add_f32_e32 v105, s57, v24
	v_cmp_ge_f32_e32 vcc_lo, 0x41a00000, v105
	s_and_b32 s14, s67, vcc_lo
	s_delay_alu instid0(SALU_CYCLE_1)
	s_and_saveexec_b32 s16, s14
	s_cbranch_execz .LBB57_50
; %bb.49:                               ;   in Loop: Header=BB57_12 Depth=1
	v_mul_f32_e32 v24, 0x3fb8aa3b, v105
	v_cmp_ngt_f32_e32 vcc_lo, 0xc2ce8ed0, v105
	s_delay_alu instid0(VALU_DEP_2) | instskip(SKIP_1) | instid1(VALU_DEP_2)
	v_rndne_f32_e32 v25, v24
	v_fma_f32 v26, 0x3fb8aa3b, v105, -v24
	v_sub_f32_e32 v24, v24, v25
	s_delay_alu instid0(VALU_DEP_2) | instskip(SKIP_1) | instid1(VALU_DEP_2)
	v_fmac_f32_e32 v26, 0x32a5705f, v105
	v_cvt_i32_f32_e32 v25, v25
	v_add_f32_e32 v24, v24, v26
	s_delay_alu instid0(VALU_DEP_1) | instskip(SKIP_2) | instid1(VALU_DEP_1)
	v_exp_f32_e32 v24, v24
	s_waitcnt_depctr 0xfff
	v_ldexp_f32 v24, v24, v25
	v_cndmask_b32_e32 v24, 0, v24, vcc_lo
	v_cmp_nlt_f32_e32 vcc_lo, 0x42b17218, v105
	s_delay_alu instid0(VALU_DEP_2) | instskip(NEXT) | instid1(VALU_DEP_1)
	v_cndmask_b32_e32 v26, 0x7f800000, v24, vcc_lo
	v_add_f32_e32 v27, 1.0, v26
	s_delay_alu instid0(VALU_DEP_1) | instskip(NEXT) | instid1(VALU_DEP_1)
	v_cvt_f64_f32_e32 v[24:25], v27
	v_frexp_exp_i32_f64_e32 v24, v[24:25]
	v_frexp_mant_f32_e32 v25, v27
	s_delay_alu instid0(VALU_DEP_1) | instskip(SKIP_1) | instid1(VALU_DEP_1)
	v_cmp_gt_f32_e32 vcc_lo, 0x3f2aaaab, v25
	v_add_f32_e32 v25, -1.0, v27
	v_sub_f32_e32 v29, v25, v27
	v_sub_f32_e32 v25, v26, v25
	s_delay_alu instid0(VALU_DEP_2) | instskip(NEXT) | instid1(VALU_DEP_1)
	v_add_f32_e32 v29, 1.0, v29
	v_add_f32_e32 v25, v25, v29
	v_cmp_gt_f32_e64 s14, 0x33800000, v26
	v_subrev_co_ci_u32_e32 v24, vcc_lo, 0, v24, vcc_lo
	v_cmp_eq_f32_e32 vcc_lo, 0x7f800000, v26
	s_delay_alu instid0(VALU_DEP_2) | instskip(SKIP_2) | instid1(VALU_DEP_2)
	v_sub_nc_u32_e32 v28, 0, v24
	v_cvt_f32_i32_e32 v24, v24
	s_or_b32 vcc_lo, s14, vcc_lo
	v_ldexp_f32 v27, v27, v28
	v_ldexp_f32 v25, v25, v28
	s_delay_alu instid0(VALU_DEP_2) | instskip(NEXT) | instid1(VALU_DEP_1)
	v_add_f32_e32 v30, 1.0, v27
	v_dual_add_f32 v28, -1.0, v27 :: v_dual_add_f32 v29, -1.0, v30
	s_delay_alu instid0(VALU_DEP_1) | instskip(NEXT) | instid1(VALU_DEP_2)
	v_add_f32_e32 v31, 1.0, v28
	v_sub_f32_e32 v29, v27, v29
	s_delay_alu instid0(VALU_DEP_2) | instskip(NEXT) | instid1(VALU_DEP_2)
	v_sub_f32_e32 v27, v27, v31
	v_add_f32_e32 v29, v25, v29
	s_delay_alu instid0(VALU_DEP_2) | instskip(NEXT) | instid1(VALU_DEP_1)
	v_add_f32_e32 v25, v25, v27
	v_add_f32_e32 v32, v28, v25
	s_delay_alu instid0(VALU_DEP_1) | instskip(NEXT) | instid1(VALU_DEP_1)
	v_dual_add_f32 v31, v30, v29 :: v_dual_sub_f32 v28, v28, v32
	v_rcp_f32_e32 v27, v31
	v_sub_f32_e32 v30, v30, v31
	s_delay_alu instid0(VALU_DEP_1) | instskip(SKIP_2) | instid1(VALU_DEP_1)
	v_add_f32_e32 v29, v29, v30
	s_waitcnt_depctr 0xfff
	v_mul_f32_e32 v33, v32, v27
	v_mul_f32_e32 v34, v31, v33
	s_delay_alu instid0(VALU_DEP_1) | instskip(NEXT) | instid1(VALU_DEP_1)
	v_fma_f32 v30, v33, v31, -v34
	v_fmac_f32_e32 v30, v33, v29
	s_delay_alu instid0(VALU_DEP_1) | instskip(NEXT) | instid1(VALU_DEP_1)
	v_add_f32_e32 v35, v34, v30
	v_sub_f32_e32 v36, v32, v35
	s_delay_alu instid0(VALU_DEP_1) | instskip(SKIP_1) | instid1(VALU_DEP_2)
	v_sub_f32_e32 v32, v32, v36
	v_dual_add_f32 v25, v25, v28 :: v_dual_sub_f32 v28, v35, v34
	v_sub_f32_e32 v32, v32, v35
	s_delay_alu instid0(VALU_DEP_1) | instskip(NEXT) | instid1(VALU_DEP_1)
	v_dual_sub_f32 v28, v28, v30 :: v_dual_add_f32 v25, v25, v32
	v_add_f32_e32 v25, v28, v25
	s_delay_alu instid0(VALU_DEP_1) | instskip(NEXT) | instid1(VALU_DEP_1)
	v_add_f32_e32 v28, v36, v25
	v_mul_f32_e32 v30, v27, v28
	s_delay_alu instid0(VALU_DEP_1) | instskip(NEXT) | instid1(VALU_DEP_1)
	v_dual_sub_f32 v35, v36, v28 :: v_dual_mul_f32 v32, v31, v30
	v_add_f32_e32 v25, v25, v35
	s_delay_alu instid0(VALU_DEP_2) | instskip(NEXT) | instid1(VALU_DEP_1)
	v_fma_f32 v31, v30, v31, -v32
	v_fmac_f32_e32 v31, v30, v29
	s_delay_alu instid0(VALU_DEP_1) | instskip(NEXT) | instid1(VALU_DEP_1)
	v_add_f32_e32 v29, v32, v31
	v_sub_f32_e32 v34, v28, v29
	s_delay_alu instid0(VALU_DEP_1) | instskip(NEXT) | instid1(VALU_DEP_1)
	v_sub_f32_e32 v28, v28, v34
	v_sub_f32_e32 v28, v28, v29
	s_delay_alu instid0(VALU_DEP_1) | instskip(SKIP_2) | instid1(VALU_DEP_1)
	v_add_f32_e32 v25, v25, v28
	v_add_f32_e32 v28, v33, v30
	v_sub_f32_e32 v32, v29, v32
	v_sub_f32_e32 v29, v32, v31
	s_delay_alu instid0(VALU_DEP_1) | instskip(NEXT) | instid1(VALU_DEP_4)
	v_add_f32_e32 v25, v29, v25
	v_sub_f32_e32 v29, v28, v33
	s_delay_alu instid0(VALU_DEP_2) | instskip(NEXT) | instid1(VALU_DEP_2)
	v_add_f32_e32 v25, v34, v25
	v_sub_f32_e32 v29, v30, v29
	s_delay_alu instid0(VALU_DEP_2) | instskip(NEXT) | instid1(VALU_DEP_1)
	v_mul_f32_e32 v25, v27, v25
	v_add_f32_e32 v25, v29, v25
	s_delay_alu instid0(VALU_DEP_1) | instskip(NEXT) | instid1(VALU_DEP_1)
	v_add_f32_e32 v27, v28, v25
	v_mul_f32_e32 v29, v27, v27
	s_delay_alu instid0(VALU_DEP_1) | instskip(SKIP_1) | instid1(VALU_DEP_2)
	v_fmaak_f32 v30, s54, v29, 0x3ecc95a3
	v_mul_f32_e32 v31, v27, v29
	v_fmaak_f32 v29, v29, v30, 0x3f2aaada
	v_ldexp_f32 v30, v27, 1
	s_delay_alu instid0(VALU_DEP_2) | instskip(SKIP_1) | instid1(VALU_DEP_2)
	v_mul_f32_e32 v29, v31, v29
	v_sub_f32_e32 v27, v27, v28
	v_dual_mul_f32 v31, 0x3f317218, v24 :: v_dual_add_f32 v28, v30, v29
	s_delay_alu instid0(VALU_DEP_2) | instskip(NEXT) | instid1(VALU_DEP_2)
	v_sub_f32_e32 v25, v25, v27
	v_sub_f32_e32 v27, v28, v30
	s_delay_alu instid0(VALU_DEP_3) | instskip(NEXT) | instid1(VALU_DEP_3)
	v_fma_f32 v30, 0x3f317218, v24, -v31
	v_ldexp_f32 v25, v25, 1
	s_delay_alu instid0(VALU_DEP_2) | instskip(NEXT) | instid1(VALU_DEP_1)
	v_dual_sub_f32 v27, v29, v27 :: v_dual_fmac_f32 v30, 0xb102e308, v24
	v_dual_add_f32 v24, v25, v27 :: v_dual_add_f32 v25, v31, v30
	s_delay_alu instid0(VALU_DEP_1) | instskip(NEXT) | instid1(VALU_DEP_1)
	v_add_f32_e32 v27, v28, v24
	v_dual_add_f32 v29, v25, v27 :: v_dual_sub_f32 v28, v27, v28
	s_delay_alu instid0(VALU_DEP_1) | instskip(NEXT) | instid1(VALU_DEP_2)
	v_sub_f32_e32 v32, v29, v25
	v_dual_sub_f32 v31, v25, v31 :: v_dual_sub_f32 v24, v24, v28
	s_delay_alu instid0(VALU_DEP_1) | instskip(SKIP_1) | instid1(VALU_DEP_2)
	v_dual_sub_f32 v33, v29, v32 :: v_dual_sub_f32 v30, v30, v31
	v_sub_f32_e32 v27, v27, v32
	v_dual_sub_f32 v25, v25, v33 :: v_dual_add_f32 v28, v30, v24
	s_delay_alu instid0(VALU_DEP_1) | instskip(NEXT) | instid1(VALU_DEP_2)
	v_add_f32_e32 v25, v27, v25
	v_sub_f32_e32 v27, v28, v30
	s_delay_alu instid0(VALU_DEP_2) | instskip(NEXT) | instid1(VALU_DEP_2)
	v_add_f32_e32 v25, v28, v25
	v_sub_f32_e32 v28, v28, v27
	s_delay_alu instid0(VALU_DEP_2) | instskip(NEXT) | instid1(VALU_DEP_1)
	v_dual_sub_f32 v24, v24, v27 :: v_dual_add_f32 v31, v29, v25
	v_dual_sub_f32 v28, v30, v28 :: v_dual_sub_f32 v27, v31, v29
	s_delay_alu instid0(VALU_DEP_1) | instskip(NEXT) | instid1(VALU_DEP_1)
	v_dual_add_f32 v24, v24, v28 :: v_dual_sub_f32 v25, v25, v27
	v_add_f32_e32 v24, v24, v25
	s_delay_alu instid0(VALU_DEP_1) | instskip(NEXT) | instid1(VALU_DEP_1)
	v_add_f32_e32 v24, v31, v24
	v_cndmask_b32_e32 v105, v24, v26, vcc_lo
.LBB57_50:                              ;   in Loop: Header=BB57_12 Depth=1
	s_or_b32 exec_lo, exec_lo, s16
	v_and_b32_e32 v24, 0xffff0000, v11
	s_delay_alu instid0(VALU_DEP_1) | instskip(NEXT) | instid1(VALU_DEP_1)
	v_add_f32_e32 v106, s57, v24
	v_cmp_ge_f32_e32 vcc_lo, 0x41a00000, v106
	s_and_b32 s14, s67, vcc_lo
	s_delay_alu instid0(SALU_CYCLE_1)
	s_and_saveexec_b32 s16, s14
	s_cbranch_execz .LBB57_52
; %bb.51:                               ;   in Loop: Header=BB57_12 Depth=1
	v_mul_f32_e32 v24, 0x3fb8aa3b, v106
	v_cmp_ngt_f32_e32 vcc_lo, 0xc2ce8ed0, v106
	s_delay_alu instid0(VALU_DEP_2) | instskip(SKIP_1) | instid1(VALU_DEP_2)
	v_rndne_f32_e32 v25, v24
	v_fma_f32 v26, 0x3fb8aa3b, v106, -v24
	v_sub_f32_e32 v24, v24, v25
	s_delay_alu instid0(VALU_DEP_2) | instskip(SKIP_1) | instid1(VALU_DEP_2)
	v_fmac_f32_e32 v26, 0x32a5705f, v106
	v_cvt_i32_f32_e32 v25, v25
	v_add_f32_e32 v24, v24, v26
	s_delay_alu instid0(VALU_DEP_1) | instskip(SKIP_2) | instid1(VALU_DEP_1)
	v_exp_f32_e32 v24, v24
	s_waitcnt_depctr 0xfff
	v_ldexp_f32 v24, v24, v25
	v_cndmask_b32_e32 v24, 0, v24, vcc_lo
	v_cmp_nlt_f32_e32 vcc_lo, 0x42b17218, v106
	s_delay_alu instid0(VALU_DEP_2) | instskip(NEXT) | instid1(VALU_DEP_1)
	v_cndmask_b32_e32 v26, 0x7f800000, v24, vcc_lo
	v_add_f32_e32 v27, 1.0, v26
	s_delay_alu instid0(VALU_DEP_1) | instskip(NEXT) | instid1(VALU_DEP_1)
	v_cvt_f64_f32_e32 v[24:25], v27
	v_frexp_exp_i32_f64_e32 v24, v[24:25]
	v_frexp_mant_f32_e32 v25, v27
	s_delay_alu instid0(VALU_DEP_1) | instskip(SKIP_1) | instid1(VALU_DEP_1)
	v_cmp_gt_f32_e32 vcc_lo, 0x3f2aaaab, v25
	v_add_f32_e32 v25, -1.0, v27
	v_sub_f32_e32 v29, v25, v27
	v_sub_f32_e32 v25, v26, v25
	s_delay_alu instid0(VALU_DEP_2) | instskip(NEXT) | instid1(VALU_DEP_1)
	v_add_f32_e32 v29, 1.0, v29
	v_add_f32_e32 v25, v25, v29
	v_cmp_gt_f32_e64 s14, 0x33800000, v26
	v_subrev_co_ci_u32_e32 v24, vcc_lo, 0, v24, vcc_lo
	v_cmp_eq_f32_e32 vcc_lo, 0x7f800000, v26
	s_delay_alu instid0(VALU_DEP_2) | instskip(SKIP_2) | instid1(VALU_DEP_2)
	v_sub_nc_u32_e32 v28, 0, v24
	v_cvt_f32_i32_e32 v24, v24
	s_or_b32 vcc_lo, s14, vcc_lo
	v_ldexp_f32 v27, v27, v28
	v_ldexp_f32 v25, v25, v28
	s_delay_alu instid0(VALU_DEP_2) | instskip(NEXT) | instid1(VALU_DEP_1)
	v_add_f32_e32 v30, 1.0, v27
	v_dual_add_f32 v28, -1.0, v27 :: v_dual_add_f32 v29, -1.0, v30
	s_delay_alu instid0(VALU_DEP_1) | instskip(NEXT) | instid1(VALU_DEP_2)
	v_add_f32_e32 v31, 1.0, v28
	v_sub_f32_e32 v29, v27, v29
	s_delay_alu instid0(VALU_DEP_2) | instskip(NEXT) | instid1(VALU_DEP_2)
	v_sub_f32_e32 v27, v27, v31
	v_add_f32_e32 v29, v25, v29
	s_delay_alu instid0(VALU_DEP_2) | instskip(NEXT) | instid1(VALU_DEP_1)
	v_add_f32_e32 v25, v25, v27
	v_add_f32_e32 v32, v28, v25
	s_delay_alu instid0(VALU_DEP_1) | instskip(NEXT) | instid1(VALU_DEP_1)
	v_dual_add_f32 v31, v30, v29 :: v_dual_sub_f32 v28, v28, v32
	v_rcp_f32_e32 v27, v31
	v_sub_f32_e32 v30, v30, v31
	s_delay_alu instid0(VALU_DEP_1) | instskip(SKIP_2) | instid1(VALU_DEP_1)
	v_add_f32_e32 v29, v29, v30
	s_waitcnt_depctr 0xfff
	v_mul_f32_e32 v33, v32, v27
	v_mul_f32_e32 v34, v31, v33
	s_delay_alu instid0(VALU_DEP_1) | instskip(NEXT) | instid1(VALU_DEP_1)
	v_fma_f32 v30, v33, v31, -v34
	v_fmac_f32_e32 v30, v33, v29
	s_delay_alu instid0(VALU_DEP_1) | instskip(NEXT) | instid1(VALU_DEP_1)
	v_add_f32_e32 v35, v34, v30
	v_sub_f32_e32 v36, v32, v35
	s_delay_alu instid0(VALU_DEP_1) | instskip(SKIP_1) | instid1(VALU_DEP_2)
	v_sub_f32_e32 v32, v32, v36
	v_dual_add_f32 v25, v25, v28 :: v_dual_sub_f32 v28, v35, v34
	v_sub_f32_e32 v32, v32, v35
	s_delay_alu instid0(VALU_DEP_1) | instskip(NEXT) | instid1(VALU_DEP_1)
	v_dual_sub_f32 v28, v28, v30 :: v_dual_add_f32 v25, v25, v32
	v_add_f32_e32 v25, v28, v25
	s_delay_alu instid0(VALU_DEP_1) | instskip(NEXT) | instid1(VALU_DEP_1)
	v_add_f32_e32 v28, v36, v25
	v_mul_f32_e32 v30, v27, v28
	s_delay_alu instid0(VALU_DEP_1) | instskip(NEXT) | instid1(VALU_DEP_1)
	v_dual_sub_f32 v35, v36, v28 :: v_dual_mul_f32 v32, v31, v30
	v_add_f32_e32 v25, v25, v35
	s_delay_alu instid0(VALU_DEP_2) | instskip(NEXT) | instid1(VALU_DEP_1)
	v_fma_f32 v31, v30, v31, -v32
	v_fmac_f32_e32 v31, v30, v29
	s_delay_alu instid0(VALU_DEP_1) | instskip(NEXT) | instid1(VALU_DEP_1)
	v_add_f32_e32 v29, v32, v31
	v_sub_f32_e32 v34, v28, v29
	s_delay_alu instid0(VALU_DEP_1) | instskip(NEXT) | instid1(VALU_DEP_1)
	v_sub_f32_e32 v28, v28, v34
	v_sub_f32_e32 v28, v28, v29
	s_delay_alu instid0(VALU_DEP_1) | instskip(SKIP_2) | instid1(VALU_DEP_1)
	v_add_f32_e32 v25, v25, v28
	v_add_f32_e32 v28, v33, v30
	v_sub_f32_e32 v32, v29, v32
	v_sub_f32_e32 v29, v32, v31
	s_delay_alu instid0(VALU_DEP_1) | instskip(NEXT) | instid1(VALU_DEP_4)
	v_add_f32_e32 v25, v29, v25
	v_sub_f32_e32 v29, v28, v33
	s_delay_alu instid0(VALU_DEP_2) | instskip(NEXT) | instid1(VALU_DEP_2)
	v_add_f32_e32 v25, v34, v25
	v_sub_f32_e32 v29, v30, v29
	s_delay_alu instid0(VALU_DEP_2) | instskip(NEXT) | instid1(VALU_DEP_1)
	v_mul_f32_e32 v25, v27, v25
	v_add_f32_e32 v25, v29, v25
	s_delay_alu instid0(VALU_DEP_1) | instskip(NEXT) | instid1(VALU_DEP_1)
	v_add_f32_e32 v27, v28, v25
	v_mul_f32_e32 v29, v27, v27
	s_delay_alu instid0(VALU_DEP_1) | instskip(SKIP_1) | instid1(VALU_DEP_2)
	v_fmaak_f32 v30, s54, v29, 0x3ecc95a3
	v_mul_f32_e32 v31, v27, v29
	v_fmaak_f32 v29, v29, v30, 0x3f2aaada
	v_ldexp_f32 v30, v27, 1
	s_delay_alu instid0(VALU_DEP_2) | instskip(SKIP_1) | instid1(VALU_DEP_2)
	v_mul_f32_e32 v29, v31, v29
	v_sub_f32_e32 v27, v27, v28
	v_dual_mul_f32 v31, 0x3f317218, v24 :: v_dual_add_f32 v28, v30, v29
	s_delay_alu instid0(VALU_DEP_2) | instskip(NEXT) | instid1(VALU_DEP_2)
	v_sub_f32_e32 v25, v25, v27
	v_sub_f32_e32 v27, v28, v30
	s_delay_alu instid0(VALU_DEP_3) | instskip(NEXT) | instid1(VALU_DEP_3)
	v_fma_f32 v30, 0x3f317218, v24, -v31
	v_ldexp_f32 v25, v25, 1
	s_delay_alu instid0(VALU_DEP_2) | instskip(NEXT) | instid1(VALU_DEP_1)
	v_dual_sub_f32 v27, v29, v27 :: v_dual_fmac_f32 v30, 0xb102e308, v24
	v_dual_add_f32 v24, v25, v27 :: v_dual_add_f32 v25, v31, v30
	s_delay_alu instid0(VALU_DEP_1) | instskip(NEXT) | instid1(VALU_DEP_1)
	v_add_f32_e32 v27, v28, v24
	v_dual_add_f32 v29, v25, v27 :: v_dual_sub_f32 v28, v27, v28
	s_delay_alu instid0(VALU_DEP_1) | instskip(NEXT) | instid1(VALU_DEP_2)
	v_sub_f32_e32 v32, v29, v25
	v_dual_sub_f32 v31, v25, v31 :: v_dual_sub_f32 v24, v24, v28
	s_delay_alu instid0(VALU_DEP_1) | instskip(SKIP_1) | instid1(VALU_DEP_2)
	v_dual_sub_f32 v33, v29, v32 :: v_dual_sub_f32 v30, v30, v31
	v_sub_f32_e32 v27, v27, v32
	v_dual_sub_f32 v25, v25, v33 :: v_dual_add_f32 v28, v30, v24
	s_delay_alu instid0(VALU_DEP_1) | instskip(NEXT) | instid1(VALU_DEP_2)
	v_add_f32_e32 v25, v27, v25
	v_sub_f32_e32 v27, v28, v30
	s_delay_alu instid0(VALU_DEP_2) | instskip(NEXT) | instid1(VALU_DEP_2)
	v_add_f32_e32 v25, v28, v25
	v_sub_f32_e32 v28, v28, v27
	s_delay_alu instid0(VALU_DEP_2) | instskip(NEXT) | instid1(VALU_DEP_1)
	v_dual_sub_f32 v24, v24, v27 :: v_dual_add_f32 v31, v29, v25
	v_dual_sub_f32 v28, v30, v28 :: v_dual_sub_f32 v27, v31, v29
	s_delay_alu instid0(VALU_DEP_1) | instskip(NEXT) | instid1(VALU_DEP_1)
	v_dual_add_f32 v24, v24, v28 :: v_dual_sub_f32 v25, v25, v27
	v_add_f32_e32 v24, v24, v25
	s_delay_alu instid0(VALU_DEP_1) | instskip(NEXT) | instid1(VALU_DEP_1)
	v_add_f32_e32 v24, v31, v24
	v_cndmask_b32_e32 v106, v24, v26, vcc_lo
.LBB57_52:                              ;   in Loop: Header=BB57_12 Depth=1
	s_or_b32 exec_lo, exec_lo, s16
	v_and_b32_e32 v31, 0xffff0000, v23
	v_lshlrev_b32_e32 v30, 16, v16
	v_and_b32_e32 v38, 0xffff0000, v20
	v_and_b32_e32 v36, 0xffff0000, v21
	v_lshlrev_b32_e32 v39, 16, v20
	v_dual_mul_f32 v95, s58, v31 :: v_dual_lshlrev_b32 v28, 16, v17
	v_mul_f32_e32 v91, s58, v30
	v_and_b32_e32 v27, 0xffff0000, v17
	v_mul_f32_e32 v103, s58, v38
	v_dual_mul_f32 v100, s58, v36 :: v_dual_lshlrev_b32 v35, 16, v22
	v_mul_f32_e32 v88, s58, v28
	s_delay_alu instid0(VALU_DEP_4) | instskip(SKIP_1) | instid1(VALU_DEP_4)
	v_dual_mul_f32 v89, s58, v27 :: v_dual_lshlrev_b32 v26, 16, v18
	v_lshlrev_b32_e32 v24, 16, v19
	v_dual_mul_f32 v98, s58, v35 :: v_dual_lshlrev_b32 v37, 16, v21
	s_delay_alu instid0(VALU_DEP_3) | instskip(NEXT) | instid1(VALU_DEP_3)
	v_mul_f32_e32 v85, s58, v26
	v_dual_mul_f32 v84, s58, v24 :: v_dual_and_b32 v25, 0xffff0000, v18
	s_delay_alu instid0(VALU_DEP_3) | instskip(NEXT) | instid1(VALU_DEP_2)
	v_dual_mul_f32 v99, s58, v37 :: v_dual_lshlrev_b32 v32, 16, v23
	v_dual_mul_f32 v86, s58, v25 :: v_dual_and_b32 v29, 0xffff0000, v16
	s_delay_alu instid0(VALU_DEP_2) | instskip(SKIP_1) | instid1(VALU_DEP_3)
	v_dual_mul_f32 v94, s58, v32 :: v_dual_and_b32 v33, 0xffff0000, v22
	v_and_b32_e32 v34, 0xffff0000, v19
	v_mul_f32_e32 v92, s58, v29
	s_delay_alu instid0(VALU_DEP_3) | instskip(SKIP_1) | instid1(VALU_DEP_3)
	v_dual_mul_f32 v102, s58, v39 :: v_dual_mul_f32 v97, s58, v33
	s_lshl_b32 s38, s72, 11
	v_mul_f32_e32 v87, s58, v34
	s_and_b32 vcc_lo, exec_lo, s68
	s_barrier
	buffer_gl0_inv
	s_cbranch_vccz .LBB57_86
; %bb.53:                               ;   in Loop: Header=BB57_12 Depth=1
	v_dual_mul_f32 v107, v106, v34 :: v_dual_mul_f32 v112, v105, v24
	v_add_co_u32 v34, s14, s49, v73
	s_delay_alu instid0(VALU_DEP_1) | instskip(SKIP_1) | instid1(VALU_DEP_1)
	v_add_co_ci_u32_e64 v40, null, s50, 0, s14
	v_add_co_u32 v41, s14, s37, v73
	v_add_co_ci_u32_e64 v111, null, s62, 0, s14
	s_delay_alu instid0(VALU_DEP_4) | instskip(NEXT) | instid1(VALU_DEP_4)
	v_add_co_u32 v108, vcc_lo, v34, v74
	v_add_co_ci_u32_e32 v109, vcc_lo, 0, v40, vcc_lo
	s_delay_alu instid0(VALU_DEP_4)
	v_add_co_u32 v110, vcc_lo, v41, v74
	s_sub_i32 s26, s34, s38
	v_add_co_ci_u32_e32 v111, vcc_lo, 0, v111, vcc_lo
	v_cmp_gt_u32_e32 vcc_lo, s26, v48
	s_cmp_lg_u32 s72, 0
	v_cmp_gt_u32_e64 s17, s26, v59
	s_cselect_b32 s39, -1, 0
	s_cmp_eq_u32 s72, s70
	v_cmp_gt_u32_e64 s18, s26, v60
	s_cselect_b32 s73, -1, 0
	s_or_b32 s14, s69, vcc_lo
	v_cmp_gt_u32_e32 vcc_lo, s26, v58
	v_cmp_gt_u32_e64 s19, s26, v61
	v_cmp_gt_u32_e64 s20, s26, v62
	;; [unrolled: 1-line block ×4, first 2 shown]
	s_or_b32 s16, s69, vcc_lo
	v_cmp_gt_u32_e32 vcc_lo, s26, v63
	v_cmp_gt_u32_e64 s24, s26, v66
	v_cmp_gt_u32_e64 s25, s26, v67
	;; [unrolled: 1-line block ×4, first 2 shown]
	s_or_b32 s21, s69, vcc_lo
	v_cmp_gt_u32_e32 vcc_lo, s26, v68
	v_cmp_gt_u32_e64 s29, s26, v71
	v_cmp_gt_u32_e64 s30, s26, v72
	v_dual_mul_f32 v113, v104, v25 :: v_dual_mul_f32 v114, v101, v26
	v_dual_mul_f32 v115, v96, v27 :: v_dual_mul_f32 v116, v93, v28
	;; [unrolled: 1-line block ×7, first 2 shown]
	s_mov_b32 s52, 0
	s_or_b32 s17, s69, s17
	s_or_b32 s18, s69, s18
	;; [unrolled: 1-line block ×8, first 2 shown]
	s_or_b32 s26, s69, vcc_lo
	s_or_b32 s27, s69, s27
	s_or_b32 s28, s69, s28
	s_or_b32 s29, s69, s29
	s_or_b32 s30, s69, s30
	s_mov_b32 s40, s52
	s_mov_b32 s42, s52
	s_mov_b32 s46, s52
	s_mov_b32 s74, s35
	s_mov_b32 s75, s71
	s_branch .LBB57_55
.LBB57_54:                              ;   in Loop: Header=BB57_55 Depth=2
	s_or_b32 exec_lo, exec_lo, s31
	v_cndmask_b32_e64 v33, v156, v35, s15
	v_cndmask_b32_e64 v34, v155, v34, s15
	s_add_i32 s74, s74, -1
	s_add_i32 s75, s75, 8
	s_add_i32 s46, s46, s63
	v_fma_f32 v33, v33, v130, v129
	v_mul_f32_e32 v34, v34, v130
	s_add_i32 s42, s42, s36
	s_add_i32 s40, s40, s48
	;; [unrolled: 1-line block ×3, first 2 shown]
	v_cndmask_b32_e64 v33, v33, v129, s13
	v_cndmask_b32_e64 v34, v34, v130, s13
	s_cmp_eq_u32 s74, 0
	v_and_b32_e32 v35, 0xffff0000, v30
	s_waitcnt lgkmcnt(0)
	s_delay_alu instid0(VALU_DEP_2) | instskip(SKIP_1) | instid1(VALU_DEP_2)
	v_dual_fmac_f32 v33, v32, v34 :: v_dual_and_b32 v32, 0xffff0000, v28
	v_lshlrev_b32_e32 v28, 16, v28
	v_fmac_f32_e32 v36, v33, v132
	s_delay_alu instid0(VALU_DEP_1) | instskip(NEXT) | instid1(VALU_DEP_1)
	v_fmac_f32_e32 v37, v36, v133
	v_fmac_f32_e32 v38, v37, v135
	s_delay_alu instid0(VALU_DEP_1) | instskip(SKIP_3) | instid1(VALU_DEP_4)
	v_dual_fmac_f32 v102, v33, v28 :: v_dual_fmac_f32 v39, v38, v138
	v_dual_fmac_f32 v103, v36, v32 :: v_dual_and_b32 v34, 0xffff0000, v29
	v_lshlrev_b32_e32 v29, 16, v29
	v_and_b32_e32 v40, 0xffff0000, v31
	v_fmac_f32_e32 v127, v39, v139
	v_lshlrev_b32_e32 v31, 16, v31
	s_delay_alu instid0(VALU_DEP_4) | instskip(NEXT) | instid1(VALU_DEP_3)
	v_dual_fmac_f32 v99, v37, v29 :: v_dual_and_b32 v130, 0xffff0000, v26
	v_dual_fmac_f32 v100, v38, v34 :: v_dual_fmac_f32 v97, v127, v35
	v_fmac_f32_e32 v128, v127, v140
	s_delay_alu instid0(VALU_DEP_1) | instskip(SKIP_1) | instid1(VALU_DEP_2)
	v_dual_fmac_f32 v131, v128, v141 :: v_dual_and_b32 v132, 0xffff0000, v27
	v_lshlrev_b32_e32 v27, 16, v27
	v_fmac_f32_e32 v134, v131, v143
	v_fmac_f32_e32 v95, v131, v40
	s_delay_alu instid0(VALU_DEP_2) | instskip(NEXT) | instid1(VALU_DEP_1)
	v_fmac_f32_e32 v136, v134, v144
	v_dual_fmac_f32 v137, v136, v145 :: v_dual_lshlrev_b32 v30, 16, v30
	s_delay_alu instid0(VALU_DEP_1) | instskip(SKIP_1) | instid1(VALU_DEP_2)
	v_dual_fmac_f32 v142, v137, v153 :: v_dual_and_b32 v41, 0xffff0000, v24
	v_and_b32_e32 v129, 0xffff0000, v25
	v_dual_fmac_f32 v146, v142, v148 :: v_dual_lshlrev_b32 v25, 16, v25
	s_delay_alu instid0(VALU_DEP_1) | instskip(SKIP_1) | instid1(VALU_DEP_2)
	v_dual_fmac_f32 v147, v146, v150 :: v_dual_lshlrev_b32 v24, 16, v24
	v_lshlrev_b32_e32 v26, 16, v26
	v_dual_fmac_f32 v98, v39, v30 :: v_dual_fmac_f32 v91, v134, v24
	s_delay_alu instid0(VALU_DEP_3) | instskip(SKIP_1) | instid1(VALU_DEP_4)
	v_dual_fmac_f32 v89, v142, v129 :: v_dual_fmac_f32 v86, v147, v130
	v_dual_fmac_f32 v149, v147, v152 :: v_dual_fmac_f32 v94, v128, v31
	;; [unrolled: 1-line block ×3, first 2 shown]
	s_delay_alu instid0(VALU_DEP_2) | instskip(SKIP_1) | instid1(VALU_DEP_2)
	v_fmac_f32_e32 v151, v149, v154
	v_fmac_f32_e32 v88, v137, v25
	v_dual_fmac_f32 v84, v149, v27 :: v_dual_fmac_f32 v87, v151, v132
	s_cbranch_scc1 .LBB57_86
.LBB57_55:                              ;   Parent Loop BB57_12 Depth=1
                                        ; =>  This Inner Loop Header: Depth=2
	s_lshl_b64 s[76:77], s[52:53], 2
	s_mov_b32 s41, s53
	s_add_u32 s76, s60, s76
	s_addc_u32 s77, s61, s77
	s_lshl_b64 s[78:79], s[40:41], 1
	s_mov_b32 s43, s53
	v_add_co_u32 v28, vcc_lo, v108, s78
	v_add_co_ci_u32_e32 v29, vcc_lo, s79, v109, vcc_lo
	s_lshl_b64 s[78:79], s[42:43], 1
	s_clause 0x1
	global_load_b128 v[24:27], v[28:29], off
	global_load_b128 v[28:31], v[28:29], off offset:512
	v_add_co_u32 v32, vcc_lo, v110, s78
	v_add_co_ci_u32_e32 v33, vcc_lo, s79, v111, vcc_lo
	global_load_b32 v127, v42, s[76:77]
	s_and_not1_b32 vcc_lo, exec_lo, s39
	s_waitcnt vmcnt(2)
	ds_store_b128 v43, v[24:27]
	s_waitcnt vmcnt(1)
	ds_store_b128 v44, v[28:31] offset:512
	; wave barrier
	s_clause 0x1
	global_load_b128 v[24:27], v[32:33], off
	global_load_b128 v[28:31], v[32:33], off offset:512
	ds_load_b128 v[36:39], v45
	ds_load_b128 v[32:35], v45 offset:16
	s_waitcnt vmcnt(1)
	ds_store_b128 v43, v[24:27] offset:4224
	s_waitcnt vmcnt(0)
	ds_store_b128 v46, v[28:31] offset:512
	; wave barrier
	ds_load_b128 v[28:31], v45 offset:4224
	ds_load_b128 v[24:27], v47 offset:16
	s_cbranch_vccnz .LBB57_57
; %bb.56:                               ;   in Loop: Header=BB57_55 Depth=2
	v_mov_b32_e32 v40, s75
	ds_load_b64 v[40:41], v40
	s_cbranch_execz .LBB57_58
	s_branch .LBB57_61
.LBB57_57:                              ;   in Loop: Header=BB57_55 Depth=2
                                        ; implicit-def: $vgpr40
.LBB57_58:                              ;   in Loop: Header=BB57_55 Depth=2
	s_waitcnt lgkmcnt(0)
	v_mov_b32_e32 v41, 0
	s_and_not1_b32 vcc_lo, exec_lo, s56
	s_cbranch_vccnz .LBB57_60
; %bb.59:                               ;   in Loop: Header=BB57_55 Depth=2
	s_mov_b32 s47, s53
	s_delay_alu instid0(SALU_CYCLE_1) | instskip(NEXT) | instid1(SALU_CYCLE_1)
	s_lshl_b64 s[76:77], s[46:47], 2
	s_add_u32 s76, s64, s76
	s_addc_u32 s77, s65, s77
	global_load_b32 v41, v42, s[76:77]
.LBB57_60:                              ;   in Loop: Header=BB57_55 Depth=2
	v_mov_b32_e32 v40, 1.0
.LBB57_61:                              ;   in Loop: Header=BB57_55 Depth=2
	s_waitcnt lgkmcnt(5)
	v_dual_mul_f32 v149, 0x3fb8aa3b, v127 :: v_dual_lshlrev_b32 v128, 16, v37
	v_lshlrev_b32_e32 v127, 16, v36
	v_and_b32_e32 v36, 0xffff0000, v36
	v_and_b32_e32 v131, 0xffff0000, v37
	s_delay_alu instid0(VALU_DEP_4) | instskip(SKIP_3) | instid1(VALU_DEP_3)
	v_dual_mul_f32 v37, v149, v75 :: v_dual_and_b32 v136, 0xffff0000, v38
	v_mul_f32_e32 v130, v149, v78
	s_waitcnt lgkmcnt(4)
	v_dual_mul_f32 v127, v126, v127 :: v_dual_lshlrev_b32 v142, 16, v32
	v_cmp_gt_f32_e32 vcc_lo, 0xc2fc0000, v37
	v_dual_mul_f32 v143, v149, v93 :: v_dual_lshlrev_b32 v146, 16, v34
	s_delay_alu instid0(VALU_DEP_3)
	v_mul_f32_e32 v142, v118, v142
	v_mul_f32_e32 v152, v149, v104
	v_cndmask_b32_e64 v37, 0, 0x42800000, vcc_lo
	v_lshlrev_b32_e32 v134, 16, v38
	v_mul_f32_e32 v38, v149, v76
	v_cndmask_b32_e64 v129, 1.0, 0x1f800000, vcc_lo
	v_mul_f32_e32 v154, v149, v106
	v_fmac_f32_e32 v37, v149, v75
	v_mul_f32_e32 v36, v125, v36
	v_cmp_gt_f32_e64 s31, 0xc2fc0000, v38
	v_mul_f32_e32 v128, v124, v128
	s_delay_alu instid0(VALU_DEP_4) | instskip(SKIP_1) | instid1(VALU_DEP_3)
	v_exp_f32_e32 v37, v37
	v_and_b32_e32 v140, 0xffff0000, v39
	v_cndmask_b32_e64 v38, 0, 0x42800000, s31
	v_lshlrev_b32_e32 v137, 16, v39
	v_mul_f32_e32 v39, v149, v77
	v_mul_f32_e32 v136, v121, v136
	v_cndmask_b32_e64 v36, 0, v36, s16
	v_fmac_f32_e32 v38, v149, v76
	v_mul_f32_e32 v141, v149, v83
	v_cmp_gt_f32_e32 vcc_lo, 0xc2fc0000, v39
	v_mul_f32_e32 v37, v37, v129
	v_cndmask_b32_e64 v129, 0, v127, s14
	v_exp_f32_e32 v38, v38
	v_cndmask_b32_e64 v127, 1.0, 0x1f800000, s31
	v_cndmask_b32_e64 v39, 0, 0x42800000, vcc_lo
	v_cmp_gt_f32_e64 s31, 0xc2fc0000, v130
	v_and_b32_e32 v32, 0xffff0000, v32
	v_lshlrev_b32_e32 v144, 16, v33
	v_cndmask_b32_e64 v130, 1.0, v37, s14
	v_fmac_f32_e32 v39, v149, v77
	v_cndmask_b32_e64 v132, 0, 0x42800000, s31
	v_lshlrev_b32_e32 v151, 16, v35
	v_mul_f32_e32 v37, v38, v127
	v_and_b32_e32 v35, 0xffff0000, v35
	v_exp_f32_e32 v38, v39
	v_fmac_f32_e32 v132, v149, v78
	v_mul_f32_e32 v39, v149, v79
	v_cndmask_b32_e64 v127, 1.0, 0x1f800000, vcc_lo
	v_dual_mul_f32 v32, v117, v32 :: v_dual_and_b32 v33, 0xffff0000, v33
	v_mul_f32_e32 v151, v112, v151
	v_exp_f32_e32 v135, v132
	v_cmp_gt_f32_e32 vcc_lo, 0xc2fc0000, v39
	v_cndmask_b32_e64 v132, 1.0, v37, s16
	s_delay_alu instid0(TRANS32_DEP_2)
	v_mul_f32_e32 v38, v38, v127
	v_cndmask_b32_e64 v127, 1.0, 0x1f800000, s31
	v_cndmask_b32_e64 v37, 0, v128, s17
	v_cndmask_b32_e64 v39, 0, 0x42800000, vcc_lo
	v_mul_f32_e32 v128, v149, v80
	v_and_b32_e32 v34, 0xffff0000, v34
	v_cndmask_b32_e64 v133, 1.0, v38, s17
	v_mul_f32_e32 v127, v135, v127
	v_fmac_f32_e32 v39, v149, v79
	v_cmp_gt_f32_e64 s31, 0xc2fc0000, v128
	v_dual_mul_f32 v38, v123, v131 :: v_dual_mul_f32 v131, v149, v81
	s_delay_alu instid0(VALU_DEP_4) | instskip(NEXT) | instid1(VALU_DEP_4)
	v_cndmask_b32_e64 v135, 1.0, v127, s18
	v_exp_f32_e32 v39, v39
	s_delay_alu instid0(VALU_DEP_3)
	v_cndmask_b32_e64 v128, 0, 0x42800000, s31
	v_cndmask_b32_e64 v127, 1.0, 0x1f800000, vcc_lo
	v_cmp_gt_f32_e32 vcc_lo, 0xc2fc0000, v131
	v_cndmask_b32_e64 v139, 1.0, 0x1f800000, s31
	v_fma_f32 v150, v132, v129, v36
	v_fmac_f32_e32 v128, v149, v80
	v_mul_f32_e32 v34, v113, v34
	v_cndmask_b32_e64 v131, 0, 0x42800000, vcc_lo
	v_mul_f32_e32 v33, v115, v33
	v_mul_f32_e32 v127, v39, v127
	v_exp_f32_e32 v128, v128
	v_mul_f32_e32 v39, v122, v134
	v_fmac_f32_e32 v131, v149, v81
	v_cndmask_b32_e64 v38, 0, v38, s18
	v_dual_mul_f32 v35, v107, v35 :: v_dual_mul_f32 v146, v114, v146
	s_delay_alu instid0(VALU_DEP_4)
	v_cndmask_b32_e64 v39, 0, v39, s19
	s_waitcnt_depctr 0xfff
	v_mul_f32_e32 v128, v128, v139
	v_exp_f32_e32 v131, v131
	v_mul_f32_e32 v138, v149, v82
	v_cndmask_b32_e64 v146, 0, v146, s27
	s_delay_alu instid0(VALU_DEP_3) | instskip(SKIP_1) | instid1(VALU_DEP_4)
	v_cndmask_b32_e64 v139, 1.0, v128, s20
	v_mul_f32_e32 v128, v120, v137
	v_cmp_gt_f32_e64 s33, 0xc2fc0000, v138
	v_cndmask_b32_e64 v138, 1.0, v127, s19
	v_cndmask_b32_e64 v127, 0, v136, s20
	v_cndmask_b32_e64 v136, 1.0, 0x1f800000, vcc_lo
	v_cmp_gt_f32_e32 vcc_lo, 0xc2fc0000, v141
	v_cndmask_b32_e64 v134, 0, 0x42800000, s33
	v_mul_f32_e32 v141, v119, v140
	v_cndmask_b32_e64 v128, 0, v128, s21
	v_mul_f32_e32 v131, v131, v136
	v_cndmask_b32_e64 v136, 1.0, 0x1f800000, s33
	v_fmac_f32_e32 v134, v149, v82
	v_cndmask_b32_e64 v137, 0, 0x42800000, vcc_lo
	v_cmp_gt_f32_e64 s33, 0xc2fc0000, v143
	v_cndmask_b32_e64 v140, 1.0, v131, s21
	v_cndmask_b32_e64 v131, 0, v141, s22
	v_exp_f32_e32 v134, v134
	v_fmac_f32_e32 v137, v149, v83
	v_cndmask_b32_e64 v145, 1.0, 0x1f800000, vcc_lo
	s_waitcnt_depctr 0xfff
	v_mul_f32_e32 v134, v134, v136
	v_mul_f32_e32 v136, v149, v90
	s_delay_alu instid0(VALU_DEP_2) | instskip(NEXT) | instid1(VALU_DEP_2)
	v_cndmask_b32_e64 v141, 1.0, v134, s22
	v_cmp_gt_f32_e64 s31, 0xc2fc0000, v136
	v_exp_f32_e32 v134, v137
	v_cndmask_b32_e64 v137, 0, 0x42800000, s33
	s_delay_alu instid0(VALU_DEP_2) | instskip(NEXT) | instid1(VALU_DEP_2)
	v_cndmask_b32_e64 v136, 0, 0x42800000, s31
	v_fmac_f32_e32 v137, v149, v93
	s_delay_alu instid0(VALU_DEP_2) | instskip(NEXT) | instid1(VALU_DEP_1)
	v_fmac_f32_e32 v136, v149, v90
	v_exp_f32_e32 v136, v136
	v_mul_f32_e32 v143, v149, v96
	s_delay_alu instid0(VALU_DEP_1) | instskip(NEXT) | instid1(TRANS32_DEP_2)
	v_cmp_gt_f32_e32 vcc_lo, 0xc2fc0000, v143
	v_mul_f32_e32 v143, v134, v145
	v_cndmask_b32_e64 v134, 0, v142, s23
	v_cndmask_b32_e64 v142, 1.0, 0x1f800000, s31
	v_cndmask_b32_e64 v145, 1.0, 0x1f800000, s33
	v_cndmask_b32_e64 v147, 0, 0x42800000, vcc_lo
	v_cndmask_b32_e64 v148, 1.0, 0x1f800000, vcc_lo
	v_cmp_gt_f32_e64 s31, 0xc2fc0000, v152
	v_mul_f32_e32 v142, v136, v142
	v_cndmask_b32_e64 v136, 0, v32, s24
	v_fmac_f32_e32 v147, v149, v96
	v_mul_f32_e32 v32, v116, v144
	v_exp_f32_e32 v137, v137
	v_cndmask_b32_e64 v144, 1.0, v142, s24
	v_mul_f32_e32 v142, v149, v101
	v_exp_f32_e32 v147, v147
	v_cndmask_b32_e64 v152, 1.0, 0x1f800000, s31
	v_cndmask_b32_e64 v143, 1.0, v143, s23
	s_delay_alu instid0(VALU_DEP_3) | instskip(SKIP_1) | instid1(TRANS32_DEP_2)
	v_cmp_gt_f32_e32 vcc_lo, 0xc2fc0000, v142
	v_cndmask_b32_e64 v142, 0, v33, s26
	v_mul_f32_e32 v145, v137, v145
	v_cndmask_b32_e64 v137, 0, v32, s25
	s_delay_alu instid0(TRANS32_DEP_1) | instskip(SKIP_3) | instid1(VALU_DEP_4)
	v_mul_f32_e32 v32, v147, v148
	v_cndmask_b32_e64 v147, 0, 0x42800000, vcc_lo
	v_mul_f32_e32 v148, v132, v130
	v_cndmask_b32_e64 v145, 1.0, v145, s25
	v_cndmask_b32_e64 v153, 1.0, v32, s26
	s_delay_alu instid0(VALU_DEP_4) | instskip(NEXT) | instid1(VALU_DEP_4)
	v_fmac_f32_e32 v147, v149, v101
	v_mul_f32_e32 v33, v148, v133
	v_fma_f32 v148, v150, v133, v37
	v_cndmask_b32_e64 v150, 0, 0x42800000, s31
	v_cndmask_b32_e64 v32, 1.0, 0x1f800000, vcc_lo
	v_exp_f32_e32 v147, v147
	v_mul_f32_e32 v33, v33, v135
	v_fma_f32 v148, v148, v135, v38
	v_fmac_f32_e32 v150, v149, v104
	v_cmp_gt_f32_e64 s31, 0xc2fc0000, v154
	s_delay_alu instid0(VALU_DEP_3) | instskip(NEXT) | instid1(VALU_DEP_3)
	v_fma_f32 v148, v148, v138, v39
	v_exp_f32_e32 v150, v150
	s_delay_alu instid0(TRANS32_DEP_2) | instskip(NEXT) | instid1(VALU_DEP_2)
	v_dual_mul_f32 v32, v147, v32 :: v_dual_mul_f32 v33, v33, v138
	v_fma_f32 v147, v148, v139, v127
	s_delay_alu instid0(VALU_DEP_2) | instskip(SKIP_2) | instid1(VALU_DEP_1)
	v_cndmask_b32_e64 v148, 1.0, v32, s27
	s_waitcnt_depctr 0xfff
	v_dual_mul_f32 v150, v150, v152 :: v_dual_mul_f32 v33, v33, v139
	v_cndmask_b32_e64 v150, 1.0, v150, s28
	s_delay_alu instid0(VALU_DEP_2) | instskip(SKIP_1) | instid1(VALU_DEP_2)
	v_mul_f32_e32 v32, v33, v140
	v_fma_f32 v33, v147, v140, v128
	v_mul_f32_e32 v32, v32, v141
	v_mul_f32_e32 v147, v149, v105
	s_delay_alu instid0(VALU_DEP_3) | instskip(NEXT) | instid1(VALU_DEP_3)
	v_fma_f32 v33, v33, v141, v131
	v_mul_f32_e32 v32, v32, v143
	s_delay_alu instid0(VALU_DEP_3) | instskip(NEXT) | instid1(VALU_DEP_3)
	v_cmp_gt_f32_e32 vcc_lo, 0xc2fc0000, v147
	v_fma_f32 v33, v33, v143, v134
	v_cndmask_b32_e64 v147, 0, v34, s28
	v_cndmask_b32_e64 v34, 0, 0x42800000, s31
	v_mul_f32_e32 v32, v32, v144
	v_cndmask_b32_e64 v152, 0, 0x42800000, vcc_lo
	v_fma_f32 v33, v33, v144, v136
	s_delay_alu instid0(VALU_DEP_4) | instskip(NEXT) | instid1(VALU_DEP_4)
	v_fmac_f32_e32 v34, v149, v106
	v_mul_f32_e32 v32, v32, v145
	s_delay_alu instid0(VALU_DEP_4) | instskip(NEXT) | instid1(VALU_DEP_4)
	v_fmac_f32_e32 v152, v149, v105
	v_fma_f32 v33, v33, v145, v137
	v_cndmask_b32_e64 v149, 1.0, 0x1f800000, vcc_lo
	v_exp_f32_e32 v34, v34
	v_mul_f32_e32 v32, v32, v153
	v_exp_f32_e32 v152, v152
	v_fma_f32 v33, v33, v153, v142
	s_delay_alu instid0(VALU_DEP_2) | instskip(NEXT) | instid1(VALU_DEP_2)
	v_mul_f32_e32 v32, v32, v148
	v_fma_f32 v33, v33, v148, v146
	s_delay_alu instid0(VALU_DEP_2)
	v_mul_f32_e32 v32, v32, v150
	s_waitcnt_depctr 0xfff
	v_mul_f32_e32 v152, v152, v149
	v_cndmask_b32_e64 v149, 0, v151, s29
	v_cndmask_b32_e64 v151, 1.0, 0x1f800000, s31
	v_fma_f32 v33, v33, v150, v147
	s_delay_alu instid0(VALU_DEP_4) | instskip(NEXT) | instid1(VALU_DEP_3)
	v_cndmask_b32_e64 v152, 1.0, v152, s29
	v_mul_f32_e32 v34, v34, v151
	v_cndmask_b32_e64 v151, 0, v35, s30
	s_delay_alu instid0(VALU_DEP_3) | instskip(SKIP_1) | instid1(VALU_DEP_4)
	v_mul_f32_e32 v32, v32, v152
	v_fma_f32 v33, v33, v152, v149
	v_cndmask_b32_e64 v154, 1.0, v34, s30
	s_delay_alu instid0(VALU_DEP_1) | instskip(NEXT) | instid1(VALU_DEP_3)
	v_mul_f32_e32 v32, v32, v154
	v_fma_f32 v33, v33, v154, v151
	s_delay_alu instid0(VALU_DEP_2) | instskip(NEXT) | instid1(VALU_DEP_2)
	v_mov_b32_dpp v35, v32 row_shr:1 row_mask:0xf bank_mask:0xf
	v_mov_b32_dpp v34, v33 row_shr:1 row_mask:0xf bank_mask:0xf
	s_and_saveexec_b32 s31, s2
; %bb.62:                               ;   in Loop: Header=BB57_55 Depth=2
	s_delay_alu instid0(VALU_DEP_2) | instskip(NEXT) | instid1(VALU_DEP_1)
	v_mul_f32_e32 v35, v32, v35
	v_dual_fmac_f32 v33, v32, v34 :: v_dual_mov_b32 v32, v35
; %bb.63:                               ;   in Loop: Header=BB57_55 Depth=2
	s_or_b32 exec_lo, exec_lo, s31
	s_delay_alu instid0(VALU_DEP_1) | instskip(NEXT) | instid1(VALU_DEP_2)
	v_mov_b32_dpp v34, v32 row_shr:2 row_mask:0xf bank_mask:0xf
	v_mov_b32_dpp v35, v33 row_shr:2 row_mask:0xf bank_mask:0xf
	s_and_saveexec_b32 s31, s3
; %bb.64:                               ;   in Loop: Header=BB57_55 Depth=2
	s_delay_alu instid0(VALU_DEP_1) | instskip(NEXT) | instid1(VALU_DEP_3)
	v_fmac_f32_e32 v33, v32, v35
	v_mul_f32_e32 v32, v32, v34
; %bb.65:                               ;   in Loop: Header=BB57_55 Depth=2
	s_or_b32 exec_lo, exec_lo, s31
	s_delay_alu instid0(VALU_DEP_1) | instskip(NEXT) | instid1(VALU_DEP_3)
	v_mov_b32_dpp v34, v32 row_shr:4 row_mask:0xf bank_mask:0xf
	v_mov_b32_dpp v35, v33 row_shr:4 row_mask:0xf bank_mask:0xf
	s_and_saveexec_b32 s31, s4
; %bb.66:                               ;   in Loop: Header=BB57_55 Depth=2
	s_delay_alu instid0(VALU_DEP_1) | instskip(NEXT) | instid1(VALU_DEP_3)
	v_fmac_f32_e32 v33, v32, v35
	v_mul_f32_e32 v32, v32, v34
; %bb.67:                               ;   in Loop: Header=BB57_55 Depth=2
	s_or_b32 exec_lo, exec_lo, s31
	s_delay_alu instid0(VALU_DEP_1) | instskip(NEXT) | instid1(VALU_DEP_3)
	v_mov_b32_dpp v34, v32 row_shr:8 row_mask:0xf bank_mask:0xf
	v_mov_b32_dpp v35, v33 row_shr:8 row_mask:0xf bank_mask:0xf
	s_and_saveexec_b32 s31, s5
; %bb.68:                               ;   in Loop: Header=BB57_55 Depth=2
	s_delay_alu instid0(VALU_DEP_1) | instskip(NEXT) | instid1(VALU_DEP_3)
	v_fmac_f32_e32 v33, v32, v35
	v_mul_f32_e32 v32, v32, v34
; %bb.69:                               ;   in Loop: Header=BB57_55 Depth=2
	s_or_b32 exec_lo, exec_lo, s31
	ds_swizzle_b32 v35, v32 offset:swizzle(BROADCAST,32,15)
	ds_swizzle_b32 v34, v33 offset:swizzle(BROADCAST,32,15)
	s_and_saveexec_b32 s31, s6
	s_cbranch_execz .LBB57_71
; %bb.70:                               ;   in Loop: Header=BB57_55 Depth=2
	s_waitcnt lgkmcnt(1)
	v_mul_f32_e32 v35, v32, v35
	s_waitcnt lgkmcnt(0)
	s_delay_alu instid0(VALU_DEP_1)
	v_dual_fmac_f32 v33, v32, v34 :: v_dual_mov_b32 v32, v35
.LBB57_71:                              ;   in Loop: Header=BB57_55 Depth=2
	s_or_b32 exec_lo, exec_lo, s31
	s_and_saveexec_b32 s31, s7
	s_cbranch_execz .LBB57_73
; %bb.72:                               ;   in Loop: Header=BB57_55 Depth=2
	ds_store_b64 v49, v[32:33] offset:8448
.LBB57_73:                              ;   in Loop: Header=BB57_55 Depth=2
	s_or_b32 exec_lo, exec_lo, s31
	s_waitcnt vmcnt(0) lgkmcnt(0)
	s_waitcnt_vscnt null, 0x0
	s_barrier
	buffer_gl0_inv
	s_and_saveexec_b32 s31, s8
	s_cbranch_execz .LBB57_77
; %bb.74:                               ;   in Loop: Header=BB57_55 Depth=2
	ds_load_b64 v[34:35], v50 offset:8448
	s_waitcnt lgkmcnt(0)
	v_mov_b32_dpp v157, v34 row_shr:1 row_mask:0xf bank_mask:0xf
	v_mov_b32_dpp v156, v35 row_shr:1 row_mask:0xf bank_mask:0xf
	v_mov_b32_e32 v155, v34
	s_and_saveexec_b32 s33, s9
; %bb.75:                               ;   in Loop: Header=BB57_55 Depth=2
	s_delay_alu instid0(VALU_DEP_3) | instskip(NEXT) | instid1(VALU_DEP_1)
	v_mul_f32_e32 v155, v34, v157
	v_dual_fmac_f32 v35, v34, v156 :: v_dual_mov_b32 v34, v155
; %bb.76:                               ;   in Loop: Header=BB57_55 Depth=2
	s_or_b32 exec_lo, exec_lo, s33
	v_mov_b32_dpp v155, v155 row_shr:2 row_mask:0xf bank_mask:0xf
	s_delay_alu instid0(VALU_DEP_2) | instskip(NEXT) | instid1(VALU_DEP_2)
	v_mov_b32_dpp v156, v35 row_shr:2 row_mask:0xf bank_mask:0xf
	v_mul_f32_e32 v155, v34, v155
	s_delay_alu instid0(VALU_DEP_2) | instskip(NEXT) | instid1(VALU_DEP_2)
	v_fma_f32 v156, v34, v156, v35
	v_cndmask_b32_e64 v34, v34, v155, s10
	s_delay_alu instid0(VALU_DEP_2)
	v_cndmask_b32_e64 v35, v35, v156, s10
	ds_store_b64 v50, v[34:35] offset:8448
.LBB57_77:                              ;   in Loop: Header=BB57_55 Depth=2
	s_or_b32 exec_lo, exec_lo, s31
	s_waitcnt lgkmcnt(0)
	s_barrier
	buffer_gl0_inv
                                        ; implicit-def: $vgpr35
	s_and_saveexec_b32 s31, s12
	s_cbranch_execz .LBB57_79
; %bb.78:                               ;   in Loop: Header=BB57_55 Depth=2
	ds_load_b64 v[34:35], v49 offset:8440
	s_waitcnt lgkmcnt(0)
	v_mul_f32_e32 v155, v32, v34
	s_delay_alu instid0(VALU_DEP_1)
	v_dual_fmac_f32 v33, v32, v35 :: v_dual_mov_b32 v32, v155
.LBB57_79:                              ;   in Loop: Header=BB57_55 Depth=2
	s_or_b32 exec_lo, exec_lo, s31
	ds_bpermute_b32 v155, v51, v32
	ds_bpermute_b32 v156, v51, v33
	s_and_saveexec_b32 s31, s11
	s_cbranch_execz .LBB57_83
; %bb.80:                               ;   in Loop: Header=BB57_55 Depth=2
	ds_load_b64 v[32:33], v42 offset:8472
	s_and_saveexec_b32 s33, s13
	s_cbranch_execz .LBB57_82
; %bb.81:                               ;   in Loop: Header=BB57_55 Depth=2
	ds_store_b64 v42, v[40:41] offset:8472
.LBB57_82:                              ;   in Loop: Header=BB57_55 Depth=2
	s_or_b32 exec_lo, exec_lo, s33
	s_waitcnt lgkmcnt(0)
	v_fmac_f32_e32 v33, v41, v32
	s_delay_alu instid0(VALU_DEP_1)
	v_dual_mul_f32 v40, v40, v32 :: v_dual_mov_b32 v41, v33
.LBB57_83:                              ;   in Loop: Header=BB57_55 Depth=2
	s_or_b32 exec_lo, exec_lo, s31
	s_waitcnt lgkmcnt(0)
	s_barrier
	buffer_gl0_inv
	ds_load_b32 v32, v42 offset:8476
	s_and_saveexec_b32 s31, s13
	s_cbranch_execz .LBB57_54
; %bb.84:                               ;   in Loop: Header=BB57_55 Depth=2
	v_mov_b32_e32 v33, s75
	s_and_not1_b32 vcc_lo, exec_lo, s73
	ds_store_b64 v33, v[40:41]
	s_cbranch_vccnz .LBB57_54
; %bb.85:                               ;   in Loop: Header=BB57_55 Depth=2
	s_mov_b32 s47, s53
	s_delay_alu instid0(SALU_CYCLE_1) | instskip(NEXT) | instid1(SALU_CYCLE_1)
	s_lshl_b64 s[76:77], s[46:47], 2
	s_add_u32 s76, s64, s76
	s_addc_u32 s77, s65, s77
	global_store_b32 v42, v41, s[76:77]
	s_branch .LBB57_54
.LBB57_86:                              ;   in Loop: Header=BB57_12 Depth=1
	v_bfe_u32 v24, v102, 16, 1
	v_bfe_u32 v25, v103, 16, 1
	v_cmp_o_f32_e32 vcc_lo, v102, v102
	v_bfe_u32 v26, v99, 16, 1
	v_bfe_u32 v28, v97, 16, 1
	v_add3_u32 v24, v102, v24, 0x7fff
	v_add3_u32 v25, v103, v25, 0x7fff
	v_bfe_u32 v31, v94, 16, 1
	v_add3_u32 v26, v99, v26, 0x7fff
	v_bfe_u32 v30, v95, 16, 1
	v_lshrrev_b32_e32 v24, 16, v24
	v_lshrrev_b32_e32 v25, 16, v25
	v_add3_u32 v28, v97, v28, 0x7fff
	v_lshrrev_b32_e32 v26, 16, v26
	v_add3_u32 v31, v94, v31, 0x7fff
	v_cndmask_b32_e32 v24, 0x7fc0, v24, vcc_lo
	v_cmp_o_f32_e32 vcc_lo, v103, v103
	v_add3_u32 v30, v95, v30, 0x7fff
	v_bfe_u32 v27, v100, 16, 1
	v_bfe_u32 v34, v89, 16, 1
	;; [unrolled: 1-line block ×3, first 2 shown]
	v_cndmask_b32_e32 v29, 0x7fc0, v25, vcc_lo
	v_bfe_u32 v25, v98, 16, 1
	v_cmp_o_f32_e32 vcc_lo, v99, v99
	v_lshrrev_b32_e32 v30, 16, v30
	v_add3_u32 v27, v100, v27, 0x7fff
	v_bfe_u32 v36, v87, 16, 1
	v_add3_u32 v25, v98, v25, 0x7fff
	v_cndmask_b32_e32 v32, 0x7fc0, v26, vcc_lo
	v_cmp_o_f32_e32 vcc_lo, v98, v98
	v_lshrrev_b32_e32 v26, 16, v28
	v_lshrrev_b32_e32 v28, 16, v31
	;; [unrolled: 1-line block ×4, first 2 shown]
	v_bfe_u32 v31, v91, 16, 1
	v_add3_u32 v35, v84, v35, 0x7fff
	v_perm_b32 v24, v29, v24, 0x5040100
	v_cndmask_b32_e32 v25, 0x7fc0, v25, vcc_lo
	v_cmp_o_f32_e32 vcc_lo, v94, v94
	s_waitcnt_vscnt null, 0x0
	s_barrier
	buffer_gl0_inv
	s_mov_b32 s39, s53
	v_cndmask_b32_e32 v28, 0x7fc0, v28, vcc_lo
	v_cmp_o_f32_e32 vcc_lo, v95, v95
	s_lshl_b64 s[18:19], s[38:39], 1
	v_cndmask_b32_e32 v30, 0x7fc0, v30, vcc_lo
	v_cmp_o_f32_e32 vcc_lo, v97, v97
	v_cndmask_b32_e32 v26, 0x7fc0, v26, vcc_lo
	v_cmp_o_f32_e32 vcc_lo, v100, v100
	s_delay_alu instid0(VALU_DEP_2)
	v_perm_b32 v26, v26, v25, 0x5040100
	v_cndmask_b32_e32 v33, 0x7fc0, v27, vcc_lo
	v_perm_b32 v27, v30, v28, 0x5040100
	v_add3_u32 v30, v91, v31, 0x7fff
	v_bfe_u32 v31, v88, 16, 1
	v_cmp_o_f32_e32 vcc_lo, v91, v91
	v_perm_b32 v25, v33, v32, 0x5040100
	v_add3_u32 v32, v89, v34, 0x7fff
	v_lshrrev_b32_e32 v30, 16, v30
	v_add3_u32 v31, v88, v31, 0x7fff
	v_bfe_u32 v34, v86, 16, 1
	v_bfe_u32 v28, v92, 16, 1
	s_delay_alu instid0(VALU_DEP_4) | instskip(NEXT) | instid1(VALU_DEP_4)
	v_cndmask_b32_e32 v33, 0x7fc0, v30, vcc_lo
	v_lshrrev_b32_e32 v30, 16, v31
	v_lshrrev_b32_e32 v31, 16, v32
	v_bfe_u32 v32, v85, 16, 1
	v_cmp_o_f32_e32 vcc_lo, v88, v88
	v_add3_u32 v28, v92, v28, 0x7fff
	s_delay_alu instid0(VALU_DEP_3)
	v_add3_u32 v32, v85, v32, 0x7fff
	v_cndmask_b32_e32 v37, 0x7fc0, v30, vcc_lo
	v_cmp_o_f32_e32 vcc_lo, v89, v89
	v_add3_u32 v30, v86, v34, 0x7fff
	v_add3_u32 v34, v87, v36, 0x7fff
	v_lshrrev_b32_e32 v28, 16, v28
	v_cndmask_b32_e32 v36, 0x7fc0, v31, vcc_lo
	v_lshrrev_b32_e32 v31, 16, v32
	v_cmp_o_f32_e32 vcc_lo, v85, v85
	v_lshrrev_b32_e32 v32, 16, v35
	v_lshrrev_b32_e32 v34, 16, v34
	;; [unrolled: 1-line block ×3, first 2 shown]
	v_perm_b32 v29, v36, v37, 0x5040100
	v_cndmask_b32_e32 v35, 0x7fc0, v31, vcc_lo
	v_cmp_o_f32_e32 vcc_lo, v84, v84
	v_cndmask_b32_e32 v31, 0x7fc0, v32, vcc_lo
	v_cmp_o_f32_e32 vcc_lo, v87, v87
	;; [unrolled: 2-line block ×3, first 2 shown]
	s_delay_alu instid0(VALU_DEP_2) | instskip(SKIP_2) | instid1(VALU_DEP_2)
	v_perm_b32 v31, v32, v31, 0x5040100
	v_cndmask_b32_e32 v30, 0x7fc0, v30, vcc_lo
	v_cmp_o_f32_e32 vcc_lo, v92, v92
	v_perm_b32 v30, v30, v35, 0x5040100
	v_cndmask_b32_e32 v28, 0x7fc0, v28, vcc_lo
	v_add_co_u32 v32, vcc_lo, v52, s18
	s_delay_alu instid0(VALU_DEP_2)
	v_perm_b32 v28, v28, v33, 0x5040100
	ds_store_b128 v45, v[24:27]
	ds_store_b128 v45, v[28:31] offset:16
	; wave barrier
	ds_load_b128 v[24:27], v43
	ds_load_b128 v[28:31], v44 offset:512
	v_add_co_ci_u32_e32 v33, vcc_lo, s19, v53, vcc_lo
	s_waitcnt lgkmcnt(1)
	v_alignbit_b32 v35, v26, v25, 16
	v_alignbit_b32 v26, v27, v26, 16
	;; [unrolled: 1-line block ×3, first 2 shown]
	s_clause 0x3
	global_store_b16 v[32:33], v24, off
	global_store_d16_hi_b16 v[32:33], v27, off offset:14
	global_store_b32 v[32:33], v26, off offset:10
	global_store_b64 v[32:33], v[34:35], off offset:2
	v_add_co_u32 v24, vcc_lo, v54, s18
	v_add_co_ci_u32_e32 v25, vcc_lo, s19, v55, vcc_lo
	s_waitcnt lgkmcnt(0)
	global_store_b128 v[32:33], v[28:31], off offset:512
	s_waitcnt_vscnt null, 0x0
	s_barrier
	buffer_gl0_inv
	s_and_saveexec_b32 s14, s0
	s_cbranch_execz .LBB57_88
; %bb.87:                               ;   in Loop: Header=BB57_12 Depth=1
	global_load_b128 v[4:7], v[24:25], off
.LBB57_88:                              ;   in Loop: Header=BB57_12 Depth=1
	s_or_b32 exec_lo, exec_lo, s14
	s_and_saveexec_b32 s14, s1
	s_cbranch_execz .LBB57_11
; %bb.89:                               ;   in Loop: Header=BB57_12 Depth=1
	global_load_b128 v[0:3], v[24:25], off offset:512
	s_branch .LBB57_11
.LBB57_90:
	s_nop 0
	s_sendmsg sendmsg(MSG_DEALLOC_VGPRS)
	s_endpgm
	.section	.rodata,"a",@progbits
	.p2align	6, 0x0
	.amdhsa_kernel _Z25selective_scan_fwd_kernelI32Selective_Scan_fwd_kernel_traitsILi128ELi16ELi1ELb1ELb1ELb1ELb1ELb0EN3c108BFloat16EffEEv13SSMParamsBase
		.amdhsa_group_segment_fixed_size 0
		.amdhsa_private_segment_fixed_size 0
		.amdhsa_kernarg_size 248
		.amdhsa_user_sgpr_count 14
		.amdhsa_user_sgpr_dispatch_ptr 0
		.amdhsa_user_sgpr_queue_ptr 0
		.amdhsa_user_sgpr_kernarg_segment_ptr 1
		.amdhsa_user_sgpr_dispatch_id 0
		.amdhsa_user_sgpr_private_segment_size 0
		.amdhsa_wavefront_size32 1
		.amdhsa_uses_dynamic_stack 0
		.amdhsa_enable_private_segment 0
		.amdhsa_system_sgpr_workgroup_id_x 1
		.amdhsa_system_sgpr_workgroup_id_y 1
		.amdhsa_system_sgpr_workgroup_id_z 0
		.amdhsa_system_sgpr_workgroup_info 0
		.amdhsa_system_vgpr_workitem_id 0
		.amdhsa_next_free_vgpr 158
		.amdhsa_next_free_sgpr 80
		.amdhsa_reserve_vcc 1
		.amdhsa_float_round_mode_32 0
		.amdhsa_float_round_mode_16_64 0
		.amdhsa_float_denorm_mode_32 3
		.amdhsa_float_denorm_mode_16_64 3
		.amdhsa_dx10_clamp 1
		.amdhsa_ieee_mode 1
		.amdhsa_fp16_overflow 0
		.amdhsa_workgroup_processor_mode 1
		.amdhsa_memory_ordered 1
		.amdhsa_forward_progress 0
		.amdhsa_shared_vgpr_count 0
		.amdhsa_exception_fp_ieee_invalid_op 0
		.amdhsa_exception_fp_denorm_src 0
		.amdhsa_exception_fp_ieee_div_zero 0
		.amdhsa_exception_fp_ieee_overflow 0
		.amdhsa_exception_fp_ieee_underflow 0
		.amdhsa_exception_fp_ieee_inexact 0
		.amdhsa_exception_int_div_zero 0
	.end_amdhsa_kernel
	.section	.text._Z25selective_scan_fwd_kernelI32Selective_Scan_fwd_kernel_traitsILi128ELi16ELi1ELb1ELb1ELb1ELb1ELb0EN3c108BFloat16EffEEv13SSMParamsBase,"axG",@progbits,_Z25selective_scan_fwd_kernelI32Selective_Scan_fwd_kernel_traitsILi128ELi16ELi1ELb1ELb1ELb1ELb1ELb0EN3c108BFloat16EffEEv13SSMParamsBase,comdat
.Lfunc_end57:
	.size	_Z25selective_scan_fwd_kernelI32Selective_Scan_fwd_kernel_traitsILi128ELi16ELi1ELb1ELb1ELb1ELb1ELb0EN3c108BFloat16EffEEv13SSMParamsBase, .Lfunc_end57-_Z25selective_scan_fwd_kernelI32Selective_Scan_fwd_kernel_traitsILi128ELi16ELi1ELb1ELb1ELb1ELb1ELb0EN3c108BFloat16EffEEv13SSMParamsBase
                                        ; -- End function
	.section	.AMDGPU.csdata,"",@progbits
; Kernel info:
; codeLenInByte = 22700
; NumSgprs: 82
; NumVgprs: 158
; ScratchSize: 0
; MemoryBound: 1
; FloatMode: 240
; IeeeMode: 1
; LDSByteSize: 0 bytes/workgroup (compile time only)
; SGPRBlocks: 10
; VGPRBlocks: 19
; NumSGPRsForWavesPerEU: 82
; NumVGPRsForWavesPerEU: 158
; Occupancy: 9
; WaveLimiterHint : 1
; COMPUTE_PGM_RSRC2:SCRATCH_EN: 0
; COMPUTE_PGM_RSRC2:USER_SGPR: 14
; COMPUTE_PGM_RSRC2:TRAP_HANDLER: 0
; COMPUTE_PGM_RSRC2:TGID_X_EN: 1
; COMPUTE_PGM_RSRC2:TGID_Y_EN: 1
; COMPUTE_PGM_RSRC2:TGID_Z_EN: 0
; COMPUTE_PGM_RSRC2:TIDIG_COMP_CNT: 0
	.section	.text._Z25selective_scan_fwd_kernelI32Selective_Scan_fwd_kernel_traitsILi128ELi16ELi1ELb1ELb1ELb1ELb0ELb1EN3c108BFloat16EffEEv13SSMParamsBase,"axG",@progbits,_Z25selective_scan_fwd_kernelI32Selective_Scan_fwd_kernel_traitsILi128ELi16ELi1ELb1ELb1ELb1ELb0ELb1EN3c108BFloat16EffEEv13SSMParamsBase,comdat
	.protected	_Z25selective_scan_fwd_kernelI32Selective_Scan_fwd_kernel_traitsILi128ELi16ELi1ELb1ELb1ELb1ELb0ELb1EN3c108BFloat16EffEEv13SSMParamsBase ; -- Begin function _Z25selective_scan_fwd_kernelI32Selective_Scan_fwd_kernel_traitsILi128ELi16ELi1ELb1ELb1ELb1ELb0ELb1EN3c108BFloat16EffEEv13SSMParamsBase
	.globl	_Z25selective_scan_fwd_kernelI32Selective_Scan_fwd_kernel_traitsILi128ELi16ELi1ELb1ELb1ELb1ELb0ELb1EN3c108BFloat16EffEEv13SSMParamsBase
	.p2align	8
	.type	_Z25selective_scan_fwd_kernelI32Selective_Scan_fwd_kernel_traitsILi128ELi16ELi1ELb1ELb1ELb1ELb0ELb1EN3c108BFloat16EffEEv13SSMParamsBase,@function
_Z25selective_scan_fwd_kernelI32Selective_Scan_fwd_kernel_traitsILi128ELi16ELi1ELb1ELb1ELb1ELb0ELb1EN3c108BFloat16EffEEv13SSMParamsBase: ; @_Z25selective_scan_fwd_kernelI32Selective_Scan_fwd_kernel_traitsILi128ELi16ELi1ELb1ELb1ELb1ELb0ELb1EN3c108BFloat16EffEEv13SSMParamsBase
; %bb.0:
	s_clause 0x2
	s_load_b32 s36, s[0:1], 0x18
	s_load_b128 s[4:7], s[0:1], 0xe0
	s_load_b64 s[10:11], s[0:1], 0xf0
	s_mov_b32 s12, s15
	s_ashr_i32 s15, s14, 31
	s_mov_b32 s66, 0
	s_lshl_b64 s[8:9], s[14:15], 2
	s_waitcnt lgkmcnt(0)
	s_abs_i32 s33, s36
	s_add_u32 s2, s4, s8
	v_cvt_f32_u32_e32 v1, s33
	s_addc_u32 s3, s5, s9
	s_cmp_eq_u64 s[10:11], 0
	s_delay_alu instid0(VALU_DEP_1) | instskip(SKIP_2) | instid1(VALU_DEP_1)
	v_rcp_iflag_f32_e32 v1, v1
	s_waitcnt_depctr 0xfff
	v_mul_f32_e32 v1, 0x4f7ffffe, v1
	v_cvt_u32_f32_e32 v1, v1
	s_delay_alu instid0(VALU_DEP_1)
	v_readfirstlane_b32 s37, v1
	s_cbranch_scc1 .LBB58_2
; %bb.1:
	v_mov_b32_e32 v1, 0
	s_add_u32 s4, s10, s14
	s_addc_u32 s5, s11, s15
	global_load_u8 v1, v1, s[4:5]
	s_waitcnt vmcnt(0)
	v_and_b32_e32 v1, 1, v1
	s_delay_alu instid0(VALU_DEP_1)
	v_cmp_eq_u32_e64 s66, 1, v1
.LBB58_2:
	s_load_b64 s[4:5], s[0:1], 0x20
	s_cmp_eq_u64 s[6:7], 0
	s_cbranch_scc1 .LBB58_4
; %bb.3:
	s_add_u32 s6, s6, s8
	s_addc_u32 s7, s7, s9
	s_load_b32 s14, s[6:7], 0x0
	s_waitcnt lgkmcnt(0)
	s_ashr_i32 s15, s14, 31
.LBB58_4:
	s_waitcnt lgkmcnt(0)
	s_cmp_eq_u64 s[4:5], s[14:15]
	s_cbranch_scc1 .LBB58_238
; %bb.5:
	s_load_b512 s[16:31], s[0:1], 0x88
	s_load_b64 s[34:35], s[2:3], 0x0
	s_mov_b32 s67, 0
	s_mov_b32 s68, 0
	s_waitcnt lgkmcnt(0)
	s_cmp_eq_u64 s[22:23], 0
	s_cbranch_scc1 .LBB58_7
; %bb.6:
	s_ashr_i32 s13, s12, 31
	s_delay_alu instid0(SALU_CYCLE_1) | instskip(NEXT) | instid1(SALU_CYCLE_1)
	s_lshl_b64 s[2:3], s[12:13], 2
	s_add_u32 s2, s22, s2
	s_addc_u32 s3, s23, s3
	s_load_b32 s68, s[2:3], 0x0
.LBB58_7:
	s_cmp_eq_u64 s[28:29], 0
	s_cbranch_scc1 .LBB58_9
; %bb.8:
	s_ashr_i32 s13, s12, 31
	s_delay_alu instid0(SALU_CYCLE_1) | instskip(NEXT) | instid1(SALU_CYCLE_1)
	s_lshl_b64 s[2:3], s[12:13], 2
	s_add_u32 s2, s28, s2
	s_addc_u32 s3, s29, s3
	s_load_b32 s67, s[2:3], 0x0
.LBB58_9:
	s_sub_i32 s69, s35, s34
	s_delay_alu instid0(SALU_CYCLE_1)
	s_cmp_lt_i32 s69, 1
	s_cbranch_scc1 .LBB58_238
; %bb.10:
	s_sub_i32 s2, 0, s33
	s_abs_i32 s5, s12
	s_mul_i32 s4, s2, s37
	s_clause 0x1
	s_load_b64 s[2:3], s[0:1], 0x5c
	s_load_b128 s[56:59], s[0:1], 0x4c
	s_mul_hi_u32 s4, s37, s4
	s_ashr_i32 s7, s36, 31
	s_add_i32 s37, s37, s4
	s_ashr_i32 s4, s12, 31
	s_mul_hi_u32 s6, s5, s37
	s_xor_b32 s7, s4, s7
	s_mul_i32 s8, s6, s33
	s_load_b256 s[48:55], s[0:1], 0x2c
	s_sub_i32 s4, s5, s8
	s_add_i32 s5, s6, 1
	s_sub_i32 s8, s4, s33
	s_cmp_ge_u32 s4, s33
	s_mov_b32 s65, 0
	s_cselect_b32 s5, s5, s6
	s_cselect_b32 s4, s8, s4
	s_add_i32 s6, s5, 1
	s_cmp_ge_u32 s4, s33
	s_load_b128 s[60:63], s[0:1], 0x7c
	s_cselect_b32 s4, s6, s5
	s_waitcnt lgkmcnt(0)
	s_mul_i32 s64, s34, s58
	s_xor_b32 s6, s4, s7
	s_lshl_b64 s[4:5], s[64:65], 1
	s_sub_i32 s6, s6, s7
	s_mul_i32 s64, s59, s12
	s_add_u32 s7, s24, s4
	s_addc_u32 s8, s25, s5
	s_lshl_b64 s[4:5], s[64:65], 1
	s_mul_i32 s64, s34, s2
	s_add_u32 s70, s7, s4
	s_addc_u32 s71, s8, s5
	s_lshl_b64 s[4:5], s[64:65], 1
	;; [unrolled: 4-line block ×3, first 2 shown]
	v_dual_mov_b32 v21, 0 :: v_dual_lshlrev_b32 v18, 4, v0
	s_add_u32 s72, s4, s2
	s_mul_i32 s64, s48, s12
	s_addc_u32 s48, s5, s3
	s_load_b64 s[4:5], s[0:1], 0xc8
	s_lshl_b64 s[2:3], s[64:65], 2
	v_mbcnt_lo_u32_b32 v19, -1, 0
	v_and_b32_e32 v1, 0x600, v18
	s_mul_i32 s64, s34, s50
	s_add_u32 s73, s16, s2
	s_addc_u32 s63, s17, s3
	s_lshl_b64 s[2:3], s[64:65], 1
	s_mul_i32 s64, s6, s53
	s_clause 0x2
	s_load_b64 s[16:17], s[0:1], 0x6c
	s_load_b32 s78, s[0:1], 0xc
	s_load_b32 s0, s[0:1], 0x28
	s_add_u32 s7, s18, s2
	v_or_b32_e32 v20, v19, v1
	s_addc_u32 s8, s19, s3
	s_lshl_b64 s[2:3], s[64:65], 1
	s_mul_i32 s64, s34, s54
	s_add_u32 s53, s7, s2
	s_addc_u32 s74, s8, s3
	s_lshl_b64 s[2:3], s[64:65], 1
	s_mul_i32 s64, s6, s57
	v_or_b32_e32 v24, 0x60, v20
	v_and_b32_e32 v14, 0x60, v0
	s_add_u32 s7, s20, s2
	s_addc_u32 s6, s21, s3
	s_lshl_b64 s[2:3], s[64:65], 1
	s_mul_i32 s64, s14, s60
	s_add_u32 s57, s7, s2
	s_addc_u32 s75, s6, s3
	s_lshl_b64 s[2:3], s[64:65], 2
	v_or_b32_e32 v26, 0xa0, v20
	v_or_b32_e32 v28, 0xe0, v20
	;; [unrolled: 1-line block ×5, first 2 shown]
	v_lshrrev_b32_e32 v2, 5, v24
	v_or_b32_e32 v36, 0x1e0, v20
	v_or_b32_e32 v16, v19, v14
	s_mul_i32 s64, s61, s12
	s_waitcnt lgkmcnt(0)
	s_add_u32 s4, s4, s2
	s_addc_u32 s5, s5, s3
	s_lshl_b64 s[2:3], s[64:65], 2
	v_or_b32_e32 v23, 64, v20
	s_add_u32 s76, s4, s2
	v_or_b32_e32 v25, 0x80, v20
	v_or_b32_e32 v27, 0xc0, v20
	;; [unrolled: 1-line block ×6, first 2 shown]
	v_and_b32_e32 v2, 50, v2
	v_lshrrev_b32_e32 v5, 5, v26
	v_lshrrev_b32_e32 v8, 5, v28
	v_lshrrev_b32_e32 v9, 5, v30
	v_lshrrev_b32_e32 v11, 5, v32
	v_lshrrev_b32_e32 v15, 5, v34
	v_lshrrev_b32_e32 v49, 5, v36
	v_lshrrev_b16 v50, 1, v16
	s_addc_u32 s77, s5, s3
	s_add_i32 s2, s69, 0x7ff
	v_lshrrev_b32_e32 v3, 5, v1
	s_lshr_b32 s79, s2, 11
	s_bitcmp1_b32 s0, 0
	v_lshrrev_b32_e32 v4, 5, v23
	v_lshrrev_b32_e32 v6, 5, v25
	v_add_lshl_u32 v2, v2, v20, 1
	v_and_b32_e32 v5, 52, v5
	v_lshrrev_b32_e32 v7, 5, v27
	v_and_b32_e32 v8, 54, v8
	v_lshrrev_b32_e32 v10, 5, v29
	;; [unrolled: 2-line block ×5, first 2 shown]
	v_and_b32_e32 v51, 62, v49
	v_lshlrev_b32_e32 v16, 4, v16
	v_and_b32_e32 v52, 62, v50
	s_cselect_b32 s80, -1, 0
	s_cmp_gt_i32 s78, 0
	v_add_lshl_u32 v3, v3, v20, 1
	s_cselect_b32 s81, -1, 0
	s_add_i32 s0, 0, 0x1080
	v_add_lshl_u32 v4, v4, v20, 1
	v_add_lshl_u32 v6, v6, v20, 1
	v_add_nc_u32_e32 v39, 0, v2
	v_add_lshl_u32 v5, v5, v20, 1
	v_add_lshl_u32 v7, v7, v20, 1
	;; [unrolled: 1-line block ×12, first 2 shown]
	v_add_nc_u32_e32 v55, s0, v2
	v_and_b32_e32 v2, 15, v19
	s_and_b32 s1, s69, 0x7ff
	v_add_nc_u32_e32 v51, 0, v67
	v_add_nc_u32_e32 v53, s0, v3
	;; [unrolled: 1-line block ×15, first 2 shown]
	s_cmp_eq_u32 s1, 0
	v_add_nc_u32_e32 v68, s0, v16
	v_cmp_ne_u32_e64 s0, 0, v2
	v_cmp_lt_u32_e64 s1, 1, v2
	v_cmp_lt_u32_e64 s2, 3, v2
	;; [unrolled: 1-line block ×3, first 2 shown]
	v_add_nc_u32_e32 v2, -1, v19
	v_add_nc_u32_e32 v37, 0, v3
	v_lshrrev_b32_e32 v3, 2, v0
	v_add_nc_u32_e32 v41, 0, v5
	v_or_b32_e32 v5, 31, v14
	v_cmp_gt_i32_e32 vcc_lo, 0, v2
	s_mul_i32 s64, s34, s16
	v_and_b32_e32 v3, 24, v3
	s_cselect_b32 s82, -1, 0
	s_lshl_b64 s[14:15], s[64:65], 1
	v_cndmask_b32_e32 v2, v2, v19, vcc_lo
	s_add_i32 s83, s79, -1
	s_mul_i32 s64, s17, s12
	v_cmp_eq_u32_e64 s5, v5, v0
	v_cmp_gt_u32_e64 s6, 4, v0
	v_lshl_add_u32 v70, v0, 3, 0
	v_cmp_gt_u32_e64 s9, 32, v0
	v_cmp_lt_u32_e64 s10, 31, v0
	v_cmp_eq_u32_e64 s11, 0, v0
	s_add_u32 s14, s30, s14
	v_lshlrev_b32_e32 v0, 1, v19
	s_addc_u32 s15, s31, s15
	s_lshl_b64 s[12:13], s[64:65], 1
	v_add_nc_u32_e32 v69, 0, v3
	v_and_b32_e32 v3, 3, v19
	s_add_u32 s12, s14, s12
	v_lshlrev_b32_e32 v71, 2, v2
	s_addc_u32 s13, s15, s13
	v_lshlrev_b32_e32 v2, 1, v1
	v_add_co_u32 v0, s12, s12, v0
	v_add_nc_u32_e32 v38, 0, v4
	v_and_b32_e32 v4, 16, v19
	v_cmp_ne_u32_e64 s7, 0, v3
	v_cmp_lt_u32_e64 s8, 1, v3
	v_add_co_ci_u32_e64 v3, null, s13, 0, s12
	v_add_co_u32 v72, vcc_lo, v0, v2
	v_or_b32_e32 v22, 32, v20
	v_add_nc_u32_e32 v40, 0, v6
	v_add_nc_u32_e32 v42, 0, v7
	;; [unrolled: 1-line block ×11, first 2 shown]
	v_cmp_ne_u32_e64 s4, 0, v4
	v_cmp_eq_u32_e64 s12, 0, v19
	v_add_co_ci_u32_e32 v73, vcc_lo, 0, v3, vcc_lo
	v_or_b32_e32 v74, 1, v18
	v_or_b32_e32 v75, 2, v18
	;; [unrolled: 1-line block ×15, first 2 shown]
	v_lshlrev_b32_e32 v89, 1, v1
	s_mov_b32 s84, 0x3e9b6dac
	s_add_i32 s85, 0, 0x2120
	s_mov_b32 s86, 0
	s_branch .LBB58_12
.LBB58_11:                              ;   in Loop: Header=BB58_12 Depth=1
	s_or_b32 exec_lo, exec_lo, s13
	s_add_u32 s72, s72, 0x1000
	s_addc_u32 s48, s48, 0
	s_add_u32 s70, s70, 0x1000
	s_addc_u32 s71, s71, 0
	;; [unrolled: 2-line block ×4, first 2 shown]
	s_add_i32 s86, s86, 1
	s_delay_alu instid0(SALU_CYCLE_1)
	s_cmp_eq_u32 s86, s79
	s_cbranch_scc1 .LBB58_238
.LBB58_12:                              ; =>This Loop Header: Depth=1
                                        ;     Child Loop BB58_109 Depth 2
	s_waitcnt lgkmcnt(14)
	v_lshlrev_b32_e32 v16, 1, v19
	s_lshl_b32 s50, s86, 11
	s_waitcnt lgkmcnt(0)
	v_mov_b32_e32 v2, 0
	s_sub_i32 s41, s69, s50
	v_add_co_u32 v0, s13, s70, v16
	s_delay_alu instid0(VALU_DEP_1) | instskip(SKIP_1) | instid1(VALU_DEP_3)
	v_add_co_ci_u32_e64 v1, null, s71, 0, s13
	v_cmp_gt_u32_e64 s13, s41, v20
	v_add_co_u32 v0, vcc_lo, v0, v89
	s_delay_alu instid0(VALU_DEP_3)
	v_add_co_ci_u32_e32 v1, vcc_lo, 0, v1, vcc_lo
	s_waitcnt_vscnt null, 0x0
	s_barrier
	buffer_gl0_inv
	s_and_saveexec_b32 s14, s13
	s_cbranch_execz .LBB58_14
; %bb.13:                               ;   in Loop: Header=BB58_12 Depth=1
	global_load_u16 v2, v[0:1], off
.LBB58_14:                              ;   in Loop: Header=BB58_12 Depth=1
	s_or_b32 exec_lo, exec_lo, s14
	v_cmp_gt_u32_e64 s14, s41, v22
	v_dual_mov_b32 v3, 0 :: v_dual_mov_b32 v4, 0
	s_delay_alu instid0(VALU_DEP_2)
	s_and_saveexec_b32 s15, s14
	s_cbranch_execz .LBB58_16
; %bb.15:                               ;   in Loop: Header=BB58_12 Depth=1
	global_load_u16 v4, v[0:1], off offset:64
.LBB58_16:                              ;   in Loop: Header=BB58_12 Depth=1
	s_or_b32 exec_lo, exec_lo, s15
	v_cmp_gt_u32_e64 s15, s41, v23
	s_delay_alu instid0(VALU_DEP_1)
	s_and_saveexec_b32 s16, s15
	s_cbranch_execz .LBB58_18
; %bb.17:                               ;   in Loop: Header=BB58_12 Depth=1
	global_load_u16 v3, v[0:1], off offset:128
.LBB58_18:                              ;   in Loop: Header=BB58_12 Depth=1
	s_or_b32 exec_lo, exec_lo, s16
	v_cmp_gt_u32_e64 s16, s41, v24
	v_dual_mov_b32 v5, 0 :: v_dual_mov_b32 v6, 0
	s_delay_alu instid0(VALU_DEP_2)
	s_and_saveexec_b32 s17, s16
	s_cbranch_execz .LBB58_20
; %bb.19:                               ;   in Loop: Header=BB58_12 Depth=1
	global_load_u16 v6, v[0:1], off offset:192
.LBB58_20:                              ;   in Loop: Header=BB58_12 Depth=1
	s_or_b32 exec_lo, exec_lo, s17
	v_cmp_gt_u32_e64 s17, s41, v25
	s_delay_alu instid0(VALU_DEP_1)
	s_and_saveexec_b32 s18, s17
	s_cbranch_execz .LBB58_22
; %bb.21:                               ;   in Loop: Header=BB58_12 Depth=1
	global_load_u16 v5, v[0:1], off offset:256
.LBB58_22:                              ;   in Loop: Header=BB58_12 Depth=1
	;; [unrolled: 17-line block ×3, first 2 shown]
	s_or_b32 exec_lo, exec_lo, s20
	v_cmp_gt_u32_e64 s20, s41, v28
	v_mov_b32_e32 v9, 0
	v_mov_b32_e32 v11, 0
	s_delay_alu instid0(VALU_DEP_3)
	s_and_saveexec_b32 s21, s20
	s_cbranch_execz .LBB58_28
; %bb.27:                               ;   in Loop: Header=BB58_12 Depth=1
	global_load_u16 v11, v[0:1], off offset:448
.LBB58_28:                              ;   in Loop: Header=BB58_12 Depth=1
	s_or_b32 exec_lo, exec_lo, s21
	v_cmp_gt_u32_e64 s21, s41, v29
	s_delay_alu instid0(VALU_DEP_1)
	s_and_saveexec_b32 s22, s21
	s_cbranch_execz .LBB58_30
; %bb.29:                               ;   in Loop: Header=BB58_12 Depth=1
	global_load_u16 v9, v[0:1], off offset:512
.LBB58_30:                              ;   in Loop: Header=BB58_12 Depth=1
	s_or_b32 exec_lo, exec_lo, s22
	v_cmp_gt_u32_e64 s22, s41, v30
	v_dual_mov_b32 v12, 0 :: v_dual_mov_b32 v13, 0
	s_delay_alu instid0(VALU_DEP_2)
	s_and_saveexec_b32 s23, s22
	s_cbranch_execz .LBB58_32
; %bb.31:                               ;   in Loop: Header=BB58_12 Depth=1
	global_load_u16 v13, v[0:1], off offset:576
.LBB58_32:                              ;   in Loop: Header=BB58_12 Depth=1
	s_or_b32 exec_lo, exec_lo, s23
	v_cmp_gt_u32_e64 s23, s41, v31
	s_delay_alu instid0(VALU_DEP_1)
	s_and_saveexec_b32 s24, s23
	s_cbranch_execz .LBB58_34
; %bb.33:                               ;   in Loop: Header=BB58_12 Depth=1
	global_load_u16 v12, v[0:1], off offset:640
.LBB58_34:                              ;   in Loop: Header=BB58_12 Depth=1
	s_or_b32 exec_lo, exec_lo, s24
	v_cmp_gt_u32_e64 s24, s41, v32
	v_dual_mov_b32 v14, 0 :: v_dual_mov_b32 v15, 0
	s_delay_alu instid0(VALU_DEP_2)
	;; [unrolled: 17-line block ×4, first 2 shown]
	s_and_saveexec_b32 s29, s28
	s_cbranch_execz .LBB58_44
; %bb.43:                               ;   in Loop: Header=BB58_12 Depth=1
	global_load_u16 v91, v[0:1], off offset:960
.LBB58_44:                              ;   in Loop: Header=BB58_12 Depth=1
	s_or_b32 exec_lo, exec_lo, s29
	s_waitcnt vmcnt(0)
	ds_store_b16 v37, v2
	ds_store_b16 v37, v4 offset:64
	ds_store_b16 v38, v3 offset:128
	;; [unrolled: 1-line block ×15, first 2 shown]
	; wave barrier
	ds_load_b128 v[0:3], v52
	ds_load_b128 v[4:7], v52 offset:16
	v_add_co_u32 v8, s29, s72, v16
	s_delay_alu instid0(VALU_DEP_1) | instskip(SKIP_1) | instid1(VALU_DEP_2)
	v_add_co_ci_u32_e64 v9, null, s48, 0, s29
	s_waitcnt lgkmcnt(0)
	v_add_co_u32 v8, vcc_lo, v8, v89
	s_delay_alu instid0(VALU_DEP_2)
	v_add_co_ci_u32_e32 v9, vcc_lo, 0, v9, vcc_lo
	s_barrier
	buffer_gl0_inv
	s_and_saveexec_b32 s29, s13
	s_cbranch_execz .LBB58_46
; %bb.45:                               ;   in Loop: Header=BB58_12 Depth=1
	global_load_u16 v10, v[8:9], off
.LBB58_46:                              ;   in Loop: Header=BB58_12 Depth=1
	s_or_b32 exec_lo, exec_lo, s29
	v_dual_mov_b32 v11, 0 :: v_dual_mov_b32 v12, 0
	s_and_saveexec_b32 s29, s14
	s_cbranch_execz .LBB58_48
; %bb.47:                               ;   in Loop: Header=BB58_12 Depth=1
	global_load_u16 v12, v[8:9], off offset:64
.LBB58_48:                              ;   in Loop: Header=BB58_12 Depth=1
	s_or_b32 exec_lo, exec_lo, s29
	s_and_saveexec_b32 s29, s15
	s_cbranch_execz .LBB58_50
; %bb.49:                               ;   in Loop: Header=BB58_12 Depth=1
	global_load_u16 v11, v[8:9], off offset:128
.LBB58_50:                              ;   in Loop: Header=BB58_12 Depth=1
	s_or_b32 exec_lo, exec_lo, s29
	v_dual_mov_b32 v13, 0 :: v_dual_mov_b32 v14, 0
	s_and_saveexec_b32 s29, s16
	s_cbranch_execz .LBB58_52
; %bb.51:                               ;   in Loop: Header=BB58_12 Depth=1
	global_load_u16 v14, v[8:9], off offset:192
.LBB58_52:                              ;   in Loop: Header=BB58_12 Depth=1
	s_or_b32 exec_lo, exec_lo, s29
	s_and_saveexec_b32 s29, s17
	s_cbranch_execz .LBB58_54
; %bb.53:                               ;   in Loop: Header=BB58_12 Depth=1
	global_load_u16 v13, v[8:9], off offset:256
.LBB58_54:                              ;   in Loop: Header=BB58_12 Depth=1
	s_or_b32 exec_lo, exec_lo, s29
	v_mov_b32_e32 v15, 0
	v_mov_b32_e32 v17, 0
	s_and_saveexec_b32 s29, s18
	s_cbranch_execz .LBB58_56
; %bb.55:                               ;   in Loop: Header=BB58_12 Depth=1
	global_load_u16 v17, v[8:9], off offset:320
.LBB58_56:                              ;   in Loop: Header=BB58_12 Depth=1
	s_or_b32 exec_lo, exec_lo, s29
	s_and_saveexec_b32 s29, s19
	s_cbranch_execz .LBB58_58
; %bb.57:                               ;   in Loop: Header=BB58_12 Depth=1
	global_load_u16 v15, v[8:9], off offset:384
.LBB58_58:                              ;   in Loop: Header=BB58_12 Depth=1
	s_or_b32 exec_lo, exec_lo, s29
	v_dual_mov_b32 v90, 0 :: v_dual_mov_b32 v91, 0
	s_and_saveexec_b32 s29, s20
	s_cbranch_execz .LBB58_60
; %bb.59:                               ;   in Loop: Header=BB58_12 Depth=1
	global_load_u16 v91, v[8:9], off offset:448
.LBB58_60:                              ;   in Loop: Header=BB58_12 Depth=1
	s_or_b32 exec_lo, exec_lo, s29
	s_and_saveexec_b32 s29, s21
	s_cbranch_execz .LBB58_62
; %bb.61:                               ;   in Loop: Header=BB58_12 Depth=1
	global_load_u16 v90, v[8:9], off offset:512
.LBB58_62:                              ;   in Loop: Header=BB58_12 Depth=1
	s_or_b32 exec_lo, exec_lo, s29
	v_dual_mov_b32 v92, 0 :: v_dual_mov_b32 v93, 0
	;; [unrolled: 13-line block ×4, first 2 shown]
	s_and_saveexec_b32 s29, s26
	s_cbranch_execnz .LBB58_220
; %bb.71:                               ;   in Loop: Header=BB58_12 Depth=1
	s_or_b32 exec_lo, exec_lo, s29
	s_and_saveexec_b32 s29, s27
	s_cbranch_execnz .LBB58_221
.LBB58_72:                              ;   in Loop: Header=BB58_12 Depth=1
	s_or_b32 exec_lo, exec_lo, s29
	v_mov_b32_e32 v98, 0
	s_and_saveexec_b32 s29, s28
	s_cbranch_execz .LBB58_74
.LBB58_73:                              ;   in Loop: Header=BB58_12 Depth=1
	global_load_u16 v98, v[8:9], off offset:960
.LBB58_74:                              ;   in Loop: Header=BB58_12 Depth=1
	s_or_b32 exec_lo, exec_lo, s29
	s_waitcnt vmcnt(0)
	ds_store_b16 v37, v10
	ds_store_b16 v37, v12 offset:64
	ds_store_b16 v38, v11 offset:128
	;; [unrolled: 1-line block ×15, first 2 shown]
	; wave barrier
	ds_load_b128 v[12:15], v52
	ds_load_b128 v[8:11], v52 offset:16
	s_waitcnt lgkmcnt(1)
	v_lshlrev_b32_e32 v17, 16, v12
	s_delay_alu instid0(VALU_DEP_1) | instskip(NEXT) | instid1(VALU_DEP_1)
	v_add_f32_e32 v90, s67, v17
	v_cmp_ge_f32_e32 vcc_lo, 0x41a00000, v90
	s_and_b32 s29, s80, vcc_lo
	s_delay_alu instid0(SALU_CYCLE_1)
	s_and_saveexec_b32 s30, s29
	s_cbranch_execz .LBB58_76
; %bb.75:                               ;   in Loop: Header=BB58_12 Depth=1
	v_mul_f32_e32 v17, 0x3fb8aa3b, v90
	v_cmp_ngt_f32_e32 vcc_lo, 0xc2ce8ed0, v90
	s_delay_alu instid0(VALU_DEP_2) | instskip(SKIP_1) | instid1(VALU_DEP_1)
	v_rndne_f32_e32 v91, v17
	v_fma_f32 v92, 0x3fb8aa3b, v90, -v17
	v_dual_sub_f32 v17, v17, v91 :: v_dual_fmac_f32 v92, 0x32a5705f, v90
	v_cvt_i32_f32_e32 v91, v91
	s_delay_alu instid0(VALU_DEP_2) | instskip(NEXT) | instid1(VALU_DEP_1)
	v_add_f32_e32 v17, v17, v92
	v_exp_f32_e32 v17, v17
	s_waitcnt_depctr 0xfff
	v_ldexp_f32 v17, v17, v91
	s_delay_alu instid0(VALU_DEP_1) | instskip(SKIP_1) | instid1(VALU_DEP_2)
	v_cndmask_b32_e32 v17, 0, v17, vcc_lo
	v_cmp_nlt_f32_e32 vcc_lo, 0x42b17218, v90
	v_cndmask_b32_e32 v17, 0x7f800000, v17, vcc_lo
	s_delay_alu instid0(VALU_DEP_1) | instskip(NEXT) | instid1(VALU_DEP_1)
	v_add_f32_e32 v92, 1.0, v17
	v_cvt_f64_f32_e32 v[90:91], v92
	s_delay_alu instid0(VALU_DEP_1) | instskip(SKIP_1) | instid1(VALU_DEP_1)
	v_frexp_exp_i32_f64_e32 v90, v[90:91]
	v_frexp_mant_f32_e32 v91, v92
	v_cmp_gt_f32_e32 vcc_lo, 0x3f2aaaab, v91
	v_add_f32_e32 v91, -1.0, v92
	s_delay_alu instid0(VALU_DEP_1) | instskip(NEXT) | instid1(VALU_DEP_1)
	v_dual_sub_f32 v94, v91, v92 :: v_dual_sub_f32 v91, v17, v91
	v_add_f32_e32 v94, 1.0, v94
	v_subrev_co_ci_u32_e32 v90, vcc_lo, 0, v90, vcc_lo
	s_delay_alu instid0(VALU_DEP_1) | instskip(SKIP_1) | instid1(VALU_DEP_2)
	v_sub_nc_u32_e32 v93, 0, v90
	v_cvt_f32_i32_e32 v90, v90
	v_ldexp_f32 v92, v92, v93
	v_add_f32_e32 v91, v91, v94
	s_delay_alu instid0(VALU_DEP_1) | instskip(NEXT) | instid1(VALU_DEP_3)
	v_ldexp_f32 v91, v91, v93
	v_add_f32_e32 v95, 1.0, v92
	s_delay_alu instid0(VALU_DEP_1) | instskip(NEXT) | instid1(VALU_DEP_1)
	v_add_f32_e32 v94, -1.0, v95
	v_sub_f32_e32 v94, v92, v94
	v_cmp_eq_f32_e32 vcc_lo, 0x7f800000, v17
	v_cmp_gt_f32_e64 s29, 0x33800000, v17
	s_delay_alu instid0(VALU_DEP_3) | instskip(NEXT) | instid1(VALU_DEP_2)
	v_dual_add_f32 v94, v91, v94 :: v_dual_add_f32 v93, -1.0, v92
	s_or_b32 vcc_lo, s29, vcc_lo
	s_delay_alu instid0(VALU_DEP_1) | instskip(NEXT) | instid1(VALU_DEP_1)
	v_add_f32_e32 v96, 1.0, v93
	v_sub_f32_e32 v92, v92, v96
	s_delay_alu instid0(VALU_DEP_3) | instskip(NEXT) | instid1(VALU_DEP_1)
	v_add_f32_e32 v96, v95, v94
	v_sub_f32_e32 v95, v95, v96
	s_delay_alu instid0(VALU_DEP_3) | instskip(SKIP_1) | instid1(VALU_DEP_2)
	v_add_f32_e32 v91, v91, v92
	v_rcp_f32_e32 v92, v96
	v_add_f32_e32 v94, v94, v95
	s_delay_alu instid0(VALU_DEP_2) | instskip(NEXT) | instid1(VALU_DEP_1)
	v_add_f32_e32 v97, v93, v91
	v_sub_f32_e32 v93, v93, v97
	s_waitcnt_depctr 0xfff
	v_dual_mul_f32 v98, v97, v92 :: v_dual_add_f32 v91, v91, v93
	s_delay_alu instid0(VALU_DEP_1) | instskip(NEXT) | instid1(VALU_DEP_1)
	v_mul_f32_e32 v99, v96, v98
	v_fma_f32 v95, v98, v96, -v99
	s_delay_alu instid0(VALU_DEP_1) | instskip(NEXT) | instid1(VALU_DEP_1)
	v_fmac_f32_e32 v95, v98, v94
	v_add_f32_e32 v100, v99, v95
	s_delay_alu instid0(VALU_DEP_1) | instskip(NEXT) | instid1(VALU_DEP_1)
	v_sub_f32_e32 v101, v97, v100
	v_sub_f32_e32 v97, v97, v101
	;; [unrolled: 1-line block ×3, first 2 shown]
	s_delay_alu instid0(VALU_DEP_2) | instskip(NEXT) | instid1(VALU_DEP_2)
	v_sub_f32_e32 v97, v97, v100
	v_sub_f32_e32 v93, v93, v95
	s_delay_alu instid0(VALU_DEP_2) | instskip(NEXT) | instid1(VALU_DEP_1)
	v_add_f32_e32 v91, v91, v97
	v_add_f32_e32 v91, v93, v91
	s_delay_alu instid0(VALU_DEP_1) | instskip(NEXT) | instid1(VALU_DEP_1)
	v_add_f32_e32 v93, v101, v91
	v_mul_f32_e32 v95, v92, v93
	s_delay_alu instid0(VALU_DEP_1) | instskip(NEXT) | instid1(VALU_DEP_1)
	v_dual_sub_f32 v100, v101, v93 :: v_dual_mul_f32 v97, v96, v95
	v_add_f32_e32 v91, v91, v100
	s_delay_alu instid0(VALU_DEP_2) | instskip(NEXT) | instid1(VALU_DEP_1)
	v_fma_f32 v96, v95, v96, -v97
	v_fmac_f32_e32 v96, v95, v94
	s_delay_alu instid0(VALU_DEP_1) | instskip(NEXT) | instid1(VALU_DEP_1)
	v_add_f32_e32 v94, v97, v96
	v_sub_f32_e32 v99, v93, v94
	v_sub_f32_e32 v97, v94, v97
	s_delay_alu instid0(VALU_DEP_2) | instskip(NEXT) | instid1(VALU_DEP_1)
	v_sub_f32_e32 v93, v93, v99
	v_sub_f32_e32 v93, v93, v94
	s_delay_alu instid0(VALU_DEP_1) | instskip(SKIP_1) | instid1(VALU_DEP_1)
	v_dual_sub_f32 v94, v97, v96 :: v_dual_add_f32 v91, v91, v93
	v_add_f32_e32 v93, v98, v95
	v_dual_add_f32 v91, v94, v91 :: v_dual_sub_f32 v94, v93, v98
	s_delay_alu instid0(VALU_DEP_1) | instskip(NEXT) | instid1(VALU_DEP_1)
	v_add_f32_e32 v91, v99, v91
	v_dual_sub_f32 v94, v95, v94 :: v_dual_mul_f32 v91, v92, v91
	s_delay_alu instid0(VALU_DEP_1) | instskip(NEXT) | instid1(VALU_DEP_1)
	v_add_f32_e32 v91, v94, v91
	v_add_f32_e32 v92, v93, v91
	s_delay_alu instid0(VALU_DEP_1) | instskip(NEXT) | instid1(VALU_DEP_1)
	v_mul_f32_e32 v94, v92, v92
	v_fmaak_f32 v95, s84, v94, 0x3ecc95a3
	v_mul_f32_e32 v96, v92, v94
	s_delay_alu instid0(VALU_DEP_2) | instskip(SKIP_2) | instid1(VALU_DEP_3)
	v_fmaak_f32 v94, v94, v95, 0x3f2aaada
	v_ldexp_f32 v95, v92, 1
	v_sub_f32_e32 v92, v92, v93
	v_mul_f32_e32 v94, v96, v94
	s_delay_alu instid0(VALU_DEP_2) | instskip(NEXT) | instid1(VALU_DEP_2)
	v_dual_mul_f32 v96, 0x3f317218, v90 :: v_dual_sub_f32 v91, v91, v92
	v_add_f32_e32 v93, v95, v94
	s_delay_alu instid0(VALU_DEP_2) | instskip(NEXT) | instid1(VALU_DEP_2)
	v_ldexp_f32 v91, v91, 1
	v_sub_f32_e32 v92, v93, v95
	s_delay_alu instid0(VALU_DEP_4) | instskip(NEXT) | instid1(VALU_DEP_1)
	v_fma_f32 v95, 0x3f317218, v90, -v96
	v_dual_sub_f32 v92, v94, v92 :: v_dual_fmac_f32 v95, 0xb102e308, v90
	s_delay_alu instid0(VALU_DEP_1) | instskip(NEXT) | instid1(VALU_DEP_1)
	v_dual_add_f32 v90, v91, v92 :: v_dual_add_f32 v91, v96, v95
	v_add_f32_e32 v92, v93, v90
	s_delay_alu instid0(VALU_DEP_2) | instskip(NEXT) | instid1(VALU_DEP_2)
	v_sub_f32_e32 v96, v91, v96
	v_dual_add_f32 v94, v91, v92 :: v_dual_sub_f32 v93, v92, v93
	s_delay_alu instid0(VALU_DEP_2) | instskip(NEXT) | instid1(VALU_DEP_2)
	v_sub_f32_e32 v95, v95, v96
	v_sub_f32_e32 v97, v94, v91
	s_delay_alu instid0(VALU_DEP_3) | instskip(NEXT) | instid1(VALU_DEP_2)
	v_sub_f32_e32 v90, v90, v93
	v_sub_f32_e32 v98, v94, v97
	s_delay_alu instid0(VALU_DEP_2) | instskip(NEXT) | instid1(VALU_DEP_2)
	v_dual_sub_f32 v92, v92, v97 :: v_dual_add_f32 v93, v95, v90
	v_sub_f32_e32 v91, v91, v98
	s_delay_alu instid0(VALU_DEP_1) | instskip(NEXT) | instid1(VALU_DEP_3)
	v_add_f32_e32 v91, v92, v91
	v_sub_f32_e32 v92, v93, v95
	s_delay_alu instid0(VALU_DEP_2) | instskip(NEXT) | instid1(VALU_DEP_2)
	v_add_f32_e32 v91, v93, v91
	v_sub_f32_e32 v93, v93, v92
	v_sub_f32_e32 v90, v90, v92
	s_delay_alu instid0(VALU_DEP_2) | instskip(NEXT) | instid1(VALU_DEP_1)
	v_dual_add_f32 v96, v94, v91 :: v_dual_sub_f32 v93, v95, v93
	v_sub_f32_e32 v92, v96, v94
	s_delay_alu instid0(VALU_DEP_1) | instskip(NEXT) | instid1(VALU_DEP_1)
	v_dual_add_f32 v90, v90, v93 :: v_dual_sub_f32 v91, v91, v92
	v_add_f32_e32 v90, v90, v91
	s_delay_alu instid0(VALU_DEP_1) | instskip(NEXT) | instid1(VALU_DEP_1)
	v_add_f32_e32 v90, v96, v90
	v_cndmask_b32_e32 v90, v90, v17, vcc_lo
.LBB58_76:                              ;   in Loop: Header=BB58_12 Depth=1
	s_or_b32 exec_lo, exec_lo, s30
	v_and_b32_e32 v12, 0xffff0000, v12
	s_delay_alu instid0(VALU_DEP_1) | instskip(NEXT) | instid1(VALU_DEP_1)
	v_add_f32_e32 v91, s67, v12
	v_cmp_ge_f32_e32 vcc_lo, 0x41a00000, v91
	s_and_b32 s29, s80, vcc_lo
	s_delay_alu instid0(SALU_CYCLE_1)
	s_and_saveexec_b32 s30, s29
	s_cbranch_execz .LBB58_78
; %bb.77:                               ;   in Loop: Header=BB58_12 Depth=1
	v_mul_f32_e32 v12, 0x3fb8aa3b, v91
	v_cmp_ngt_f32_e32 vcc_lo, 0xc2ce8ed0, v91
	s_delay_alu instid0(VALU_DEP_2) | instskip(SKIP_1) | instid1(VALU_DEP_2)
	v_rndne_f32_e32 v17, v12
	v_fma_f32 v92, 0x3fb8aa3b, v91, -v12
	v_sub_f32_e32 v12, v12, v17
	s_delay_alu instid0(VALU_DEP_2) | instskip(SKIP_1) | instid1(VALU_DEP_2)
	v_fmac_f32_e32 v92, 0x32a5705f, v91
	v_cvt_i32_f32_e32 v17, v17
	v_add_f32_e32 v12, v12, v92
	s_delay_alu instid0(VALU_DEP_1) | instskip(SKIP_2) | instid1(VALU_DEP_1)
	v_exp_f32_e32 v12, v12
	s_waitcnt_depctr 0xfff
	v_ldexp_f32 v12, v12, v17
	v_cndmask_b32_e32 v12, 0, v12, vcc_lo
	v_cmp_nlt_f32_e32 vcc_lo, 0x42b17218, v91
	s_delay_alu instid0(VALU_DEP_2) | instskip(NEXT) | instid1(VALU_DEP_1)
	v_cndmask_b32_e32 v12, 0x7f800000, v12, vcc_lo
	v_add_f32_e32 v17, 1.0, v12
	s_delay_alu instid0(VALU_DEP_1) | instskip(NEXT) | instid1(VALU_DEP_1)
	v_cvt_f64_f32_e32 v[91:92], v17
	v_frexp_exp_i32_f64_e32 v91, v[91:92]
	v_frexp_mant_f32_e32 v92, v17
	s_delay_alu instid0(VALU_DEP_1) | instskip(SKIP_1) | instid1(VALU_DEP_1)
	v_cmp_gt_f32_e32 vcc_lo, 0x3f2aaaab, v92
	v_add_f32_e32 v92, -1.0, v17
	v_sub_f32_e32 v94, v92, v17
	v_sub_f32_e32 v92, v12, v92
	s_delay_alu instid0(VALU_DEP_2) | instskip(NEXT) | instid1(VALU_DEP_1)
	v_add_f32_e32 v94, 1.0, v94
	v_add_f32_e32 v92, v92, v94
	v_subrev_co_ci_u32_e32 v91, vcc_lo, 0, v91, vcc_lo
	s_delay_alu instid0(VALU_DEP_1) | instskip(SKIP_1) | instid1(VALU_DEP_2)
	v_sub_nc_u32_e32 v93, 0, v91
	v_cvt_f32_i32_e32 v91, v91
	v_ldexp_f32 v17, v17, v93
	v_ldexp_f32 v92, v92, v93
	s_delay_alu instid0(VALU_DEP_2) | instskip(NEXT) | instid1(VALU_DEP_1)
	v_add_f32_e32 v95, 1.0, v17
	v_dual_add_f32 v93, -1.0, v17 :: v_dual_add_f32 v94, -1.0, v95
	s_delay_alu instid0(VALU_DEP_1) | instskip(NEXT) | instid1(VALU_DEP_2)
	v_add_f32_e32 v96, 1.0, v93
	v_sub_f32_e32 v94, v17, v94
	s_delay_alu instid0(VALU_DEP_2) | instskip(NEXT) | instid1(VALU_DEP_1)
	v_sub_f32_e32 v17, v17, v96
	v_add_f32_e32 v17, v92, v17
	s_delay_alu instid0(VALU_DEP_1) | instskip(SKIP_2) | instid1(VALU_DEP_3)
	v_add_f32_e32 v97, v93, v17
	v_cmp_eq_f32_e32 vcc_lo, 0x7f800000, v12
	v_cmp_gt_f32_e64 s29, 0x33800000, v12
	v_dual_sub_f32 v93, v93, v97 :: v_dual_add_f32 v94, v92, v94
	s_delay_alu instid0(VALU_DEP_2) | instskip(NEXT) | instid1(VALU_DEP_1)
	s_or_b32 vcc_lo, s29, vcc_lo
	v_dual_add_f32 v17, v17, v93 :: v_dual_add_f32 v96, v95, v94
	s_delay_alu instid0(VALU_DEP_1) | instskip(SKIP_1) | instid1(VALU_DEP_1)
	v_rcp_f32_e32 v92, v96
	v_sub_f32_e32 v95, v95, v96
	v_add_f32_e32 v94, v94, v95
	s_waitcnt_depctr 0xfff
	v_mul_f32_e32 v98, v97, v92
	s_delay_alu instid0(VALU_DEP_1) | instskip(NEXT) | instid1(VALU_DEP_1)
	v_mul_f32_e32 v99, v96, v98
	v_fma_f32 v95, v98, v96, -v99
	s_delay_alu instid0(VALU_DEP_1) | instskip(NEXT) | instid1(VALU_DEP_1)
	v_fmac_f32_e32 v95, v98, v94
	v_add_f32_e32 v100, v99, v95
	s_delay_alu instid0(VALU_DEP_1) | instskip(SKIP_1) | instid1(VALU_DEP_2)
	v_sub_f32_e32 v101, v97, v100
	v_sub_f32_e32 v93, v100, v99
	;; [unrolled: 1-line block ×3, first 2 shown]
	s_delay_alu instid0(VALU_DEP_2) | instskip(NEXT) | instid1(VALU_DEP_2)
	v_sub_f32_e32 v93, v93, v95
	v_sub_f32_e32 v97, v97, v100
	s_delay_alu instid0(VALU_DEP_1) | instskip(NEXT) | instid1(VALU_DEP_1)
	v_add_f32_e32 v17, v17, v97
	v_add_f32_e32 v17, v93, v17
	s_delay_alu instid0(VALU_DEP_1) | instskip(NEXT) | instid1(VALU_DEP_1)
	v_add_f32_e32 v93, v101, v17
	v_mul_f32_e32 v95, v92, v93
	s_delay_alu instid0(VALU_DEP_1) | instskip(NEXT) | instid1(VALU_DEP_1)
	v_mul_f32_e32 v97, v96, v95
	v_fma_f32 v96, v95, v96, -v97
	s_delay_alu instid0(VALU_DEP_1) | instskip(SKIP_1) | instid1(VALU_DEP_2)
	v_fmac_f32_e32 v96, v95, v94
	v_sub_f32_e32 v100, v101, v93
	v_add_f32_e32 v94, v97, v96
	s_delay_alu instid0(VALU_DEP_2) | instskip(NEXT) | instid1(VALU_DEP_2)
	v_add_f32_e32 v17, v17, v100
	v_sub_f32_e32 v99, v93, v94
	s_delay_alu instid0(VALU_DEP_1) | instskip(NEXT) | instid1(VALU_DEP_1)
	v_sub_f32_e32 v93, v93, v99
	v_sub_f32_e32 v93, v93, v94
	s_delay_alu instid0(VALU_DEP_1) | instskip(SKIP_2) | instid1(VALU_DEP_1)
	v_add_f32_e32 v17, v17, v93
	v_add_f32_e32 v93, v98, v95
	v_sub_f32_e32 v97, v94, v97
	v_sub_f32_e32 v94, v97, v96
	s_delay_alu instid0(VALU_DEP_1) | instskip(NEXT) | instid1(VALU_DEP_1)
	v_dual_add_f32 v17, v94, v17 :: v_dual_sub_f32 v94, v93, v98
	v_add_f32_e32 v17, v99, v17
	s_delay_alu instid0(VALU_DEP_1) | instskip(NEXT) | instid1(VALU_DEP_1)
	v_dual_sub_f32 v94, v95, v94 :: v_dual_mul_f32 v17, v92, v17
	v_add_f32_e32 v17, v94, v17
	s_delay_alu instid0(VALU_DEP_1) | instskip(NEXT) | instid1(VALU_DEP_1)
	v_add_f32_e32 v92, v93, v17
	v_mul_f32_e32 v94, v92, v92
	s_delay_alu instid0(VALU_DEP_1) | instskip(SKIP_1) | instid1(VALU_DEP_2)
	v_fmaak_f32 v95, s84, v94, 0x3ecc95a3
	v_mul_f32_e32 v96, v92, v94
	v_fmaak_f32 v94, v94, v95, 0x3f2aaada
	v_ldexp_f32 v95, v92, 1
	s_delay_alu instid0(VALU_DEP_2) | instskip(SKIP_1) | instid1(VALU_DEP_2)
	v_mul_f32_e32 v94, v96, v94
	v_sub_f32_e32 v92, v92, v93
	v_dual_mul_f32 v96, 0x3f317218, v91 :: v_dual_add_f32 v93, v95, v94
	s_delay_alu instid0(VALU_DEP_2) | instskip(NEXT) | instid1(VALU_DEP_2)
	v_sub_f32_e32 v17, v17, v92
	v_sub_f32_e32 v92, v93, v95
	s_delay_alu instid0(VALU_DEP_3) | instskip(NEXT) | instid1(VALU_DEP_3)
	v_fma_f32 v95, 0x3f317218, v91, -v96
	v_ldexp_f32 v17, v17, 1
	s_delay_alu instid0(VALU_DEP_2) | instskip(NEXT) | instid1(VALU_DEP_1)
	v_dual_sub_f32 v92, v94, v92 :: v_dual_fmac_f32 v95, 0xb102e308, v91
	v_add_f32_e32 v17, v17, v92
	s_delay_alu instid0(VALU_DEP_1) | instskip(NEXT) | instid1(VALU_DEP_1)
	v_dual_add_f32 v91, v96, v95 :: v_dual_add_f32 v92, v93, v17
	v_sub_f32_e32 v96, v91, v96
	s_delay_alu instid0(VALU_DEP_2) | instskip(NEXT) | instid1(VALU_DEP_2)
	v_dual_add_f32 v94, v91, v92 :: v_dual_sub_f32 v93, v92, v93
	v_sub_f32_e32 v95, v95, v96
	s_delay_alu instid0(VALU_DEP_2) | instskip(NEXT) | instid1(VALU_DEP_1)
	v_sub_f32_e32 v97, v94, v91
	v_sub_f32_e32 v98, v94, v97
	;; [unrolled: 1-line block ×4, first 2 shown]
	s_delay_alu instid0(VALU_DEP_1) | instskip(NEXT) | instid1(VALU_DEP_4)
	v_add_f32_e32 v93, v95, v17
	v_sub_f32_e32 v91, v91, v98
	s_delay_alu instid0(VALU_DEP_1) | instskip(NEXT) | instid1(VALU_DEP_3)
	v_add_f32_e32 v91, v92, v91
	v_sub_f32_e32 v92, v93, v95
	s_delay_alu instid0(VALU_DEP_2) | instskip(NEXT) | instid1(VALU_DEP_2)
	v_add_f32_e32 v91, v93, v91
	v_sub_f32_e32 v93, v93, v92
	s_delay_alu instid0(VALU_DEP_2) | instskip(NEXT) | instid1(VALU_DEP_1)
	v_dual_sub_f32 v17, v17, v92 :: v_dual_add_f32 v96, v94, v91
	v_dual_sub_f32 v92, v96, v94 :: v_dual_sub_f32 v93, v95, v93
	s_delay_alu instid0(VALU_DEP_1) | instskip(NEXT) | instid1(VALU_DEP_2)
	v_sub_f32_e32 v91, v91, v92
	v_add_f32_e32 v17, v17, v93
	s_delay_alu instid0(VALU_DEP_1) | instskip(NEXT) | instid1(VALU_DEP_1)
	v_add_f32_e32 v17, v17, v91
	v_add_f32_e32 v17, v96, v17
	s_delay_alu instid0(VALU_DEP_1)
	v_cndmask_b32_e32 v91, v17, v12, vcc_lo
.LBB58_78:                              ;   in Loop: Header=BB58_12 Depth=1
	s_or_b32 exec_lo, exec_lo, s30
	v_lshlrev_b32_e32 v12, 16, v13
	s_delay_alu instid0(VALU_DEP_1) | instskip(NEXT) | instid1(VALU_DEP_1)
	v_add_f32_e32 v92, s67, v12
	v_cmp_ge_f32_e32 vcc_lo, 0x41a00000, v92
	s_and_b32 s29, s80, vcc_lo
	s_delay_alu instid0(SALU_CYCLE_1)
	s_and_saveexec_b32 s30, s29
	s_cbranch_execz .LBB58_80
; %bb.79:                               ;   in Loop: Header=BB58_12 Depth=1
	v_mul_f32_e32 v12, 0x3fb8aa3b, v92
	v_cmp_ngt_f32_e32 vcc_lo, 0xc2ce8ed0, v92
	s_delay_alu instid0(VALU_DEP_2) | instskip(SKIP_1) | instid1(VALU_DEP_1)
	v_rndne_f32_e32 v17, v12
	v_fma_f32 v93, 0x3fb8aa3b, v92, -v12
	v_dual_sub_f32 v12, v12, v17 :: v_dual_fmac_f32 v93, 0x32a5705f, v92
	v_cvt_i32_f32_e32 v17, v17
	s_delay_alu instid0(VALU_DEP_2) | instskip(NEXT) | instid1(VALU_DEP_1)
	v_add_f32_e32 v12, v12, v93
	v_exp_f32_e32 v12, v12
	s_waitcnt_depctr 0xfff
	v_ldexp_f32 v12, v12, v17
	s_delay_alu instid0(VALU_DEP_1) | instskip(SKIP_1) | instid1(VALU_DEP_2)
	v_cndmask_b32_e32 v12, 0, v12, vcc_lo
	v_cmp_nlt_f32_e32 vcc_lo, 0x42b17218, v92
	v_cndmask_b32_e32 v12, 0x7f800000, v12, vcc_lo
	s_delay_alu instid0(VALU_DEP_1) | instskip(NEXT) | instid1(VALU_DEP_1)
	v_add_f32_e32 v17, 1.0, v12
	v_cvt_f64_f32_e32 v[92:93], v17
	s_delay_alu instid0(VALU_DEP_1) | instskip(SKIP_1) | instid1(VALU_DEP_1)
	v_frexp_exp_i32_f64_e32 v92, v[92:93]
	v_frexp_mant_f32_e32 v93, v17
	v_cmp_gt_f32_e32 vcc_lo, 0x3f2aaaab, v93
	v_add_f32_e32 v93, -1.0, v17
	s_delay_alu instid0(VALU_DEP_1) | instskip(SKIP_1) | instid1(VALU_DEP_2)
	v_sub_f32_e32 v95, v93, v17
	v_sub_f32_e32 v93, v12, v93
	v_add_f32_e32 v95, 1.0, v95
	s_delay_alu instid0(VALU_DEP_1) | instskip(SKIP_3) | instid1(VALU_DEP_2)
	v_add_f32_e32 v93, v93, v95
	v_cmp_gt_f32_e64 s29, 0x33800000, v12
	v_subrev_co_ci_u32_e32 v92, vcc_lo, 0, v92, vcc_lo
	v_cmp_eq_f32_e32 vcc_lo, 0x7f800000, v12
	v_sub_nc_u32_e32 v94, 0, v92
	v_cvt_f32_i32_e32 v92, v92
	s_or_b32 vcc_lo, s29, vcc_lo
	s_delay_alu instid0(VALU_DEP_2) | instskip(SKIP_1) | instid1(VALU_DEP_2)
	v_ldexp_f32 v17, v17, v94
	v_ldexp_f32 v93, v93, v94
	v_add_f32_e32 v96, 1.0, v17
	s_delay_alu instid0(VALU_DEP_1) | instskip(NEXT) | instid1(VALU_DEP_1)
	v_dual_add_f32 v94, -1.0, v17 :: v_dual_add_f32 v95, -1.0, v96
	v_add_f32_e32 v97, 1.0, v94
	s_delay_alu instid0(VALU_DEP_2) | instskip(NEXT) | instid1(VALU_DEP_2)
	v_sub_f32_e32 v95, v17, v95
	v_sub_f32_e32 v17, v17, v97
	s_delay_alu instid0(VALU_DEP_1) | instskip(NEXT) | instid1(VALU_DEP_1)
	v_add_f32_e32 v17, v93, v17
	v_dual_add_f32 v98, v94, v17 :: v_dual_add_f32 v95, v93, v95
	s_delay_alu instid0(VALU_DEP_1) | instskip(NEXT) | instid1(VALU_DEP_1)
	v_dual_sub_f32 v94, v94, v98 :: v_dual_add_f32 v97, v96, v95
	v_rcp_f32_e32 v93, v97
	v_sub_f32_e32 v96, v96, v97
	s_delay_alu instid0(VALU_DEP_1) | instskip(SKIP_2) | instid1(VALU_DEP_1)
	v_add_f32_e32 v95, v95, v96
	s_waitcnt_depctr 0xfff
	v_mul_f32_e32 v99, v98, v93
	v_mul_f32_e32 v100, v97, v99
	s_delay_alu instid0(VALU_DEP_1) | instskip(NEXT) | instid1(VALU_DEP_1)
	v_fma_f32 v96, v99, v97, -v100
	v_fmac_f32_e32 v96, v99, v95
	s_delay_alu instid0(VALU_DEP_1) | instskip(NEXT) | instid1(VALU_DEP_1)
	v_add_f32_e32 v101, v100, v96
	v_sub_f32_e32 v102, v98, v101
	s_delay_alu instid0(VALU_DEP_1) | instskip(SKIP_2) | instid1(VALU_DEP_3)
	v_sub_f32_e32 v98, v98, v102
	v_add_f32_e32 v17, v17, v94
	v_sub_f32_e32 v94, v101, v100
	v_sub_f32_e32 v98, v98, v101
	s_delay_alu instid0(VALU_DEP_1) | instskip(NEXT) | instid1(VALU_DEP_1)
	v_dual_sub_f32 v94, v94, v96 :: v_dual_add_f32 v17, v17, v98
	v_add_f32_e32 v17, v94, v17
	s_delay_alu instid0(VALU_DEP_1) | instskip(NEXT) | instid1(VALU_DEP_1)
	v_add_f32_e32 v94, v102, v17
	v_mul_f32_e32 v96, v93, v94
	s_delay_alu instid0(VALU_DEP_1) | instskip(NEXT) | instid1(VALU_DEP_1)
	v_dual_sub_f32 v101, v102, v94 :: v_dual_mul_f32 v98, v97, v96
	v_add_f32_e32 v17, v17, v101
	s_delay_alu instid0(VALU_DEP_2) | instskip(NEXT) | instid1(VALU_DEP_1)
	v_fma_f32 v97, v96, v97, -v98
	v_fmac_f32_e32 v97, v96, v95
	s_delay_alu instid0(VALU_DEP_1) | instskip(NEXT) | instid1(VALU_DEP_1)
	v_add_f32_e32 v95, v98, v97
	v_sub_f32_e32 v100, v94, v95
	s_delay_alu instid0(VALU_DEP_1) | instskip(NEXT) | instid1(VALU_DEP_1)
	v_sub_f32_e32 v94, v94, v100
	v_sub_f32_e32 v94, v94, v95
	s_delay_alu instid0(VALU_DEP_1) | instskip(SKIP_1) | instid1(VALU_DEP_1)
	v_dual_add_f32 v17, v17, v94 :: v_dual_add_f32 v94, v99, v96
	v_sub_f32_e32 v98, v95, v98
	v_sub_f32_e32 v95, v98, v97
	s_delay_alu instid0(VALU_DEP_1) | instskip(NEXT) | instid1(VALU_DEP_4)
	v_add_f32_e32 v17, v95, v17
	v_sub_f32_e32 v95, v94, v99
	s_delay_alu instid0(VALU_DEP_2) | instskip(NEXT) | instid1(VALU_DEP_2)
	v_add_f32_e32 v17, v100, v17
	v_sub_f32_e32 v95, v96, v95
	s_delay_alu instid0(VALU_DEP_2) | instskip(NEXT) | instid1(VALU_DEP_1)
	v_mul_f32_e32 v17, v93, v17
	v_add_f32_e32 v17, v95, v17
	s_delay_alu instid0(VALU_DEP_1) | instskip(NEXT) | instid1(VALU_DEP_1)
	v_add_f32_e32 v93, v94, v17
	v_mul_f32_e32 v95, v93, v93
	s_delay_alu instid0(VALU_DEP_1) | instskip(SKIP_1) | instid1(VALU_DEP_2)
	v_fmaak_f32 v96, s84, v95, 0x3ecc95a3
	v_mul_f32_e32 v97, v93, v95
	v_fmaak_f32 v95, v95, v96, 0x3f2aaada
	v_ldexp_f32 v96, v93, 1
	v_sub_f32_e32 v93, v93, v94
	s_delay_alu instid0(VALU_DEP_3) | instskip(SKIP_1) | instid1(VALU_DEP_2)
	v_mul_f32_e32 v95, v97, v95
	v_mul_f32_e32 v97, 0x3f317218, v92
	v_dual_sub_f32 v17, v17, v93 :: v_dual_add_f32 v94, v96, v95
	s_delay_alu instid0(VALU_DEP_1) | instskip(NEXT) | instid1(VALU_DEP_2)
	v_ldexp_f32 v17, v17, 1
	v_sub_f32_e32 v93, v94, v96
	s_delay_alu instid0(VALU_DEP_4) | instskip(NEXT) | instid1(VALU_DEP_1)
	v_fma_f32 v96, 0x3f317218, v92, -v97
	v_dual_sub_f32 v93, v95, v93 :: v_dual_fmac_f32 v96, 0xb102e308, v92
	s_delay_alu instid0(VALU_DEP_1) | instskip(NEXT) | instid1(VALU_DEP_1)
	v_add_f32_e32 v17, v17, v93
	v_dual_add_f32 v92, v97, v96 :: v_dual_add_f32 v93, v94, v17
	s_delay_alu instid0(VALU_DEP_1) | instskip(NEXT) | instid1(VALU_DEP_2)
	v_sub_f32_e32 v97, v92, v97
	v_dual_add_f32 v95, v92, v93 :: v_dual_sub_f32 v94, v93, v94
	s_delay_alu instid0(VALU_DEP_2) | instskip(NEXT) | instid1(VALU_DEP_2)
	v_sub_f32_e32 v96, v96, v97
	v_dual_sub_f32 v98, v95, v92 :: v_dual_sub_f32 v17, v17, v94
	s_delay_alu instid0(VALU_DEP_1) | instskip(NEXT) | instid1(VALU_DEP_2)
	v_sub_f32_e32 v99, v95, v98
	v_dual_sub_f32 v93, v93, v98 :: v_dual_add_f32 v94, v96, v17
	s_delay_alu instid0(VALU_DEP_2) | instskip(NEXT) | instid1(VALU_DEP_1)
	v_sub_f32_e32 v92, v92, v99
	v_add_f32_e32 v92, v93, v92
	s_delay_alu instid0(VALU_DEP_3) | instskip(NEXT) | instid1(VALU_DEP_2)
	v_sub_f32_e32 v93, v94, v96
	v_add_f32_e32 v92, v94, v92
	s_delay_alu instid0(VALU_DEP_2) | instskip(SKIP_1) | instid1(VALU_DEP_2)
	v_sub_f32_e32 v94, v94, v93
	v_sub_f32_e32 v17, v17, v93
	v_dual_add_f32 v97, v95, v92 :: v_dual_sub_f32 v94, v96, v94
	s_delay_alu instid0(VALU_DEP_1) | instskip(NEXT) | instid1(VALU_DEP_1)
	v_sub_f32_e32 v93, v97, v95
	v_dual_add_f32 v17, v17, v94 :: v_dual_sub_f32 v92, v92, v93
	s_delay_alu instid0(VALU_DEP_1) | instskip(NEXT) | instid1(VALU_DEP_1)
	v_add_f32_e32 v17, v17, v92
	v_add_f32_e32 v17, v97, v17
	s_delay_alu instid0(VALU_DEP_1)
	v_cndmask_b32_e32 v92, v17, v12, vcc_lo
.LBB58_80:                              ;   in Loop: Header=BB58_12 Depth=1
	s_or_b32 exec_lo, exec_lo, s30
	v_and_b32_e32 v12, 0xffff0000, v13
	s_delay_alu instid0(VALU_DEP_1) | instskip(NEXT) | instid1(VALU_DEP_1)
	v_add_f32_e32 v93, s67, v12
	v_cmp_ge_f32_e32 vcc_lo, 0x41a00000, v93
	s_and_b32 s29, s80, vcc_lo
	s_delay_alu instid0(SALU_CYCLE_1)
	s_and_saveexec_b32 s30, s29
	s_cbranch_execz .LBB58_82
; %bb.81:                               ;   in Loop: Header=BB58_12 Depth=1
	v_mul_f32_e32 v12, 0x3fb8aa3b, v93
	v_cmp_ngt_f32_e32 vcc_lo, 0xc2ce8ed0, v93
	s_delay_alu instid0(VALU_DEP_2) | instskip(SKIP_1) | instid1(VALU_DEP_2)
	v_rndne_f32_e32 v13, v12
	v_fma_f32 v17, 0x3fb8aa3b, v93, -v12
	v_sub_f32_e32 v12, v12, v13
	s_delay_alu instid0(VALU_DEP_2) | instskip(SKIP_1) | instid1(VALU_DEP_2)
	v_fmac_f32_e32 v17, 0x32a5705f, v93
	v_cvt_i32_f32_e32 v13, v13
	v_add_f32_e32 v12, v12, v17
	s_delay_alu instid0(VALU_DEP_1) | instskip(SKIP_2) | instid1(VALU_DEP_1)
	v_exp_f32_e32 v12, v12
	s_waitcnt_depctr 0xfff
	v_ldexp_f32 v12, v12, v13
	v_cndmask_b32_e32 v12, 0, v12, vcc_lo
	v_cmp_nlt_f32_e32 vcc_lo, 0x42b17218, v93
	s_delay_alu instid0(VALU_DEP_2) | instskip(NEXT) | instid1(VALU_DEP_1)
	v_cndmask_b32_e32 v17, 0x7f800000, v12, vcc_lo
	v_add_f32_e32 v93, 1.0, v17
	s_delay_alu instid0(VALU_DEP_1) | instskip(NEXT) | instid1(VALU_DEP_1)
	v_cvt_f64_f32_e32 v[12:13], v93
	v_frexp_exp_i32_f64_e32 v12, v[12:13]
	v_frexp_mant_f32_e32 v13, v93
	s_delay_alu instid0(VALU_DEP_1) | instskip(SKIP_1) | instid1(VALU_DEP_1)
	v_cmp_gt_f32_e32 vcc_lo, 0x3f2aaaab, v13
	v_add_f32_e32 v13, -1.0, v93
	v_sub_f32_e32 v95, v13, v93
	s_delay_alu instid0(VALU_DEP_1) | instskip(SKIP_1) | instid1(VALU_DEP_1)
	v_add_f32_e32 v95, 1.0, v95
	v_subrev_co_ci_u32_e32 v12, vcc_lo, 0, v12, vcc_lo
	v_sub_nc_u32_e32 v94, 0, v12
	v_cvt_f32_i32_e32 v12, v12
	s_delay_alu instid0(VALU_DEP_2) | instskip(NEXT) | instid1(VALU_DEP_1)
	v_ldexp_f32 v93, v93, v94
	v_add_f32_e32 v96, 1.0, v93
	v_sub_f32_e32 v13, v17, v13
	v_cmp_eq_f32_e32 vcc_lo, 0x7f800000, v17
	v_cmp_gt_f32_e64 s29, 0x33800000, v17
	s_delay_alu instid0(VALU_DEP_3) | instskip(SKIP_1) | instid1(VALU_DEP_3)
	v_add_f32_e32 v13, v13, v95
	v_add_f32_e32 v95, -1.0, v96
	s_or_b32 vcc_lo, s29, vcc_lo
	s_delay_alu instid0(VALU_DEP_2) | instskip(NEXT) | instid1(VALU_DEP_2)
	v_ldexp_f32 v13, v13, v94
	v_dual_add_f32 v94, -1.0, v93 :: v_dual_sub_f32 v95, v93, v95
	s_delay_alu instid0(VALU_DEP_1) | instskip(NEXT) | instid1(VALU_DEP_2)
	v_add_f32_e32 v97, 1.0, v94
	v_add_f32_e32 v95, v13, v95
	s_delay_alu instid0(VALU_DEP_2) | instskip(NEXT) | instid1(VALU_DEP_1)
	v_sub_f32_e32 v93, v93, v97
	v_add_f32_e32 v13, v13, v93
	s_delay_alu instid0(VALU_DEP_1) | instskip(NEXT) | instid1(VALU_DEP_1)
	v_dual_add_f32 v98, v94, v13 :: v_dual_add_f32 v97, v96, v95
	v_sub_f32_e32 v94, v94, v98
	s_delay_alu instid0(VALU_DEP_2) | instskip(NEXT) | instid1(VALU_DEP_1)
	v_rcp_f32_e32 v93, v97
	v_dual_sub_f32 v96, v96, v97 :: v_dual_add_f32 v13, v13, v94
	s_delay_alu instid0(VALU_DEP_1) | instskip(SKIP_2) | instid1(VALU_DEP_1)
	v_add_f32_e32 v95, v95, v96
	s_waitcnt_depctr 0xfff
	v_mul_f32_e32 v99, v98, v93
	v_mul_f32_e32 v100, v97, v99
	s_delay_alu instid0(VALU_DEP_1) | instskip(NEXT) | instid1(VALU_DEP_1)
	v_fma_f32 v96, v99, v97, -v100
	v_fmac_f32_e32 v96, v99, v95
	s_delay_alu instid0(VALU_DEP_1) | instskip(NEXT) | instid1(VALU_DEP_1)
	v_add_f32_e32 v101, v100, v96
	v_sub_f32_e32 v102, v98, v101
	v_sub_f32_e32 v94, v101, v100
	s_delay_alu instid0(VALU_DEP_2) | instskip(NEXT) | instid1(VALU_DEP_2)
	v_sub_f32_e32 v98, v98, v102
	v_sub_f32_e32 v94, v94, v96
	s_delay_alu instid0(VALU_DEP_2) | instskip(NEXT) | instid1(VALU_DEP_1)
	v_sub_f32_e32 v98, v98, v101
	v_add_f32_e32 v13, v13, v98
	s_delay_alu instid0(VALU_DEP_1) | instskip(NEXT) | instid1(VALU_DEP_1)
	v_add_f32_e32 v13, v94, v13
	v_add_f32_e32 v94, v102, v13
	s_delay_alu instid0(VALU_DEP_1) | instskip(NEXT) | instid1(VALU_DEP_1)
	v_mul_f32_e32 v96, v93, v94
	v_dual_sub_f32 v101, v102, v94 :: v_dual_mul_f32 v98, v97, v96
	s_delay_alu instid0(VALU_DEP_1) | instskip(NEXT) | instid1(VALU_DEP_1)
	v_fma_f32 v97, v96, v97, -v98
	v_fmac_f32_e32 v97, v96, v95
	s_delay_alu instid0(VALU_DEP_1) | instskip(NEXT) | instid1(VALU_DEP_1)
	v_add_f32_e32 v95, v98, v97
	v_dual_add_f32 v13, v13, v101 :: v_dual_sub_f32 v100, v94, v95
	s_delay_alu instid0(VALU_DEP_1) | instskip(NEXT) | instid1(VALU_DEP_1)
	v_sub_f32_e32 v94, v94, v100
	v_sub_f32_e32 v94, v94, v95
	s_delay_alu instid0(VALU_DEP_1) | instskip(SKIP_1) | instid1(VALU_DEP_1)
	v_dual_add_f32 v13, v13, v94 :: v_dual_add_f32 v94, v99, v96
	v_sub_f32_e32 v98, v95, v98
	v_sub_f32_e32 v95, v98, v97
	s_delay_alu instid0(VALU_DEP_1) | instskip(NEXT) | instid1(VALU_DEP_4)
	v_add_f32_e32 v13, v95, v13
	v_sub_f32_e32 v95, v94, v99
	s_delay_alu instid0(VALU_DEP_2) | instskip(NEXT) | instid1(VALU_DEP_2)
	v_add_f32_e32 v13, v100, v13
	v_sub_f32_e32 v95, v96, v95
	s_delay_alu instid0(VALU_DEP_2) | instskip(NEXT) | instid1(VALU_DEP_1)
	v_mul_f32_e32 v13, v93, v13
	v_add_f32_e32 v13, v95, v13
	s_delay_alu instid0(VALU_DEP_1) | instskip(NEXT) | instid1(VALU_DEP_1)
	v_add_f32_e32 v93, v94, v13
	v_mul_f32_e32 v95, v93, v93
	s_delay_alu instid0(VALU_DEP_1) | instskip(SKIP_1) | instid1(VALU_DEP_2)
	v_fmaak_f32 v96, s84, v95, 0x3ecc95a3
	v_mul_f32_e32 v97, v93, v95
	v_fmaak_f32 v95, v95, v96, 0x3f2aaada
	v_ldexp_f32 v96, v93, 1
	v_sub_f32_e32 v93, v93, v94
	s_delay_alu instid0(VALU_DEP_3) | instskip(SKIP_1) | instid1(VALU_DEP_2)
	v_mul_f32_e32 v95, v97, v95
	v_mul_f32_e32 v97, 0x3f317218, v12
	v_dual_sub_f32 v13, v13, v93 :: v_dual_add_f32 v94, v96, v95
	s_delay_alu instid0(VALU_DEP_1) | instskip(NEXT) | instid1(VALU_DEP_2)
	v_ldexp_f32 v13, v13, 1
	v_sub_f32_e32 v93, v94, v96
	s_delay_alu instid0(VALU_DEP_4) | instskip(NEXT) | instid1(VALU_DEP_1)
	v_fma_f32 v96, 0x3f317218, v12, -v97
	v_dual_sub_f32 v93, v95, v93 :: v_dual_fmac_f32 v96, 0xb102e308, v12
	s_delay_alu instid0(VALU_DEP_1) | instskip(NEXT) | instid1(VALU_DEP_2)
	v_add_f32_e32 v12, v13, v93
	v_add_f32_e32 v13, v97, v96
	s_delay_alu instid0(VALU_DEP_2) | instskip(NEXT) | instid1(VALU_DEP_2)
	v_add_f32_e32 v93, v94, v12
	v_sub_f32_e32 v97, v13, v97
	s_delay_alu instid0(VALU_DEP_2) | instskip(SKIP_1) | instid1(VALU_DEP_3)
	v_add_f32_e32 v95, v13, v93
	v_sub_f32_e32 v94, v93, v94
	v_sub_f32_e32 v96, v96, v97
	s_delay_alu instid0(VALU_DEP_3) | instskip(NEXT) | instid1(VALU_DEP_3)
	v_sub_f32_e32 v98, v95, v13
	v_sub_f32_e32 v12, v12, v94
	s_delay_alu instid0(VALU_DEP_2) | instskip(NEXT) | instid1(VALU_DEP_2)
	v_sub_f32_e32 v99, v95, v98
	v_dual_sub_f32 v93, v93, v98 :: v_dual_add_f32 v94, v96, v12
	s_delay_alu instid0(VALU_DEP_2) | instskip(NEXT) | instid1(VALU_DEP_1)
	v_sub_f32_e32 v13, v13, v99
	v_add_f32_e32 v13, v93, v13
	s_delay_alu instid0(VALU_DEP_3) | instskip(NEXT) | instid1(VALU_DEP_2)
	v_sub_f32_e32 v93, v94, v96
	v_add_f32_e32 v13, v94, v13
	s_delay_alu instid0(VALU_DEP_2) | instskip(SKIP_1) | instid1(VALU_DEP_1)
	v_sub_f32_e32 v12, v12, v93
	v_sub_f32_e32 v94, v94, v93
	v_dual_add_f32 v97, v95, v13 :: v_dual_sub_f32 v94, v96, v94
	s_delay_alu instid0(VALU_DEP_1) | instskip(NEXT) | instid1(VALU_DEP_1)
	v_dual_sub_f32 v93, v97, v95 :: v_dual_add_f32 v12, v12, v94
	v_sub_f32_e32 v13, v13, v93
	s_delay_alu instid0(VALU_DEP_1) | instskip(NEXT) | instid1(VALU_DEP_1)
	v_add_f32_e32 v12, v12, v13
	v_add_f32_e32 v12, v97, v12
	s_delay_alu instid0(VALU_DEP_1)
	v_cndmask_b32_e32 v93, v12, v17, vcc_lo
.LBB58_82:                              ;   in Loop: Header=BB58_12 Depth=1
	s_or_b32 exec_lo, exec_lo, s30
	v_lshlrev_b32_e32 v12, 16, v14
	s_delay_alu instid0(VALU_DEP_1) | instskip(NEXT) | instid1(VALU_DEP_1)
	v_add_f32_e32 v94, s67, v12
	v_cmp_ge_f32_e32 vcc_lo, 0x41a00000, v94
	s_and_b32 s29, s80, vcc_lo
	s_delay_alu instid0(SALU_CYCLE_1)
	s_and_saveexec_b32 s30, s29
	s_cbranch_execz .LBB58_84
; %bb.83:                               ;   in Loop: Header=BB58_12 Depth=1
	v_mul_f32_e32 v12, 0x3fb8aa3b, v94
	v_cmp_ngt_f32_e32 vcc_lo, 0xc2ce8ed0, v94
	s_delay_alu instid0(VALU_DEP_2) | instskip(SKIP_1) | instid1(VALU_DEP_1)
	v_rndne_f32_e32 v13, v12
	v_fma_f32 v17, 0x3fb8aa3b, v94, -v12
	v_dual_sub_f32 v12, v12, v13 :: v_dual_fmac_f32 v17, 0x32a5705f, v94
	v_cvt_i32_f32_e32 v13, v13
	s_delay_alu instid0(VALU_DEP_2) | instskip(NEXT) | instid1(VALU_DEP_1)
	v_add_f32_e32 v12, v12, v17
	v_exp_f32_e32 v12, v12
	s_waitcnt_depctr 0xfff
	v_ldexp_f32 v12, v12, v13
	s_delay_alu instid0(VALU_DEP_1) | instskip(SKIP_1) | instid1(VALU_DEP_2)
	v_cndmask_b32_e32 v12, 0, v12, vcc_lo
	v_cmp_nlt_f32_e32 vcc_lo, 0x42b17218, v94
	v_cndmask_b32_e32 v17, 0x7f800000, v12, vcc_lo
	s_delay_alu instid0(VALU_DEP_1) | instskip(NEXT) | instid1(VALU_DEP_1)
	v_add_f32_e32 v94, 1.0, v17
	v_cvt_f64_f32_e32 v[12:13], v94
	s_delay_alu instid0(VALU_DEP_1) | instskip(SKIP_1) | instid1(VALU_DEP_1)
	v_frexp_exp_i32_f64_e32 v12, v[12:13]
	v_frexp_mant_f32_e32 v13, v94
	v_cmp_gt_f32_e32 vcc_lo, 0x3f2aaaab, v13
	v_add_f32_e32 v13, -1.0, v94
	s_delay_alu instid0(VALU_DEP_1) | instskip(SKIP_2) | instid1(VALU_DEP_3)
	v_sub_f32_e32 v96, v13, v94
	v_sub_f32_e32 v13, v17, v13
	v_cmp_gt_f32_e64 s29, 0x33800000, v17
	v_add_f32_e32 v96, 1.0, v96
	s_delay_alu instid0(VALU_DEP_1) | instskip(SKIP_2) | instid1(VALU_DEP_2)
	v_add_f32_e32 v13, v13, v96
	v_subrev_co_ci_u32_e32 v12, vcc_lo, 0, v12, vcc_lo
	v_cmp_eq_f32_e32 vcc_lo, 0x7f800000, v17
	v_sub_nc_u32_e32 v95, 0, v12
	v_cvt_f32_i32_e32 v12, v12
	s_or_b32 vcc_lo, s29, vcc_lo
	s_delay_alu instid0(VALU_DEP_2) | instskip(SKIP_1) | instid1(VALU_DEP_2)
	v_ldexp_f32 v94, v94, v95
	v_ldexp_f32 v13, v13, v95
	v_add_f32_e32 v95, -1.0, v94
	s_delay_alu instid0(VALU_DEP_1) | instskip(NEXT) | instid1(VALU_DEP_1)
	v_dual_add_f32 v97, 1.0, v94 :: v_dual_add_f32 v98, 1.0, v95
	v_add_f32_e32 v96, -1.0, v97
	s_delay_alu instid0(VALU_DEP_1) | instskip(NEXT) | instid1(VALU_DEP_3)
	v_sub_f32_e32 v96, v94, v96
	v_sub_f32_e32 v94, v94, v98
	s_delay_alu instid0(VALU_DEP_2) | instskip(NEXT) | instid1(VALU_DEP_2)
	v_add_f32_e32 v96, v13, v96
	v_add_f32_e32 v13, v13, v94
	s_delay_alu instid0(VALU_DEP_1) | instskip(NEXT) | instid1(VALU_DEP_1)
	v_dual_add_f32 v99, v95, v13 :: v_dual_add_f32 v98, v97, v96
	v_sub_f32_e32 v95, v95, v99
	s_delay_alu instid0(VALU_DEP_2) | instskip(SKIP_1) | instid1(VALU_DEP_1)
	v_rcp_f32_e32 v94, v98
	v_sub_f32_e32 v97, v97, v98
	v_dual_add_f32 v13, v13, v95 :: v_dual_add_f32 v96, v96, v97
	s_waitcnt_depctr 0xfff
	v_mul_f32_e32 v100, v99, v94
	s_delay_alu instid0(VALU_DEP_1) | instskip(NEXT) | instid1(VALU_DEP_1)
	v_mul_f32_e32 v101, v98, v100
	v_fma_f32 v97, v100, v98, -v101
	s_delay_alu instid0(VALU_DEP_1) | instskip(NEXT) | instid1(VALU_DEP_1)
	v_fmac_f32_e32 v97, v100, v96
	v_add_f32_e32 v102, v101, v97
	s_delay_alu instid0(VALU_DEP_1) | instskip(SKIP_1) | instid1(VALU_DEP_2)
	v_sub_f32_e32 v103, v99, v102
	v_sub_f32_e32 v95, v102, v101
	;; [unrolled: 1-line block ×3, first 2 shown]
	s_delay_alu instid0(VALU_DEP_2) | instskip(NEXT) | instid1(VALU_DEP_2)
	v_sub_f32_e32 v95, v95, v97
	v_sub_f32_e32 v99, v99, v102
	s_delay_alu instid0(VALU_DEP_1) | instskip(NEXT) | instid1(VALU_DEP_1)
	v_add_f32_e32 v13, v13, v99
	v_add_f32_e32 v13, v95, v13
	s_delay_alu instid0(VALU_DEP_1) | instskip(NEXT) | instid1(VALU_DEP_1)
	v_add_f32_e32 v95, v103, v13
	v_mul_f32_e32 v97, v94, v95
	s_delay_alu instid0(VALU_DEP_1) | instskip(NEXT) | instid1(VALU_DEP_1)
	v_dual_sub_f32 v102, v103, v95 :: v_dual_mul_f32 v99, v98, v97
	v_add_f32_e32 v13, v13, v102
	s_delay_alu instid0(VALU_DEP_2) | instskip(NEXT) | instid1(VALU_DEP_1)
	v_fma_f32 v98, v97, v98, -v99
	v_fmac_f32_e32 v98, v97, v96
	s_delay_alu instid0(VALU_DEP_1) | instskip(NEXT) | instid1(VALU_DEP_1)
	v_add_f32_e32 v96, v99, v98
	v_sub_f32_e32 v101, v95, v96
	s_delay_alu instid0(VALU_DEP_1) | instskip(NEXT) | instid1(VALU_DEP_1)
	v_sub_f32_e32 v95, v95, v101
	v_sub_f32_e32 v95, v95, v96
	s_delay_alu instid0(VALU_DEP_1) | instskip(SKIP_2) | instid1(VALU_DEP_1)
	v_add_f32_e32 v13, v13, v95
	v_add_f32_e32 v95, v100, v97
	v_sub_f32_e32 v99, v96, v99
	v_sub_f32_e32 v96, v99, v98
	s_delay_alu instid0(VALU_DEP_1) | instskip(NEXT) | instid1(VALU_DEP_1)
	v_dual_add_f32 v13, v96, v13 :: v_dual_sub_f32 v96, v95, v100
	v_add_f32_e32 v13, v101, v13
	s_delay_alu instid0(VALU_DEP_1) | instskip(NEXT) | instid1(VALU_DEP_1)
	v_dual_sub_f32 v96, v97, v96 :: v_dual_mul_f32 v13, v94, v13
	v_add_f32_e32 v13, v96, v13
	s_delay_alu instid0(VALU_DEP_1) | instskip(NEXT) | instid1(VALU_DEP_1)
	v_add_f32_e32 v94, v95, v13
	v_mul_f32_e32 v96, v94, v94
	s_delay_alu instid0(VALU_DEP_1) | instskip(SKIP_1) | instid1(VALU_DEP_2)
	v_fmaak_f32 v97, s84, v96, 0x3ecc95a3
	v_mul_f32_e32 v98, v94, v96
	v_fmaak_f32 v96, v96, v97, 0x3f2aaada
	v_ldexp_f32 v97, v94, 1
	v_sub_f32_e32 v94, v94, v95
	s_delay_alu instid0(VALU_DEP_3) | instskip(NEXT) | instid1(VALU_DEP_2)
	v_mul_f32_e32 v96, v98, v96
	v_dual_mul_f32 v98, 0x3f317218, v12 :: v_dual_sub_f32 v13, v13, v94
	s_delay_alu instid0(VALU_DEP_2) | instskip(NEXT) | instid1(VALU_DEP_2)
	v_add_f32_e32 v95, v97, v96
	v_ldexp_f32 v13, v13, 1
	s_delay_alu instid0(VALU_DEP_2) | instskip(NEXT) | instid1(VALU_DEP_4)
	v_sub_f32_e32 v94, v95, v97
	v_fma_f32 v97, 0x3f317218, v12, -v98
	s_delay_alu instid0(VALU_DEP_1) | instskip(NEXT) | instid1(VALU_DEP_1)
	v_dual_sub_f32 v94, v96, v94 :: v_dual_fmac_f32 v97, 0xb102e308, v12
	v_add_f32_e32 v12, v13, v94
	s_delay_alu instid0(VALU_DEP_1) | instskip(NEXT) | instid1(VALU_DEP_1)
	v_add_f32_e32 v94, v95, v12
	v_sub_f32_e32 v95, v94, v95
	s_delay_alu instid0(VALU_DEP_1) | instskip(NEXT) | instid1(VALU_DEP_1)
	v_dual_sub_f32 v12, v12, v95 :: v_dual_add_f32 v13, v98, v97
	v_add_f32_e32 v96, v13, v94
	s_delay_alu instid0(VALU_DEP_1) | instskip(NEXT) | instid1(VALU_DEP_1)
	v_dual_sub_f32 v98, v13, v98 :: v_dual_sub_f32 v99, v96, v13
	v_dual_sub_f32 v97, v97, v98 :: v_dual_sub_f32 v100, v96, v99
	s_delay_alu instid0(VALU_DEP_1) | instskip(NEXT) | instid1(VALU_DEP_2)
	v_dual_sub_f32 v94, v94, v99 :: v_dual_add_f32 v95, v97, v12
	v_sub_f32_e32 v13, v13, v100
	s_delay_alu instid0(VALU_DEP_1) | instskip(NEXT) | instid1(VALU_DEP_3)
	v_add_f32_e32 v13, v94, v13
	v_sub_f32_e32 v94, v95, v97
	s_delay_alu instid0(VALU_DEP_2) | instskip(NEXT) | instid1(VALU_DEP_2)
	v_add_f32_e32 v13, v95, v13
	v_sub_f32_e32 v95, v95, v94
	v_sub_f32_e32 v12, v12, v94
	s_delay_alu instid0(VALU_DEP_2) | instskip(NEXT) | instid1(VALU_DEP_1)
	v_dual_add_f32 v98, v96, v13 :: v_dual_sub_f32 v95, v97, v95
	v_sub_f32_e32 v94, v98, v96
	s_delay_alu instid0(VALU_DEP_1) | instskip(NEXT) | instid1(VALU_DEP_1)
	v_dual_add_f32 v12, v12, v95 :: v_dual_sub_f32 v13, v13, v94
	v_add_f32_e32 v12, v12, v13
	s_delay_alu instid0(VALU_DEP_1) | instskip(NEXT) | instid1(VALU_DEP_1)
	v_add_f32_e32 v12, v98, v12
	v_cndmask_b32_e32 v94, v12, v17, vcc_lo
.LBB58_84:                              ;   in Loop: Header=BB58_12 Depth=1
	s_or_b32 exec_lo, exec_lo, s30
	v_and_b32_e32 v12, 0xffff0000, v14
	s_delay_alu instid0(VALU_DEP_1) | instskip(NEXT) | instid1(VALU_DEP_1)
	v_add_f32_e32 v95, s67, v12
	v_cmp_ge_f32_e32 vcc_lo, 0x41a00000, v95
	s_and_b32 s29, s80, vcc_lo
	s_delay_alu instid0(SALU_CYCLE_1)
	s_and_saveexec_b32 s30, s29
	s_cbranch_execz .LBB58_86
; %bb.85:                               ;   in Loop: Header=BB58_12 Depth=1
	v_mul_f32_e32 v12, 0x3fb8aa3b, v95
	v_cmp_ngt_f32_e32 vcc_lo, 0xc2ce8ed0, v95
	s_delay_alu instid0(VALU_DEP_2) | instskip(SKIP_1) | instid1(VALU_DEP_2)
	v_rndne_f32_e32 v13, v12
	v_fma_f32 v14, 0x3fb8aa3b, v95, -v12
	v_sub_f32_e32 v12, v12, v13
	s_delay_alu instid0(VALU_DEP_2) | instskip(SKIP_1) | instid1(VALU_DEP_2)
	v_fmac_f32_e32 v14, 0x32a5705f, v95
	v_cvt_i32_f32_e32 v13, v13
	v_add_f32_e32 v12, v12, v14
	s_delay_alu instid0(VALU_DEP_1) | instskip(SKIP_2) | instid1(VALU_DEP_1)
	v_exp_f32_e32 v12, v12
	s_waitcnt_depctr 0xfff
	v_ldexp_f32 v12, v12, v13
	v_cndmask_b32_e32 v12, 0, v12, vcc_lo
	v_cmp_nlt_f32_e32 vcc_lo, 0x42b17218, v95
	s_delay_alu instid0(VALU_DEP_2) | instskip(NEXT) | instid1(VALU_DEP_1)
	v_cndmask_b32_e32 v14, 0x7f800000, v12, vcc_lo
	v_add_f32_e32 v17, 1.0, v14
	s_delay_alu instid0(VALU_DEP_1) | instskip(NEXT) | instid1(VALU_DEP_1)
	v_cvt_f64_f32_e32 v[12:13], v17
	v_frexp_exp_i32_f64_e32 v12, v[12:13]
	v_frexp_mant_f32_e32 v13, v17
	s_delay_alu instid0(VALU_DEP_1) | instskip(SKIP_1) | instid1(VALU_DEP_1)
	v_cmp_gt_f32_e32 vcc_lo, 0x3f2aaaab, v13
	v_add_f32_e32 v13, -1.0, v17
	v_sub_f32_e32 v96, v13, v17
	v_sub_f32_e32 v13, v14, v13
	v_subrev_co_ci_u32_e32 v12, vcc_lo, 0, v12, vcc_lo
	s_delay_alu instid0(VALU_DEP_1) | instskip(SKIP_1) | instid1(VALU_DEP_2)
	v_sub_nc_u32_e32 v95, 0, v12
	v_cvt_f32_i32_e32 v12, v12
	v_ldexp_f32 v17, v17, v95
	s_delay_alu instid0(VALU_DEP_1) | instskip(NEXT) | instid1(VALU_DEP_1)
	v_dual_add_f32 v96, 1.0, v96 :: v_dual_add_f32 v97, 1.0, v17
	v_dual_add_f32 v13, v13, v96 :: v_dual_add_f32 v96, -1.0, v97
	s_delay_alu instid0(VALU_DEP_1) | instskip(SKIP_4) | instid1(VALU_DEP_4)
	v_ldexp_f32 v13, v13, v95
	v_add_f32_e32 v95, -1.0, v17
	v_cmp_eq_f32_e32 vcc_lo, 0x7f800000, v14
	v_cmp_gt_f32_e64 s29, 0x33800000, v14
	v_sub_f32_e32 v96, v17, v96
	v_add_f32_e32 v98, 1.0, v95
	s_delay_alu instid0(VALU_DEP_3) | instskip(NEXT) | instid1(VALU_DEP_2)
	s_or_b32 vcc_lo, s29, vcc_lo
	v_add_f32_e32 v96, v13, v96
	s_delay_alu instid0(VALU_DEP_2) | instskip(NEXT) | instid1(VALU_DEP_1)
	v_sub_f32_e32 v17, v17, v98
	v_add_f32_e32 v13, v13, v17
	s_delay_alu instid0(VALU_DEP_1) | instskip(NEXT) | instid1(VALU_DEP_1)
	v_dual_add_f32 v99, v95, v13 :: v_dual_add_f32 v98, v97, v96
	v_sub_f32_e32 v95, v95, v99
	s_delay_alu instid0(VALU_DEP_2) | instskip(SKIP_1) | instid1(VALU_DEP_1)
	v_rcp_f32_e32 v17, v98
	v_sub_f32_e32 v97, v97, v98
	v_dual_add_f32 v13, v13, v95 :: v_dual_add_f32 v96, v96, v97
	s_waitcnt_depctr 0xfff
	v_mul_f32_e32 v100, v99, v17
	s_delay_alu instid0(VALU_DEP_1) | instskip(NEXT) | instid1(VALU_DEP_1)
	v_mul_f32_e32 v101, v98, v100
	v_fma_f32 v97, v100, v98, -v101
	s_delay_alu instid0(VALU_DEP_1) | instskip(NEXT) | instid1(VALU_DEP_1)
	v_fmac_f32_e32 v97, v100, v96
	v_add_f32_e32 v102, v101, v97
	s_delay_alu instid0(VALU_DEP_1) | instskip(NEXT) | instid1(VALU_DEP_1)
	v_sub_f32_e32 v103, v99, v102
	v_sub_f32_e32 v99, v99, v103
	;; [unrolled: 1-line block ×3, first 2 shown]
	s_delay_alu instid0(VALU_DEP_2) | instskip(NEXT) | instid1(VALU_DEP_2)
	v_sub_f32_e32 v99, v99, v102
	v_sub_f32_e32 v95, v95, v97
	s_delay_alu instid0(VALU_DEP_2) | instskip(NEXT) | instid1(VALU_DEP_1)
	v_add_f32_e32 v13, v13, v99
	v_add_f32_e32 v13, v95, v13
	s_delay_alu instid0(VALU_DEP_1) | instskip(NEXT) | instid1(VALU_DEP_1)
	v_add_f32_e32 v95, v103, v13
	v_mul_f32_e32 v97, v17, v95
	s_delay_alu instid0(VALU_DEP_1) | instskip(NEXT) | instid1(VALU_DEP_1)
	v_dual_sub_f32 v102, v103, v95 :: v_dual_mul_f32 v99, v98, v97
	v_add_f32_e32 v13, v13, v102
	s_delay_alu instid0(VALU_DEP_2) | instskip(NEXT) | instid1(VALU_DEP_1)
	v_fma_f32 v98, v97, v98, -v99
	v_fmac_f32_e32 v98, v97, v96
	s_delay_alu instid0(VALU_DEP_1) | instskip(NEXT) | instid1(VALU_DEP_1)
	v_add_f32_e32 v96, v99, v98
	v_sub_f32_e32 v101, v95, v96
	v_sub_f32_e32 v99, v96, v99
	s_delay_alu instid0(VALU_DEP_2) | instskip(NEXT) | instid1(VALU_DEP_1)
	v_sub_f32_e32 v95, v95, v101
	v_sub_f32_e32 v95, v95, v96
	s_delay_alu instid0(VALU_DEP_1) | instskip(SKIP_1) | instid1(VALU_DEP_1)
	v_dual_sub_f32 v96, v99, v98 :: v_dual_add_f32 v13, v13, v95
	v_add_f32_e32 v95, v100, v97
	v_dual_add_f32 v13, v96, v13 :: v_dual_sub_f32 v96, v95, v100
	s_delay_alu instid0(VALU_DEP_1) | instskip(NEXT) | instid1(VALU_DEP_2)
	v_add_f32_e32 v13, v101, v13
	v_sub_f32_e32 v96, v97, v96
	s_delay_alu instid0(VALU_DEP_2) | instskip(NEXT) | instid1(VALU_DEP_1)
	v_mul_f32_e32 v13, v17, v13
	v_add_f32_e32 v13, v96, v13
	s_delay_alu instid0(VALU_DEP_1) | instskip(NEXT) | instid1(VALU_DEP_1)
	v_add_f32_e32 v17, v95, v13
	v_mul_f32_e32 v96, v17, v17
	s_delay_alu instid0(VALU_DEP_1) | instskip(SKIP_1) | instid1(VALU_DEP_2)
	v_fmaak_f32 v97, s84, v96, 0x3ecc95a3
	v_mul_f32_e32 v98, v17, v96
	v_fmaak_f32 v96, v96, v97, 0x3f2aaada
	v_ldexp_f32 v97, v17, 1
	s_delay_alu instid0(VALU_DEP_2) | instskip(NEXT) | instid1(VALU_DEP_1)
	v_dual_sub_f32 v17, v17, v95 :: v_dual_mul_f32 v96, v98, v96
	v_dual_mul_f32 v98, 0x3f317218, v12 :: v_dual_sub_f32 v13, v13, v17
	s_delay_alu instid0(VALU_DEP_2) | instskip(NEXT) | instid1(VALU_DEP_2)
	v_add_f32_e32 v95, v97, v96
	v_ldexp_f32 v13, v13, 1
	s_delay_alu instid0(VALU_DEP_2) | instskip(NEXT) | instid1(VALU_DEP_4)
	v_sub_f32_e32 v17, v95, v97
	v_fma_f32 v97, 0x3f317218, v12, -v98
	s_delay_alu instid0(VALU_DEP_2) | instskip(NEXT) | instid1(VALU_DEP_1)
	v_sub_f32_e32 v17, v96, v17
	v_dual_fmac_f32 v97, 0xb102e308, v12 :: v_dual_add_f32 v12, v13, v17
	s_delay_alu instid0(VALU_DEP_1) | instskip(NEXT) | instid1(VALU_DEP_1)
	v_add_f32_e32 v13, v98, v97
	v_dual_add_f32 v17, v95, v12 :: v_dual_sub_f32 v98, v13, v98
	s_delay_alu instid0(VALU_DEP_1) | instskip(SKIP_1) | instid1(VALU_DEP_3)
	v_add_f32_e32 v96, v13, v17
	v_sub_f32_e32 v95, v17, v95
	v_sub_f32_e32 v97, v97, v98
	s_delay_alu instid0(VALU_DEP_3) | instskip(NEXT) | instid1(VALU_DEP_3)
	v_sub_f32_e32 v99, v96, v13
	v_sub_f32_e32 v12, v12, v95
	s_delay_alu instid0(VALU_DEP_2) | instskip(SKIP_1) | instid1(VALU_DEP_3)
	v_sub_f32_e32 v100, v96, v99
	v_sub_f32_e32 v17, v17, v99
	v_add_f32_e32 v95, v97, v12
	s_delay_alu instid0(VALU_DEP_3) | instskip(NEXT) | instid1(VALU_DEP_1)
	v_sub_f32_e32 v13, v13, v100
	v_add_f32_e32 v13, v17, v13
	s_delay_alu instid0(VALU_DEP_3) | instskip(NEXT) | instid1(VALU_DEP_2)
	v_sub_f32_e32 v17, v95, v97
	v_add_f32_e32 v13, v95, v13
	s_delay_alu instid0(VALU_DEP_2) | instskip(SKIP_1) | instid1(VALU_DEP_2)
	v_sub_f32_e32 v95, v95, v17
	v_sub_f32_e32 v12, v12, v17
	v_dual_add_f32 v98, v96, v13 :: v_dual_sub_f32 v95, v97, v95
	s_delay_alu instid0(VALU_DEP_1) | instskip(NEXT) | instid1(VALU_DEP_1)
	v_dual_sub_f32 v17, v98, v96 :: v_dual_add_f32 v12, v12, v95
	v_sub_f32_e32 v13, v13, v17
	s_delay_alu instid0(VALU_DEP_1) | instskip(NEXT) | instid1(VALU_DEP_1)
	v_add_f32_e32 v12, v12, v13
	v_add_f32_e32 v12, v98, v12
	s_delay_alu instid0(VALU_DEP_1)
	v_cndmask_b32_e32 v95, v12, v14, vcc_lo
.LBB58_86:                              ;   in Loop: Header=BB58_12 Depth=1
	s_or_b32 exec_lo, exec_lo, s30
	v_lshlrev_b32_e32 v12, 16, v15
	s_delay_alu instid0(VALU_DEP_1) | instskip(NEXT) | instid1(VALU_DEP_1)
	v_add_f32_e32 v96, s67, v12
	v_cmp_ge_f32_e32 vcc_lo, 0x41a00000, v96
	s_and_b32 s29, s80, vcc_lo
	s_delay_alu instid0(SALU_CYCLE_1)
	s_and_saveexec_b32 s30, s29
	s_cbranch_execz .LBB58_88
; %bb.87:                               ;   in Loop: Header=BB58_12 Depth=1
	v_mul_f32_e32 v12, 0x3fb8aa3b, v96
	v_cmp_ngt_f32_e32 vcc_lo, 0xc2ce8ed0, v96
	s_delay_alu instid0(VALU_DEP_2) | instskip(SKIP_1) | instid1(VALU_DEP_2)
	v_rndne_f32_e32 v13, v12
	v_fma_f32 v14, 0x3fb8aa3b, v96, -v12
	v_sub_f32_e32 v12, v12, v13
	s_delay_alu instid0(VALU_DEP_2) | instskip(SKIP_1) | instid1(VALU_DEP_2)
	v_fmac_f32_e32 v14, 0x32a5705f, v96
	v_cvt_i32_f32_e32 v13, v13
	v_add_f32_e32 v12, v12, v14
	s_delay_alu instid0(VALU_DEP_1) | instskip(SKIP_2) | instid1(VALU_DEP_1)
	v_exp_f32_e32 v12, v12
	s_waitcnt_depctr 0xfff
	v_ldexp_f32 v12, v12, v13
	v_cndmask_b32_e32 v12, 0, v12, vcc_lo
	v_cmp_nlt_f32_e32 vcc_lo, 0x42b17218, v96
	s_delay_alu instid0(VALU_DEP_2) | instskip(NEXT) | instid1(VALU_DEP_1)
	v_cndmask_b32_e32 v14, 0x7f800000, v12, vcc_lo
	v_add_f32_e32 v17, 1.0, v14
	s_delay_alu instid0(VALU_DEP_1) | instskip(NEXT) | instid1(VALU_DEP_1)
	v_cvt_f64_f32_e32 v[12:13], v17
	v_frexp_exp_i32_f64_e32 v12, v[12:13]
	v_frexp_mant_f32_e32 v13, v17
	s_delay_alu instid0(VALU_DEP_1) | instskip(SKIP_1) | instid1(VALU_DEP_1)
	v_cmp_gt_f32_e32 vcc_lo, 0x3f2aaaab, v13
	v_add_f32_e32 v13, -1.0, v17
	v_sub_f32_e32 v97, v13, v17
	s_delay_alu instid0(VALU_DEP_1) | instskip(SKIP_2) | instid1(VALU_DEP_2)
	v_add_f32_e32 v97, 1.0, v97
	v_sub_f32_e32 v13, v14, v13
	v_cmp_gt_f32_e64 s29, 0x33800000, v14
	v_add_f32_e32 v13, v13, v97
	v_subrev_co_ci_u32_e32 v12, vcc_lo, 0, v12, vcc_lo
	v_cmp_eq_f32_e32 vcc_lo, 0x7f800000, v14
	s_delay_alu instid0(VALU_DEP_2) | instskip(SKIP_2) | instid1(VALU_DEP_2)
	v_sub_nc_u32_e32 v96, 0, v12
	v_cvt_f32_i32_e32 v12, v12
	s_or_b32 vcc_lo, s29, vcc_lo
	v_ldexp_f32 v17, v17, v96
	v_ldexp_f32 v13, v13, v96
	s_delay_alu instid0(VALU_DEP_2) | instskip(NEXT) | instid1(VALU_DEP_1)
	v_add_f32_e32 v96, -1.0, v17
	v_dual_add_f32 v98, 1.0, v17 :: v_dual_add_f32 v99, 1.0, v96
	s_delay_alu instid0(VALU_DEP_1) | instskip(NEXT) | instid1(VALU_DEP_1)
	v_add_f32_e32 v97, -1.0, v98
	v_sub_f32_e32 v97, v17, v97
	s_delay_alu instid0(VALU_DEP_3) | instskip(NEXT) | instid1(VALU_DEP_2)
	v_sub_f32_e32 v17, v17, v99
	v_add_f32_e32 v97, v13, v97
	s_delay_alu instid0(VALU_DEP_2) | instskip(NEXT) | instid1(VALU_DEP_1)
	v_add_f32_e32 v13, v13, v17
	v_add_f32_e32 v100, v96, v13
	s_delay_alu instid0(VALU_DEP_1) | instskip(NEXT) | instid1(VALU_DEP_1)
	v_dual_sub_f32 v96, v96, v100 :: v_dual_add_f32 v99, v98, v97
	v_add_f32_e32 v13, v13, v96
	s_delay_alu instid0(VALU_DEP_2) | instskip(SKIP_1) | instid1(VALU_DEP_1)
	v_rcp_f32_e32 v17, v99
	v_sub_f32_e32 v98, v98, v99
	v_add_f32_e32 v97, v97, v98
	s_waitcnt_depctr 0xfff
	v_mul_f32_e32 v101, v100, v17
	s_delay_alu instid0(VALU_DEP_1) | instskip(NEXT) | instid1(VALU_DEP_1)
	v_mul_f32_e32 v102, v99, v101
	v_fma_f32 v98, v101, v99, -v102
	s_delay_alu instid0(VALU_DEP_1) | instskip(NEXT) | instid1(VALU_DEP_1)
	v_fmac_f32_e32 v98, v101, v97
	v_add_f32_e32 v103, v102, v98
	s_delay_alu instid0(VALU_DEP_1) | instskip(SKIP_1) | instid1(VALU_DEP_2)
	v_sub_f32_e32 v104, v100, v103
	v_sub_f32_e32 v96, v103, v102
	;; [unrolled: 1-line block ×3, first 2 shown]
	s_delay_alu instid0(VALU_DEP_1) | instskip(NEXT) | instid1(VALU_DEP_1)
	v_sub_f32_e32 v100, v100, v103
	v_dual_sub_f32 v96, v96, v98 :: v_dual_add_f32 v13, v13, v100
	s_delay_alu instid0(VALU_DEP_1) | instskip(NEXT) | instid1(VALU_DEP_1)
	v_add_f32_e32 v13, v96, v13
	v_add_f32_e32 v96, v104, v13
	s_delay_alu instid0(VALU_DEP_1) | instskip(NEXT) | instid1(VALU_DEP_1)
	v_mul_f32_e32 v98, v17, v96
	v_dual_sub_f32 v103, v104, v96 :: v_dual_mul_f32 v100, v99, v98
	s_delay_alu instid0(VALU_DEP_1) | instskip(NEXT) | instid1(VALU_DEP_2)
	v_add_f32_e32 v13, v13, v103
	v_fma_f32 v99, v98, v99, -v100
	s_delay_alu instid0(VALU_DEP_1) | instskip(NEXT) | instid1(VALU_DEP_1)
	v_fmac_f32_e32 v99, v98, v97
	v_add_f32_e32 v97, v100, v99
	s_delay_alu instid0(VALU_DEP_1) | instskip(NEXT) | instid1(VALU_DEP_1)
	v_sub_f32_e32 v102, v96, v97
	v_sub_f32_e32 v96, v96, v102
	s_delay_alu instid0(VALU_DEP_1) | instskip(NEXT) | instid1(VALU_DEP_1)
	v_sub_f32_e32 v96, v96, v97
	v_add_f32_e32 v13, v13, v96
	v_add_f32_e32 v96, v101, v98
	v_sub_f32_e32 v100, v97, v100
	s_delay_alu instid0(VALU_DEP_1) | instskip(NEXT) | instid1(VALU_DEP_1)
	v_sub_f32_e32 v97, v100, v99
	v_add_f32_e32 v13, v97, v13
	s_delay_alu instid0(VALU_DEP_4) | instskip(NEXT) | instid1(VALU_DEP_2)
	v_sub_f32_e32 v97, v96, v101
	v_add_f32_e32 v13, v102, v13
	s_delay_alu instid0(VALU_DEP_2) | instskip(NEXT) | instid1(VALU_DEP_2)
	v_sub_f32_e32 v97, v98, v97
	v_mul_f32_e32 v13, v17, v13
	s_delay_alu instid0(VALU_DEP_1) | instskip(NEXT) | instid1(VALU_DEP_1)
	v_add_f32_e32 v13, v97, v13
	v_add_f32_e32 v17, v96, v13
	s_delay_alu instid0(VALU_DEP_1) | instskip(NEXT) | instid1(VALU_DEP_1)
	v_mul_f32_e32 v97, v17, v17
	v_fmaak_f32 v98, s84, v97, 0x3ecc95a3
	v_mul_f32_e32 v99, v17, v97
	s_delay_alu instid0(VALU_DEP_2) | instskip(SKIP_1) | instid1(VALU_DEP_2)
	v_fmaak_f32 v97, v97, v98, 0x3f2aaada
	v_ldexp_f32 v98, v17, 1
	v_mul_f32_e32 v97, v99, v97
	s_delay_alu instid0(VALU_DEP_1) | instskip(NEXT) | instid1(VALU_DEP_1)
	v_dual_sub_f32 v17, v17, v96 :: v_dual_add_f32 v96, v98, v97
	v_sub_f32_e32 v13, v13, v17
	s_delay_alu instid0(VALU_DEP_2) | instskip(NEXT) | instid1(VALU_DEP_2)
	v_sub_f32_e32 v17, v96, v98
	v_ldexp_f32 v13, v13, 1
	s_delay_alu instid0(VALU_DEP_2) | instskip(SKIP_1) | instid1(VALU_DEP_1)
	v_sub_f32_e32 v17, v97, v17
	v_mul_f32_e32 v99, 0x3f317218, v12
	v_fma_f32 v98, 0x3f317218, v12, -v99
	s_delay_alu instid0(VALU_DEP_1) | instskip(NEXT) | instid1(VALU_DEP_1)
	v_fmac_f32_e32 v98, 0xb102e308, v12
	v_dual_add_f32 v12, v13, v17 :: v_dual_add_f32 v13, v99, v98
	s_delay_alu instid0(VALU_DEP_1) | instskip(NEXT) | instid1(VALU_DEP_1)
	v_add_f32_e32 v17, v96, v12
	v_add_f32_e32 v97, v13, v17
	v_sub_f32_e32 v96, v17, v96
	s_delay_alu instid0(VALU_DEP_2) | instskip(NEXT) | instid1(VALU_DEP_2)
	v_sub_f32_e32 v100, v97, v13
	v_dual_sub_f32 v12, v12, v96 :: v_dual_sub_f32 v99, v13, v99
	s_delay_alu instid0(VALU_DEP_2) | instskip(NEXT) | instid1(VALU_DEP_2)
	v_sub_f32_e32 v101, v97, v100
	v_dual_sub_f32 v17, v17, v100 :: v_dual_sub_f32 v98, v98, v99
	s_delay_alu instid0(VALU_DEP_1) | instskip(NEXT) | instid1(VALU_DEP_1)
	v_dual_sub_f32 v13, v13, v101 :: v_dual_add_f32 v96, v98, v12
	v_add_f32_e32 v13, v17, v13
	s_delay_alu instid0(VALU_DEP_2) | instskip(NEXT) | instid1(VALU_DEP_2)
	v_sub_f32_e32 v17, v96, v98
	v_add_f32_e32 v13, v96, v13
	s_delay_alu instid0(VALU_DEP_2) | instskip(SKIP_1) | instid1(VALU_DEP_2)
	v_sub_f32_e32 v96, v96, v17
	v_sub_f32_e32 v12, v12, v17
	v_dual_add_f32 v99, v97, v13 :: v_dual_sub_f32 v96, v98, v96
	s_delay_alu instid0(VALU_DEP_1) | instskip(NEXT) | instid1(VALU_DEP_1)
	v_dual_sub_f32 v17, v99, v97 :: v_dual_add_f32 v12, v12, v96
	v_sub_f32_e32 v13, v13, v17
	s_delay_alu instid0(VALU_DEP_1) | instskip(NEXT) | instid1(VALU_DEP_1)
	v_add_f32_e32 v12, v12, v13
	v_add_f32_e32 v12, v99, v12
	s_delay_alu instid0(VALU_DEP_1)
	v_cndmask_b32_e32 v96, v12, v14, vcc_lo
.LBB58_88:                              ;   in Loop: Header=BB58_12 Depth=1
	s_or_b32 exec_lo, exec_lo, s30
	v_and_b32_e32 v12, 0xffff0000, v15
	s_delay_alu instid0(VALU_DEP_1) | instskip(NEXT) | instid1(VALU_DEP_1)
	v_add_f32_e32 v97, s67, v12
	v_cmp_ge_f32_e32 vcc_lo, 0x41a00000, v97
	s_and_b32 s29, s80, vcc_lo
	s_delay_alu instid0(SALU_CYCLE_1)
	s_and_saveexec_b32 s30, s29
	s_cbranch_execz .LBB58_90
; %bb.89:                               ;   in Loop: Header=BB58_12 Depth=1
	v_mul_f32_e32 v12, 0x3fb8aa3b, v97
	v_cmp_ngt_f32_e32 vcc_lo, 0xc2ce8ed0, v97
	s_delay_alu instid0(VALU_DEP_2) | instskip(SKIP_1) | instid1(VALU_DEP_2)
	v_rndne_f32_e32 v13, v12
	v_fma_f32 v14, 0x3fb8aa3b, v97, -v12
	v_sub_f32_e32 v12, v12, v13
	s_delay_alu instid0(VALU_DEP_2) | instskip(SKIP_1) | instid1(VALU_DEP_2)
	v_fmac_f32_e32 v14, 0x32a5705f, v97
	v_cvt_i32_f32_e32 v13, v13
	v_add_f32_e32 v12, v12, v14
	s_delay_alu instid0(VALU_DEP_1) | instskip(SKIP_2) | instid1(VALU_DEP_1)
	v_exp_f32_e32 v12, v12
	s_waitcnt_depctr 0xfff
	v_ldexp_f32 v12, v12, v13
	v_cndmask_b32_e32 v12, 0, v12, vcc_lo
	v_cmp_nlt_f32_e32 vcc_lo, 0x42b17218, v97
	s_delay_alu instid0(VALU_DEP_2) | instskip(NEXT) | instid1(VALU_DEP_1)
	v_cndmask_b32_e32 v14, 0x7f800000, v12, vcc_lo
	v_add_f32_e32 v15, 1.0, v14
	s_delay_alu instid0(VALU_DEP_1) | instskip(NEXT) | instid1(VALU_DEP_1)
	v_cvt_f64_f32_e32 v[12:13], v15
	v_frexp_exp_i32_f64_e32 v12, v[12:13]
	v_frexp_mant_f32_e32 v13, v15
	s_delay_alu instid0(VALU_DEP_1) | instskip(SKIP_1) | instid1(VALU_DEP_1)
	v_cmp_gt_f32_e32 vcc_lo, 0x3f2aaaab, v13
	v_add_f32_e32 v13, -1.0, v15
	v_sub_f32_e32 v97, v13, v15
	v_sub_f32_e32 v13, v14, v13
	s_delay_alu instid0(VALU_DEP_2) | instskip(NEXT) | instid1(VALU_DEP_1)
	v_add_f32_e32 v97, 1.0, v97
	v_add_f32_e32 v13, v13, v97
	v_cmp_gt_f32_e64 s29, 0x33800000, v14
	v_subrev_co_ci_u32_e32 v12, vcc_lo, 0, v12, vcc_lo
	v_cmp_eq_f32_e32 vcc_lo, 0x7f800000, v14
	s_delay_alu instid0(VALU_DEP_2) | instskip(SKIP_2) | instid1(VALU_DEP_2)
	v_sub_nc_u32_e32 v17, 0, v12
	v_cvt_f32_i32_e32 v12, v12
	s_or_b32 vcc_lo, s29, vcc_lo
	v_ldexp_f32 v15, v15, v17
	v_ldexp_f32 v13, v13, v17
	s_delay_alu instid0(VALU_DEP_2) | instskip(SKIP_1) | instid1(VALU_DEP_2)
	v_add_f32_e32 v98, 1.0, v15
	v_add_f32_e32 v17, -1.0, v15
	v_add_f32_e32 v97, -1.0, v98
	s_delay_alu instid0(VALU_DEP_2) | instskip(NEXT) | instid1(VALU_DEP_2)
	v_add_f32_e32 v99, 1.0, v17
	v_sub_f32_e32 v97, v15, v97
	s_delay_alu instid0(VALU_DEP_2) | instskip(NEXT) | instid1(VALU_DEP_2)
	v_sub_f32_e32 v15, v15, v99
	v_add_f32_e32 v97, v13, v97
	s_delay_alu instid0(VALU_DEP_2) | instskip(NEXT) | instid1(VALU_DEP_1)
	v_add_f32_e32 v13, v13, v15
	v_add_f32_e32 v100, v17, v13
	s_delay_alu instid0(VALU_DEP_3) | instskip(NEXT) | instid1(VALU_DEP_1)
	v_add_f32_e32 v99, v98, v97
	v_rcp_f32_e32 v15, v99
	v_sub_f32_e32 v98, v98, v99
	s_delay_alu instid0(VALU_DEP_1) | instskip(SKIP_2) | instid1(VALU_DEP_1)
	v_add_f32_e32 v97, v97, v98
	s_waitcnt_depctr 0xfff
	v_mul_f32_e32 v101, v100, v15
	v_dual_mul_f32 v102, v99, v101 :: v_dual_sub_f32 v17, v17, v100
	s_delay_alu instid0(VALU_DEP_1) | instskip(NEXT) | instid1(VALU_DEP_2)
	v_fma_f32 v98, v101, v99, -v102
	v_add_f32_e32 v13, v13, v17
	s_delay_alu instid0(VALU_DEP_2) | instskip(NEXT) | instid1(VALU_DEP_1)
	v_fmac_f32_e32 v98, v101, v97
	v_add_f32_e32 v103, v102, v98
	s_delay_alu instid0(VALU_DEP_1) | instskip(NEXT) | instid1(VALU_DEP_1)
	v_dual_sub_f32 v104, v100, v103 :: v_dual_sub_f32 v17, v103, v102
	v_dual_sub_f32 v100, v100, v104 :: v_dual_sub_f32 v17, v17, v98
	s_delay_alu instid0(VALU_DEP_1) | instskip(NEXT) | instid1(VALU_DEP_1)
	v_sub_f32_e32 v100, v100, v103
	v_add_f32_e32 v13, v13, v100
	s_delay_alu instid0(VALU_DEP_1) | instskip(NEXT) | instid1(VALU_DEP_1)
	v_add_f32_e32 v13, v17, v13
	v_add_f32_e32 v17, v104, v13
	s_delay_alu instid0(VALU_DEP_1) | instskip(NEXT) | instid1(VALU_DEP_1)
	v_mul_f32_e32 v98, v15, v17
	v_dual_sub_f32 v103, v104, v17 :: v_dual_mul_f32 v100, v99, v98
	s_delay_alu instid0(VALU_DEP_1) | instskip(NEXT) | instid1(VALU_DEP_2)
	v_add_f32_e32 v13, v13, v103
	v_fma_f32 v99, v98, v99, -v100
	s_delay_alu instid0(VALU_DEP_1) | instskip(NEXT) | instid1(VALU_DEP_1)
	v_fmac_f32_e32 v99, v98, v97
	v_add_f32_e32 v97, v100, v99
	s_delay_alu instid0(VALU_DEP_1) | instskip(SKIP_1) | instid1(VALU_DEP_2)
	v_sub_f32_e32 v102, v17, v97
	v_sub_f32_e32 v100, v97, v100
	;; [unrolled: 1-line block ×3, first 2 shown]
	s_delay_alu instid0(VALU_DEP_1) | instskip(NEXT) | instid1(VALU_DEP_3)
	v_sub_f32_e32 v17, v17, v97
	v_sub_f32_e32 v97, v100, v99
	s_delay_alu instid0(VALU_DEP_2) | instskip(SKIP_1) | instid1(VALU_DEP_2)
	v_add_f32_e32 v13, v13, v17
	v_add_f32_e32 v17, v101, v98
	;; [unrolled: 1-line block ×3, first 2 shown]
	s_delay_alu instid0(VALU_DEP_2) | instskip(NEXT) | instid1(VALU_DEP_2)
	v_sub_f32_e32 v97, v17, v101
	v_add_f32_e32 v13, v102, v13
	s_delay_alu instid0(VALU_DEP_2) | instskip(NEXT) | instid1(VALU_DEP_2)
	v_sub_f32_e32 v97, v98, v97
	v_mul_f32_e32 v13, v15, v13
	s_delay_alu instid0(VALU_DEP_1) | instskip(NEXT) | instid1(VALU_DEP_1)
	v_add_f32_e32 v13, v97, v13
	v_add_f32_e32 v15, v17, v13
	s_delay_alu instid0(VALU_DEP_1) | instskip(NEXT) | instid1(VALU_DEP_1)
	v_mul_f32_e32 v97, v15, v15
	v_fmaak_f32 v98, s84, v97, 0x3ecc95a3
	v_mul_f32_e32 v99, v15, v97
	s_delay_alu instid0(VALU_DEP_2) | instskip(SKIP_2) | instid1(VALU_DEP_3)
	v_fmaak_f32 v97, v97, v98, 0x3f2aaada
	v_ldexp_f32 v98, v15, 1
	v_sub_f32_e32 v15, v15, v17
	v_mul_f32_e32 v97, v99, v97
	v_mul_f32_e32 v99, 0x3f317218, v12
	s_delay_alu instid0(VALU_DEP_3) | instskip(NEXT) | instid1(VALU_DEP_3)
	v_sub_f32_e32 v13, v13, v15
	v_add_f32_e32 v17, v98, v97
	s_delay_alu instid0(VALU_DEP_2) | instskip(NEXT) | instid1(VALU_DEP_2)
	v_ldexp_f32 v13, v13, 1
	v_sub_f32_e32 v15, v17, v98
	v_fma_f32 v98, 0x3f317218, v12, -v99
	s_delay_alu instid0(VALU_DEP_1) | instskip(NEXT) | instid1(VALU_DEP_1)
	v_dual_sub_f32 v15, v97, v15 :: v_dual_fmac_f32 v98, 0xb102e308, v12
	v_dual_add_f32 v12, v13, v15 :: v_dual_add_f32 v13, v99, v98
	s_delay_alu instid0(VALU_DEP_1) | instskip(NEXT) | instid1(VALU_DEP_1)
	v_add_f32_e32 v15, v17, v12
	v_add_f32_e32 v97, v13, v15
	v_sub_f32_e32 v17, v15, v17
	s_delay_alu instid0(VALU_DEP_2) | instskip(NEXT) | instid1(VALU_DEP_2)
	v_sub_f32_e32 v100, v97, v13
	v_dual_sub_f32 v99, v13, v99 :: v_dual_sub_f32 v12, v12, v17
	s_delay_alu instid0(VALU_DEP_1) | instskip(SKIP_1) | instid1(VALU_DEP_2)
	v_dual_sub_f32 v101, v97, v100 :: v_dual_sub_f32 v98, v98, v99
	v_sub_f32_e32 v15, v15, v100
	v_sub_f32_e32 v13, v13, v101
	s_delay_alu instid0(VALU_DEP_3) | instskip(NEXT) | instid1(VALU_DEP_2)
	v_add_f32_e32 v17, v98, v12
	v_add_f32_e32 v13, v15, v13
	s_delay_alu instid0(VALU_DEP_2) | instskip(NEXT) | instid1(VALU_DEP_2)
	v_sub_f32_e32 v15, v17, v98
	v_add_f32_e32 v13, v17, v13
	s_delay_alu instid0(VALU_DEP_2) | instskip(NEXT) | instid1(VALU_DEP_2)
	v_sub_f32_e32 v17, v17, v15
	v_dual_sub_f32 v12, v12, v15 :: v_dual_add_f32 v99, v97, v13
	s_delay_alu instid0(VALU_DEP_2) | instskip(NEXT) | instid1(VALU_DEP_2)
	v_sub_f32_e32 v17, v98, v17
	v_sub_f32_e32 v15, v99, v97
	s_delay_alu instid0(VALU_DEP_1) | instskip(NEXT) | instid1(VALU_DEP_1)
	v_dual_add_f32 v12, v12, v17 :: v_dual_sub_f32 v13, v13, v15
	v_add_f32_e32 v12, v12, v13
	s_delay_alu instid0(VALU_DEP_1) | instskip(NEXT) | instid1(VALU_DEP_1)
	v_add_f32_e32 v12, v99, v12
	v_cndmask_b32_e32 v97, v12, v14, vcc_lo
.LBB58_90:                              ;   in Loop: Header=BB58_12 Depth=1
	s_or_b32 exec_lo, exec_lo, s30
	s_waitcnt lgkmcnt(0)
	v_lshlrev_b32_e32 v12, 16, v8
	s_delay_alu instid0(VALU_DEP_1) | instskip(NEXT) | instid1(VALU_DEP_1)
	v_add_f32_e32 v98, s67, v12
	v_cmp_ge_f32_e32 vcc_lo, 0x41a00000, v98
	s_and_b32 s29, s80, vcc_lo
	s_delay_alu instid0(SALU_CYCLE_1)
	s_and_saveexec_b32 s30, s29
	s_cbranch_execz .LBB58_92
; %bb.91:                               ;   in Loop: Header=BB58_12 Depth=1
	v_mul_f32_e32 v12, 0x3fb8aa3b, v98
	v_cmp_ngt_f32_e32 vcc_lo, 0xc2ce8ed0, v98
	s_delay_alu instid0(VALU_DEP_2) | instskip(SKIP_1) | instid1(VALU_DEP_2)
	v_rndne_f32_e32 v13, v12
	v_fma_f32 v14, 0x3fb8aa3b, v98, -v12
	v_sub_f32_e32 v12, v12, v13
	s_delay_alu instid0(VALU_DEP_2) | instskip(SKIP_1) | instid1(VALU_DEP_2)
	v_fmac_f32_e32 v14, 0x32a5705f, v98
	v_cvt_i32_f32_e32 v13, v13
	v_add_f32_e32 v12, v12, v14
	s_delay_alu instid0(VALU_DEP_1) | instskip(SKIP_2) | instid1(VALU_DEP_1)
	v_exp_f32_e32 v12, v12
	s_waitcnt_depctr 0xfff
	v_ldexp_f32 v12, v12, v13
	v_cndmask_b32_e32 v12, 0, v12, vcc_lo
	v_cmp_nlt_f32_e32 vcc_lo, 0x42b17218, v98
	s_delay_alu instid0(VALU_DEP_2) | instskip(NEXT) | instid1(VALU_DEP_1)
	v_cndmask_b32_e32 v14, 0x7f800000, v12, vcc_lo
	v_add_f32_e32 v15, 1.0, v14
	s_delay_alu instid0(VALU_DEP_1) | instskip(NEXT) | instid1(VALU_DEP_1)
	v_cvt_f64_f32_e32 v[12:13], v15
	v_frexp_exp_i32_f64_e32 v12, v[12:13]
	v_frexp_mant_f32_e32 v13, v15
	s_delay_alu instid0(VALU_DEP_1) | instskip(SKIP_1) | instid1(VALU_DEP_1)
	v_cmp_gt_f32_e32 vcc_lo, 0x3f2aaaab, v13
	v_add_f32_e32 v13, -1.0, v15
	v_dual_sub_f32 v98, v13, v15 :: v_dual_sub_f32 v13, v14, v13
	s_delay_alu instid0(VALU_DEP_1) | instskip(NEXT) | instid1(VALU_DEP_1)
	v_add_f32_e32 v98, 1.0, v98
	v_add_f32_e32 v13, v13, v98
	v_subrev_co_ci_u32_e32 v12, vcc_lo, 0, v12, vcc_lo
	s_delay_alu instid0(VALU_DEP_1) | instskip(SKIP_1) | instid1(VALU_DEP_2)
	v_sub_nc_u32_e32 v17, 0, v12
	v_cvt_f32_i32_e32 v12, v12
	v_ldexp_f32 v15, v15, v17
	v_ldexp_f32 v13, v13, v17
	s_delay_alu instid0(VALU_DEP_2) | instskip(SKIP_3) | instid1(VALU_DEP_4)
	v_add_f32_e32 v99, 1.0, v15
	v_add_f32_e32 v17, -1.0, v15
	v_cmp_eq_f32_e32 vcc_lo, 0x7f800000, v14
	v_cmp_gt_f32_e64 s29, 0x33800000, v14
	v_add_f32_e32 v98, -1.0, v99
	s_delay_alu instid0(VALU_DEP_4) | instskip(NEXT) | instid1(VALU_DEP_3)
	v_add_f32_e32 v100, 1.0, v17
	s_or_b32 vcc_lo, s29, vcc_lo
	s_delay_alu instid0(VALU_DEP_2) | instskip(NEXT) | instid1(VALU_DEP_1)
	v_sub_f32_e32 v98, v15, v98
	v_dual_sub_f32 v15, v15, v100 :: v_dual_add_f32 v98, v13, v98
	s_delay_alu instid0(VALU_DEP_1) | instskip(NEXT) | instid1(VALU_DEP_1)
	v_add_f32_e32 v13, v13, v15
	v_dual_add_f32 v101, v17, v13 :: v_dual_add_f32 v100, v99, v98
	s_delay_alu instid0(VALU_DEP_1) | instskip(NEXT) | instid1(VALU_DEP_2)
	v_sub_f32_e32 v17, v17, v101
	v_rcp_f32_e32 v15, v100
	v_sub_f32_e32 v99, v99, v100
	s_delay_alu instid0(VALU_DEP_1) | instskip(SKIP_2) | instid1(VALU_DEP_1)
	v_dual_add_f32 v98, v98, v99 :: v_dual_add_f32 v13, v13, v17
	s_waitcnt_depctr 0xfff
	v_mul_f32_e32 v102, v101, v15
	v_mul_f32_e32 v103, v100, v102
	s_delay_alu instid0(VALU_DEP_1) | instskip(NEXT) | instid1(VALU_DEP_1)
	v_fma_f32 v99, v102, v100, -v103
	v_fmac_f32_e32 v99, v102, v98
	s_delay_alu instid0(VALU_DEP_1) | instskip(NEXT) | instid1(VALU_DEP_1)
	v_add_f32_e32 v104, v103, v99
	v_sub_f32_e32 v105, v101, v104
	s_delay_alu instid0(VALU_DEP_1) | instskip(SKIP_1) | instid1(VALU_DEP_2)
	v_sub_f32_e32 v101, v101, v105
	v_sub_f32_e32 v17, v104, v103
	;; [unrolled: 1-line block ×3, first 2 shown]
	s_delay_alu instid0(VALU_DEP_2) | instskip(NEXT) | instid1(VALU_DEP_2)
	v_sub_f32_e32 v17, v17, v99
	v_add_f32_e32 v13, v13, v101
	s_delay_alu instid0(VALU_DEP_1) | instskip(NEXT) | instid1(VALU_DEP_1)
	v_add_f32_e32 v13, v17, v13
	v_add_f32_e32 v17, v105, v13
	s_delay_alu instid0(VALU_DEP_1) | instskip(NEXT) | instid1(VALU_DEP_1)
	v_mul_f32_e32 v99, v15, v17
	v_dual_sub_f32 v104, v105, v17 :: v_dual_mul_f32 v101, v100, v99
	s_delay_alu instid0(VALU_DEP_1) | instskip(NEXT) | instid1(VALU_DEP_2)
	v_add_f32_e32 v13, v13, v104
	v_fma_f32 v100, v99, v100, -v101
	s_delay_alu instid0(VALU_DEP_1) | instskip(NEXT) | instid1(VALU_DEP_1)
	v_fmac_f32_e32 v100, v99, v98
	v_add_f32_e32 v98, v101, v100
	s_delay_alu instid0(VALU_DEP_1) | instskip(NEXT) | instid1(VALU_DEP_1)
	v_sub_f32_e32 v103, v17, v98
	v_sub_f32_e32 v17, v17, v103
	s_delay_alu instid0(VALU_DEP_1) | instskip(NEXT) | instid1(VALU_DEP_1)
	v_sub_f32_e32 v17, v17, v98
	v_add_f32_e32 v13, v13, v17
	v_add_f32_e32 v17, v102, v99
	v_sub_f32_e32 v101, v98, v101
	s_delay_alu instid0(VALU_DEP_1) | instskip(NEXT) | instid1(VALU_DEP_1)
	v_sub_f32_e32 v98, v101, v100
	v_dual_add_f32 v13, v98, v13 :: v_dual_sub_f32 v98, v17, v102
	s_delay_alu instid0(VALU_DEP_1) | instskip(NEXT) | instid1(VALU_DEP_2)
	v_add_f32_e32 v13, v103, v13
	v_sub_f32_e32 v98, v99, v98
	s_delay_alu instid0(VALU_DEP_2) | instskip(NEXT) | instid1(VALU_DEP_1)
	v_mul_f32_e32 v13, v15, v13
	v_add_f32_e32 v13, v98, v13
	s_delay_alu instid0(VALU_DEP_1) | instskip(NEXT) | instid1(VALU_DEP_1)
	v_add_f32_e32 v15, v17, v13
	v_mul_f32_e32 v98, v15, v15
	s_delay_alu instid0(VALU_DEP_1) | instskip(SKIP_1) | instid1(VALU_DEP_2)
	v_fmaak_f32 v99, s84, v98, 0x3ecc95a3
	v_mul_f32_e32 v100, v15, v98
	v_fmaak_f32 v98, v98, v99, 0x3f2aaada
	v_ldexp_f32 v99, v15, 1
	s_delay_alu instid0(VALU_DEP_2) | instskip(NEXT) | instid1(VALU_DEP_1)
	v_dual_sub_f32 v15, v15, v17 :: v_dual_mul_f32 v98, v100, v98
	v_dual_mul_f32 v100, 0x3f317218, v12 :: v_dual_sub_f32 v13, v13, v15
	s_delay_alu instid0(VALU_DEP_2) | instskip(NEXT) | instid1(VALU_DEP_2)
	v_add_f32_e32 v17, v99, v98
	v_ldexp_f32 v13, v13, 1
	s_delay_alu instid0(VALU_DEP_2) | instskip(NEXT) | instid1(VALU_DEP_4)
	v_sub_f32_e32 v15, v17, v99
	v_fma_f32 v99, 0x3f317218, v12, -v100
	s_delay_alu instid0(VALU_DEP_2) | instskip(NEXT) | instid1(VALU_DEP_1)
	v_sub_f32_e32 v15, v98, v15
	v_dual_fmac_f32 v99, 0xb102e308, v12 :: v_dual_add_f32 v12, v13, v15
	s_delay_alu instid0(VALU_DEP_1) | instskip(NEXT) | instid1(VALU_DEP_2)
	v_add_f32_e32 v13, v100, v99
	v_add_f32_e32 v15, v17, v12
	s_delay_alu instid0(VALU_DEP_2) | instskip(NEXT) | instid1(VALU_DEP_2)
	v_sub_f32_e32 v100, v13, v100
	v_dual_add_f32 v98, v13, v15 :: v_dual_sub_f32 v17, v15, v17
	s_delay_alu instid0(VALU_DEP_2) | instskip(NEXT) | instid1(VALU_DEP_2)
	v_sub_f32_e32 v99, v99, v100
	v_sub_f32_e32 v101, v98, v13
	s_delay_alu instid0(VALU_DEP_3) | instskip(NEXT) | instid1(VALU_DEP_2)
	v_sub_f32_e32 v12, v12, v17
	v_sub_f32_e32 v102, v98, v101
	;; [unrolled: 1-line block ×3, first 2 shown]
	s_delay_alu instid0(VALU_DEP_3) | instskip(NEXT) | instid1(VALU_DEP_3)
	v_add_f32_e32 v17, v99, v12
	v_sub_f32_e32 v13, v13, v102
	s_delay_alu instid0(VALU_DEP_1) | instskip(NEXT) | instid1(VALU_DEP_3)
	v_add_f32_e32 v13, v15, v13
	v_sub_f32_e32 v15, v17, v99
	s_delay_alu instid0(VALU_DEP_2) | instskip(NEXT) | instid1(VALU_DEP_2)
	v_add_f32_e32 v13, v17, v13
	v_sub_f32_e32 v17, v17, v15
	v_sub_f32_e32 v12, v12, v15
	s_delay_alu instid0(VALU_DEP_3) | instskip(NEXT) | instid1(VALU_DEP_3)
	v_add_f32_e32 v100, v98, v13
	v_sub_f32_e32 v17, v99, v17
	s_delay_alu instid0(VALU_DEP_2) | instskip(NEXT) | instid1(VALU_DEP_1)
	v_sub_f32_e32 v15, v100, v98
	v_dual_add_f32 v12, v12, v17 :: v_dual_sub_f32 v13, v13, v15
	s_delay_alu instid0(VALU_DEP_1) | instskip(NEXT) | instid1(VALU_DEP_1)
	v_add_f32_e32 v12, v12, v13
	v_add_f32_e32 v12, v100, v12
	s_delay_alu instid0(VALU_DEP_1)
	v_cndmask_b32_e32 v98, v12, v14, vcc_lo
.LBB58_92:                              ;   in Loop: Header=BB58_12 Depth=1
	s_or_b32 exec_lo, exec_lo, s30
	v_and_b32_e32 v8, 0xffff0000, v8
	s_delay_alu instid0(VALU_DEP_1) | instskip(NEXT) | instid1(VALU_DEP_1)
	v_add_f32_e32 v99, s67, v8
	v_cmp_ge_f32_e32 vcc_lo, 0x41a00000, v99
	s_and_b32 s29, s80, vcc_lo
	s_delay_alu instid0(SALU_CYCLE_1)
	s_and_saveexec_b32 s30, s29
	s_cbranch_execz .LBB58_94
; %bb.93:                               ;   in Loop: Header=BB58_12 Depth=1
	v_mul_f32_e32 v8, 0x3fb8aa3b, v99
	v_cmp_ngt_f32_e32 vcc_lo, 0xc2ce8ed0, v99
	s_delay_alu instid0(VALU_DEP_2) | instskip(SKIP_1) | instid1(VALU_DEP_1)
	v_rndne_f32_e32 v12, v8
	v_fma_f32 v13, 0x3fb8aa3b, v99, -v8
	v_dual_sub_f32 v8, v8, v12 :: v_dual_fmac_f32 v13, 0x32a5705f, v99
	v_cvt_i32_f32_e32 v12, v12
	s_delay_alu instid0(VALU_DEP_2) | instskip(NEXT) | instid1(VALU_DEP_1)
	v_add_f32_e32 v8, v8, v13
	v_exp_f32_e32 v8, v8
	s_waitcnt_depctr 0xfff
	v_ldexp_f32 v8, v8, v12
	s_delay_alu instid0(VALU_DEP_1) | instskip(SKIP_1) | instid1(VALU_DEP_2)
	v_cndmask_b32_e32 v8, 0, v8, vcc_lo
	v_cmp_nlt_f32_e32 vcc_lo, 0x42b17218, v99
	v_cndmask_b32_e32 v8, 0x7f800000, v8, vcc_lo
	s_delay_alu instid0(VALU_DEP_1) | instskip(NEXT) | instid1(VALU_DEP_1)
	v_add_f32_e32 v14, 1.0, v8
	v_cvt_f64_f32_e32 v[12:13], v14
	s_delay_alu instid0(VALU_DEP_1) | instskip(SKIP_1) | instid1(VALU_DEP_1)
	v_frexp_exp_i32_f64_e32 v12, v[12:13]
	v_frexp_mant_f32_e32 v13, v14
	v_cmp_gt_f32_e32 vcc_lo, 0x3f2aaaab, v13
	v_add_f32_e32 v13, -1.0, v14
	s_delay_alu instid0(VALU_DEP_1) | instskip(NEXT) | instid1(VALU_DEP_1)
	v_sub_f32_e32 v17, v13, v14
	v_add_f32_e32 v17, 1.0, v17
	v_subrev_co_ci_u32_e32 v12, vcc_lo, 0, v12, vcc_lo
	s_delay_alu instid0(VALU_DEP_1) | instskip(SKIP_1) | instid1(VALU_DEP_2)
	v_sub_nc_u32_e32 v15, 0, v12
	v_cvt_f32_i32_e32 v12, v12
	v_ldexp_f32 v14, v14, v15
	s_delay_alu instid0(VALU_DEP_1) | instskip(SKIP_3) | instid1(VALU_DEP_3)
	v_add_f32_e32 v99, 1.0, v14
	v_sub_f32_e32 v13, v8, v13
	v_cmp_eq_f32_e32 vcc_lo, 0x7f800000, v8
	v_cmp_gt_f32_e64 s29, 0x33800000, v8
	v_add_f32_e32 v13, v13, v17
	s_delay_alu instid0(VALU_DEP_2) | instskip(NEXT) | instid1(VALU_DEP_1)
	s_or_b32 vcc_lo, s29, vcc_lo
	v_ldexp_f32 v13, v13, v15
	v_add_f32_e32 v15, -1.0, v14
	s_delay_alu instid0(VALU_DEP_1) | instskip(SKIP_1) | instid1(VALU_DEP_1)
	v_add_f32_e32 v100, 1.0, v15
	v_add_f32_e32 v17, -1.0, v99
	v_sub_f32_e32 v17, v14, v17
	s_delay_alu instid0(VALU_DEP_1) | instskip(NEXT) | instid1(VALU_DEP_1)
	v_dual_sub_f32 v14, v14, v100 :: v_dual_add_f32 v17, v13, v17
	v_add_f32_e32 v100, v99, v17
	s_delay_alu instid0(VALU_DEP_1) | instskip(NEXT) | instid1(VALU_DEP_1)
	v_sub_f32_e32 v99, v99, v100
	v_add_f32_e32 v17, v17, v99
	s_delay_alu instid0(VALU_DEP_4) | instskip(SKIP_1) | instid1(VALU_DEP_1)
	v_add_f32_e32 v13, v13, v14
	v_rcp_f32_e32 v14, v100
	v_add_f32_e32 v101, v15, v13
	s_waitcnt_depctr 0xfff
	v_dual_sub_f32 v15, v15, v101 :: v_dual_mul_f32 v102, v101, v14
	s_delay_alu instid0(VALU_DEP_1) | instskip(NEXT) | instid1(VALU_DEP_2)
	v_add_f32_e32 v13, v13, v15
	v_mul_f32_e32 v103, v100, v102
	s_delay_alu instid0(VALU_DEP_1) | instskip(NEXT) | instid1(VALU_DEP_1)
	v_fma_f32 v99, v102, v100, -v103
	v_fmac_f32_e32 v99, v102, v17
	s_delay_alu instid0(VALU_DEP_1) | instskip(NEXT) | instid1(VALU_DEP_1)
	v_add_f32_e32 v104, v103, v99
	v_sub_f32_e32 v105, v101, v104
	v_sub_f32_e32 v15, v104, v103
	s_delay_alu instid0(VALU_DEP_2) | instskip(NEXT) | instid1(VALU_DEP_2)
	v_sub_f32_e32 v101, v101, v105
	v_sub_f32_e32 v15, v15, v99
	s_delay_alu instid0(VALU_DEP_2) | instskip(NEXT) | instid1(VALU_DEP_1)
	v_sub_f32_e32 v101, v101, v104
	v_add_f32_e32 v13, v13, v101
	s_delay_alu instid0(VALU_DEP_1) | instskip(NEXT) | instid1(VALU_DEP_1)
	v_add_f32_e32 v13, v15, v13
	v_add_f32_e32 v15, v105, v13
	s_delay_alu instid0(VALU_DEP_1) | instskip(SKIP_1) | instid1(VALU_DEP_2)
	v_mul_f32_e32 v99, v14, v15
	v_sub_f32_e32 v104, v105, v15
	v_mul_f32_e32 v101, v100, v99
	s_delay_alu instid0(VALU_DEP_2) | instskip(NEXT) | instid1(VALU_DEP_2)
	v_add_f32_e32 v13, v13, v104
	v_fma_f32 v100, v99, v100, -v101
	s_delay_alu instid0(VALU_DEP_1) | instskip(NEXT) | instid1(VALU_DEP_1)
	v_fmac_f32_e32 v100, v99, v17
	v_add_f32_e32 v17, v101, v100
	s_delay_alu instid0(VALU_DEP_1) | instskip(SKIP_1) | instid1(VALU_DEP_2)
	v_sub_f32_e32 v103, v15, v17
	v_sub_f32_e32 v101, v17, v101
	;; [unrolled: 1-line block ×3, first 2 shown]
	s_delay_alu instid0(VALU_DEP_1) | instskip(NEXT) | instid1(VALU_DEP_3)
	v_sub_f32_e32 v15, v15, v17
	v_sub_f32_e32 v17, v101, v100
	s_delay_alu instid0(VALU_DEP_2) | instskip(SKIP_1) | instid1(VALU_DEP_2)
	v_add_f32_e32 v13, v13, v15
	v_add_f32_e32 v15, v102, v99
	;; [unrolled: 1-line block ×3, first 2 shown]
	s_delay_alu instid0(VALU_DEP_2) | instskip(NEXT) | instid1(VALU_DEP_2)
	v_sub_f32_e32 v17, v15, v102
	v_add_f32_e32 v13, v103, v13
	s_delay_alu instid0(VALU_DEP_2) | instskip(NEXT) | instid1(VALU_DEP_2)
	v_sub_f32_e32 v17, v99, v17
	v_mul_f32_e32 v13, v14, v13
	s_delay_alu instid0(VALU_DEP_1) | instskip(NEXT) | instid1(VALU_DEP_1)
	v_add_f32_e32 v13, v17, v13
	v_add_f32_e32 v14, v15, v13
	s_delay_alu instid0(VALU_DEP_1) | instskip(NEXT) | instid1(VALU_DEP_1)
	v_mul_f32_e32 v17, v14, v14
	v_fmaak_f32 v99, s84, v17, 0x3ecc95a3
	s_delay_alu instid0(VALU_DEP_1) | instskip(SKIP_1) | instid1(VALU_DEP_2)
	v_dual_mul_f32 v100, v14, v17 :: v_dual_fmaak_f32 v17, v17, v99, 0x3f2aaada
	v_ldexp_f32 v99, v14, 1
	v_dual_sub_f32 v14, v14, v15 :: v_dual_mul_f32 v17, v100, v17
	s_delay_alu instid0(VALU_DEP_1) | instskip(NEXT) | instid1(VALU_DEP_2)
	v_dual_mul_f32 v100, 0x3f317218, v12 :: v_dual_sub_f32 v13, v13, v14
	v_add_f32_e32 v15, v99, v17
	s_delay_alu instid0(VALU_DEP_2) | instskip(NEXT) | instid1(VALU_DEP_2)
	v_ldexp_f32 v13, v13, 1
	v_sub_f32_e32 v14, v15, v99
	s_delay_alu instid0(VALU_DEP_4) | instskip(NEXT) | instid1(VALU_DEP_1)
	v_fma_f32 v99, 0x3f317218, v12, -v100
	v_dual_sub_f32 v14, v17, v14 :: v_dual_fmac_f32 v99, 0xb102e308, v12
	s_delay_alu instid0(VALU_DEP_1) | instskip(NEXT) | instid1(VALU_DEP_1)
	v_dual_add_f32 v12, v13, v14 :: v_dual_add_f32 v13, v100, v99
	v_add_f32_e32 v14, v15, v12
	s_delay_alu instid0(VALU_DEP_2) | instskip(NEXT) | instid1(VALU_DEP_2)
	v_sub_f32_e32 v100, v13, v100
	v_add_f32_e32 v17, v13, v14
	v_sub_f32_e32 v15, v14, v15
	s_delay_alu instid0(VALU_DEP_3) | instskip(NEXT) | instid1(VALU_DEP_2)
	v_sub_f32_e32 v99, v99, v100
	v_dual_sub_f32 v101, v17, v13 :: v_dual_sub_f32 v12, v12, v15
	s_delay_alu instid0(VALU_DEP_1) | instskip(NEXT) | instid1(VALU_DEP_2)
	v_sub_f32_e32 v102, v17, v101
	v_dual_sub_f32 v14, v14, v101 :: v_dual_add_f32 v15, v99, v12
	s_delay_alu instid0(VALU_DEP_2) | instskip(NEXT) | instid1(VALU_DEP_1)
	v_sub_f32_e32 v13, v13, v102
	v_dual_add_f32 v13, v14, v13 :: v_dual_sub_f32 v14, v15, v99
	s_delay_alu instid0(VALU_DEP_1) | instskip(NEXT) | instid1(VALU_DEP_2)
	v_add_f32_e32 v13, v15, v13
	v_sub_f32_e32 v15, v15, v14
	v_sub_f32_e32 v12, v12, v14
	s_delay_alu instid0(VALU_DEP_2) | instskip(NEXT) | instid1(VALU_DEP_1)
	v_dual_add_f32 v100, v17, v13 :: v_dual_sub_f32 v15, v99, v15
	v_sub_f32_e32 v14, v100, v17
	s_delay_alu instid0(VALU_DEP_1) | instskip(NEXT) | instid1(VALU_DEP_1)
	v_dual_add_f32 v12, v12, v15 :: v_dual_sub_f32 v13, v13, v14
	v_add_f32_e32 v12, v12, v13
	s_delay_alu instid0(VALU_DEP_1) | instskip(NEXT) | instid1(VALU_DEP_1)
	v_add_f32_e32 v12, v100, v12
	v_cndmask_b32_e32 v99, v12, v8, vcc_lo
.LBB58_94:                              ;   in Loop: Header=BB58_12 Depth=1
	s_or_b32 exec_lo, exec_lo, s30
	v_lshlrev_b32_e32 v8, 16, v9
	s_delay_alu instid0(VALU_DEP_1) | instskip(NEXT) | instid1(VALU_DEP_1)
	v_add_f32_e32 v100, s67, v8
	v_cmp_ge_f32_e32 vcc_lo, 0x41a00000, v100
	s_and_b32 s29, s80, vcc_lo
	s_delay_alu instid0(SALU_CYCLE_1)
	s_and_saveexec_b32 s30, s29
	s_cbranch_execz .LBB58_96
; %bb.95:                               ;   in Loop: Header=BB58_12 Depth=1
	v_mul_f32_e32 v8, 0x3fb8aa3b, v100
	v_cmp_ngt_f32_e32 vcc_lo, 0xc2ce8ed0, v100
	s_delay_alu instid0(VALU_DEP_2) | instskip(SKIP_1) | instid1(VALU_DEP_2)
	v_rndne_f32_e32 v12, v8
	v_fma_f32 v13, 0x3fb8aa3b, v100, -v8
	v_sub_f32_e32 v8, v8, v12
	s_delay_alu instid0(VALU_DEP_2) | instskip(SKIP_1) | instid1(VALU_DEP_2)
	v_fmac_f32_e32 v13, 0x32a5705f, v100
	v_cvt_i32_f32_e32 v12, v12
	v_add_f32_e32 v8, v8, v13
	s_delay_alu instid0(VALU_DEP_1) | instskip(SKIP_2) | instid1(VALU_DEP_1)
	v_exp_f32_e32 v8, v8
	s_waitcnt_depctr 0xfff
	v_ldexp_f32 v8, v8, v12
	v_cndmask_b32_e32 v8, 0, v8, vcc_lo
	v_cmp_nlt_f32_e32 vcc_lo, 0x42b17218, v100
	s_delay_alu instid0(VALU_DEP_2) | instskip(NEXT) | instid1(VALU_DEP_1)
	v_cndmask_b32_e32 v8, 0x7f800000, v8, vcc_lo
	v_add_f32_e32 v14, 1.0, v8
	s_delay_alu instid0(VALU_DEP_1) | instskip(NEXT) | instid1(VALU_DEP_1)
	v_cvt_f64_f32_e32 v[12:13], v14
	v_frexp_exp_i32_f64_e32 v12, v[12:13]
	v_frexp_mant_f32_e32 v13, v14
	s_delay_alu instid0(VALU_DEP_1) | instskip(SKIP_1) | instid1(VALU_DEP_1)
	v_cmp_gt_f32_e32 vcc_lo, 0x3f2aaaab, v13
	v_add_f32_e32 v13, -1.0, v14
	v_sub_f32_e32 v17, v13, v14
	v_sub_f32_e32 v13, v8, v13
	s_delay_alu instid0(VALU_DEP_2) | instskip(NEXT) | instid1(VALU_DEP_1)
	v_add_f32_e32 v17, 1.0, v17
	v_add_f32_e32 v13, v13, v17
	v_cmp_gt_f32_e64 s29, 0x33800000, v8
	v_subrev_co_ci_u32_e32 v12, vcc_lo, 0, v12, vcc_lo
	v_cmp_eq_f32_e32 vcc_lo, 0x7f800000, v8
	s_delay_alu instid0(VALU_DEP_2) | instskip(SKIP_2) | instid1(VALU_DEP_2)
	v_sub_nc_u32_e32 v15, 0, v12
	v_cvt_f32_i32_e32 v12, v12
	s_or_b32 vcc_lo, s29, vcc_lo
	v_ldexp_f32 v14, v14, v15
	v_ldexp_f32 v13, v13, v15
	s_delay_alu instid0(VALU_DEP_2) | instskip(SKIP_1) | instid1(VALU_DEP_2)
	v_add_f32_e32 v100, 1.0, v14
	v_add_f32_e32 v15, -1.0, v14
	v_add_f32_e32 v17, -1.0, v100
	s_delay_alu instid0(VALU_DEP_2) | instskip(NEXT) | instid1(VALU_DEP_2)
	v_add_f32_e32 v101, 1.0, v15
	v_sub_f32_e32 v17, v14, v17
	s_delay_alu instid0(VALU_DEP_2) | instskip(NEXT) | instid1(VALU_DEP_2)
	v_sub_f32_e32 v14, v14, v101
	v_add_f32_e32 v17, v13, v17
	s_delay_alu instid0(VALU_DEP_1) | instskip(NEXT) | instid1(VALU_DEP_1)
	v_add_f32_e32 v101, v100, v17
	v_dual_add_f32 v13, v13, v14 :: v_dual_sub_f32 v100, v100, v101
	v_rcp_f32_e32 v14, v101
	s_delay_alu instid0(VALU_DEP_1) | instskip(NEXT) | instid1(VALU_DEP_1)
	v_dual_add_f32 v102, v15, v13 :: v_dual_add_f32 v17, v17, v100
	v_sub_f32_e32 v15, v15, v102
	s_waitcnt_depctr 0xfff
	v_mul_f32_e32 v103, v102, v14
	v_add_f32_e32 v13, v13, v15
	s_delay_alu instid0(VALU_DEP_2) | instskip(NEXT) | instid1(VALU_DEP_1)
	v_mul_f32_e32 v104, v101, v103
	v_fma_f32 v100, v103, v101, -v104
	s_delay_alu instid0(VALU_DEP_1) | instskip(NEXT) | instid1(VALU_DEP_1)
	v_fmac_f32_e32 v100, v103, v17
	v_add_f32_e32 v105, v104, v100
	s_delay_alu instid0(VALU_DEP_1) | instskip(NEXT) | instid1(VALU_DEP_1)
	v_dual_sub_f32 v106, v102, v105 :: v_dual_sub_f32 v15, v105, v104
	v_dual_sub_f32 v102, v102, v106 :: v_dual_sub_f32 v15, v15, v100
	s_delay_alu instid0(VALU_DEP_1) | instskip(NEXT) | instid1(VALU_DEP_1)
	v_sub_f32_e32 v102, v102, v105
	v_add_f32_e32 v13, v13, v102
	s_delay_alu instid0(VALU_DEP_1) | instskip(NEXT) | instid1(VALU_DEP_1)
	v_add_f32_e32 v13, v15, v13
	v_add_f32_e32 v15, v106, v13
	s_delay_alu instid0(VALU_DEP_1) | instskip(NEXT) | instid1(VALU_DEP_1)
	v_mul_f32_e32 v100, v14, v15
	v_dual_sub_f32 v105, v106, v15 :: v_dual_mul_f32 v102, v101, v100
	s_delay_alu instid0(VALU_DEP_1) | instskip(NEXT) | instid1(VALU_DEP_2)
	v_add_f32_e32 v13, v13, v105
	v_fma_f32 v101, v100, v101, -v102
	s_delay_alu instid0(VALU_DEP_1) | instskip(NEXT) | instid1(VALU_DEP_1)
	v_fmac_f32_e32 v101, v100, v17
	v_add_f32_e32 v17, v102, v101
	s_delay_alu instid0(VALU_DEP_1) | instskip(NEXT) | instid1(VALU_DEP_1)
	v_sub_f32_e32 v104, v15, v17
	v_dual_sub_f32 v102, v17, v102 :: v_dual_sub_f32 v15, v15, v104
	s_delay_alu instid0(VALU_DEP_1) | instskip(NEXT) | instid1(VALU_DEP_2)
	v_sub_f32_e32 v15, v15, v17
	v_sub_f32_e32 v17, v102, v101
	s_delay_alu instid0(VALU_DEP_2) | instskip(SKIP_1) | instid1(VALU_DEP_2)
	v_add_f32_e32 v13, v13, v15
	v_add_f32_e32 v15, v103, v100
	;; [unrolled: 1-line block ×3, first 2 shown]
	s_delay_alu instid0(VALU_DEP_2) | instskip(NEXT) | instid1(VALU_DEP_2)
	v_sub_f32_e32 v17, v15, v103
	v_add_f32_e32 v13, v104, v13
	s_delay_alu instid0(VALU_DEP_2) | instskip(NEXT) | instid1(VALU_DEP_2)
	v_sub_f32_e32 v17, v100, v17
	v_mul_f32_e32 v13, v14, v13
	s_delay_alu instid0(VALU_DEP_1) | instskip(NEXT) | instid1(VALU_DEP_1)
	v_add_f32_e32 v13, v17, v13
	v_add_f32_e32 v14, v15, v13
	s_delay_alu instid0(VALU_DEP_1) | instskip(NEXT) | instid1(VALU_DEP_1)
	v_mul_f32_e32 v17, v14, v14
	v_fmaak_f32 v100, s84, v17, 0x3ecc95a3
	v_mul_f32_e32 v101, v14, v17
	s_delay_alu instid0(VALU_DEP_2) | instskip(SKIP_1) | instid1(VALU_DEP_2)
	v_fmaak_f32 v17, v17, v100, 0x3f2aaada
	v_ldexp_f32 v100, v14, 1
	v_dual_sub_f32 v14, v14, v15 :: v_dual_mul_f32 v17, v101, v17
	v_mul_f32_e32 v101, 0x3f317218, v12
	s_delay_alu instid0(VALU_DEP_2) | instskip(NEXT) | instid1(VALU_DEP_3)
	v_sub_f32_e32 v13, v13, v14
	v_add_f32_e32 v15, v100, v17
	s_delay_alu instid0(VALU_DEP_2) | instskip(NEXT) | instid1(VALU_DEP_2)
	v_ldexp_f32 v13, v13, 1
	v_sub_f32_e32 v14, v15, v100
	v_fma_f32 v100, 0x3f317218, v12, -v101
	s_delay_alu instid0(VALU_DEP_2) | instskip(NEXT) | instid1(VALU_DEP_2)
	v_sub_f32_e32 v14, v17, v14
	v_fmac_f32_e32 v100, 0xb102e308, v12
	s_delay_alu instid0(VALU_DEP_2) | instskip(NEXT) | instid1(VALU_DEP_2)
	v_add_f32_e32 v12, v13, v14
	v_add_f32_e32 v13, v101, v100
	s_delay_alu instid0(VALU_DEP_1) | instskip(NEXT) | instid1(VALU_DEP_1)
	v_dual_add_f32 v14, v15, v12 :: v_dual_sub_f32 v101, v13, v101
	v_add_f32_e32 v17, v13, v14
	s_delay_alu instid0(VALU_DEP_2) | instskip(NEXT) | instid1(VALU_DEP_2)
	v_dual_sub_f32 v15, v14, v15 :: v_dual_sub_f32 v100, v100, v101
	v_sub_f32_e32 v102, v17, v13
	s_delay_alu instid0(VALU_DEP_1) | instskip(NEXT) | instid1(VALU_DEP_1)
	v_dual_sub_f32 v12, v12, v15 :: v_dual_sub_f32 v103, v17, v102
	v_dual_sub_f32 v14, v14, v102 :: v_dual_add_f32 v15, v100, v12
	s_delay_alu instid0(VALU_DEP_2) | instskip(NEXT) | instid1(VALU_DEP_1)
	v_sub_f32_e32 v13, v13, v103
	v_dual_add_f32 v13, v14, v13 :: v_dual_sub_f32 v14, v15, v100
	s_delay_alu instid0(VALU_DEP_1) | instskip(NEXT) | instid1(VALU_DEP_2)
	v_add_f32_e32 v13, v15, v13
	v_sub_f32_e32 v15, v15, v14
	s_delay_alu instid0(VALU_DEP_2) | instskip(NEXT) | instid1(VALU_DEP_1)
	v_dual_sub_f32 v12, v12, v14 :: v_dual_add_f32 v101, v17, v13
	v_dual_sub_f32 v15, v100, v15 :: v_dual_sub_f32 v14, v101, v17
	s_delay_alu instid0(VALU_DEP_1) | instskip(NEXT) | instid1(VALU_DEP_1)
	v_dual_add_f32 v12, v12, v15 :: v_dual_sub_f32 v13, v13, v14
	v_add_f32_e32 v12, v12, v13
	s_delay_alu instid0(VALU_DEP_1) | instskip(NEXT) | instid1(VALU_DEP_1)
	v_add_f32_e32 v12, v101, v12
	v_cndmask_b32_e32 v100, v12, v8, vcc_lo
.LBB58_96:                              ;   in Loop: Header=BB58_12 Depth=1
	s_or_b32 exec_lo, exec_lo, s30
	v_and_b32_e32 v8, 0xffff0000, v9
	s_delay_alu instid0(VALU_DEP_1) | instskip(NEXT) | instid1(VALU_DEP_1)
	v_add_f32_e32 v101, s67, v8
	v_cmp_ge_f32_e32 vcc_lo, 0x41a00000, v101
	s_and_b32 s29, s80, vcc_lo
	s_delay_alu instid0(SALU_CYCLE_1)
	s_and_saveexec_b32 s30, s29
	s_cbranch_execz .LBB58_98
; %bb.97:                               ;   in Loop: Header=BB58_12 Depth=1
	v_mul_f32_e32 v8, 0x3fb8aa3b, v101
	v_cmp_ngt_f32_e32 vcc_lo, 0xc2ce8ed0, v101
	s_delay_alu instid0(VALU_DEP_2) | instskip(SKIP_1) | instid1(VALU_DEP_2)
	v_rndne_f32_e32 v9, v8
	v_fma_f32 v12, 0x3fb8aa3b, v101, -v8
	v_sub_f32_e32 v8, v8, v9
	s_delay_alu instid0(VALU_DEP_2) | instskip(SKIP_1) | instid1(VALU_DEP_2)
	v_fmac_f32_e32 v12, 0x32a5705f, v101
	v_cvt_i32_f32_e32 v9, v9
	v_add_f32_e32 v8, v8, v12
	s_delay_alu instid0(VALU_DEP_1) | instskip(SKIP_2) | instid1(VALU_DEP_1)
	v_exp_f32_e32 v8, v8
	s_waitcnt_depctr 0xfff
	v_ldexp_f32 v8, v8, v9
	v_cndmask_b32_e32 v8, 0, v8, vcc_lo
	v_cmp_nlt_f32_e32 vcc_lo, 0x42b17218, v101
	s_delay_alu instid0(VALU_DEP_2) | instskip(NEXT) | instid1(VALU_DEP_1)
	v_cndmask_b32_e32 v12, 0x7f800000, v8, vcc_lo
	v_add_f32_e32 v13, 1.0, v12
	s_delay_alu instid0(VALU_DEP_1) | instskip(NEXT) | instid1(VALU_DEP_1)
	v_cvt_f64_f32_e32 v[8:9], v13
	v_frexp_exp_i32_f64_e32 v8, v[8:9]
	v_frexp_mant_f32_e32 v9, v13
	s_delay_alu instid0(VALU_DEP_1) | instskip(SKIP_1) | instid1(VALU_DEP_1)
	v_cmp_gt_f32_e32 vcc_lo, 0x3f2aaaab, v9
	v_add_f32_e32 v9, -1.0, v13
	v_sub_f32_e32 v15, v9, v13
	s_delay_alu instid0(VALU_DEP_1) | instskip(SKIP_1) | instid1(VALU_DEP_1)
	v_add_f32_e32 v15, 1.0, v15
	v_subrev_co_ci_u32_e32 v8, vcc_lo, 0, v8, vcc_lo
	v_sub_nc_u32_e32 v14, 0, v8
	v_cvt_f32_i32_e32 v8, v8
	s_delay_alu instid0(VALU_DEP_2) | instskip(NEXT) | instid1(VALU_DEP_1)
	v_ldexp_f32 v13, v13, v14
	v_add_f32_e32 v17, 1.0, v13
	v_sub_f32_e32 v9, v12, v9
	v_cmp_eq_f32_e32 vcc_lo, 0x7f800000, v12
	v_cmp_gt_f32_e64 s29, 0x33800000, v12
	s_delay_alu instid0(VALU_DEP_3) | instskip(NEXT) | instid1(VALU_DEP_2)
	v_add_f32_e32 v9, v9, v15
	s_or_b32 vcc_lo, s29, vcc_lo
	s_delay_alu instid0(VALU_DEP_1) | instskip(SKIP_2) | instid1(VALU_DEP_1)
	v_ldexp_f32 v9, v9, v14
	v_add_f32_e32 v14, -1.0, v13
	v_add_f32_e32 v15, -1.0, v17
	v_sub_f32_e32 v15, v13, v15
	s_delay_alu instid0(VALU_DEP_3) | instskip(NEXT) | instid1(VALU_DEP_2)
	v_add_f32_e32 v101, 1.0, v14
	v_add_f32_e32 v15, v9, v15
	s_delay_alu instid0(VALU_DEP_2) | instskip(NEXT) | instid1(VALU_DEP_2)
	v_sub_f32_e32 v13, v13, v101
	v_add_f32_e32 v101, v17, v15
	s_delay_alu instid0(VALU_DEP_2) | instskip(NEXT) | instid1(VALU_DEP_2)
	v_add_f32_e32 v9, v9, v13
	v_rcp_f32_e32 v13, v101
	s_delay_alu instid0(VALU_DEP_1) | instskip(NEXT) | instid1(VALU_DEP_1)
	v_add_f32_e32 v102, v14, v9
	v_dual_sub_f32 v17, v17, v101 :: v_dual_sub_f32 v14, v14, v102
	s_delay_alu instid0(VALU_DEP_1) | instskip(SKIP_2) | instid1(VALU_DEP_1)
	v_add_f32_e32 v15, v15, v17
	s_waitcnt_depctr 0xfff
	v_mul_f32_e32 v103, v102, v13
	v_mul_f32_e32 v104, v101, v103
	s_delay_alu instid0(VALU_DEP_1) | instskip(NEXT) | instid1(VALU_DEP_1)
	v_fma_f32 v17, v103, v101, -v104
	v_fmac_f32_e32 v17, v103, v15
	v_add_f32_e32 v9, v9, v14
	s_delay_alu instid0(VALU_DEP_2) | instskip(NEXT) | instid1(VALU_DEP_1)
	v_add_f32_e32 v105, v104, v17
	v_sub_f32_e32 v106, v102, v105
	v_sub_f32_e32 v14, v105, v104
	s_delay_alu instid0(VALU_DEP_2) | instskip(NEXT) | instid1(VALU_DEP_2)
	v_sub_f32_e32 v102, v102, v106
	v_sub_f32_e32 v14, v14, v17
	s_delay_alu instid0(VALU_DEP_2) | instskip(NEXT) | instid1(VALU_DEP_1)
	v_sub_f32_e32 v102, v102, v105
	v_add_f32_e32 v9, v9, v102
	s_delay_alu instid0(VALU_DEP_1) | instskip(NEXT) | instid1(VALU_DEP_1)
	v_add_f32_e32 v9, v14, v9
	v_add_f32_e32 v14, v106, v9
	s_delay_alu instid0(VALU_DEP_1) | instskip(NEXT) | instid1(VALU_DEP_1)
	v_mul_f32_e32 v17, v13, v14
	v_dual_sub_f32 v105, v106, v14 :: v_dual_mul_f32 v102, v101, v17
	s_delay_alu instid0(VALU_DEP_1) | instskip(NEXT) | instid1(VALU_DEP_2)
	v_add_f32_e32 v9, v9, v105
	v_fma_f32 v101, v17, v101, -v102
	s_delay_alu instid0(VALU_DEP_1) | instskip(NEXT) | instid1(VALU_DEP_1)
	v_fmac_f32_e32 v101, v17, v15
	v_add_f32_e32 v15, v102, v101
	s_delay_alu instid0(VALU_DEP_1) | instskip(SKIP_1) | instid1(VALU_DEP_2)
	v_sub_f32_e32 v104, v14, v15
	v_sub_f32_e32 v102, v15, v102
	;; [unrolled: 1-line block ×3, first 2 shown]
	s_delay_alu instid0(VALU_DEP_1) | instskip(NEXT) | instid1(VALU_DEP_1)
	v_sub_f32_e32 v14, v14, v15
	v_dual_add_f32 v9, v9, v14 :: v_dual_add_f32 v14, v103, v17
	s_delay_alu instid0(VALU_DEP_4) | instskip(NEXT) | instid1(VALU_DEP_1)
	v_sub_f32_e32 v15, v102, v101
	v_add_f32_e32 v9, v15, v9
	s_delay_alu instid0(VALU_DEP_3) | instskip(NEXT) | instid1(VALU_DEP_2)
	v_sub_f32_e32 v15, v14, v103
	v_add_f32_e32 v9, v104, v9
	s_delay_alu instid0(VALU_DEP_2) | instskip(NEXT) | instid1(VALU_DEP_2)
	v_sub_f32_e32 v15, v17, v15
	v_mul_f32_e32 v9, v13, v9
	s_delay_alu instid0(VALU_DEP_1) | instskip(NEXT) | instid1(VALU_DEP_1)
	v_add_f32_e32 v9, v15, v9
	v_add_f32_e32 v13, v14, v9
	s_delay_alu instid0(VALU_DEP_1) | instskip(NEXT) | instid1(VALU_DEP_1)
	v_mul_f32_e32 v15, v13, v13
	v_fmaak_f32 v17, s84, v15, 0x3ecc95a3
	v_mul_f32_e32 v101, v13, v15
	s_delay_alu instid0(VALU_DEP_2) | instskip(SKIP_2) | instid1(VALU_DEP_3)
	v_fmaak_f32 v15, v15, v17, 0x3f2aaada
	v_ldexp_f32 v17, v13, 1
	v_sub_f32_e32 v13, v13, v14
	v_mul_f32_e32 v15, v101, v15
	v_mul_f32_e32 v101, 0x3f317218, v8
	s_delay_alu instid0(VALU_DEP_3) | instskip(NEXT) | instid1(VALU_DEP_3)
	v_sub_f32_e32 v9, v9, v13
	v_add_f32_e32 v14, v17, v15
	s_delay_alu instid0(VALU_DEP_2) | instskip(NEXT) | instid1(VALU_DEP_2)
	v_ldexp_f32 v9, v9, 1
	v_sub_f32_e32 v13, v14, v17
	v_fma_f32 v17, 0x3f317218, v8, -v101
	s_delay_alu instid0(VALU_DEP_2) | instskip(NEXT) | instid1(VALU_DEP_1)
	v_sub_f32_e32 v13, v15, v13
	v_dual_fmac_f32 v17, 0xb102e308, v8 :: v_dual_add_f32 v8, v9, v13
	s_delay_alu instid0(VALU_DEP_1) | instskip(NEXT) | instid1(VALU_DEP_2)
	v_add_f32_e32 v9, v101, v17
	v_add_f32_e32 v13, v14, v8
	s_delay_alu instid0(VALU_DEP_2) | instskip(NEXT) | instid1(VALU_DEP_2)
	v_sub_f32_e32 v101, v9, v101
	v_add_f32_e32 v15, v9, v13
	v_sub_f32_e32 v14, v13, v14
	s_delay_alu instid0(VALU_DEP_3) | instskip(NEXT) | instid1(VALU_DEP_3)
	v_sub_f32_e32 v17, v17, v101
	v_sub_f32_e32 v102, v15, v9
	s_delay_alu instid0(VALU_DEP_3) | instskip(NEXT) | instid1(VALU_DEP_2)
	v_sub_f32_e32 v8, v8, v14
	v_sub_f32_e32 v103, v15, v102
	;; [unrolled: 1-line block ×3, first 2 shown]
	s_delay_alu instid0(VALU_DEP_3) | instskip(NEXT) | instid1(VALU_DEP_3)
	v_add_f32_e32 v14, v17, v8
	v_sub_f32_e32 v9, v9, v103
	s_delay_alu instid0(VALU_DEP_1) | instskip(NEXT) | instid1(VALU_DEP_3)
	v_add_f32_e32 v9, v13, v9
	v_sub_f32_e32 v13, v14, v17
	s_delay_alu instid0(VALU_DEP_2) | instskip(NEXT) | instid1(VALU_DEP_2)
	v_add_f32_e32 v9, v14, v9
	v_sub_f32_e32 v14, v14, v13
	v_sub_f32_e32 v8, v8, v13
	s_delay_alu instid0(VALU_DEP_2) | instskip(NEXT) | instid1(VALU_DEP_1)
	v_dual_add_f32 v101, v15, v9 :: v_dual_sub_f32 v14, v17, v14
	v_dual_sub_f32 v13, v101, v15 :: v_dual_add_f32 v8, v8, v14
	s_delay_alu instid0(VALU_DEP_1) | instskip(NEXT) | instid1(VALU_DEP_1)
	v_sub_f32_e32 v9, v9, v13
	v_add_f32_e32 v8, v8, v9
	s_delay_alu instid0(VALU_DEP_1) | instskip(NEXT) | instid1(VALU_DEP_1)
	v_add_f32_e32 v8, v101, v8
	v_cndmask_b32_e32 v101, v8, v12, vcc_lo
.LBB58_98:                              ;   in Loop: Header=BB58_12 Depth=1
	s_or_b32 exec_lo, exec_lo, s30
	v_lshlrev_b32_e32 v8, 16, v10
	s_delay_alu instid0(VALU_DEP_1) | instskip(NEXT) | instid1(VALU_DEP_1)
	v_add_f32_e32 v102, s67, v8
	v_cmp_ge_f32_e32 vcc_lo, 0x41a00000, v102
	s_and_b32 s29, s80, vcc_lo
	s_delay_alu instid0(SALU_CYCLE_1)
	s_and_saveexec_b32 s30, s29
	s_cbranch_execz .LBB58_100
; %bb.99:                               ;   in Loop: Header=BB58_12 Depth=1
	v_mul_f32_e32 v8, 0x3fb8aa3b, v102
	v_cmp_ngt_f32_e32 vcc_lo, 0xc2ce8ed0, v102
	s_delay_alu instid0(VALU_DEP_2) | instskip(SKIP_1) | instid1(VALU_DEP_2)
	v_rndne_f32_e32 v9, v8
	v_fma_f32 v12, 0x3fb8aa3b, v102, -v8
	v_sub_f32_e32 v8, v8, v9
	s_delay_alu instid0(VALU_DEP_2) | instskip(SKIP_1) | instid1(VALU_DEP_2)
	v_fmac_f32_e32 v12, 0x32a5705f, v102
	v_cvt_i32_f32_e32 v9, v9
	v_add_f32_e32 v8, v8, v12
	s_delay_alu instid0(VALU_DEP_1) | instskip(SKIP_2) | instid1(VALU_DEP_1)
	v_exp_f32_e32 v8, v8
	s_waitcnt_depctr 0xfff
	v_ldexp_f32 v8, v8, v9
	v_cndmask_b32_e32 v8, 0, v8, vcc_lo
	v_cmp_nlt_f32_e32 vcc_lo, 0x42b17218, v102
	s_delay_alu instid0(VALU_DEP_2) | instskip(NEXT) | instid1(VALU_DEP_1)
	v_cndmask_b32_e32 v12, 0x7f800000, v8, vcc_lo
	v_add_f32_e32 v13, 1.0, v12
	s_delay_alu instid0(VALU_DEP_1) | instskip(NEXT) | instid1(VALU_DEP_1)
	v_cvt_f64_f32_e32 v[8:9], v13
	v_frexp_exp_i32_f64_e32 v8, v[8:9]
	v_frexp_mant_f32_e32 v9, v13
	s_delay_alu instid0(VALU_DEP_1) | instskip(SKIP_1) | instid1(VALU_DEP_1)
	v_cmp_gt_f32_e32 vcc_lo, 0x3f2aaaab, v9
	v_add_f32_e32 v9, -1.0, v13
	v_sub_f32_e32 v15, v9, v13
	s_delay_alu instid0(VALU_DEP_1) | instskip(SKIP_1) | instid1(VALU_DEP_1)
	v_add_f32_e32 v15, 1.0, v15
	v_subrev_co_ci_u32_e32 v8, vcc_lo, 0, v8, vcc_lo
	v_sub_nc_u32_e32 v14, 0, v8
	v_cvt_f32_i32_e32 v8, v8
	s_delay_alu instid0(VALU_DEP_2) | instskip(NEXT) | instid1(VALU_DEP_1)
	v_ldexp_f32 v13, v13, v14
	v_add_f32_e32 v17, 1.0, v13
	v_sub_f32_e32 v9, v12, v9
	v_cmp_eq_f32_e32 vcc_lo, 0x7f800000, v12
	v_cmp_gt_f32_e64 s29, 0x33800000, v12
	s_delay_alu instid0(VALU_DEP_3) | instskip(NEXT) | instid1(VALU_DEP_2)
	v_add_f32_e32 v9, v9, v15
	s_or_b32 vcc_lo, s29, vcc_lo
	s_delay_alu instid0(VALU_DEP_1) | instskip(SKIP_1) | instid1(VALU_DEP_1)
	v_ldexp_f32 v9, v9, v14
	v_add_f32_e32 v14, -1.0, v13
	v_dual_add_f32 v15, -1.0, v17 :: v_dual_add_f32 v102, 1.0, v14
	s_delay_alu instid0(VALU_DEP_1) | instskip(NEXT) | instid1(VALU_DEP_2)
	v_sub_f32_e32 v15, v13, v15
	v_sub_f32_e32 v13, v13, v102
	s_delay_alu instid0(VALU_DEP_2) | instskip(NEXT) | instid1(VALU_DEP_2)
	v_add_f32_e32 v15, v9, v15
	v_add_f32_e32 v9, v9, v13
	s_delay_alu instid0(VALU_DEP_1) | instskip(NEXT) | instid1(VALU_DEP_1)
	v_dual_add_f32 v102, v17, v15 :: v_dual_add_f32 v103, v14, v9
	v_rcp_f32_e32 v13, v102
	s_delay_alu instid0(VALU_DEP_1) | instskip(NEXT) | instid1(VALU_DEP_1)
	v_dual_sub_f32 v17, v17, v102 :: v_dual_sub_f32 v14, v14, v103
	v_add_f32_e32 v15, v15, v17
	s_waitcnt_depctr 0xfff
	v_dual_add_f32 v9, v9, v14 :: v_dual_mul_f32 v104, v103, v13
	s_delay_alu instid0(VALU_DEP_1) | instskip(NEXT) | instid1(VALU_DEP_1)
	v_mul_f32_e32 v105, v102, v104
	v_fma_f32 v17, v104, v102, -v105
	s_delay_alu instid0(VALU_DEP_1) | instskip(NEXT) | instid1(VALU_DEP_1)
	v_fmac_f32_e32 v17, v104, v15
	v_add_f32_e32 v106, v105, v17
	s_delay_alu instid0(VALU_DEP_1) | instskip(NEXT) | instid1(VALU_DEP_1)
	v_sub_f32_e32 v107, v103, v106
	v_dual_sub_f32 v103, v103, v107 :: v_dual_sub_f32 v14, v106, v105
	s_delay_alu instid0(VALU_DEP_1) | instskip(NEXT) | instid1(VALU_DEP_1)
	v_dual_sub_f32 v103, v103, v106 :: v_dual_sub_f32 v14, v14, v17
	v_add_f32_e32 v9, v9, v103
	s_delay_alu instid0(VALU_DEP_1) | instskip(NEXT) | instid1(VALU_DEP_1)
	v_add_f32_e32 v9, v14, v9
	v_add_f32_e32 v14, v107, v9
	s_delay_alu instid0(VALU_DEP_1) | instskip(NEXT) | instid1(VALU_DEP_1)
	v_mul_f32_e32 v17, v13, v14
	v_dual_sub_f32 v106, v107, v14 :: v_dual_mul_f32 v103, v102, v17
	s_delay_alu instid0(VALU_DEP_1) | instskip(NEXT) | instid1(VALU_DEP_2)
	v_add_f32_e32 v9, v9, v106
	v_fma_f32 v102, v17, v102, -v103
	s_delay_alu instid0(VALU_DEP_1) | instskip(NEXT) | instid1(VALU_DEP_1)
	v_fmac_f32_e32 v102, v17, v15
	v_add_f32_e32 v15, v103, v102
	s_delay_alu instid0(VALU_DEP_1) | instskip(NEXT) | instid1(VALU_DEP_1)
	v_sub_f32_e32 v105, v14, v15
	v_dual_sub_f32 v103, v15, v103 :: v_dual_sub_f32 v14, v14, v105
	s_delay_alu instid0(VALU_DEP_1) | instskip(NEXT) | instid1(VALU_DEP_1)
	v_dual_sub_f32 v14, v14, v15 :: v_dual_sub_f32 v15, v103, v102
	v_dual_add_f32 v9, v9, v14 :: v_dual_add_f32 v14, v104, v17
	s_delay_alu instid0(VALU_DEP_1) | instskip(NEXT) | instid1(VALU_DEP_2)
	v_add_f32_e32 v9, v15, v9
	v_sub_f32_e32 v15, v14, v104
	s_delay_alu instid0(VALU_DEP_2) | instskip(NEXT) | instid1(VALU_DEP_2)
	v_add_f32_e32 v9, v105, v9
	v_sub_f32_e32 v15, v17, v15
	s_delay_alu instid0(VALU_DEP_2) | instskip(NEXT) | instid1(VALU_DEP_1)
	v_mul_f32_e32 v9, v13, v9
	v_add_f32_e32 v9, v15, v9
	s_delay_alu instid0(VALU_DEP_1) | instskip(NEXT) | instid1(VALU_DEP_1)
	v_add_f32_e32 v13, v14, v9
	v_mul_f32_e32 v15, v13, v13
	s_delay_alu instid0(VALU_DEP_1) | instskip(NEXT) | instid1(VALU_DEP_1)
	v_fmaak_f32 v17, s84, v15, 0x3ecc95a3
	v_dual_mul_f32 v102, v13, v15 :: v_dual_fmaak_f32 v15, v15, v17, 0x3f2aaada
	v_ldexp_f32 v17, v13, 1
	v_sub_f32_e32 v13, v13, v14
	s_delay_alu instid0(VALU_DEP_3) | instskip(NEXT) | instid1(VALU_DEP_2)
	v_dual_mul_f32 v15, v102, v15 :: v_dual_mul_f32 v102, 0x3f317218, v8
	v_sub_f32_e32 v9, v9, v13
	s_delay_alu instid0(VALU_DEP_2) | instskip(NEXT) | instid1(VALU_DEP_2)
	v_add_f32_e32 v14, v17, v15
	v_ldexp_f32 v9, v9, 1
	s_delay_alu instid0(VALU_DEP_2) | instskip(SKIP_1) | instid1(VALU_DEP_2)
	v_sub_f32_e32 v13, v14, v17
	v_fma_f32 v17, 0x3f317218, v8, -v102
	v_sub_f32_e32 v13, v15, v13
	s_delay_alu instid0(VALU_DEP_1) | instskip(NEXT) | instid1(VALU_DEP_1)
	v_dual_fmac_f32 v17, 0xb102e308, v8 :: v_dual_add_f32 v8, v9, v13
	v_add_f32_e32 v9, v102, v17
	s_delay_alu instid0(VALU_DEP_1) | instskip(NEXT) | instid1(VALU_DEP_1)
	v_dual_add_f32 v13, v14, v8 :: v_dual_sub_f32 v102, v9, v102
	v_add_f32_e32 v15, v9, v13
	v_sub_f32_e32 v14, v13, v14
	s_delay_alu instid0(VALU_DEP_3) | instskip(NEXT) | instid1(VALU_DEP_2)
	v_sub_f32_e32 v17, v17, v102
	v_dual_sub_f32 v103, v15, v9 :: v_dual_sub_f32 v8, v8, v14
	s_delay_alu instid0(VALU_DEP_1) | instskip(SKIP_1) | instid1(VALU_DEP_3)
	v_sub_f32_e32 v104, v15, v103
	v_sub_f32_e32 v13, v13, v103
	v_add_f32_e32 v14, v17, v8
	s_delay_alu instid0(VALU_DEP_3) | instskip(NEXT) | instid1(VALU_DEP_1)
	v_sub_f32_e32 v9, v9, v104
	v_add_f32_e32 v9, v13, v9
	s_delay_alu instid0(VALU_DEP_3) | instskip(NEXT) | instid1(VALU_DEP_2)
	v_sub_f32_e32 v13, v14, v17
	v_add_f32_e32 v9, v14, v9
	s_delay_alu instid0(VALU_DEP_2) | instskip(SKIP_1) | instid1(VALU_DEP_3)
	v_sub_f32_e32 v14, v14, v13
	v_sub_f32_e32 v8, v8, v13
	v_add_f32_e32 v102, v15, v9
	s_delay_alu instid0(VALU_DEP_1) | instskip(NEXT) | instid1(VALU_DEP_1)
	v_dual_sub_f32 v14, v17, v14 :: v_dual_sub_f32 v13, v102, v15
	v_dual_add_f32 v8, v8, v14 :: v_dual_sub_f32 v9, v9, v13
	s_delay_alu instid0(VALU_DEP_1) | instskip(NEXT) | instid1(VALU_DEP_1)
	v_add_f32_e32 v8, v8, v9
	v_add_f32_e32 v8, v102, v8
	s_delay_alu instid0(VALU_DEP_1)
	v_cndmask_b32_e32 v102, v8, v12, vcc_lo
.LBB58_100:                             ;   in Loop: Header=BB58_12 Depth=1
	s_or_b32 exec_lo, exec_lo, s30
	v_and_b32_e32 v8, 0xffff0000, v10
	s_delay_alu instid0(VALU_DEP_1) | instskip(NEXT) | instid1(VALU_DEP_1)
	v_add_f32_e32 v103, s67, v8
	v_cmp_ge_f32_e32 vcc_lo, 0x41a00000, v103
	s_and_b32 s29, s80, vcc_lo
	s_delay_alu instid0(SALU_CYCLE_1)
	s_and_saveexec_b32 s30, s29
	s_cbranch_execz .LBB58_102
; %bb.101:                              ;   in Loop: Header=BB58_12 Depth=1
	v_mul_f32_e32 v8, 0x3fb8aa3b, v103
	v_cmp_ngt_f32_e32 vcc_lo, 0xc2ce8ed0, v103
	s_delay_alu instid0(VALU_DEP_2) | instskip(SKIP_1) | instid1(VALU_DEP_2)
	v_rndne_f32_e32 v9, v8
	v_fma_f32 v10, 0x3fb8aa3b, v103, -v8
	v_sub_f32_e32 v8, v8, v9
	s_delay_alu instid0(VALU_DEP_2) | instskip(SKIP_1) | instid1(VALU_DEP_2)
	v_fmac_f32_e32 v10, 0x32a5705f, v103
	v_cvt_i32_f32_e32 v9, v9
	v_add_f32_e32 v8, v8, v10
	s_delay_alu instid0(VALU_DEP_1) | instskip(SKIP_2) | instid1(VALU_DEP_1)
	v_exp_f32_e32 v8, v8
	s_waitcnt_depctr 0xfff
	v_ldexp_f32 v8, v8, v9
	v_cndmask_b32_e32 v8, 0, v8, vcc_lo
	v_cmp_nlt_f32_e32 vcc_lo, 0x42b17218, v103
	s_delay_alu instid0(VALU_DEP_2) | instskip(NEXT) | instid1(VALU_DEP_1)
	v_cndmask_b32_e32 v10, 0x7f800000, v8, vcc_lo
	v_add_f32_e32 v12, 1.0, v10
	s_delay_alu instid0(VALU_DEP_1) | instskip(NEXT) | instid1(VALU_DEP_1)
	v_cvt_f64_f32_e32 v[8:9], v12
	v_frexp_exp_i32_f64_e32 v8, v[8:9]
	v_frexp_mant_f32_e32 v9, v12
	s_delay_alu instid0(VALU_DEP_1) | instskip(SKIP_1) | instid1(VALU_DEP_1)
	v_cmp_gt_f32_e32 vcc_lo, 0x3f2aaaab, v9
	v_add_f32_e32 v9, -1.0, v12
	v_dual_sub_f32 v14, v9, v12 :: v_dual_sub_f32 v9, v10, v9
	v_subrev_co_ci_u32_e32 v8, vcc_lo, 0, v8, vcc_lo
	s_delay_alu instid0(VALU_DEP_1) | instskip(SKIP_1) | instid1(VALU_DEP_2)
	v_sub_nc_u32_e32 v13, 0, v8
	v_cvt_f32_i32_e32 v8, v8
	v_ldexp_f32 v12, v12, v13
	s_delay_alu instid0(VALU_DEP_1) | instskip(NEXT) | instid1(VALU_DEP_1)
	v_dual_add_f32 v14, 1.0, v14 :: v_dual_add_f32 v15, 1.0, v12
	v_add_f32_e32 v9, v9, v14
	s_delay_alu instid0(VALU_DEP_1) | instskip(NEXT) | instid1(VALU_DEP_3)
	v_ldexp_f32 v9, v9, v13
	v_dual_add_f32 v13, -1.0, v12 :: v_dual_add_f32 v14, -1.0, v15
	s_delay_alu instid0(VALU_DEP_1) | instskip(NEXT) | instid1(VALU_DEP_1)
	v_dual_add_f32 v17, 1.0, v13 :: v_dual_sub_f32 v14, v12, v14
	v_sub_f32_e32 v12, v12, v17
	s_delay_alu instid0(VALU_DEP_2) | instskip(NEXT) | instid1(VALU_DEP_2)
	v_add_f32_e32 v14, v9, v14
	v_add_f32_e32 v9, v9, v12
	s_delay_alu instid0(VALU_DEP_2) | instskip(SKIP_2) | instid1(VALU_DEP_4)
	v_add_f32_e32 v17, v15, v14
	v_cmp_eq_f32_e32 vcc_lo, 0x7f800000, v10
	v_cmp_gt_f32_e64 s29, 0x33800000, v10
	v_add_f32_e32 v103, v13, v9
	s_delay_alu instid0(VALU_DEP_4) | instskip(SKIP_1) | instid1(VALU_DEP_3)
	v_rcp_f32_e32 v12, v17
	v_sub_f32_e32 v15, v15, v17
	s_or_b32 vcc_lo, s29, vcc_lo
	s_delay_alu instid0(VALU_DEP_2) | instskip(NEXT) | instid1(VALU_DEP_1)
	v_sub_f32_e32 v13, v13, v103
	v_dual_add_f32 v14, v14, v15 :: v_dual_add_f32 v9, v9, v13
	s_waitcnt_depctr 0xfff
	v_mul_f32_e32 v104, v103, v12
	s_delay_alu instid0(VALU_DEP_1) | instskip(NEXT) | instid1(VALU_DEP_1)
	v_mul_f32_e32 v105, v17, v104
	v_fma_f32 v15, v104, v17, -v105
	s_delay_alu instid0(VALU_DEP_1) | instskip(NEXT) | instid1(VALU_DEP_1)
	v_fmac_f32_e32 v15, v104, v14
	v_add_f32_e32 v106, v105, v15
	s_delay_alu instid0(VALU_DEP_1) | instskip(SKIP_1) | instid1(VALU_DEP_2)
	v_sub_f32_e32 v107, v103, v106
	v_sub_f32_e32 v13, v106, v105
	;; [unrolled: 1-line block ×3, first 2 shown]
	s_delay_alu instid0(VALU_DEP_2) | instskip(NEXT) | instid1(VALU_DEP_2)
	v_sub_f32_e32 v13, v13, v15
	v_sub_f32_e32 v103, v103, v106
	s_delay_alu instid0(VALU_DEP_1) | instskip(NEXT) | instid1(VALU_DEP_1)
	v_add_f32_e32 v9, v9, v103
	v_add_f32_e32 v9, v13, v9
	s_delay_alu instid0(VALU_DEP_1) | instskip(NEXT) | instid1(VALU_DEP_1)
	v_add_f32_e32 v13, v107, v9
	v_mul_f32_e32 v15, v12, v13
	s_delay_alu instid0(VALU_DEP_1) | instskip(NEXT) | instid1(VALU_DEP_1)
	v_dual_sub_f32 v106, v107, v13 :: v_dual_mul_f32 v103, v17, v15
	v_add_f32_e32 v9, v9, v106
	s_delay_alu instid0(VALU_DEP_2) | instskip(NEXT) | instid1(VALU_DEP_1)
	v_fma_f32 v17, v15, v17, -v103
	v_fmac_f32_e32 v17, v15, v14
	s_delay_alu instid0(VALU_DEP_1) | instskip(NEXT) | instid1(VALU_DEP_1)
	v_add_f32_e32 v14, v103, v17
	v_sub_f32_e32 v105, v13, v14
	v_sub_f32_e32 v103, v14, v103
	s_delay_alu instid0(VALU_DEP_2) | instskip(NEXT) | instid1(VALU_DEP_1)
	v_sub_f32_e32 v13, v13, v105
	v_dual_sub_f32 v13, v13, v14 :: v_dual_sub_f32 v14, v103, v17
	s_delay_alu instid0(VALU_DEP_1) | instskip(SKIP_1) | instid1(VALU_DEP_1)
	v_add_f32_e32 v9, v9, v13
	v_add_f32_e32 v13, v104, v15
	v_dual_add_f32 v9, v14, v9 :: v_dual_sub_f32 v14, v13, v104
	s_delay_alu instid0(VALU_DEP_1) | instskip(NEXT) | instid1(VALU_DEP_1)
	v_dual_add_f32 v9, v105, v9 :: v_dual_sub_f32 v14, v15, v14
	v_mul_f32_e32 v9, v12, v9
	s_delay_alu instid0(VALU_DEP_1) | instskip(NEXT) | instid1(VALU_DEP_1)
	v_add_f32_e32 v9, v14, v9
	v_add_f32_e32 v12, v13, v9
	s_delay_alu instid0(VALU_DEP_1) | instskip(NEXT) | instid1(VALU_DEP_1)
	v_mul_f32_e32 v14, v12, v12
	v_fmaak_f32 v15, s84, v14, 0x3ecc95a3
	s_delay_alu instid0(VALU_DEP_1) | instskip(SKIP_2) | instid1(VALU_DEP_3)
	v_dual_mul_f32 v17, v12, v14 :: v_dual_fmaak_f32 v14, v14, v15, 0x3f2aaada
	v_ldexp_f32 v15, v12, 1
	v_sub_f32_e32 v12, v12, v13
	v_dual_mul_f32 v14, v17, v14 :: v_dual_mul_f32 v17, 0x3f317218, v8
	s_delay_alu instid0(VALU_DEP_2) | instskip(NEXT) | instid1(VALU_DEP_2)
	v_sub_f32_e32 v9, v9, v12
	v_add_f32_e32 v13, v15, v14
	s_delay_alu instid0(VALU_DEP_2) | instskip(NEXT) | instid1(VALU_DEP_2)
	v_ldexp_f32 v9, v9, 1
	v_sub_f32_e32 v12, v13, v15
	v_fma_f32 v15, 0x3f317218, v8, -v17
	s_delay_alu instid0(VALU_DEP_2) | instskip(NEXT) | instid1(VALU_DEP_2)
	v_sub_f32_e32 v12, v14, v12
	v_fmac_f32_e32 v15, 0xb102e308, v8
	s_delay_alu instid0(VALU_DEP_2) | instskip(NEXT) | instid1(VALU_DEP_2)
	v_add_f32_e32 v8, v9, v12
	v_add_f32_e32 v9, v17, v15
	s_delay_alu instid0(VALU_DEP_2) | instskip(NEXT) | instid1(VALU_DEP_2)
	v_add_f32_e32 v12, v13, v8
	v_sub_f32_e32 v17, v9, v17
	s_delay_alu instid0(VALU_DEP_2) | instskip(NEXT) | instid1(VALU_DEP_2)
	v_dual_add_f32 v14, v9, v12 :: v_dual_sub_f32 v13, v12, v13
	v_sub_f32_e32 v15, v15, v17
	s_delay_alu instid0(VALU_DEP_2) | instskip(NEXT) | instid1(VALU_DEP_3)
	v_sub_f32_e32 v103, v14, v9
	v_sub_f32_e32 v8, v8, v13
	s_delay_alu instid0(VALU_DEP_2) | instskip(NEXT) | instid1(VALU_DEP_2)
	v_sub_f32_e32 v104, v14, v103
	v_dual_sub_f32 v12, v12, v103 :: v_dual_add_f32 v13, v15, v8
	s_delay_alu instid0(VALU_DEP_2) | instskip(NEXT) | instid1(VALU_DEP_1)
	v_sub_f32_e32 v9, v9, v104
	v_dual_add_f32 v9, v12, v9 :: v_dual_sub_f32 v12, v13, v15
	s_delay_alu instid0(VALU_DEP_1) | instskip(NEXT) | instid1(VALU_DEP_2)
	v_add_f32_e32 v9, v13, v9
	v_sub_f32_e32 v13, v13, v12
	s_delay_alu instid0(VALU_DEP_2) | instskip(NEXT) | instid1(VALU_DEP_1)
	v_dual_sub_f32 v8, v8, v12 :: v_dual_add_f32 v17, v14, v9
	v_dual_sub_f32 v13, v15, v13 :: v_dual_sub_f32 v12, v17, v14
	s_delay_alu instid0(VALU_DEP_1) | instskip(NEXT) | instid1(VALU_DEP_1)
	v_dual_add_f32 v8, v8, v13 :: v_dual_sub_f32 v9, v9, v12
	v_add_f32_e32 v8, v8, v9
	s_delay_alu instid0(VALU_DEP_1) | instskip(NEXT) | instid1(VALU_DEP_1)
	v_add_f32_e32 v8, v17, v8
	v_cndmask_b32_e32 v103, v8, v10, vcc_lo
.LBB58_102:                             ;   in Loop: Header=BB58_12 Depth=1
	s_or_b32 exec_lo, exec_lo, s30
	v_lshlrev_b32_e32 v8, 16, v11
	s_delay_alu instid0(VALU_DEP_1) | instskip(NEXT) | instid1(VALU_DEP_1)
	v_add_f32_e32 v104, s67, v8
	v_cmp_ge_f32_e32 vcc_lo, 0x41a00000, v104
	s_and_b32 s29, s80, vcc_lo
	s_delay_alu instid0(SALU_CYCLE_1)
	s_and_saveexec_b32 s30, s29
	s_cbranch_execz .LBB58_104
; %bb.103:                              ;   in Loop: Header=BB58_12 Depth=1
	v_mul_f32_e32 v8, 0x3fb8aa3b, v104
	v_cmp_ngt_f32_e32 vcc_lo, 0xc2ce8ed0, v104
	s_delay_alu instid0(VALU_DEP_2) | instskip(SKIP_1) | instid1(VALU_DEP_2)
	v_rndne_f32_e32 v9, v8
	v_fma_f32 v10, 0x3fb8aa3b, v104, -v8
	v_sub_f32_e32 v8, v8, v9
	s_delay_alu instid0(VALU_DEP_2) | instskip(SKIP_1) | instid1(VALU_DEP_2)
	v_fmac_f32_e32 v10, 0x32a5705f, v104
	v_cvt_i32_f32_e32 v9, v9
	v_add_f32_e32 v8, v8, v10
	s_delay_alu instid0(VALU_DEP_1) | instskip(SKIP_2) | instid1(VALU_DEP_1)
	v_exp_f32_e32 v8, v8
	s_waitcnt_depctr 0xfff
	v_ldexp_f32 v8, v8, v9
	v_cndmask_b32_e32 v8, 0, v8, vcc_lo
	v_cmp_nlt_f32_e32 vcc_lo, 0x42b17218, v104
	s_delay_alu instid0(VALU_DEP_2) | instskip(NEXT) | instid1(VALU_DEP_1)
	v_cndmask_b32_e32 v10, 0x7f800000, v8, vcc_lo
	v_add_f32_e32 v12, 1.0, v10
	s_delay_alu instid0(VALU_DEP_1) | instskip(NEXT) | instid1(VALU_DEP_1)
	v_cvt_f64_f32_e32 v[8:9], v12
	v_frexp_exp_i32_f64_e32 v8, v[8:9]
	v_frexp_mant_f32_e32 v9, v12
	s_delay_alu instid0(VALU_DEP_1) | instskip(SKIP_1) | instid1(VALU_DEP_1)
	v_cmp_gt_f32_e32 vcc_lo, 0x3f2aaaab, v9
	v_add_f32_e32 v9, -1.0, v12
	v_dual_sub_f32 v14, v9, v12 :: v_dual_sub_f32 v9, v10, v9
	v_subrev_co_ci_u32_e32 v8, vcc_lo, 0, v8, vcc_lo
	s_delay_alu instid0(VALU_DEP_1) | instskip(SKIP_1) | instid1(VALU_DEP_2)
	v_sub_nc_u32_e32 v13, 0, v8
	v_cvt_f32_i32_e32 v8, v8
	v_ldexp_f32 v12, v12, v13
	s_delay_alu instid0(VALU_DEP_1) | instskip(NEXT) | instid1(VALU_DEP_1)
	v_dual_add_f32 v14, 1.0, v14 :: v_dual_add_f32 v15, 1.0, v12
	v_add_f32_e32 v9, v9, v14
	s_delay_alu instid0(VALU_DEP_1) | instskip(NEXT) | instid1(VALU_DEP_3)
	v_ldexp_f32 v9, v9, v13
	v_dual_add_f32 v13, -1.0, v12 :: v_dual_add_f32 v14, -1.0, v15
	s_delay_alu instid0(VALU_DEP_1) | instskip(NEXT) | instid1(VALU_DEP_1)
	v_dual_add_f32 v17, 1.0, v13 :: v_dual_sub_f32 v14, v12, v14
	v_sub_f32_e32 v12, v12, v17
	s_delay_alu instid0(VALU_DEP_2) | instskip(NEXT) | instid1(VALU_DEP_2)
	v_add_f32_e32 v14, v9, v14
	v_add_f32_e32 v9, v9, v12
	s_delay_alu instid0(VALU_DEP_2) | instskip(SKIP_2) | instid1(VALU_DEP_4)
	v_add_f32_e32 v17, v15, v14
	v_cmp_eq_f32_e32 vcc_lo, 0x7f800000, v10
	v_cmp_gt_f32_e64 s29, 0x33800000, v10
	v_add_f32_e32 v104, v13, v9
	s_delay_alu instid0(VALU_DEP_4) | instskip(SKIP_1) | instid1(VALU_DEP_3)
	v_rcp_f32_e32 v12, v17
	v_sub_f32_e32 v15, v15, v17
	s_or_b32 vcc_lo, s29, vcc_lo
	s_delay_alu instid0(VALU_DEP_2) | instskip(NEXT) | instid1(VALU_DEP_1)
	v_sub_f32_e32 v13, v13, v104
	v_add_f32_e32 v9, v9, v13
	s_waitcnt_depctr 0xfff
	v_dual_mul_f32 v105, v104, v12 :: v_dual_add_f32 v14, v14, v15
	s_delay_alu instid0(VALU_DEP_1) | instskip(NEXT) | instid1(VALU_DEP_1)
	v_mul_f32_e32 v106, v17, v105
	v_fma_f32 v15, v105, v17, -v106
	s_delay_alu instid0(VALU_DEP_1) | instskip(NEXT) | instid1(VALU_DEP_1)
	v_fmac_f32_e32 v15, v105, v14
	v_add_f32_e32 v107, v106, v15
	s_delay_alu instid0(VALU_DEP_1) | instskip(NEXT) | instid1(VALU_DEP_1)
	v_dual_sub_f32 v13, v107, v106 :: v_dual_sub_f32 v108, v104, v107
	v_dual_sub_f32 v13, v13, v15 :: v_dual_sub_f32 v104, v104, v108
	s_delay_alu instid0(VALU_DEP_1) | instskip(NEXT) | instid1(VALU_DEP_1)
	v_sub_f32_e32 v104, v104, v107
	v_add_f32_e32 v9, v9, v104
	s_delay_alu instid0(VALU_DEP_1) | instskip(NEXT) | instid1(VALU_DEP_1)
	v_add_f32_e32 v9, v13, v9
	v_add_f32_e32 v13, v108, v9
	s_delay_alu instid0(VALU_DEP_1) | instskip(NEXT) | instid1(VALU_DEP_1)
	v_mul_f32_e32 v15, v12, v13
	v_mul_f32_e32 v104, v17, v15
	s_delay_alu instid0(VALU_DEP_1) | instskip(NEXT) | instid1(VALU_DEP_1)
	v_fma_f32 v17, v15, v17, -v104
	v_fmac_f32_e32 v17, v15, v14
	s_delay_alu instid0(VALU_DEP_1) | instskip(NEXT) | instid1(VALU_DEP_1)
	v_add_f32_e32 v14, v104, v17
	v_dual_sub_f32 v107, v108, v13 :: v_dual_sub_f32 v106, v13, v14
	s_delay_alu instid0(VALU_DEP_1) | instskip(NEXT) | instid1(VALU_DEP_2)
	v_dual_sub_f32 v13, v13, v106 :: v_dual_sub_f32 v104, v14, v104
	v_add_f32_e32 v9, v9, v107
	s_delay_alu instid0(VALU_DEP_2) | instskip(NEXT) | instid1(VALU_DEP_1)
	v_dual_sub_f32 v13, v13, v14 :: v_dual_sub_f32 v14, v104, v17
	v_add_f32_e32 v9, v9, v13
	v_add_f32_e32 v13, v105, v15
	s_delay_alu instid0(VALU_DEP_2) | instskip(NEXT) | instid1(VALU_DEP_2)
	v_add_f32_e32 v9, v14, v9
	v_sub_f32_e32 v14, v13, v105
	s_delay_alu instid0(VALU_DEP_1) | instskip(NEXT) | instid1(VALU_DEP_1)
	v_dual_add_f32 v9, v106, v9 :: v_dual_sub_f32 v14, v15, v14
	v_mul_f32_e32 v9, v12, v9
	s_delay_alu instid0(VALU_DEP_1) | instskip(NEXT) | instid1(VALU_DEP_1)
	v_add_f32_e32 v9, v14, v9
	v_add_f32_e32 v12, v13, v9
	s_delay_alu instid0(VALU_DEP_1) | instskip(NEXT) | instid1(VALU_DEP_1)
	v_mul_f32_e32 v14, v12, v12
	v_fmaak_f32 v15, s84, v14, 0x3ecc95a3
	s_delay_alu instid0(VALU_DEP_1) | instskip(SKIP_1) | instid1(VALU_DEP_2)
	v_dual_mul_f32 v17, v12, v14 :: v_dual_fmaak_f32 v14, v14, v15, 0x3f2aaada
	v_ldexp_f32 v15, v12, 1
	v_mul_f32_e32 v14, v17, v14
	v_dual_sub_f32 v12, v12, v13 :: v_dual_mul_f32 v17, 0x3f317218, v8
	s_delay_alu instid0(VALU_DEP_2) | instskip(NEXT) | instid1(VALU_DEP_2)
	v_add_f32_e32 v13, v15, v14
	v_sub_f32_e32 v9, v9, v12
	s_delay_alu instid0(VALU_DEP_2) | instskip(NEXT) | instid1(VALU_DEP_4)
	v_sub_f32_e32 v12, v13, v15
	v_fma_f32 v15, 0x3f317218, v8, -v17
	s_delay_alu instid0(VALU_DEP_3) | instskip(NEXT) | instid1(VALU_DEP_3)
	v_ldexp_f32 v9, v9, 1
	v_sub_f32_e32 v12, v14, v12
	s_delay_alu instid0(VALU_DEP_3) | instskip(NEXT) | instid1(VALU_DEP_2)
	v_fmac_f32_e32 v15, 0xb102e308, v8
	v_add_f32_e32 v8, v9, v12
	s_delay_alu instid0(VALU_DEP_1) | instskip(NEXT) | instid1(VALU_DEP_3)
	v_add_f32_e32 v12, v13, v8
	v_add_f32_e32 v9, v17, v15
	s_delay_alu instid0(VALU_DEP_1) | instskip(NEXT) | instid1(VALU_DEP_1)
	v_dual_sub_f32 v13, v12, v13 :: v_dual_add_f32 v14, v9, v12
	v_sub_f32_e32 v8, v8, v13
	s_delay_alu instid0(VALU_DEP_2) | instskip(NEXT) | instid1(VALU_DEP_1)
	v_sub_f32_e32 v104, v14, v9
	v_dual_sub_f32 v12, v12, v104 :: v_dual_sub_f32 v17, v9, v17
	s_delay_alu instid0(VALU_DEP_1) | instskip(NEXT) | instid1(VALU_DEP_1)
	v_sub_f32_e32 v15, v15, v17
	v_add_f32_e32 v13, v15, v8
	v_sub_f32_e32 v105, v14, v104
	s_delay_alu instid0(VALU_DEP_1) | instskip(NEXT) | instid1(VALU_DEP_1)
	v_sub_f32_e32 v9, v9, v105
	v_dual_add_f32 v9, v12, v9 :: v_dual_sub_f32 v12, v13, v15
	s_delay_alu instid0(VALU_DEP_1) | instskip(NEXT) | instid1(VALU_DEP_2)
	v_add_f32_e32 v9, v13, v9
	v_sub_f32_e32 v13, v13, v12
	s_delay_alu instid0(VALU_DEP_2) | instskip(NEXT) | instid1(VALU_DEP_1)
	v_dual_sub_f32 v8, v8, v12 :: v_dual_add_f32 v17, v14, v9
	v_dual_sub_f32 v12, v17, v14 :: v_dual_sub_f32 v13, v15, v13
	s_delay_alu instid0(VALU_DEP_1) | instskip(NEXT) | instid1(VALU_DEP_1)
	v_dual_sub_f32 v9, v9, v12 :: v_dual_add_f32 v8, v8, v13
	v_add_f32_e32 v8, v8, v9
	s_delay_alu instid0(VALU_DEP_1) | instskip(NEXT) | instid1(VALU_DEP_1)
	v_add_f32_e32 v8, v17, v8
	v_cndmask_b32_e32 v104, v8, v10, vcc_lo
.LBB58_104:                             ;   in Loop: Header=BB58_12 Depth=1
	s_or_b32 exec_lo, exec_lo, s30
	v_and_b32_e32 v8, 0xffff0000, v11
	s_delay_alu instid0(VALU_DEP_1) | instskip(NEXT) | instid1(VALU_DEP_1)
	v_add_f32_e32 v121, s67, v8
	v_cmp_ge_f32_e32 vcc_lo, 0x41a00000, v121
	s_and_b32 s29, s80, vcc_lo
	s_delay_alu instid0(SALU_CYCLE_1)
	s_and_saveexec_b32 s30, s29
	s_cbranch_execz .LBB58_106
; %bb.105:                              ;   in Loop: Header=BB58_12 Depth=1
	v_mul_f32_e32 v8, 0x3fb8aa3b, v121
	v_cmp_ngt_f32_e32 vcc_lo, 0xc2ce8ed0, v121
	s_delay_alu instid0(VALU_DEP_2) | instskip(SKIP_1) | instid1(VALU_DEP_2)
	v_rndne_f32_e32 v9, v8
	v_fma_f32 v10, 0x3fb8aa3b, v121, -v8
	v_sub_f32_e32 v8, v8, v9
	s_delay_alu instid0(VALU_DEP_2) | instskip(SKIP_1) | instid1(VALU_DEP_2)
	v_fmac_f32_e32 v10, 0x32a5705f, v121
	v_cvt_i32_f32_e32 v9, v9
	v_add_f32_e32 v8, v8, v10
	s_delay_alu instid0(VALU_DEP_1) | instskip(SKIP_2) | instid1(VALU_DEP_1)
	v_exp_f32_e32 v8, v8
	s_waitcnt_depctr 0xfff
	v_ldexp_f32 v8, v8, v9
	v_cndmask_b32_e32 v8, 0, v8, vcc_lo
	v_cmp_nlt_f32_e32 vcc_lo, 0x42b17218, v121
	s_delay_alu instid0(VALU_DEP_2) | instskip(NEXT) | instid1(VALU_DEP_1)
	v_cndmask_b32_e32 v10, 0x7f800000, v8, vcc_lo
	v_add_f32_e32 v11, 1.0, v10
	s_delay_alu instid0(VALU_DEP_1) | instskip(NEXT) | instid1(VALU_DEP_1)
	v_cvt_f64_f32_e32 v[8:9], v11
	v_frexp_exp_i32_f64_e32 v8, v[8:9]
	v_frexp_mant_f32_e32 v9, v11
	s_delay_alu instid0(VALU_DEP_1) | instskip(SKIP_1) | instid1(VALU_DEP_1)
	v_cmp_gt_f32_e32 vcc_lo, 0x3f2aaaab, v9
	v_add_f32_e32 v9, -1.0, v11
	v_sub_f32_e32 v13, v9, v11
	v_sub_f32_e32 v9, v10, v9
	s_delay_alu instid0(VALU_DEP_2) | instskip(NEXT) | instid1(VALU_DEP_1)
	v_add_f32_e32 v13, 1.0, v13
	v_add_f32_e32 v9, v9, v13
	v_cmp_gt_f32_e64 s29, 0x33800000, v10
	v_subrev_co_ci_u32_e32 v8, vcc_lo, 0, v8, vcc_lo
	v_cmp_eq_f32_e32 vcc_lo, 0x7f800000, v10
	s_delay_alu instid0(VALU_DEP_2) | instskip(SKIP_2) | instid1(VALU_DEP_2)
	v_sub_nc_u32_e32 v12, 0, v8
	v_cvt_f32_i32_e32 v8, v8
	s_or_b32 vcc_lo, s29, vcc_lo
	v_ldexp_f32 v11, v11, v12
	v_ldexp_f32 v9, v9, v12
	s_delay_alu instid0(VALU_DEP_2) | instskip(NEXT) | instid1(VALU_DEP_1)
	v_add_f32_e32 v14, 1.0, v11
	v_dual_add_f32 v12, -1.0, v11 :: v_dual_add_f32 v13, -1.0, v14
	s_delay_alu instid0(VALU_DEP_1) | instskip(NEXT) | instid1(VALU_DEP_2)
	v_add_f32_e32 v15, 1.0, v12
	v_sub_f32_e32 v13, v11, v13
	s_delay_alu instid0(VALU_DEP_2) | instskip(NEXT) | instid1(VALU_DEP_2)
	v_sub_f32_e32 v11, v11, v15
	v_add_f32_e32 v13, v9, v13
	s_delay_alu instid0(VALU_DEP_2) | instskip(NEXT) | instid1(VALU_DEP_1)
	v_add_f32_e32 v9, v9, v11
	v_add_f32_e32 v17, v12, v9
	s_delay_alu instid0(VALU_DEP_3) | instskip(NEXT) | instid1(VALU_DEP_2)
	v_add_f32_e32 v15, v14, v13
	v_sub_f32_e32 v12, v12, v17
	s_delay_alu instid0(VALU_DEP_2) | instskip(SKIP_1) | instid1(VALU_DEP_1)
	v_rcp_f32_e32 v11, v15
	v_sub_f32_e32 v14, v14, v15
	v_add_f32_e32 v13, v13, v14
	s_waitcnt_depctr 0xfff
	v_mul_f32_e32 v105, v17, v11
	s_delay_alu instid0(VALU_DEP_1) | instskip(NEXT) | instid1(VALU_DEP_1)
	v_dual_mul_f32 v106, v15, v105 :: v_dual_add_f32 v9, v9, v12
	v_fma_f32 v14, v105, v15, -v106
	s_delay_alu instid0(VALU_DEP_1) | instskip(NEXT) | instid1(VALU_DEP_1)
	v_fmac_f32_e32 v14, v105, v13
	v_add_f32_e32 v107, v106, v14
	s_delay_alu instid0(VALU_DEP_1) | instskip(SKIP_1) | instid1(VALU_DEP_1)
	v_sub_f32_e32 v12, v107, v106
	v_sub_f32_e32 v108, v17, v107
	v_dual_sub_f32 v12, v12, v14 :: v_dual_sub_f32 v17, v17, v108
	s_delay_alu instid0(VALU_DEP_1) | instskip(NEXT) | instid1(VALU_DEP_1)
	v_sub_f32_e32 v17, v17, v107
	v_add_f32_e32 v9, v9, v17
	s_delay_alu instid0(VALU_DEP_1) | instskip(NEXT) | instid1(VALU_DEP_1)
	v_add_f32_e32 v9, v12, v9
	v_add_f32_e32 v12, v108, v9
	s_delay_alu instid0(VALU_DEP_1) | instskip(SKIP_1) | instid1(VALU_DEP_2)
	v_mul_f32_e32 v14, v11, v12
	v_sub_f32_e32 v107, v108, v12
	v_mul_f32_e32 v17, v15, v14
	s_delay_alu instid0(VALU_DEP_2) | instskip(NEXT) | instid1(VALU_DEP_2)
	v_add_f32_e32 v9, v9, v107
	v_fma_f32 v15, v14, v15, -v17
	s_delay_alu instid0(VALU_DEP_1) | instskip(NEXT) | instid1(VALU_DEP_1)
	v_fmac_f32_e32 v15, v14, v13
	v_add_f32_e32 v13, v17, v15
	s_delay_alu instid0(VALU_DEP_1) | instskip(NEXT) | instid1(VALU_DEP_1)
	v_sub_f32_e32 v106, v12, v13
	v_dual_sub_f32 v17, v13, v17 :: v_dual_sub_f32 v12, v12, v106
	s_delay_alu instid0(VALU_DEP_1) | instskip(NEXT) | instid1(VALU_DEP_1)
	v_dual_sub_f32 v12, v12, v13 :: v_dual_sub_f32 v13, v17, v15
	v_add_f32_e32 v9, v9, v12
	v_add_f32_e32 v12, v105, v14
	s_delay_alu instid0(VALU_DEP_2) | instskip(NEXT) | instid1(VALU_DEP_2)
	v_add_f32_e32 v9, v13, v9
	v_sub_f32_e32 v13, v12, v105
	s_delay_alu instid0(VALU_DEP_2) | instskip(NEXT) | instid1(VALU_DEP_2)
	v_add_f32_e32 v9, v106, v9
	v_sub_f32_e32 v13, v14, v13
	s_delay_alu instid0(VALU_DEP_2) | instskip(NEXT) | instid1(VALU_DEP_1)
	v_mul_f32_e32 v9, v11, v9
	v_add_f32_e32 v9, v13, v9
	s_delay_alu instid0(VALU_DEP_1) | instskip(NEXT) | instid1(VALU_DEP_1)
	v_add_f32_e32 v11, v12, v9
	v_mul_f32_e32 v13, v11, v11
	s_delay_alu instid0(VALU_DEP_1) | instskip(SKIP_1) | instid1(VALU_DEP_2)
	v_fmaak_f32 v14, s84, v13, 0x3ecc95a3
	v_mul_f32_e32 v15, v11, v13
	v_fmaak_f32 v13, v13, v14, 0x3f2aaada
	v_ldexp_f32 v14, v11, 1
	v_sub_f32_e32 v11, v11, v12
	s_delay_alu instid0(VALU_DEP_3) | instskip(SKIP_1) | instid1(VALU_DEP_2)
	v_mul_f32_e32 v13, v15, v13
	v_mul_f32_e32 v15, 0x3f317218, v8
	v_dual_sub_f32 v9, v9, v11 :: v_dual_add_f32 v12, v14, v13
	s_delay_alu instid0(VALU_DEP_1) | instskip(NEXT) | instid1(VALU_DEP_2)
	v_ldexp_f32 v9, v9, 1
	v_sub_f32_e32 v11, v12, v14
	s_delay_alu instid0(VALU_DEP_4) | instskip(NEXT) | instid1(VALU_DEP_1)
	v_fma_f32 v14, 0x3f317218, v8, -v15
	v_dual_sub_f32 v11, v13, v11 :: v_dual_fmac_f32 v14, 0xb102e308, v8
	s_delay_alu instid0(VALU_DEP_1) | instskip(NEXT) | instid1(VALU_DEP_1)
	v_dual_add_f32 v8, v9, v11 :: v_dual_add_f32 v9, v15, v14
	v_add_f32_e32 v11, v12, v8
	s_delay_alu instid0(VALU_DEP_2) | instskip(NEXT) | instid1(VALU_DEP_2)
	v_sub_f32_e32 v15, v9, v15
	v_dual_add_f32 v13, v9, v11 :: v_dual_sub_f32 v12, v11, v12
	s_delay_alu instid0(VALU_DEP_1) | instskip(NEXT) | instid1(VALU_DEP_1)
	v_dual_sub_f32 v14, v14, v15 :: v_dual_sub_f32 v17, v13, v9
	v_dual_sub_f32 v8, v8, v12 :: v_dual_sub_f32 v105, v13, v17
	s_delay_alu instid0(VALU_DEP_1) | instskip(NEXT) | instid1(VALU_DEP_2)
	v_dual_sub_f32 v11, v11, v17 :: v_dual_add_f32 v12, v14, v8
	v_sub_f32_e32 v9, v9, v105
	s_delay_alu instid0(VALU_DEP_1) | instskip(NEXT) | instid1(VALU_DEP_3)
	v_add_f32_e32 v9, v11, v9
	v_sub_f32_e32 v11, v12, v14
	s_delay_alu instid0(VALU_DEP_2) | instskip(NEXT) | instid1(VALU_DEP_2)
	v_add_f32_e32 v9, v12, v9
	v_sub_f32_e32 v12, v12, v11
	s_delay_alu instid0(VALU_DEP_2) | instskip(NEXT) | instid1(VALU_DEP_1)
	v_dual_sub_f32 v8, v8, v11 :: v_dual_add_f32 v15, v13, v9
	v_dual_sub_f32 v12, v14, v12 :: v_dual_sub_f32 v11, v15, v13
	s_delay_alu instid0(VALU_DEP_1) | instskip(NEXT) | instid1(VALU_DEP_1)
	v_dual_add_f32 v8, v8, v12 :: v_dual_sub_f32 v9, v9, v11
	v_add_f32_e32 v8, v8, v9
	s_delay_alu instid0(VALU_DEP_1) | instskip(NEXT) | instid1(VALU_DEP_1)
	v_add_f32_e32 v8, v15, v8
	v_cndmask_b32_e32 v121, v8, v10, vcc_lo
.LBB58_106:                             ;   in Loop: Header=BB58_12 Depth=1
	s_or_b32 exec_lo, exec_lo, s30
	v_and_b32_e32 v11, 0xffff0000, v3
	v_and_b32_e32 v9, 0xffff0000, v6
	v_lshlrev_b32_e32 v6, 16, v6
	v_and_b32_e32 v15, 0xffff0000, v0
	v_lshlrev_b32_e32 v8, 16, v7
	v_mul_f32_e32 v115, s68, v11
	v_mul_f32_e32 v105, s68, v9
	v_dual_mul_f32 v107, s68, v6 :: v_dual_and_b32 v10, 0xffff0000, v5
	v_and_b32_e32 v14, 0xffff0000, v7
	v_and_b32_e32 v7, 0xffff0000, v4
	v_lshlrev_b32_e32 v5, 16, v5
	s_delay_alu instid0(VALU_DEP_4) | instskip(NEXT) | instid1(VALU_DEP_4)
	v_dual_mul_f32 v109, s68, v10 :: v_dual_lshlrev_b32 v0, 16, v0
	v_mul_f32_e32 v111, s68, v14
	v_and_b32_e32 v13, 0xffff0000, v1
	v_lshlrev_b32_e32 v3, 16, v3
	v_mul_f32_e32 v108, s68, v7
	v_mul_f32_e32 v120, s68, v0
	s_delay_alu instid0(VALU_DEP_4) | instskip(SKIP_3) | instid1(VALU_DEP_4)
	v_dual_mul_f32 v113, s68, v13 :: v_dual_and_b32 v12, 0xffff0000, v2
	v_lshlrev_b32_e32 v1, 16, v1
	v_mul_f32_e32 v110, s68, v5
	v_mul_f32_e32 v106, s68, v8
	;; [unrolled: 1-line block ×5, first 2 shown]
	v_dual_mul_f32 v119, s68, v15 :: v_dual_lshlrev_b32 v2, 16, v2
	v_lshlrev_b32_e32 v4, 16, v4
	s_and_b32 vcc_lo, exec_lo, s81
	s_delay_alu instid0(VALU_DEP_2) | instskip(SKIP_1) | instid1(VALU_DEP_2)
	v_mul_f32_e32 v117, s68, v2
	s_barrier
	v_mul_f32_e32 v112, s68, v4
	buffer_gl0_inv
	s_cbranch_vccz .LBB58_204
; %bb.107:                              ;   in Loop: Header=BB58_12 Depth=1
	v_dual_mul_f32 v122, v121, v14 :: v_dual_mul_f32 v127, v104, v8
	v_add_co_u32 v14, s29, s53, v16
	s_delay_alu instid0(VALU_DEP_1) | instskip(SKIP_1) | instid1(VALU_DEP_1)
	v_add_co_ci_u32_e64 v17, null, s74, 0, s29
	v_add_co_u32 v16, s29, s57, v16
	v_add_co_ci_u32_e64 v126, null, s75, 0, s29
	s_delay_alu instid0(VALU_DEP_4) | instskip(NEXT) | instid1(VALU_DEP_4)
	v_add_co_u32 v123, vcc_lo, v14, v89
	v_add_co_ci_u32_e32 v124, vcc_lo, 0, v17, vcc_lo
	s_delay_alu instid0(VALU_DEP_4) | instskip(NEXT) | instid1(VALU_DEP_4)
	v_add_co_u32 v125, vcc_lo, v16, v89
	v_add_co_ci_u32_e32 v126, vcc_lo, 0, v126, vcc_lo
	v_cmp_gt_u32_e32 vcc_lo, s41, v18
	s_cmp_lg_u32 s86, 0
	v_cmp_gt_u32_e64 s31, s41, v75
	s_cselect_b32 s51, -1, 0
	s_cmp_eq_u32 s86, s83
	v_cmp_gt_u32_e64 s33, s41, v76
	s_cselect_b32 s87, -1, 0
	s_or_b32 s29, s82, vcc_lo
	v_cmp_gt_u32_e32 vcc_lo, s41, v74
	v_cmp_gt_u32_e64 s34, s41, v77
	v_cmp_gt_u32_e64 s35, s41, v78
	;; [unrolled: 1-line block ×4, first 2 shown]
	s_or_b32 s30, s82, vcc_lo
	v_cmp_gt_u32_e32 vcc_lo, s41, v79
	v_cmp_gt_u32_e64 s39, s41, v82
	v_cmp_gt_u32_e64 s40, s41, v83
	;; [unrolled: 1-line block ×4, first 2 shown]
	s_or_b32 s36, s82, vcc_lo
	v_cmp_gt_u32_e32 vcc_lo, s41, v84
	v_cmp_gt_u32_e64 s44, s41, v87
	v_cmp_gt_u32_e64 s45, s41, v88
	v_dual_mul_f32 v128, v103, v9 :: v_dual_mul_f32 v129, v102, v6
	v_dual_mul_f32 v130, v101, v10 :: v_dual_mul_f32 v131, v100, v5
	;; [unrolled: 1-line block ×7, first 2 shown]
	s_mov_b32 s64, 0
	s_or_b32 s31, s82, s31
	s_or_b32 s33, s82, s33
	;; [unrolled: 1-line block ×8, first 2 shown]
	s_or_b32 s41, s82, vcc_lo
	s_or_b32 s42, s82, s42
	s_or_b32 s43, s82, s43
	;; [unrolled: 1-line block ×4, first 2 shown]
	s_mov_b32 s54, s64
	s_mov_b32 s58, s64
	;; [unrolled: 1-line block ×5, first 2 shown]
	s_branch .LBB58_109
.LBB58_108:                             ;   in Loop: Header=BB58_109 Depth=2
	s_or_b32 exec_lo, exec_lo, s46
	v_cndmask_b32_e64 v9, v171, v11, s12
	v_cndmask_b32_e64 v10, v170, v10, s12
	s_add_i32 s88, s88, -1
	s_add_i32 s89, s89, 8
	s_add_i32 s60, s60, s62
	v_fma_f32 v9, v9, v145, v144
	v_mul_f32_e32 v10, v10, v145
	s_add_i32 s58, s58, s56
	s_add_i32 s54, s54, s52
	;; [unrolled: 1-line block ×3, first 2 shown]
	v_cndmask_b32_e64 v9, v9, v144, s11
	v_cndmask_b32_e64 v10, v10, v145, s11
	s_cmp_eq_u32 s88, 0
	s_waitcnt lgkmcnt(0)
	s_delay_alu instid0(VALU_DEP_1) | instskip(NEXT) | instid1(VALU_DEP_1)
	v_dual_fmac_f32 v9, v8, v10 :: v_dual_and_b32 v10, 0xffff0000, v5
	v_dual_fmac_f32 v12, v9, v147 :: v_dual_lshlrev_b32 v5, 16, v5
	s_delay_alu instid0(VALU_DEP_1) | instskip(NEXT) | instid1(VALU_DEP_1)
	v_fmac_f32_e32 v13, v12, v148
	v_dual_fmac_f32 v118, v13, v5 :: v_dual_and_b32 v17, 0xffff0000, v0
	v_fmac_f32_e32 v14, v13, v150
	s_delay_alu instid0(VALU_DEP_1) | instskip(NEXT) | instid1(VALU_DEP_1)
	v_fmac_f32_e32 v15, v14, v153
	v_fmac_f32_e32 v142, v15, v154
	s_delay_alu instid0(VALU_DEP_1) | instskip(NEXT) | instid1(VALU_DEP_1)
	v_fmac_f32_e32 v143, v142, v155
	v_fmac_f32_e32 v146, v143, v156
	s_delay_alu instid0(VALU_DEP_1) | instskip(SKIP_1) | instid1(VALU_DEP_2)
	v_dual_fmac_f32 v149, v146, v158 :: v_dual_and_b32 v8, 0xffff0000, v4
	v_lshlrev_b32_e32 v4, 16, v4
	v_dual_fmac_f32 v119, v12, v8 :: v_dual_and_b32 v16, 0xffff0000, v7
	s_delay_alu instid0(VALU_DEP_3) | instskip(SKIP_1) | instid1(VALU_DEP_4)
	v_fmac_f32_e32 v151, v149, v159
	v_and_b32_e32 v11, 0xffff0000, v6
	v_dual_fmac_f32 v120, v9, v4 :: v_dual_lshlrev_b32 v7, 16, v7
	s_delay_alu instid0(VALU_DEP_4) | instskip(NEXT) | instid1(VALU_DEP_4)
	v_fmac_f32_e32 v115, v146, v16
	v_fmac_f32_e32 v152, v151, v160
	s_delay_alu instid0(VALU_DEP_4) | instskip(NEXT) | instid1(VALU_DEP_2)
	v_fmac_f32_e32 v114, v142, v11
	v_dual_fmac_f32 v108, v151, v17 :: v_dual_fmac_f32 v157, v152, v168
	v_lshlrev_b32_e32 v6, 16, v6
	v_dual_fmac_f32 v113, v14, v10 :: v_dual_lshlrev_b32 v0, 16, v0
	v_and_b32_e32 v147, 0xffff0000, v3
	s_delay_alu instid0(VALU_DEP_4) | instskip(SKIP_3) | instid1(VALU_DEP_4)
	v_fmac_f32_e32 v161, v157, v163
	v_and_b32_e32 v145, 0xffff0000, v2
	v_lshlrev_b32_e32 v2, 16, v2
	v_dual_fmac_f32 v117, v15, v6 :: v_dual_and_b32 v144, 0xffff0000, v1
	v_fmac_f32_e32 v162, v161, v165
	v_lshlrev_b32_e32 v1, 16, v1
	v_lshlrev_b32_e32 v3, 16, v3
	v_dual_fmac_f32 v107, v161, v2 :: v_dual_fmac_f32 v116, v143, v7
	s_delay_alu instid0(VALU_DEP_4) | instskip(SKIP_1) | instid1(VALU_DEP_2)
	v_dual_fmac_f32 v109, v157, v144 :: v_dual_fmac_f32 v164, v162, v167
	v_dual_fmac_f32 v112, v149, v0 :: v_dual_fmac_f32 v105, v162, v145
	v_fmac_f32_e32 v106, v164, v3
	v_fmac_f32_e32 v166, v164, v169
	s_delay_alu instid0(VALU_DEP_1)
	v_dual_fmac_f32 v110, v152, v1 :: v_dual_fmac_f32 v111, v166, v147
	s_cbranch_scc1 .LBB58_204
.LBB58_109:                             ;   Parent Loop BB58_12 Depth=1
                                        ; =>  This Inner Loop Header: Depth=2
	s_lshl_b64 s[46:47], s[64:65], 2
	s_mov_b32 s55, s65
	s_add_u32 s46, s73, s46
	s_addc_u32 s47, s63, s47
	v_dual_mov_b32 v2, 0 :: v_dual_mov_b32 v3, 0
	global_load_b32 v142, v21, s[46:47]
	s_lshl_b64 s[46:47], s[54:55], 1
	s_delay_alu instid0(SALU_CYCLE_1)
	v_add_co_u32 v0, vcc_lo, v123, s46
	v_add_co_ci_u32_e32 v1, vcc_lo, s47, v124, vcc_lo
	s_and_saveexec_b32 s46, s13
	s_cbranch_execz .LBB58_111
; %bb.110:                              ;   in Loop: Header=BB58_109 Depth=2
	global_load_u16 v3, v[0:1], off
.LBB58_111:                             ;   in Loop: Header=BB58_109 Depth=2
	s_or_b32 exec_lo, exec_lo, s46
	s_and_saveexec_b32 s46, s14
	s_cbranch_execz .LBB58_113
; %bb.112:                              ;   in Loop: Header=BB58_109 Depth=2
	global_load_u16 v2, v[0:1], off offset:64
.LBB58_113:                             ;   in Loop: Header=BB58_109 Depth=2
	s_or_b32 exec_lo, exec_lo, s46
	v_dual_mov_b32 v4, 0 :: v_dual_mov_b32 v5, 0
	s_and_saveexec_b32 s46, s15
	s_cbranch_execz .LBB58_115
; %bb.114:                              ;   in Loop: Header=BB58_109 Depth=2
	global_load_u16 v5, v[0:1], off offset:128
.LBB58_115:                             ;   in Loop: Header=BB58_109 Depth=2
	s_or_b32 exec_lo, exec_lo, s46
	s_and_saveexec_b32 s46, s16
	s_cbranch_execz .LBB58_117
; %bb.116:                              ;   in Loop: Header=BB58_109 Depth=2
	global_load_u16 v4, v[0:1], off offset:192
.LBB58_117:                             ;   in Loop: Header=BB58_109 Depth=2
	s_or_b32 exec_lo, exec_lo, s46
	v_dual_mov_b32 v6, 0 :: v_dual_mov_b32 v7, 0
	s_and_saveexec_b32 s46, s17
	s_cbranch_execz .LBB58_119
; %bb.118:                              ;   in Loop: Header=BB58_109 Depth=2
	global_load_u16 v7, v[0:1], off offset:256
.LBB58_119:                             ;   in Loop: Header=BB58_109 Depth=2
	;; [unrolled: 13-line block ×7, first 2 shown]
	s_or_b32 exec_lo, exec_lo, s46
	s_and_saveexec_b32 s46, s28
	s_cbranch_execz .LBB58_141
; %bb.140:                              ;   in Loop: Header=BB58_109 Depth=2
	global_load_u16 v16, v[0:1], off offset:960
.LBB58_141:                             ;   in Loop: Header=BB58_109 Depth=2
	s_or_b32 exec_lo, exec_lo, s46
	s_waitcnt vmcnt(0)
	ds_store_b16 v37, v3
	ds_store_b16 v37, v2 offset:64
	ds_store_b16 v38, v5 offset:128
	ds_store_b16 v39, v4 offset:192
	ds_store_b16 v40, v7 offset:256
	ds_store_b16 v41, v6 offset:320
	ds_store_b16 v42, v9 offset:384
	ds_store_b16 v43, v8 offset:448
	ds_store_b16 v44, v11 offset:512
	ds_store_b16 v45, v10 offset:576
	ds_store_b16 v46, v13 offset:640
	ds_store_b16 v47, v12 offset:704
	ds_store_b16 v48, v15 offset:768
	ds_store_b16 v49, v14 offset:832
	ds_store_b16 v50, v17 offset:896
	ds_store_b16 v51, v16 offset:960
	; wave barrier
	ds_load_b128 v[12:15], v52
	ds_load_b128 v[8:11], v52 offset:16
	s_mov_b32 s59, s65
	v_dual_mov_b32 v2, 0 :: v_dual_mov_b32 v3, 0
	s_lshl_b64 s[46:47], s[58:59], 1
	s_delay_alu instid0(SALU_CYCLE_1)
	v_add_co_u32 v0, vcc_lo, v125, s46
	v_add_co_ci_u32_e32 v1, vcc_lo, s47, v126, vcc_lo
	s_and_saveexec_b32 s46, s13
	s_cbranch_execz .LBB58_143
; %bb.142:                              ;   in Loop: Header=BB58_109 Depth=2
	global_load_u16 v3, v[0:1], off
.LBB58_143:                             ;   in Loop: Header=BB58_109 Depth=2
	s_or_b32 exec_lo, exec_lo, s46
	s_and_saveexec_b32 s46, s14
	s_cbranch_execz .LBB58_145
; %bb.144:                              ;   in Loop: Header=BB58_109 Depth=2
	global_load_u16 v2, v[0:1], off offset:64
.LBB58_145:                             ;   in Loop: Header=BB58_109 Depth=2
	s_or_b32 exec_lo, exec_lo, s46
	v_dual_mov_b32 v4, 0 :: v_dual_mov_b32 v5, 0
	s_and_saveexec_b32 s46, s15
	s_cbranch_execz .LBB58_147
; %bb.146:                              ;   in Loop: Header=BB58_109 Depth=2
	global_load_u16 v5, v[0:1], off offset:128
.LBB58_147:                             ;   in Loop: Header=BB58_109 Depth=2
	s_or_b32 exec_lo, exec_lo, s46
	s_and_saveexec_b32 s46, s16
	s_cbranch_execz .LBB58_149
; %bb.148:                              ;   in Loop: Header=BB58_109 Depth=2
	global_load_u16 v4, v[0:1], off offset:192
.LBB58_149:                             ;   in Loop: Header=BB58_109 Depth=2
	s_or_b32 exec_lo, exec_lo, s46
	v_dual_mov_b32 v6, 0 :: v_dual_mov_b32 v7, 0
	s_and_saveexec_b32 s46, s17
	s_cbranch_execz .LBB58_151
; %bb.150:                              ;   in Loop: Header=BB58_109 Depth=2
	global_load_u16 v7, v[0:1], off offset:256
.LBB58_151:                             ;   in Loop: Header=BB58_109 Depth=2
	;; [unrolled: 13-line block ×7, first 2 shown]
	s_or_b32 exec_lo, exec_lo, s46
	s_and_saveexec_b32 s46, s28
	s_cbranch_execz .LBB58_173
; %bb.172:                              ;   in Loop: Header=BB58_109 Depth=2
	global_load_u16 v149, v[0:1], off offset:960
.LBB58_173:                             ;   in Loop: Header=BB58_109 Depth=2
	s_or_b32 exec_lo, exec_lo, s46
	s_waitcnt vmcnt(0)
	ds_store_b16 v37, v3 offset:4224
	ds_store_b16 v53, v2 offset:64
	;; [unrolled: 1-line block ×16, first 2 shown]
	; wave barrier
	ds_load_b128 v[4:7], v52 offset:4224
	ds_load_b128 v[0:3], v68 offset:16
	s_and_not1_b32 vcc_lo, exec_lo, s51
	s_cbranch_vccnz .LBB58_175
; %bb.174:                              ;   in Loop: Header=BB58_109 Depth=2
	v_mov_b32_e32 v16, s89
	ds_load_b64 v[16:17], v16
	s_cbranch_execz .LBB58_176
	s_branch .LBB58_179
.LBB58_175:                             ;   in Loop: Header=BB58_109 Depth=2
                                        ; implicit-def: $vgpr16
.LBB58_176:                             ;   in Loop: Header=BB58_109 Depth=2
	s_waitcnt lgkmcnt(0)
	v_mov_b32_e32 v17, 0
	s_and_not1_b32 vcc_lo, exec_lo, s66
	s_cbranch_vccnz .LBB58_178
; %bb.177:                              ;   in Loop: Header=BB58_109 Depth=2
	s_mov_b32 s61, s65
	s_delay_alu instid0(SALU_CYCLE_1) | instskip(NEXT) | instid1(SALU_CYCLE_1)
	s_lshl_b64 s[46:47], s[60:61], 2
	s_add_u32 s46, s76, s46
	s_addc_u32 s47, s77, s47
	global_load_b32 v17, v21, s[46:47]
.LBB58_178:                             ;   in Loop: Header=BB58_109 Depth=2
	v_mov_b32_e32 v16, 1.0
.LBB58_179:                             ;   in Loop: Header=BB58_109 Depth=2
	s_waitcnt lgkmcnt(19)
	v_dual_mul_f32 v164, 0x3fb8aa3b, v142 :: v_dual_lshlrev_b32 v143, 16, v12
	v_and_b32_e32 v12, 0xffff0000, v12
	v_lshlrev_b32_e32 v142, 16, v13
	v_and_b32_e32 v146, 0xffff0000, v13
	v_lshlrev_b32_e32 v149, 16, v14
	v_mul_f32_e32 v13, v164, v90
	v_dual_mul_f32 v14, v164, v91 :: v_dual_and_b32 v151, 0xffff0000, v14
	v_dual_mul_f32 v145, v164, v93 :: v_dual_lshlrev_b32 v152, 16, v15
	s_delay_alu instid0(VALU_DEP_3) | instskip(SKIP_1) | instid1(VALU_DEP_4)
	v_cmp_gt_f32_e32 vcc_lo, 0xc2fc0000, v13
	v_dual_mul_f32 v12, v140, v12 :: v_dual_and_b32 v155, 0xffff0000, v15
	v_cmp_gt_f32_e64 s46, 0xc2fc0000, v14
	v_mul_f32_e32 v15, v164, v92
	v_cndmask_b32_e64 v13, 0, 0x42800000, vcc_lo
	v_cndmask_b32_e64 v144, 1.0, 0x1f800000, vcc_lo
	s_waitcnt lgkmcnt(18)
	v_lshlrev_b32_e32 v161, 16, v10
	v_cndmask_b32_e64 v14, 0, 0x42800000, s46
	v_mul_f32_e32 v143, v141, v143
	v_fmac_f32_e32 v13, v164, v90
	v_dual_mul_f32 v142, v139, v142 :: v_dual_lshlrev_b32 v157, 16, v8
	v_and_b32_e32 v8, 0xffff0000, v8
	v_fmac_f32_e32 v14, v164, v91
	s_delay_alu instid0(VALU_DEP_4) | instskip(SKIP_2) | instid1(VALU_DEP_3)
	v_exp_f32_e32 v13, v13
	v_cmp_gt_f32_e32 vcc_lo, 0xc2fc0000, v15
	v_dual_mul_f32 v151, v136, v151 :: v_dual_and_b32 v10, 0xffff0000, v10
	v_exp_f32_e32 v14, v14
	v_dual_mul_f32 v157, v133, v157 :: v_dual_mul_f32 v8, v132, v8
	v_cndmask_b32_e64 v15, 0, 0x42800000, vcc_lo
	v_lshlrev_b32_e32 v166, 16, v11
	v_and_b32_e32 v11, 0xffff0000, v11
	s_delay_alu instid0(TRANS32_DEP_2)
	v_mul_f32_e32 v13, v13, v144
	v_cndmask_b32_e64 v144, 0, v143, s29
	v_cndmask_b32_e64 v143, 1.0, 0x1f800000, s46
	v_cmp_gt_f32_e64 s46, 0xc2fc0000, v145
	v_fmac_f32_e32 v15, v164, v92
	v_cndmask_b32_e64 v145, 1.0, v13, s29
	v_cndmask_b32_e64 v12, 0, v12, s30
	v_mul_f32_e32 v13, v14, v143
	v_cndmask_b32_e64 v147, 0, 0x42800000, s46
	v_exp_f32_e32 v14, v15
	v_cndmask_b32_e64 v143, 1.0, 0x1f800000, vcc_lo
	v_lshlrev_b32_e32 v159, 16, v9
	v_mul_f32_e32 v15, v164, v94
	v_fmac_f32_e32 v147, v164, v93
	v_and_b32_e32 v9, 0xffff0000, v9
	v_mul_f32_e32 v167, v164, v103
	v_mul_f32_e32 v169, v164, v121
	v_cmp_gt_f32_e32 vcc_lo, 0xc2fc0000, v15
	v_exp_f32_e32 v150, v147
	v_mul_f32_e32 v14, v14, v143
	v_cndmask_b32_e64 v143, 1.0, 0x1f800000, s46
	v_mul_f32_e32 v153, v164, v97
	v_cndmask_b32_e64 v15, 0, 0x42800000, vcc_lo
	v_mul_f32_e32 v156, v164, v98
	v_cndmask_b32_e64 v148, 1.0, v14, s31
	v_mul_f32_e32 v14, v138, v146
	v_mul_f32_e32 v146, v164, v96
	v_fmac_f32_e32 v15, v164, v94
	v_mul_f32_e32 v143, v150, v143
	v_cmp_gt_f32_e64 s47, 0xc2fc0000, v153
	v_cndmask_b32_e64 v14, 0, v14, s33
	v_mul_f32_e32 v158, v164, v100
	v_exp_f32_e32 v15, v15
	v_cndmask_b32_e64 v150, 1.0, v143, s33
	v_cndmask_b32_e64 v143, 1.0, 0x1f800000, vcc_lo
	v_cmp_gt_f32_e32 vcc_lo, 0xc2fc0000, v146
	v_mul_f32_e32 v166, v127, v166
	v_dual_mul_f32 v10, v128, v10 :: v_dual_mul_f32 v11, v122, v11
	v_cndmask_b32_e64 v146, 0, 0x42800000, vcc_lo
	s_delay_alu instid0(TRANS32_DEP_1) | instskip(SKIP_2) | instid1(VALU_DEP_4)
	v_mul_f32_e32 v143, v15, v143
	v_mul_f32_e32 v15, v137, v149
	v_cndmask_b32_e64 v149, 0, 0x42800000, s47
	v_fmac_f32_e32 v146, v164, v96
	v_cndmask_b32_e64 v147, 1.0, v13, s30
	v_cndmask_b32_e64 v13, 0, v142, s31
	v_mul_f32_e32 v142, v164, v95
	v_cndmask_b32_e64 v153, 1.0, v143, s34
	v_exp_f32_e32 v146, v146
	v_fma_f32 v165, v147, v144, v12
	v_cndmask_b32_e64 v15, 0, v15, s34
	v_cmp_gt_f32_e64 s46, 0xc2fc0000, v142
	s_delay_alu instid0(VALU_DEP_1) | instskip(SKIP_1) | instid1(VALU_DEP_2)
	v_cndmask_b32_e64 v142, 0, 0x42800000, s46
	v_cndmask_b32_e64 v154, 1.0, 0x1f800000, s46
	v_fmac_f32_e32 v142, v164, v95
	s_delay_alu instid0(VALU_DEP_1)
	v_exp_f32_e32 v142, v142
	s_waitcnt_depctr 0xfff
	v_mul_f32_e32 v143, v142, v154
	v_cndmask_b32_e64 v142, 0, v151, s35
	v_cndmask_b32_e64 v151, 1.0, 0x1f800000, vcc_lo
	v_cmp_gt_f32_e32 vcc_lo, 0xc2fc0000, v156
	v_mul_f32_e32 v156, v134, v155
	v_cndmask_b32_e64 v154, 1.0, v143, s35
	s_delay_alu instid0(VALU_DEP_4)
	v_dual_mul_f32 v143, v135, v152 :: v_dual_mul_f32 v146, v146, v151
	v_cndmask_b32_e64 v151, 1.0, 0x1f800000, s47
	v_cmp_gt_f32_e64 s47, 0xc2fc0000, v158
	v_mul_f32_e32 v158, v164, v101
	v_cndmask_b32_e64 v152, 0, 0x42800000, vcc_lo
	v_cndmask_b32_e64 v160, 1.0, 0x1f800000, vcc_lo
	v_cndmask_b32_e64 v155, 1.0, v146, s36
	v_cndmask_b32_e64 v146, 0, v156, s37
	v_cmp_gt_f32_e32 vcc_lo, 0xc2fc0000, v158
	v_fmac_f32_e32 v152, v164, v98
	v_cndmask_b32_e64 v143, 0, v143, s36
	v_cndmask_b32_e64 v162, 0, 0x42800000, vcc_lo
	v_cndmask_b32_e64 v163, 1.0, 0x1f800000, vcc_lo
	s_delay_alu instid0(VALU_DEP_2) | instskip(NEXT) | instid1(VALU_DEP_1)
	v_fmac_f32_e32 v162, v164, v101
	v_exp_f32_e32 v162, v162
	v_fmac_f32_e32 v149, v164, v97
	s_delay_alu instid0(VALU_DEP_1) | instskip(SKIP_3) | instid1(VALU_DEP_2)
	v_exp_f32_e32 v149, v149
	s_waitcnt_depctr 0xfff
	v_mul_f32_e32 v149, v149, v151
	v_mul_f32_e32 v151, v164, v99
	v_cndmask_b32_e64 v156, 1.0, v149, s37
	s_delay_alu instid0(VALU_DEP_2) | instskip(SKIP_2) | instid1(VALU_DEP_2)
	v_cmp_gt_f32_e64 s46, 0xc2fc0000, v151
	v_exp_f32_e32 v149, v152
	v_cndmask_b32_e64 v152, 0, 0x42800000, s47
	v_cndmask_b32_e64 v151, 0, 0x42800000, s46
	s_delay_alu instid0(VALU_DEP_2)
	v_fmac_f32_e32 v152, v164, v100
	s_waitcnt_depctr 0xfff
	v_dual_fmac_f32 v151, v164, v99 :: v_dual_mul_f32 v158, v149, v160
	v_cndmask_b32_e64 v149, 0, v157, s38
	v_exp_f32_e32 v152, v152
	v_cndmask_b32_e64 v157, 1.0, 0x1f800000, s46
	s_delay_alu instid0(VALU_DEP_3) | instskip(SKIP_3) | instid1(VALU_DEP_2)
	v_exp_f32_e32 v151, v151
	v_cndmask_b32_e64 v160, 1.0, 0x1f800000, s47
	v_cmp_gt_f32_e64 s46, 0xc2fc0000, v167
	v_cndmask_b32_e64 v158, 1.0, v158, s38
	v_cndmask_b32_e64 v167, 1.0, 0x1f800000, s46
	s_waitcnt_depctr 0xfff
	v_dual_mul_f32 v160, v152, v160 :: v_dual_mul_f32 v157, v151, v157
	v_cndmask_b32_e64 v151, 0, v8, s39
	v_mul_f32_e32 v8, v131, v159
	s_delay_alu instid0(VALU_DEP_3) | instskip(NEXT) | instid1(VALU_DEP_4)
	v_cndmask_b32_e64 v160, 1.0, v160, s40
	v_cndmask_b32_e64 v159, 1.0, v157, s39
	v_mul_f32_e32 v157, v164, v102
	s_delay_alu instid0(VALU_DEP_4) | instskip(SKIP_1) | instid1(VALU_DEP_3)
	v_cndmask_b32_e64 v152, 0, v8, s40
	v_dual_mul_f32 v8, v162, v163 :: v_dual_mul_f32 v163, v147, v145
	v_cmp_gt_f32_e32 vcc_lo, 0xc2fc0000, v157
	s_delay_alu instid0(VALU_DEP_2) | instskip(SKIP_3) | instid1(VALU_DEP_3)
	v_cndmask_b32_e64 v168, 1.0, v8, s41
	v_cndmask_b32_e64 v162, 0, 0x42800000, vcc_lo
	v_mul_f32_e32 v9, v130, v9
	v_cndmask_b32_e64 v8, 1.0, 0x1f800000, vcc_lo
	v_fmac_f32_e32 v162, v164, v102
	s_delay_alu instid0(VALU_DEP_3)
	v_cndmask_b32_e64 v157, 0, v9, s41
	v_mul_f32_e32 v9, v163, v148
	v_fma_f32 v163, v165, v148, v13
	v_cndmask_b32_e64 v165, 0, 0x42800000, s46
	v_exp_f32_e32 v162, v162
	v_cmp_gt_f32_e64 s46, 0xc2fc0000, v169
	v_mul_f32_e32 v9, v9, v150
	v_fma_f32 v163, v163, v150, v14
	v_fmac_f32_e32 v165, v164, v103
	s_delay_alu instid0(VALU_DEP_3) | instskip(NEXT) | instid1(VALU_DEP_3)
	v_mul_f32_e32 v9, v9, v153
	v_fma_f32 v163, v163, v153, v15
	s_delay_alu instid0(VALU_DEP_3)
	v_exp_f32_e32 v165, v165
	s_delay_alu instid0(TRANS32_DEP_2) | instid1(VALU_DEP_2)
	v_dual_mul_f32 v8, v162, v8 :: v_dual_mul_f32 v9, v9, v154
	s_delay_alu instid0(VALU_DEP_2) | instskip(NEXT) | instid1(VALU_DEP_2)
	v_fma_f32 v162, v163, v154, v142
	v_cndmask_b32_e64 v163, 1.0, v8, s42
	s_delay_alu instid0(VALU_DEP_3) | instskip(NEXT) | instid1(VALU_DEP_3)
	v_mul_f32_e32 v8, v9, v155
	v_fma_f32 v9, v162, v155, v143
	v_mul_f32_e32 v162, v164, v104
	s_delay_alu instid0(VALU_DEP_3) | instskip(NEXT) | instid1(VALU_DEP_3)
	v_mul_f32_e32 v8, v8, v156
	v_fma_f32 v9, v9, v156, v146
	s_delay_alu instid0(VALU_DEP_3)
	v_cmp_gt_f32_e32 vcc_lo, 0xc2fc0000, v162
	v_mul_f32_e32 v161, v129, v161
	v_cndmask_b32_e64 v162, 0, v10, s43
	v_mul_f32_e32 v8, v8, v158
	v_fma_f32 v9, v9, v158, v149
	v_cndmask_b32_e64 v10, 0, 0x42800000, s46
	v_mul_f32_e32 v165, v165, v167
	v_cndmask_b32_e64 v167, 0, 0x42800000, vcc_lo
	v_mul_f32_e32 v8, v8, v159
	v_fma_f32 v9, v9, v159, v151
	v_fmac_f32_e32 v10, v164, v121
	v_cndmask_b32_e64 v161, 0, v161, s42
	v_fmac_f32_e32 v167, v164, v104
	v_mul_f32_e32 v8, v8, v160
	v_fma_f32 v9, v9, v160, v152
	v_cndmask_b32_e64 v164, 1.0, 0x1f800000, vcc_lo
	v_exp_f32_e32 v10, v10
	v_exp_f32_e32 v167, v167
	v_mul_f32_e32 v8, v8, v168
	v_fma_f32 v9, v9, v168, v157
	v_cndmask_b32_e64 v165, 1.0, v165, s43
	s_delay_alu instid0(VALU_DEP_3) | instskip(NEXT) | instid1(VALU_DEP_3)
	v_mul_f32_e32 v8, v8, v163
	v_fma_f32 v9, v9, v163, v161
	s_waitcnt_depctr 0xfff
	v_mul_f32_e32 v167, v167, v164
	v_cndmask_b32_e64 v164, 0, v166, s44
	v_cndmask_b32_e64 v166, 1.0, 0x1f800000, s46
	v_mul_f32_e32 v8, v8, v165
	v_fma_f32 v9, v9, v165, v162
	v_cndmask_b32_e64 v167, 1.0, v167, s44
	s_delay_alu instid0(VALU_DEP_4) | instskip(SKIP_1) | instid1(VALU_DEP_3)
	v_mul_f32_e32 v10, v10, v166
	v_cndmask_b32_e64 v166, 0, v11, s45
	v_mul_f32_e32 v8, v8, v167
	v_fma_f32 v9, v9, v167, v164
	s_delay_alu instid0(VALU_DEP_4) | instskip(NEXT) | instid1(VALU_DEP_1)
	v_cndmask_b32_e64 v169, 1.0, v10, s45
	v_mul_f32_e32 v8, v8, v169
	s_delay_alu instid0(VALU_DEP_3) | instskip(NEXT) | instid1(VALU_DEP_2)
	v_fma_f32 v9, v9, v169, v166
	v_mov_b32_dpp v11, v8 row_shr:1 row_mask:0xf bank_mask:0xf
	s_delay_alu instid0(VALU_DEP_2)
	v_mov_b32_dpp v10, v9 row_shr:1 row_mask:0xf bank_mask:0xf
	s_and_saveexec_b32 s46, s0
; %bb.180:                              ;   in Loop: Header=BB58_109 Depth=2
	s_delay_alu instid0(VALU_DEP_2) | instskip(NEXT) | instid1(VALU_DEP_1)
	v_mul_f32_e32 v11, v8, v11
	v_dual_fmac_f32 v9, v8, v10 :: v_dual_mov_b32 v8, v11
; %bb.181:                              ;   in Loop: Header=BB58_109 Depth=2
	s_or_b32 exec_lo, exec_lo, s46
	s_delay_alu instid0(VALU_DEP_1) | instskip(NEXT) | instid1(VALU_DEP_2)
	v_mov_b32_dpp v10, v8 row_shr:2 row_mask:0xf bank_mask:0xf
	v_mov_b32_dpp v11, v9 row_shr:2 row_mask:0xf bank_mask:0xf
	s_and_saveexec_b32 s46, s1
; %bb.182:                              ;   in Loop: Header=BB58_109 Depth=2
	s_delay_alu instid0(VALU_DEP_1) | instskip(NEXT) | instid1(VALU_DEP_3)
	v_fmac_f32_e32 v9, v8, v11
	v_mul_f32_e32 v8, v8, v10
; %bb.183:                              ;   in Loop: Header=BB58_109 Depth=2
	s_or_b32 exec_lo, exec_lo, s46
	s_delay_alu instid0(VALU_DEP_1) | instskip(NEXT) | instid1(VALU_DEP_3)
	v_mov_b32_dpp v10, v8 row_shr:4 row_mask:0xf bank_mask:0xf
	v_mov_b32_dpp v11, v9 row_shr:4 row_mask:0xf bank_mask:0xf
	s_and_saveexec_b32 s46, s2
; %bb.184:                              ;   in Loop: Header=BB58_109 Depth=2
	s_delay_alu instid0(VALU_DEP_1) | instskip(NEXT) | instid1(VALU_DEP_3)
	v_fmac_f32_e32 v9, v8, v11
	v_mul_f32_e32 v8, v8, v10
; %bb.185:                              ;   in Loop: Header=BB58_109 Depth=2
	s_or_b32 exec_lo, exec_lo, s46
	s_delay_alu instid0(VALU_DEP_1) | instskip(NEXT) | instid1(VALU_DEP_3)
	v_mov_b32_dpp v10, v8 row_shr:8 row_mask:0xf bank_mask:0xf
	v_mov_b32_dpp v11, v9 row_shr:8 row_mask:0xf bank_mask:0xf
	s_and_saveexec_b32 s46, s3
; %bb.186:                              ;   in Loop: Header=BB58_109 Depth=2
	s_delay_alu instid0(VALU_DEP_1) | instskip(NEXT) | instid1(VALU_DEP_3)
	v_fmac_f32_e32 v9, v8, v11
	v_mul_f32_e32 v8, v8, v10
; %bb.187:                              ;   in Loop: Header=BB58_109 Depth=2
	s_or_b32 exec_lo, exec_lo, s46
	ds_swizzle_b32 v11, v8 offset:swizzle(BROADCAST,32,15)
	ds_swizzle_b32 v10, v9 offset:swizzle(BROADCAST,32,15)
	s_and_saveexec_b32 s46, s4
	s_cbranch_execz .LBB58_189
; %bb.188:                              ;   in Loop: Header=BB58_109 Depth=2
	s_waitcnt lgkmcnt(1)
	v_mul_f32_e32 v11, v8, v11
	s_waitcnt lgkmcnt(0)
	s_delay_alu instid0(VALU_DEP_1)
	v_dual_fmac_f32 v9, v8, v10 :: v_dual_mov_b32 v8, v11
.LBB58_189:                             ;   in Loop: Header=BB58_109 Depth=2
	s_or_b32 exec_lo, exec_lo, s46
	s_and_saveexec_b32 s46, s5
	s_cbranch_execz .LBB58_191
; %bb.190:                              ;   in Loop: Header=BB58_109 Depth=2
	ds_store_b64 v69, v[8:9] offset:8448
.LBB58_191:                             ;   in Loop: Header=BB58_109 Depth=2
	s_or_b32 exec_lo, exec_lo, s46
	s_waitcnt vmcnt(0) lgkmcnt(0)
	s_waitcnt_vscnt null, 0x0
	s_barrier
	buffer_gl0_inv
	s_and_saveexec_b32 s46, s6
	s_cbranch_execz .LBB58_195
; %bb.192:                              ;   in Loop: Header=BB58_109 Depth=2
	ds_load_b64 v[10:11], v70 offset:8448
	s_waitcnt lgkmcnt(0)
	v_mov_b32_dpp v172, v10 row_shr:1 row_mask:0xf bank_mask:0xf
	v_mov_b32_dpp v171, v11 row_shr:1 row_mask:0xf bank_mask:0xf
	v_mov_b32_e32 v170, v10
	s_and_saveexec_b32 s47, s7
; %bb.193:                              ;   in Loop: Header=BB58_109 Depth=2
	s_delay_alu instid0(VALU_DEP_3) | instskip(NEXT) | instid1(VALU_DEP_3)
	v_mul_f32_e32 v170, v10, v172
	v_fmac_f32_e32 v11, v10, v171
	s_delay_alu instid0(VALU_DEP_2)
	v_mov_b32_e32 v10, v170
; %bb.194:                              ;   in Loop: Header=BB58_109 Depth=2
	s_or_b32 exec_lo, exec_lo, s47
	v_mov_b32_dpp v170, v170 row_shr:2 row_mask:0xf bank_mask:0xf
	s_delay_alu instid0(VALU_DEP_3) | instskip(NEXT) | instid1(VALU_DEP_2)
	v_mov_b32_dpp v171, v11 row_shr:2 row_mask:0xf bank_mask:0xf
	v_mul_f32_e32 v170, v10, v170
	s_delay_alu instid0(VALU_DEP_2) | instskip(NEXT) | instid1(VALU_DEP_2)
	v_fma_f32 v171, v10, v171, v11
	v_cndmask_b32_e64 v10, v10, v170, s8
	s_delay_alu instid0(VALU_DEP_2)
	v_cndmask_b32_e64 v11, v11, v171, s8
	ds_store_b64 v70, v[10:11] offset:8448
.LBB58_195:                             ;   in Loop: Header=BB58_109 Depth=2
	s_or_b32 exec_lo, exec_lo, s46
	s_waitcnt lgkmcnt(0)
	s_barrier
	buffer_gl0_inv
                                        ; implicit-def: $vgpr11
	s_and_saveexec_b32 s46, s10
	s_cbranch_execz .LBB58_197
; %bb.196:                              ;   in Loop: Header=BB58_109 Depth=2
	ds_load_b64 v[10:11], v69 offset:8440
	s_waitcnt lgkmcnt(0)
	v_mul_f32_e32 v170, v8, v10
	s_delay_alu instid0(VALU_DEP_1)
	v_dual_fmac_f32 v9, v8, v11 :: v_dual_mov_b32 v8, v170
.LBB58_197:                             ;   in Loop: Header=BB58_109 Depth=2
	s_or_b32 exec_lo, exec_lo, s46
	ds_bpermute_b32 v170, v71, v8
	ds_bpermute_b32 v171, v71, v9
	s_and_saveexec_b32 s46, s9
	s_cbranch_execz .LBB58_201
; %bb.198:                              ;   in Loop: Header=BB58_109 Depth=2
	ds_load_b64 v[8:9], v21 offset:8472
	s_and_saveexec_b32 s47, s11
	s_cbranch_execz .LBB58_200
; %bb.199:                              ;   in Loop: Header=BB58_109 Depth=2
	ds_store_b64 v21, v[16:17] offset:8472
.LBB58_200:                             ;   in Loop: Header=BB58_109 Depth=2
	s_or_b32 exec_lo, exec_lo, s47
	s_waitcnt lgkmcnt(0)
	v_fmac_f32_e32 v9, v17, v8
	s_delay_alu instid0(VALU_DEP_1)
	v_dual_mul_f32 v16, v16, v8 :: v_dual_mov_b32 v17, v9
.LBB58_201:                             ;   in Loop: Header=BB58_109 Depth=2
	s_or_b32 exec_lo, exec_lo, s46
	s_waitcnt lgkmcnt(0)
	s_barrier
	buffer_gl0_inv
	ds_load_b32 v8, v21 offset:8476
	s_and_saveexec_b32 s46, s11
	s_cbranch_execz .LBB58_108
; %bb.202:                              ;   in Loop: Header=BB58_109 Depth=2
	v_mov_b32_e32 v9, s89
	s_and_not1_b32 vcc_lo, exec_lo, s87
	ds_store_b64 v9, v[16:17]
	s_cbranch_vccnz .LBB58_108
; %bb.203:                              ;   in Loop: Header=BB58_109 Depth=2
	s_mov_b32 s61, s65
	s_delay_alu instid0(SALU_CYCLE_1) | instskip(NEXT) | instid1(SALU_CYCLE_1)
	s_lshl_b64 s[90:91], s[60:61], 2
	s_add_u32 s90, s76, s90
	s_addc_u32 s91, s77, s91
	global_store_b32 v21, v17, s[90:91]
	s_branch .LBB58_108
.LBB58_204:                             ;   in Loop: Header=BB58_12 Depth=1
	v_bfe_u32 v0, v120, 16, 1
	v_bfe_u32 v1, v119, 16, 1
	v_cmp_o_f32_e32 vcc_lo, v120, v120
	v_bfe_u32 v2, v118, 16, 1
	v_bfe_u32 v4, v114, 16, 1
	v_add3_u32 v0, v120, v0, 0x7fff
	v_add3_u32 v1, v119, v1, 0x7fff
	v_bfe_u32 v7, v116, 16, 1
	v_add3_u32 v2, v118, v2, 0x7fff
	v_bfe_u32 v6, v115, 16, 1
	v_lshrrev_b32_e32 v0, 16, v0
	v_lshrrev_b32_e32 v1, 16, v1
	v_add3_u32 v4, v114, v4, 0x7fff
	v_lshrrev_b32_e32 v2, 16, v2
	v_add3_u32 v7, v116, v7, 0x7fff
	v_cndmask_b32_e32 v0, 0x7fc0, v0, vcc_lo
	v_cmp_o_f32_e32 vcc_lo, v119, v119
	v_add3_u32 v6, v115, v6, 0x7fff
	v_bfe_u32 v3, v113, 16, 1
	v_bfe_u32 v10, v109, 16, 1
	;; [unrolled: 1-line block ×3, first 2 shown]
	v_cndmask_b32_e32 v5, 0x7fc0, v1, vcc_lo
	v_bfe_u32 v1, v117, 16, 1
	v_cmp_o_f32_e32 vcc_lo, v118, v118
	v_lshrrev_b32_e32 v6, 16, v6
	v_add3_u32 v3, v113, v3, 0x7fff
	v_bfe_u32 v12, v111, 16, 1
	v_add3_u32 v1, v117, v1, 0x7fff
	v_cndmask_b32_e32 v8, 0x7fc0, v2, vcc_lo
	v_cmp_o_f32_e32 vcc_lo, v117, v117
	v_lshrrev_b32_e32 v2, 16, v4
	v_lshrrev_b32_e32 v4, 16, v7
	v_lshrrev_b32_e32 v1, 16, v1
	v_lshrrev_b32_e32 v3, 16, v3
	v_bfe_u32 v7, v112, 16, 1
	v_add3_u32 v11, v106, v11, 0x7fff
	v_perm_b32 v0, v5, v0, 0x5040100
	v_cndmask_b32_e32 v1, 0x7fc0, v1, vcc_lo
	v_cmp_o_f32_e32 vcc_lo, v116, v116
	s_waitcnt_vscnt null, 0x0
	s_barrier
	buffer_gl0_inv
	s_mov_b32 s51, s65
	v_cndmask_b32_e32 v4, 0x7fc0, v4, vcc_lo
	v_cmp_o_f32_e32 vcc_lo, v115, v115
	s_lshl_b64 s[30:31], s[50:51], 1
	v_cndmask_b32_e32 v6, 0x7fc0, v6, vcc_lo
	v_cmp_o_f32_e32 vcc_lo, v114, v114
	v_cndmask_b32_e32 v2, 0x7fc0, v2, vcc_lo
	v_cmp_o_f32_e32 vcc_lo, v113, v113
	s_delay_alu instid0(VALU_DEP_2)
	v_perm_b32 v2, v2, v1, 0x5040100
	v_cndmask_b32_e32 v9, 0x7fc0, v3, vcc_lo
	v_perm_b32 v3, v6, v4, 0x5040100
	v_add3_u32 v6, v112, v7, 0x7fff
	v_bfe_u32 v7, v110, 16, 1
	v_cmp_o_f32_e32 vcc_lo, v112, v112
	v_perm_b32 v1, v9, v8, 0x5040100
	v_add3_u32 v8, v109, v10, 0x7fff
	v_lshrrev_b32_e32 v6, 16, v6
	v_add3_u32 v7, v110, v7, 0x7fff
	v_bfe_u32 v10, v105, 16, 1
	v_bfe_u32 v4, v108, 16, 1
	s_delay_alu instid0(VALU_DEP_4) | instskip(NEXT) | instid1(VALU_DEP_4)
	v_cndmask_b32_e32 v9, 0x7fc0, v6, vcc_lo
	v_lshrrev_b32_e32 v6, 16, v7
	v_lshrrev_b32_e32 v7, 16, v8
	v_bfe_u32 v8, v107, 16, 1
	v_cmp_o_f32_e32 vcc_lo, v110, v110
	v_add3_u32 v4, v108, v4, 0x7fff
	s_delay_alu instid0(VALU_DEP_3)
	v_add3_u32 v8, v107, v8, 0x7fff
	v_cndmask_b32_e32 v13, 0x7fc0, v6, vcc_lo
	v_cmp_o_f32_e32 vcc_lo, v109, v109
	v_add3_u32 v6, v105, v10, 0x7fff
	v_add3_u32 v10, v111, v12, 0x7fff
	v_lshrrev_b32_e32 v4, 16, v4
	v_cndmask_b32_e32 v12, 0x7fc0, v7, vcc_lo
	v_lshrrev_b32_e32 v7, 16, v8
	v_cmp_o_f32_e32 vcc_lo, v107, v107
	v_lshrrev_b32_e32 v8, 16, v11
	v_lshrrev_b32_e32 v10, 16, v10
	;; [unrolled: 1-line block ×3, first 2 shown]
	v_perm_b32 v5, v12, v13, 0x5040100
	v_cndmask_b32_e32 v11, 0x7fc0, v7, vcc_lo
	v_cmp_o_f32_e32 vcc_lo, v106, v106
	v_cndmask_b32_e32 v7, 0x7fc0, v8, vcc_lo
	v_cmp_o_f32_e32 vcc_lo, v111, v111
	;; [unrolled: 2-line block ×3, first 2 shown]
	s_delay_alu instid0(VALU_DEP_2) | instskip(SKIP_2) | instid1(VALU_DEP_2)
	v_perm_b32 v7, v8, v7, 0x5040100
	v_cndmask_b32_e32 v6, 0x7fc0, v6, vcc_lo
	v_cmp_o_f32_e32 vcc_lo, v108, v108
	v_perm_b32 v6, v6, v11, 0x5040100
	v_cndmask_b32_e32 v4, 0x7fc0, v4, vcc_lo
	s_delay_alu instid0(VALU_DEP_1)
	v_perm_b32 v4, v4, v9, 0x5040100
	ds_store_b128 v52, v[0:3]
	ds_store_b128 v52, v[4:7] offset:16
	; wave barrier
	ds_load_u16 v16, v37 offset:64
	ds_load_u16 v15, v38 offset:128
	;; [unrolled: 1-line block ×15, first 2 shown]
	v_add_co_u32 v0, vcc_lo, v72, s30
	v_add_co_ci_u32_e32 v1, vcc_lo, s31, v73, vcc_lo
	s_and_saveexec_b32 s29, s13
	s_cbranch_execnz .LBB58_222
; %bb.205:                              ;   in Loop: Header=BB58_12 Depth=1
	s_or_b32 exec_lo, exec_lo, s29
	s_and_saveexec_b32 s13, s14
	s_cbranch_execnz .LBB58_223
.LBB58_206:                             ;   in Loop: Header=BB58_12 Depth=1
	s_or_b32 exec_lo, exec_lo, s13
	s_and_saveexec_b32 s13, s15
	s_cbranch_execnz .LBB58_224
.LBB58_207:                             ;   in Loop: Header=BB58_12 Depth=1
	s_or_b32 exec_lo, exec_lo, s13
	s_and_saveexec_b32 s13, s16
	s_cbranch_execnz .LBB58_225
.LBB58_208:                             ;   in Loop: Header=BB58_12 Depth=1
	s_or_b32 exec_lo, exec_lo, s13
	s_and_saveexec_b32 s13, s17
	s_cbranch_execnz .LBB58_226
.LBB58_209:                             ;   in Loop: Header=BB58_12 Depth=1
	s_or_b32 exec_lo, exec_lo, s13
	s_and_saveexec_b32 s13, s18
	s_cbranch_execnz .LBB58_227
.LBB58_210:                             ;   in Loop: Header=BB58_12 Depth=1
	s_or_b32 exec_lo, exec_lo, s13
	s_and_saveexec_b32 s13, s19
	s_cbranch_execnz .LBB58_228
.LBB58_211:                             ;   in Loop: Header=BB58_12 Depth=1
	s_or_b32 exec_lo, exec_lo, s13
	s_and_saveexec_b32 s13, s20
	s_cbranch_execnz .LBB58_229
.LBB58_212:                             ;   in Loop: Header=BB58_12 Depth=1
	s_or_b32 exec_lo, exec_lo, s13
	s_and_saveexec_b32 s13, s21
	s_cbranch_execnz .LBB58_230
.LBB58_213:                             ;   in Loop: Header=BB58_12 Depth=1
	s_or_b32 exec_lo, exec_lo, s13
	s_and_saveexec_b32 s13, s22
	s_cbranch_execnz .LBB58_231
.LBB58_214:                             ;   in Loop: Header=BB58_12 Depth=1
	s_or_b32 exec_lo, exec_lo, s13
	s_and_saveexec_b32 s13, s23
	s_cbranch_execnz .LBB58_232
.LBB58_215:                             ;   in Loop: Header=BB58_12 Depth=1
	s_or_b32 exec_lo, exec_lo, s13
	s_and_saveexec_b32 s13, s24
	s_cbranch_execnz .LBB58_233
.LBB58_216:                             ;   in Loop: Header=BB58_12 Depth=1
	s_or_b32 exec_lo, exec_lo, s13
	s_and_saveexec_b32 s13, s25
	s_cbranch_execnz .LBB58_234
.LBB58_217:                             ;   in Loop: Header=BB58_12 Depth=1
	s_or_b32 exec_lo, exec_lo, s13
	s_and_saveexec_b32 s13, s26
	s_cbranch_execnz .LBB58_235
.LBB58_218:                             ;   in Loop: Header=BB58_12 Depth=1
	s_or_b32 exec_lo, exec_lo, s13
	s_and_saveexec_b32 s13, s27
	s_cbranch_execnz .LBB58_236
.LBB58_219:                             ;   in Loop: Header=BB58_12 Depth=1
	s_or_b32 exec_lo, exec_lo, s13
	s_and_saveexec_b32 s13, s28
	s_cbranch_execz .LBB58_11
	s_branch .LBB58_237
.LBB58_220:                             ;   in Loop: Header=BB58_12 Depth=1
	global_load_u16 v97, v[8:9], off offset:832
	s_or_b32 exec_lo, exec_lo, s29
	s_and_saveexec_b32 s29, s27
	s_cbranch_execz .LBB58_72
.LBB58_221:                             ;   in Loop: Header=BB58_12 Depth=1
	global_load_u16 v96, v[8:9], off offset:896
	s_or_b32 exec_lo, exec_lo, s29
	v_mov_b32_e32 v98, 0
	s_and_saveexec_b32 s29, s28
	s_cbranch_execnz .LBB58_73
	s_branch .LBB58_74
.LBB58_222:                             ;   in Loop: Header=BB58_12 Depth=1
	ds_load_u16 v17, v37
	s_waitcnt lgkmcnt(0)
	global_store_b16 v[0:1], v17, off
	s_or_b32 exec_lo, exec_lo, s29
	s_and_saveexec_b32 s13, s14
	s_cbranch_execz .LBB58_206
.LBB58_223:                             ;   in Loop: Header=BB58_12 Depth=1
	s_waitcnt lgkmcnt(14)
	global_store_b16 v[0:1], v16, off offset:64
	s_or_b32 exec_lo, exec_lo, s13
	s_and_saveexec_b32 s13, s15
	s_cbranch_execz .LBB58_207
.LBB58_224:                             ;   in Loop: Header=BB58_12 Depth=1
	s_waitcnt lgkmcnt(13)
	global_store_b16 v[0:1], v15, off offset:128
	s_or_b32 exec_lo, exec_lo, s13
	s_and_saveexec_b32 s13, s16
	s_cbranch_execz .LBB58_208
.LBB58_225:                             ;   in Loop: Header=BB58_12 Depth=1
	s_waitcnt lgkmcnt(12)
	global_store_b16 v[0:1], v14, off offset:192
	s_or_b32 exec_lo, exec_lo, s13
	s_and_saveexec_b32 s13, s17
	s_cbranch_execz .LBB58_209
.LBB58_226:                             ;   in Loop: Header=BB58_12 Depth=1
	s_waitcnt lgkmcnt(11)
	global_store_b16 v[0:1], v13, off offset:256
	s_or_b32 exec_lo, exec_lo, s13
	s_and_saveexec_b32 s13, s18
	s_cbranch_execz .LBB58_210
.LBB58_227:                             ;   in Loop: Header=BB58_12 Depth=1
	s_waitcnt lgkmcnt(10)
	global_store_b16 v[0:1], v12, off offset:320
	s_or_b32 exec_lo, exec_lo, s13
	s_and_saveexec_b32 s13, s19
	s_cbranch_execz .LBB58_211
.LBB58_228:                             ;   in Loop: Header=BB58_12 Depth=1
	s_waitcnt lgkmcnt(9)
	global_store_b16 v[0:1], v11, off offset:384
	s_or_b32 exec_lo, exec_lo, s13
	s_and_saveexec_b32 s13, s20
	s_cbranch_execz .LBB58_212
.LBB58_229:                             ;   in Loop: Header=BB58_12 Depth=1
	s_waitcnt lgkmcnt(8)
	global_store_b16 v[0:1], v10, off offset:448
	s_or_b32 exec_lo, exec_lo, s13
	s_and_saveexec_b32 s13, s21
	s_cbranch_execz .LBB58_213
.LBB58_230:                             ;   in Loop: Header=BB58_12 Depth=1
	s_waitcnt lgkmcnt(7)
	global_store_b16 v[0:1], v9, off offset:512
	s_or_b32 exec_lo, exec_lo, s13
	s_and_saveexec_b32 s13, s22
	s_cbranch_execz .LBB58_214
.LBB58_231:                             ;   in Loop: Header=BB58_12 Depth=1
	s_waitcnt lgkmcnt(6)
	global_store_b16 v[0:1], v8, off offset:576
	s_or_b32 exec_lo, exec_lo, s13
	s_and_saveexec_b32 s13, s23
	s_cbranch_execz .LBB58_215
.LBB58_232:                             ;   in Loop: Header=BB58_12 Depth=1
	s_waitcnt lgkmcnt(5)
	global_store_b16 v[0:1], v7, off offset:640
	s_or_b32 exec_lo, exec_lo, s13
	s_and_saveexec_b32 s13, s24
	s_cbranch_execz .LBB58_216
.LBB58_233:                             ;   in Loop: Header=BB58_12 Depth=1
	s_waitcnt lgkmcnt(4)
	global_store_b16 v[0:1], v6, off offset:704
	s_or_b32 exec_lo, exec_lo, s13
	s_and_saveexec_b32 s13, s25
	s_cbranch_execz .LBB58_217
.LBB58_234:                             ;   in Loop: Header=BB58_12 Depth=1
	s_waitcnt lgkmcnt(3)
	global_store_b16 v[0:1], v5, off offset:768
	s_or_b32 exec_lo, exec_lo, s13
	s_and_saveexec_b32 s13, s26
	s_cbranch_execz .LBB58_218
.LBB58_235:                             ;   in Loop: Header=BB58_12 Depth=1
	s_waitcnt lgkmcnt(2)
	global_store_b16 v[0:1], v4, off offset:832
	s_or_b32 exec_lo, exec_lo, s13
	s_and_saveexec_b32 s13, s27
	s_cbranch_execz .LBB58_219
.LBB58_236:                             ;   in Loop: Header=BB58_12 Depth=1
	s_waitcnt lgkmcnt(1)
	global_store_b16 v[0:1], v3, off offset:896
	s_or_b32 exec_lo, exec_lo, s13
	s_and_saveexec_b32 s13, s28
	s_cbranch_execz .LBB58_11
.LBB58_237:                             ;   in Loop: Header=BB58_12 Depth=1
	s_waitcnt lgkmcnt(0)
	global_store_b16 v[0:1], v2, off offset:960
	s_branch .LBB58_11
.LBB58_238:
	s_nop 0
	s_sendmsg sendmsg(MSG_DEALLOC_VGPRS)
	s_endpgm
	.section	.rodata,"a",@progbits
	.p2align	6, 0x0
	.amdhsa_kernel _Z25selective_scan_fwd_kernelI32Selective_Scan_fwd_kernel_traitsILi128ELi16ELi1ELb1ELb1ELb1ELb0ELb1EN3c108BFloat16EffEEv13SSMParamsBase
		.amdhsa_group_segment_fixed_size 0
		.amdhsa_private_segment_fixed_size 0
		.amdhsa_kernarg_size 248
		.amdhsa_user_sgpr_count 14
		.amdhsa_user_sgpr_dispatch_ptr 0
		.amdhsa_user_sgpr_queue_ptr 0
		.amdhsa_user_sgpr_kernarg_segment_ptr 1
		.amdhsa_user_sgpr_dispatch_id 0
		.amdhsa_user_sgpr_private_segment_size 0
		.amdhsa_wavefront_size32 1
		.amdhsa_uses_dynamic_stack 0
		.amdhsa_enable_private_segment 0
		.amdhsa_system_sgpr_workgroup_id_x 1
		.amdhsa_system_sgpr_workgroup_id_y 1
		.amdhsa_system_sgpr_workgroup_id_z 0
		.amdhsa_system_sgpr_workgroup_info 0
		.amdhsa_system_vgpr_workitem_id 0
		.amdhsa_next_free_vgpr 173
		.amdhsa_next_free_sgpr 92
		.amdhsa_reserve_vcc 1
		.amdhsa_float_round_mode_32 0
		.amdhsa_float_round_mode_16_64 0
		.amdhsa_float_denorm_mode_32 3
		.amdhsa_float_denorm_mode_16_64 3
		.amdhsa_dx10_clamp 1
		.amdhsa_ieee_mode 1
		.amdhsa_fp16_overflow 0
		.amdhsa_workgroup_processor_mode 1
		.amdhsa_memory_ordered 1
		.amdhsa_forward_progress 0
		.amdhsa_shared_vgpr_count 0
		.amdhsa_exception_fp_ieee_invalid_op 0
		.amdhsa_exception_fp_denorm_src 0
		.amdhsa_exception_fp_ieee_div_zero 0
		.amdhsa_exception_fp_ieee_overflow 0
		.amdhsa_exception_fp_ieee_underflow 0
		.amdhsa_exception_fp_ieee_inexact 0
		.amdhsa_exception_int_div_zero 0
	.end_amdhsa_kernel
	.section	.text._Z25selective_scan_fwd_kernelI32Selective_Scan_fwd_kernel_traitsILi128ELi16ELi1ELb1ELb1ELb1ELb0ELb1EN3c108BFloat16EffEEv13SSMParamsBase,"axG",@progbits,_Z25selective_scan_fwd_kernelI32Selective_Scan_fwd_kernel_traitsILi128ELi16ELi1ELb1ELb1ELb1ELb0ELb1EN3c108BFloat16EffEEv13SSMParamsBase,comdat
.Lfunc_end58:
	.size	_Z25selective_scan_fwd_kernelI32Selective_Scan_fwd_kernel_traitsILi128ELi16ELi1ELb1ELb1ELb1ELb0ELb1EN3c108BFloat16EffEEv13SSMParamsBase, .Lfunc_end58-_Z25selective_scan_fwd_kernelI32Selective_Scan_fwd_kernel_traitsILi128ELi16ELi1ELb1ELb1ELb1ELb0ELb1EN3c108BFloat16EffEEv13SSMParamsBase
                                        ; -- End function
	.section	.AMDGPU.csdata,"",@progbits
; Kernel info:
; codeLenInByte = 21508
; NumSgprs: 94
; NumVgprs: 173
; ScratchSize: 0
; MemoryBound: 0
; FloatMode: 240
; IeeeMode: 1
; LDSByteSize: 0 bytes/workgroup (compile time only)
; SGPRBlocks: 11
; VGPRBlocks: 21
; NumSGPRsForWavesPerEU: 94
; NumVGPRsForWavesPerEU: 173
; Occupancy: 8
; WaveLimiterHint : 1
; COMPUTE_PGM_RSRC2:SCRATCH_EN: 0
; COMPUTE_PGM_RSRC2:USER_SGPR: 14
; COMPUTE_PGM_RSRC2:TRAP_HANDLER: 0
; COMPUTE_PGM_RSRC2:TGID_X_EN: 1
; COMPUTE_PGM_RSRC2:TGID_Y_EN: 1
; COMPUTE_PGM_RSRC2:TGID_Z_EN: 0
; COMPUTE_PGM_RSRC2:TIDIG_COMP_CNT: 0
	.section	.text._Z25selective_scan_fwd_kernelI32Selective_Scan_fwd_kernel_traitsILi128ELi16ELi1ELb1ELb1ELb1ELb0ELb0EN3c108BFloat16EffEEv13SSMParamsBase,"axG",@progbits,_Z25selective_scan_fwd_kernelI32Selective_Scan_fwd_kernel_traitsILi128ELi16ELi1ELb1ELb1ELb1ELb0ELb0EN3c108BFloat16EffEEv13SSMParamsBase,comdat
	.protected	_Z25selective_scan_fwd_kernelI32Selective_Scan_fwd_kernel_traitsILi128ELi16ELi1ELb1ELb1ELb1ELb0ELb0EN3c108BFloat16EffEEv13SSMParamsBase ; -- Begin function _Z25selective_scan_fwd_kernelI32Selective_Scan_fwd_kernel_traitsILi128ELi16ELi1ELb1ELb1ELb1ELb0ELb0EN3c108BFloat16EffEEv13SSMParamsBase
	.globl	_Z25selective_scan_fwd_kernelI32Selective_Scan_fwd_kernel_traitsILi128ELi16ELi1ELb1ELb1ELb1ELb0ELb0EN3c108BFloat16EffEEv13SSMParamsBase
	.p2align	8
	.type	_Z25selective_scan_fwd_kernelI32Selective_Scan_fwd_kernel_traitsILi128ELi16ELi1ELb1ELb1ELb1ELb0ELb0EN3c108BFloat16EffEEv13SSMParamsBase,@function
_Z25selective_scan_fwd_kernelI32Selective_Scan_fwd_kernel_traitsILi128ELi16ELi1ELb1ELb1ELb1ELb0ELb0EN3c108BFloat16EffEEv13SSMParamsBase: ; @_Z25selective_scan_fwd_kernelI32Selective_Scan_fwd_kernel_traitsILi128ELi16ELi1ELb1ELb1ELb1ELb0ELb0EN3c108BFloat16EffEEv13SSMParamsBase
; %bb.0:
	s_clause 0x1
	s_load_b32 s9, s[0:1], 0x18
	s_load_b128 s[4:7], s[0:1], 0xe8
	s_mov_b32 s54, s15
	s_mov_b32 s56, 0
	s_waitcnt lgkmcnt(0)
	s_abs_i32 s8, s9
	s_cmp_eq_u64 s[6:7], 0
	v_cvt_f32_u32_e32 v1, s8
	s_delay_alu instid0(VALU_DEP_1) | instskip(SKIP_2) | instid1(VALU_DEP_1)
	v_rcp_iflag_f32_e32 v1, v1
	s_waitcnt_depctr 0xfff
	v_mul_f32_e32 v1, 0x4f7ffffe, v1
	v_cvt_u32_f32_e32 v1, v1
	s_delay_alu instid0(VALU_DEP_1)
	v_readfirstlane_b32 s10, v1
	s_cbranch_scc1 .LBB59_2
; %bb.1:
	v_mov_b32_e32 v1, 0
	s_ashr_i32 s3, s14, 31
	s_add_u32 s2, s6, s14
	s_addc_u32 s3, s7, s3
	global_load_u8 v1, v1, s[2:3]
	s_waitcnt vmcnt(0)
	v_and_b32_e32 v1, 1, v1
	s_delay_alu instid0(VALU_DEP_1)
	v_cmp_eq_u32_e64 s56, 1, v1
.LBB59_2:
	s_load_b64 s[6:7], s[0:1], 0x20
	s_cmp_eq_u64 s[4:5], 0
	s_cbranch_scc1 .LBB59_4
; %bb.3:
	s_ashr_i32 s15, s14, 31
	s_delay_alu instid0(SALU_CYCLE_1) | instskip(NEXT) | instid1(SALU_CYCLE_1)
	s_lshl_b64 s[2:3], s[14:15], 2
	s_add_u32 s2, s4, s2
	s_addc_u32 s3, s5, s3
	s_load_b32 s2, s[2:3], 0x0
	s_waitcnt lgkmcnt(0)
	s_ashr_i32 s3, s2, 31
	s_delay_alu instid0(SALU_CYCLE_1)
	s_cmp_eq_u64 s[6:7], s[2:3]
	s_cbranch_scc0 .LBB59_5
	s_branch .LBB59_86
.LBB59_4:
	s_mov_b32 s2, s14
	s_delay_alu instid0(SALU_CYCLE_1)
	s_ashr_i32 s3, s2, 31
	s_waitcnt lgkmcnt(0)
	s_cmp_eq_u64 s[6:7], s[2:3]
	s_cbranch_scc1 .LBB59_86
.LBB59_5:
	s_clause 0x1
	s_load_b512 s[16:31], s[0:1], 0x88
	s_load_b64 s[34:35], s[0:1], 0x8
	s_mov_b32 s57, 0
	s_mov_b32 s58, 0
	s_waitcnt lgkmcnt(0)
	s_cmp_eq_u64 s[22:23], 0
	s_cbranch_scc1 .LBB59_7
; %bb.6:
	s_ashr_i32 s55, s54, 31
	s_delay_alu instid0(SALU_CYCLE_1) | instskip(NEXT) | instid1(SALU_CYCLE_1)
	s_lshl_b64 s[4:5], s[54:55], 2
	s_add_u32 s4, s22, s4
	s_addc_u32 s5, s23, s5
	s_load_b32 s58, s[4:5], 0x0
.LBB59_7:
	s_cmp_eq_u64 s[28:29], 0
	s_cbranch_scc1 .LBB59_9
; %bb.8:
	s_ashr_i32 s55, s54, 31
	s_delay_alu instid0(SALU_CYCLE_1) | instskip(NEXT) | instid1(SALU_CYCLE_1)
	s_lshl_b64 s[4:5], s[54:55], 2
	s_add_u32 s4, s28, s4
	s_addc_u32 s5, s29, s5
	s_load_b32 s57, s[4:5], 0x0
.LBB59_9:
	s_cmp_lt_i32 s34, 1
	s_cbranch_scc1 .LBB59_86
; %bb.10:
	s_sub_i32 s3, 0, s8
	s_clause 0x1
	s_load_b64 s[4:5], s[0:1], 0x5c
	s_load_b128 s[44:47], s[0:1], 0x4c
	s_mul_i32 s3, s3, s10
	s_abs_i32 s6, s54
	s_mul_hi_u32 s3, s10, s3
	s_ashr_i32 s9, s9, 31
	s_add_i32 s10, s10, s3
	s_ashr_i32 s3, s54, 31
	s_mul_hi_u32 s7, s6, s10
	s_xor_b32 s3, s3, s9
	s_mul_i32 s10, s7, s8
	s_add_i32 s9, s7, 1
	s_sub_i32 s6, s6, s10
	s_load_b256 s[36:43], s[0:1], 0x2c
	s_sub_i32 s10, s6, s8
	s_cmp_ge_u32 s6, s8
	s_mov_b32 s53, 0
	s_cselect_b32 s7, s9, s7
	s_cselect_b32 s6, s10, s6
	s_add_i32 s9, s7, 1
	s_cmp_ge_u32 s6, s8
	s_waitcnt lgkmcnt(0)
	s_mul_i32 s52, s46, s14
	s_cselect_b32 s6, s9, s7
	s_load_b128 s[48:51], s[0:1], 0x7c
	s_xor_b32 s8, s6, s3
	s_lshl_b64 s[6:7], s[52:53], 1
	s_sub_i32 s3, s8, s3
	s_mul_i32 s52, s47, s54
	s_add_u32 s8, s24, s6
	s_addc_u32 s9, s25, s7
	s_lshl_b64 s[6:7], s[52:53], 1
	s_mul_i32 s52, s4, s14
	s_add_u32 s55, s8, s6
	s_addc_u32 s59, s9, s7
	s_lshl_b64 s[6:7], s[52:53], 1
	s_mul_i32 s52, s5, s54
	s_add_u32 s6, s26, s6
	s_addc_u32 s7, s27, s7
	s_lshl_b64 s[4:5], s[52:53], 1
	s_mul_i32 s52, s36, s54
	s_add_u32 s60, s6, s4
	s_addc_u32 s36, s7, s5
	s_load_b64 s[6:7], s[0:1], 0xc8
	s_lshl_b64 s[4:5], s[52:53], 2
	s_mul_i32 s52, s38, s14
	s_add_u32 s61, s16, s4
	s_waitcnt lgkmcnt(0)
	s_addc_u32 s51, s17, s5
	s_load_b64 s[16:17], s[0:1], 0x6c
	s_lshl_b64 s[4:5], s[52:53], 1
	s_mul_i32 s52, s3, s41
	s_add_u32 s8, s18, s4
	s_addc_u32 s9, s19, s5
	s_lshl_b64 s[4:5], s[52:53], 1
	s_mul_i32 s52, s42, s14
	s_add_u32 s41, s8, s4
	s_addc_u32 s62, s9, s5
	;; [unrolled: 4-line block ×3, first 2 shown]
	s_lshl_b64 s[4:5], s[52:53], 1
	s_mul_i32 s52, s2, s48
	v_dual_mov_b32 v34, 0 :: v_dual_lshlrev_b32 v1, 1, v0
	s_add_u32 s45, s8, s4
	s_addc_u32 s63, s3, s5
	s_lshl_b64 s[2:3], s[52:53], 2
	v_mbcnt_lo_u32_b32 v2, -1, 0
	s_add_u32 s4, s6, s2
	s_load_b32 s6, s[0:1], 0x28
	v_and_b32_e32 v1, 0xc0, v1
	v_and_b32_e32 v4, 0x60, v0
	s_mul_i32 s52, s49, s54
	s_addc_u32 s5, s7, s3
	s_lshl_b64 s[2:3], s[52:53], 2
	v_or_b32_e32 v3, v2, v1
	s_add_u32 s64, s4, s2
	v_lshrrev_b32_e32 v5, 5, v1
	v_or_b32_e32 v7, v2, v4
	s_addc_u32 s65, s5, s3
	v_or_b32_e32 v6, 32, v3
	s_add_i32 s0, s34, 0x7ff
	v_add_nc_u32_e32 v5, v5, v3
	s_lshr_b32 s66, s0, 11
	v_cmp_gt_u32_e64 s0, 0x100, v3
	v_lshrrev_b32_e32 v8, 5, v6
	v_lshlrev_b32_e32 v9, 1, v7
	v_bfe_u32 v7, v7, 4, 27
	v_lshl_add_u32 v35, v5, 4, 0
	s_waitcnt lgkmcnt(0)
	s_bitcmp1_b32 s6, 0
	v_add_lshl_u32 v3, v8, v3, 4
	s_cselect_b32 s67, -1, 0
	s_cmp_gt_i32 s35, 0
	v_add_lshl_u32 v5, v7, v9, 4
	s_cselect_b32 s68, -1, 0
	s_add_i32 s2, 0, 0x1080
	v_add_nc_u32_e32 v36, 0, v3
	v_add_nc_u32_e32 v38, s2, v3
	v_and_b32_e32 v3, 15, v2
	s_and_b32 s3, s34, 0x7ff
	v_add_nc_u32_e32 v39, s2, v5
	s_cmp_eq_u32 s3, 0
	s_mul_i32 s52, s16, s14
	v_cmp_ne_u32_e64 s2, 0, v3
	v_cmp_lt_u32_e64 s3, 1, v3
	v_cmp_lt_u32_e64 s4, 3, v3
	;; [unrolled: 1-line block ×3, first 2 shown]
	v_add_nc_u32_e32 v3, -1, v2
	s_cselect_b32 s69, -1, 0
	s_lshl_b64 s[14:15], s[52:53], 1
	s_add_i32 s70, s66, -1
	s_mul_i32 s52, s17, s54
	v_cmp_gt_i32_e32 vcc_lo, 0, v3
	v_add_nc_u32_e32 v37, 0, v5
	v_lshlrev_b32_e32 v40, 4, v0
	v_lshrrev_b32_e32 v5, 2, v0
	v_cmp_gt_u32_e64 s8, 4, v0
	v_cndmask_b32_e32 v3, v3, v2, vcc_lo
	v_or_b32_e32 v4, 31, v4
	v_lshl_add_u32 v42, v0, 3, 0
	v_cmp_gt_u32_e64 s11, 32, v0
	v_cmp_lt_u32_e64 s12, 31, v0
	v_cmp_eq_u32_e64 s13, 0, v0
	v_cmp_eq_u32_e64 s7, v4, v0
	s_add_u32 s16, s30, s14
	v_lshlrev_b32_e32 v0, 4, v2
	s_addc_u32 s17, s31, s15
	s_lshl_b64 s[14:15], s[52:53], 1
	v_and_b32_e32 v4, 3, v2
	s_add_u32 s14, s16, s14
	v_lshlrev_b32_e32 v43, 2, v3
	s_addc_u32 s15, s17, s15
	v_lshlrev_b32_e32 v3, 4, v1
	v_add_co_u32 v0, s14, s14, v0
	v_cmp_gt_u32_e64 s1, 0x100, v6
	v_and_b32_e32 v6, 16, v2
	v_and_b32_e32 v5, 24, v5
	v_cmp_ne_u32_e64 s9, 0, v4
	v_cmp_lt_u32_e64 s10, 1, v4
	v_add_co_ci_u32_e64 v4, null, s15, 0, s14
	v_add_co_u32 v44, vcc_lo, v0, v3
	v_cmp_ne_u32_e64 s6, 0, v6
	v_add_nc_u32_e32 v41, 0, v5
	v_cmp_eq_u32_e64 s14, 0, v2
	v_add_co_ci_u32_e32 v45, vcc_lo, 0, v4, vcc_lo
	v_or_b32_e32 v46, 1, v40
	v_or_b32_e32 v47, 2, v40
	;; [unrolled: 1-line block ×15, first 2 shown]
	v_lshlrev_b32_e32 v61, 4, v2
	v_lshlrev_b32_e32 v62, 4, v1
	s_mov_b32 s54, 0x3e9b6dac
	s_add_i32 s71, 0, 0x2120
	s_mov_b32 s72, 0
                                        ; implicit-def: $vgpr4
                                        ; implicit-def: $vgpr0
                                        ; implicit-def: $vgpr12
                                        ; implicit-def: $vgpr8
	s_branch .LBB59_12
.LBB59_11:                              ;   in Loop: Header=BB59_12 Depth=1
	v_bfe_u32 v16, v93, 16, 1
	v_bfe_u32 v17, v92, 16, 1
	v_cmp_o_f32_e32 vcc_lo, v93, v93
	v_bfe_u32 v18, v91, 16, 1
	v_bfe_u32 v20, v87, 16, 1
	v_add3_u32 v16, v93, v16, 0x7fff
	v_add3_u32 v17, v92, v17, 0x7fff
	v_bfe_u32 v23, v89, 16, 1
	v_add3_u32 v18, v91, v18, 0x7fff
	v_bfe_u32 v22, v88, 16, 1
	v_lshrrev_b32_e32 v16, 16, v16
	v_lshrrev_b32_e32 v17, 16, v17
	v_add3_u32 v20, v87, v20, 0x7fff
	v_lshrrev_b32_e32 v18, 16, v18
	v_add3_u32 v23, v89, v23, 0x7fff
	v_cndmask_b32_e32 v16, 0x7fc0, v16, vcc_lo
	v_cmp_o_f32_e32 vcc_lo, v92, v92
	v_add3_u32 v22, v88, v22, 0x7fff
	v_bfe_u32 v19, v86, 16, 1
	v_bfe_u32 v26, v81, 16, 1
	v_bfe_u32 v27, v79, 16, 1
	v_cndmask_b32_e32 v21, 0x7fc0, v17, vcc_lo
	v_bfe_u32 v17, v90, 16, 1
	v_cmp_o_f32_e32 vcc_lo, v91, v91
	v_lshrrev_b32_e32 v22, 16, v22
	v_add3_u32 v19, v86, v19, 0x7fff
	v_bfe_u32 v28, v84, 16, 1
	v_add3_u32 v17, v90, v17, 0x7fff
	v_cndmask_b32_e32 v24, 0x7fc0, v18, vcc_lo
	v_cmp_o_f32_e32 vcc_lo, v90, v90
	v_lshrrev_b32_e32 v18, 16, v20
	v_lshrrev_b32_e32 v20, 16, v23
	v_lshrrev_b32_e32 v17, 16, v17
	v_lshrrev_b32_e32 v19, 16, v19
	v_bfe_u32 v23, v85, 16, 1
	v_add3_u32 v27, v79, v27, 0x7fff
	v_perm_b32 v16, v21, v16, 0x5040100
	v_cndmask_b32_e32 v17, 0x7fc0, v17, vcc_lo
	v_cmp_o_f32_e32 vcc_lo, v89, v89
	s_waitcnt_vscnt null, 0x0
	s_barrier
	buffer_gl0_inv
	s_add_u32 s60, s60, 0x1000
	v_cndmask_b32_e32 v20, 0x7fc0, v20, vcc_lo
	v_cmp_o_f32_e32 vcc_lo, v88, v88
	s_addc_u32 s36, s36, 0
	s_mov_b32 s39, s53
	s_add_u32 s55, s55, 0x1000
	s_addc_u32 s59, s59, 0
	v_cndmask_b32_e32 v22, 0x7fc0, v22, vcc_lo
	v_cmp_o_f32_e32 vcc_lo, v87, v87
	s_lshl_b64 s[16:17], s[38:39], 1
	s_add_u32 s41, s41, 0x1000
	s_addc_u32 s62, s62, 0
	s_add_u32 s45, s45, 0x1000
	v_cndmask_b32_e32 v18, 0x7fc0, v18, vcc_lo
	v_cmp_o_f32_e32 vcc_lo, v86, v86
	s_addc_u32 s63, s63, 0
	s_add_i32 s72, s72, 1
	s_delay_alu instid0(VALU_DEP_2)
	v_perm_b32 v18, v18, v17, 0x5040100
	v_cndmask_b32_e32 v25, 0x7fc0, v19, vcc_lo
	v_perm_b32 v19, v22, v20, 0x5040100
	v_add3_u32 v22, v85, v23, 0x7fff
	v_bfe_u32 v23, v83, 16, 1
	v_cmp_o_f32_e32 vcc_lo, v85, v85
	v_perm_b32 v17, v25, v24, 0x5040100
	v_add3_u32 v24, v81, v26, 0x7fff
	v_lshrrev_b32_e32 v22, 16, v22
	v_add3_u32 v23, v83, v23, 0x7fff
	v_bfe_u32 v26, v78, 16, 1
	v_bfe_u32 v20, v82, 16, 1
	s_cmp_eq_u32 s72, s66
	v_cndmask_b32_e32 v25, 0x7fc0, v22, vcc_lo
	v_lshrrev_b32_e32 v22, 16, v23
	v_lshrrev_b32_e32 v23, 16, v24
	v_bfe_u32 v24, v80, 16, 1
	v_cmp_o_f32_e32 vcc_lo, v83, v83
	v_add3_u32 v20, v82, v20, 0x7fff
	s_delay_alu instid0(VALU_DEP_3)
	v_add3_u32 v24, v80, v24, 0x7fff
	v_cndmask_b32_e32 v29, 0x7fc0, v22, vcc_lo
	v_cmp_o_f32_e32 vcc_lo, v81, v81
	v_add3_u32 v22, v78, v26, 0x7fff
	v_add3_u32 v26, v84, v28, 0x7fff
	v_lshrrev_b32_e32 v20, 16, v20
	v_cndmask_b32_e32 v28, 0x7fc0, v23, vcc_lo
	v_lshrrev_b32_e32 v23, 16, v24
	v_cmp_o_f32_e32 vcc_lo, v80, v80
	v_lshrrev_b32_e32 v24, 16, v27
	v_lshrrev_b32_e32 v26, 16, v26
	v_lshrrev_b32_e32 v22, 16, v22
	v_perm_b32 v21, v28, v29, 0x5040100
	v_cndmask_b32_e32 v27, 0x7fc0, v23, vcc_lo
	v_cmp_o_f32_e32 vcc_lo, v79, v79
	v_cndmask_b32_e32 v23, 0x7fc0, v24, vcc_lo
	v_cmp_o_f32_e32 vcc_lo, v84, v84
	;; [unrolled: 2-line block ×3, first 2 shown]
	s_delay_alu instid0(VALU_DEP_2) | instskip(SKIP_2) | instid1(VALU_DEP_2)
	v_perm_b32 v23, v24, v23, 0x5040100
	v_cndmask_b32_e32 v22, 0x7fc0, v22, vcc_lo
	v_cmp_o_f32_e32 vcc_lo, v82, v82
	v_perm_b32 v22, v22, v27, 0x5040100
	v_cndmask_b32_e32 v20, 0x7fc0, v20, vcc_lo
	v_add_co_u32 v24, vcc_lo, v44, s16
	s_delay_alu instid0(VALU_DEP_2)
	v_perm_b32 v20, v20, v25, 0x5040100
	ds_store_b128 v37, v[16:19]
	ds_store_b128 v37, v[20:23] offset:16
	; wave barrier
	ds_load_b128 v[16:19], v35
	ds_load_b128 v[20:23], v36 offset:512
	v_add_co_ci_u32_e32 v25, vcc_lo, s17, v45, vcc_lo
	s_waitcnt lgkmcnt(1)
	v_alignbit_b32 v27, v18, v17, 16
	v_alignbit_b32 v26, v17, v16, 16
	;; [unrolled: 1-line block ×3, first 2 shown]
	s_clause 0x3
	global_store_b16 v[24:25], v16, off
	global_store_d16_hi_b16 v[24:25], v19, off offset:14
	global_store_b32 v[24:25], v17, off offset:10
	global_store_b64 v[24:25], v[26:27], off offset:2
	s_waitcnt lgkmcnt(0)
	global_store_b128 v[24:25], v[20:23], off offset:512
	s_cbranch_scc1 .LBB59_86
.LBB59_12:                              ; =>This Loop Header: Depth=1
                                        ;     Child Loop BB59_55 Depth 2
	v_add_co_u32 v16, s15, s55, v61
	s_delay_alu instid0(VALU_DEP_1) | instskip(NEXT) | instid1(VALU_DEP_2)
	v_add_co_ci_u32_e64 v17, null, s59, 0, s15
	v_add_co_u32 v16, vcc_lo, v16, v62
	s_delay_alu instid0(VALU_DEP_2)
	v_add_co_ci_u32_e32 v17, vcc_lo, 0, v17, vcc_lo
	s_waitcnt_vscnt null, 0x0
	s_barrier
	buffer_gl0_inv
	s_and_saveexec_b32 s15, s0
	s_cbranch_execz .LBB59_14
; %bb.13:                               ;   in Loop: Header=BB59_12 Depth=1
	global_load_b128 v[12:15], v[16:17], off
.LBB59_14:                              ;   in Loop: Header=BB59_12 Depth=1
	s_or_b32 exec_lo, exec_lo, s15
	s_and_saveexec_b32 s15, s1
	s_cbranch_execz .LBB59_16
; %bb.15:                               ;   in Loop: Header=BB59_12 Depth=1
	global_load_b128 v[8:11], v[16:17], off offset:512
.LBB59_16:                              ;   in Loop: Header=BB59_12 Depth=1
	s_or_b32 exec_lo, exec_lo, s15
	s_waitcnt vmcnt(0)
	ds_store_b128 v35, v[12:15]
	ds_store_b128 v36, v[8:11] offset:512
	; wave barrier
	ds_load_b128 v[12:15], v37
	ds_load_b128 v[8:11], v37 offset:16
	v_add_co_u32 v16, s15, s60, v61
	s_delay_alu instid0(VALU_DEP_1) | instskip(SKIP_1) | instid1(VALU_DEP_2)
	v_add_co_ci_u32_e64 v17, null, s36, 0, s15
	s_waitcnt lgkmcnt(0)
	v_add_co_u32 v16, vcc_lo, v16, v62
	s_delay_alu instid0(VALU_DEP_2)
	v_add_co_ci_u32_e32 v17, vcc_lo, 0, v17, vcc_lo
	s_barrier
	buffer_gl0_inv
	s_and_saveexec_b32 s15, s0
	s_cbranch_execz .LBB59_18
; %bb.17:                               ;   in Loop: Header=BB59_12 Depth=1
	global_load_b128 v[4:7], v[16:17], off
.LBB59_18:                              ;   in Loop: Header=BB59_12 Depth=1
	s_or_b32 exec_lo, exec_lo, s15
	s_and_saveexec_b32 s15, s1
	s_cbranch_execz .LBB59_20
; %bb.19:                               ;   in Loop: Header=BB59_12 Depth=1
	global_load_b128 v[0:3], v[16:17], off offset:512
.LBB59_20:                              ;   in Loop: Header=BB59_12 Depth=1
	s_or_b32 exec_lo, exec_lo, s15
	s_waitcnt vmcnt(0)
	ds_store_b128 v35, v[4:7]
	ds_store_b128 v36, v[0:3] offset:512
	; wave barrier
	ds_load_b128 v[4:7], v37
	ds_load_b128 v[0:3], v37 offset:16
	s_waitcnt lgkmcnt(1)
	v_lshlrev_b32_e32 v16, 16, v4
	s_delay_alu instid0(VALU_DEP_1) | instskip(NEXT) | instid1(VALU_DEP_1)
	v_add_f32_e32 v63, s57, v16
	v_cmp_ge_f32_e32 vcc_lo, 0x41a00000, v63
	s_and_b32 s15, s67, vcc_lo
	s_delay_alu instid0(SALU_CYCLE_1)
	s_and_saveexec_b32 s16, s15
	s_cbranch_execz .LBB59_22
; %bb.21:                               ;   in Loop: Header=BB59_12 Depth=1
	v_mul_f32_e32 v16, 0x3fb8aa3b, v63
	v_cmp_ngt_f32_e32 vcc_lo, 0xc2ce8ed0, v63
	s_delay_alu instid0(VALU_DEP_2) | instskip(SKIP_1) | instid1(VALU_DEP_2)
	v_rndne_f32_e32 v17, v16
	v_fma_f32 v18, 0x3fb8aa3b, v63, -v16
	v_sub_f32_e32 v16, v16, v17
	s_delay_alu instid0(VALU_DEP_2) | instskip(SKIP_1) | instid1(VALU_DEP_2)
	v_fmac_f32_e32 v18, 0x32a5705f, v63
	v_cvt_i32_f32_e32 v17, v17
	v_add_f32_e32 v16, v16, v18
	s_delay_alu instid0(VALU_DEP_1) | instskip(SKIP_2) | instid1(VALU_DEP_1)
	v_exp_f32_e32 v16, v16
	s_waitcnt_depctr 0xfff
	v_ldexp_f32 v16, v16, v17
	v_cndmask_b32_e32 v16, 0, v16, vcc_lo
	v_cmp_nlt_f32_e32 vcc_lo, 0x42b17218, v63
	s_delay_alu instid0(VALU_DEP_2) | instskip(NEXT) | instid1(VALU_DEP_1)
	v_cndmask_b32_e32 v18, 0x7f800000, v16, vcc_lo
	v_add_f32_e32 v19, 1.0, v18
	s_delay_alu instid0(VALU_DEP_1) | instskip(NEXT) | instid1(VALU_DEP_1)
	v_cvt_f64_f32_e32 v[16:17], v19
	v_frexp_exp_i32_f64_e32 v16, v[16:17]
	v_frexp_mant_f32_e32 v17, v19
	s_delay_alu instid0(VALU_DEP_1) | instskip(SKIP_1) | instid1(VALU_DEP_1)
	v_cmp_gt_f32_e32 vcc_lo, 0x3f2aaaab, v17
	v_add_f32_e32 v17, -1.0, v19
	v_sub_f32_e32 v21, v17, v19
	v_sub_f32_e32 v17, v18, v17
	s_delay_alu instid0(VALU_DEP_2) | instskip(NEXT) | instid1(VALU_DEP_1)
	v_add_f32_e32 v21, 1.0, v21
	v_add_f32_e32 v17, v17, v21
	v_cmp_gt_f32_e64 s15, 0x33800000, v18
	v_subrev_co_ci_u32_e32 v16, vcc_lo, 0, v16, vcc_lo
	v_cmp_eq_f32_e32 vcc_lo, 0x7f800000, v18
	s_delay_alu instid0(VALU_DEP_2) | instskip(SKIP_2) | instid1(VALU_DEP_2)
	v_sub_nc_u32_e32 v20, 0, v16
	v_cvt_f32_i32_e32 v16, v16
	s_or_b32 vcc_lo, s15, vcc_lo
	v_ldexp_f32 v19, v19, v20
	v_ldexp_f32 v17, v17, v20
	s_delay_alu instid0(VALU_DEP_2) | instskip(NEXT) | instid1(VALU_DEP_1)
	v_add_f32_e32 v22, 1.0, v19
	v_dual_add_f32 v20, -1.0, v19 :: v_dual_add_f32 v21, -1.0, v22
	s_delay_alu instid0(VALU_DEP_1) | instskip(NEXT) | instid1(VALU_DEP_2)
	v_add_f32_e32 v23, 1.0, v20
	v_sub_f32_e32 v21, v19, v21
	s_delay_alu instid0(VALU_DEP_2) | instskip(NEXT) | instid1(VALU_DEP_2)
	v_sub_f32_e32 v19, v19, v23
	v_add_f32_e32 v21, v17, v21
	s_delay_alu instid0(VALU_DEP_2) | instskip(NEXT) | instid1(VALU_DEP_1)
	v_add_f32_e32 v17, v17, v19
	v_add_f32_e32 v24, v20, v17
	s_delay_alu instid0(VALU_DEP_1) | instskip(NEXT) | instid1(VALU_DEP_1)
	v_dual_add_f32 v23, v22, v21 :: v_dual_sub_f32 v20, v20, v24
	v_rcp_f32_e32 v19, v23
	v_sub_f32_e32 v22, v22, v23
	s_delay_alu instid0(VALU_DEP_1) | instskip(SKIP_2) | instid1(VALU_DEP_1)
	v_add_f32_e32 v21, v21, v22
	s_waitcnt_depctr 0xfff
	v_mul_f32_e32 v25, v24, v19
	v_mul_f32_e32 v26, v23, v25
	s_delay_alu instid0(VALU_DEP_1) | instskip(NEXT) | instid1(VALU_DEP_1)
	v_fma_f32 v22, v25, v23, -v26
	v_fmac_f32_e32 v22, v25, v21
	s_delay_alu instid0(VALU_DEP_1) | instskip(NEXT) | instid1(VALU_DEP_1)
	v_add_f32_e32 v27, v26, v22
	v_sub_f32_e32 v28, v24, v27
	s_delay_alu instid0(VALU_DEP_1) | instskip(SKIP_1) | instid1(VALU_DEP_2)
	v_sub_f32_e32 v24, v24, v28
	v_dual_add_f32 v17, v17, v20 :: v_dual_sub_f32 v20, v27, v26
	v_sub_f32_e32 v24, v24, v27
	s_delay_alu instid0(VALU_DEP_1) | instskip(NEXT) | instid1(VALU_DEP_1)
	v_dual_sub_f32 v20, v20, v22 :: v_dual_add_f32 v17, v17, v24
	v_add_f32_e32 v17, v20, v17
	s_delay_alu instid0(VALU_DEP_1) | instskip(NEXT) | instid1(VALU_DEP_1)
	v_add_f32_e32 v20, v28, v17
	v_mul_f32_e32 v22, v19, v20
	s_delay_alu instid0(VALU_DEP_1) | instskip(NEXT) | instid1(VALU_DEP_1)
	v_dual_sub_f32 v27, v28, v20 :: v_dual_mul_f32 v24, v23, v22
	v_add_f32_e32 v17, v17, v27
	s_delay_alu instid0(VALU_DEP_2) | instskip(NEXT) | instid1(VALU_DEP_1)
	v_fma_f32 v23, v22, v23, -v24
	v_fmac_f32_e32 v23, v22, v21
	s_delay_alu instid0(VALU_DEP_1) | instskip(NEXT) | instid1(VALU_DEP_1)
	v_add_f32_e32 v21, v24, v23
	v_sub_f32_e32 v26, v20, v21
	s_delay_alu instid0(VALU_DEP_1) | instskip(NEXT) | instid1(VALU_DEP_1)
	v_sub_f32_e32 v20, v20, v26
	v_sub_f32_e32 v20, v20, v21
	s_delay_alu instid0(VALU_DEP_1) | instskip(SKIP_2) | instid1(VALU_DEP_1)
	v_add_f32_e32 v17, v17, v20
	v_add_f32_e32 v20, v25, v22
	v_sub_f32_e32 v24, v21, v24
	v_sub_f32_e32 v21, v24, v23
	s_delay_alu instid0(VALU_DEP_1) | instskip(NEXT) | instid1(VALU_DEP_4)
	v_add_f32_e32 v17, v21, v17
	v_sub_f32_e32 v21, v20, v25
	s_delay_alu instid0(VALU_DEP_2) | instskip(NEXT) | instid1(VALU_DEP_2)
	v_add_f32_e32 v17, v26, v17
	v_sub_f32_e32 v21, v22, v21
	s_delay_alu instid0(VALU_DEP_2) | instskip(NEXT) | instid1(VALU_DEP_1)
	v_mul_f32_e32 v17, v19, v17
	v_add_f32_e32 v17, v21, v17
	s_delay_alu instid0(VALU_DEP_1) | instskip(NEXT) | instid1(VALU_DEP_1)
	v_add_f32_e32 v19, v20, v17
	v_mul_f32_e32 v21, v19, v19
	s_delay_alu instid0(VALU_DEP_1) | instskip(SKIP_1) | instid1(VALU_DEP_2)
	v_fmaak_f32 v22, s54, v21, 0x3ecc95a3
	v_mul_f32_e32 v23, v19, v21
	v_fmaak_f32 v21, v21, v22, 0x3f2aaada
	v_ldexp_f32 v22, v19, 1
	s_delay_alu instid0(VALU_DEP_2) | instskip(SKIP_1) | instid1(VALU_DEP_2)
	v_mul_f32_e32 v21, v23, v21
	v_sub_f32_e32 v19, v19, v20
	v_dual_mul_f32 v23, 0x3f317218, v16 :: v_dual_add_f32 v20, v22, v21
	s_delay_alu instid0(VALU_DEP_2) | instskip(NEXT) | instid1(VALU_DEP_2)
	v_sub_f32_e32 v17, v17, v19
	v_sub_f32_e32 v19, v20, v22
	s_delay_alu instid0(VALU_DEP_3) | instskip(NEXT) | instid1(VALU_DEP_3)
	v_fma_f32 v22, 0x3f317218, v16, -v23
	v_ldexp_f32 v17, v17, 1
	s_delay_alu instid0(VALU_DEP_2) | instskip(NEXT) | instid1(VALU_DEP_1)
	v_dual_sub_f32 v19, v21, v19 :: v_dual_fmac_f32 v22, 0xb102e308, v16
	v_dual_add_f32 v16, v17, v19 :: v_dual_add_f32 v17, v23, v22
	s_delay_alu instid0(VALU_DEP_1) | instskip(NEXT) | instid1(VALU_DEP_1)
	v_add_f32_e32 v19, v20, v16
	v_dual_add_f32 v21, v17, v19 :: v_dual_sub_f32 v20, v19, v20
	s_delay_alu instid0(VALU_DEP_1) | instskip(NEXT) | instid1(VALU_DEP_2)
	v_sub_f32_e32 v24, v21, v17
	v_dual_sub_f32 v23, v17, v23 :: v_dual_sub_f32 v16, v16, v20
	s_delay_alu instid0(VALU_DEP_1) | instskip(SKIP_1) | instid1(VALU_DEP_2)
	v_dual_sub_f32 v25, v21, v24 :: v_dual_sub_f32 v22, v22, v23
	v_sub_f32_e32 v19, v19, v24
	v_dual_sub_f32 v17, v17, v25 :: v_dual_add_f32 v20, v22, v16
	s_delay_alu instid0(VALU_DEP_1) | instskip(NEXT) | instid1(VALU_DEP_2)
	v_add_f32_e32 v17, v19, v17
	v_sub_f32_e32 v19, v20, v22
	s_delay_alu instid0(VALU_DEP_2) | instskip(NEXT) | instid1(VALU_DEP_2)
	v_add_f32_e32 v17, v20, v17
	v_sub_f32_e32 v20, v20, v19
	s_delay_alu instid0(VALU_DEP_2) | instskip(NEXT) | instid1(VALU_DEP_1)
	v_dual_sub_f32 v16, v16, v19 :: v_dual_add_f32 v23, v21, v17
	v_dual_sub_f32 v20, v22, v20 :: v_dual_sub_f32 v19, v23, v21
	s_delay_alu instid0(VALU_DEP_1) | instskip(NEXT) | instid1(VALU_DEP_1)
	v_dual_add_f32 v16, v16, v20 :: v_dual_sub_f32 v17, v17, v19
	v_add_f32_e32 v16, v16, v17
	s_delay_alu instid0(VALU_DEP_1) | instskip(NEXT) | instid1(VALU_DEP_1)
	v_add_f32_e32 v16, v23, v16
	v_cndmask_b32_e32 v63, v16, v18, vcc_lo
.LBB59_22:                              ;   in Loop: Header=BB59_12 Depth=1
	s_or_b32 exec_lo, exec_lo, s16
	v_and_b32_e32 v16, 0xffff0000, v4
	s_delay_alu instid0(VALU_DEP_1) | instskip(NEXT) | instid1(VALU_DEP_1)
	v_add_f32_e32 v64, s57, v16
	v_cmp_ge_f32_e32 vcc_lo, 0x41a00000, v64
	s_and_b32 s15, s67, vcc_lo
	s_delay_alu instid0(SALU_CYCLE_1)
	s_and_saveexec_b32 s16, s15
	s_cbranch_execz .LBB59_24
; %bb.23:                               ;   in Loop: Header=BB59_12 Depth=1
	v_mul_f32_e32 v16, 0x3fb8aa3b, v64
	v_cmp_ngt_f32_e32 vcc_lo, 0xc2ce8ed0, v64
	s_delay_alu instid0(VALU_DEP_2) | instskip(SKIP_1) | instid1(VALU_DEP_2)
	v_rndne_f32_e32 v17, v16
	v_fma_f32 v18, 0x3fb8aa3b, v64, -v16
	v_sub_f32_e32 v16, v16, v17
	s_delay_alu instid0(VALU_DEP_2) | instskip(SKIP_1) | instid1(VALU_DEP_2)
	v_fmac_f32_e32 v18, 0x32a5705f, v64
	v_cvt_i32_f32_e32 v17, v17
	v_add_f32_e32 v16, v16, v18
	s_delay_alu instid0(VALU_DEP_1) | instskip(SKIP_2) | instid1(VALU_DEP_1)
	v_exp_f32_e32 v16, v16
	s_waitcnt_depctr 0xfff
	v_ldexp_f32 v16, v16, v17
	v_cndmask_b32_e32 v16, 0, v16, vcc_lo
	v_cmp_nlt_f32_e32 vcc_lo, 0x42b17218, v64
	s_delay_alu instid0(VALU_DEP_2) | instskip(NEXT) | instid1(VALU_DEP_1)
	v_cndmask_b32_e32 v18, 0x7f800000, v16, vcc_lo
	v_add_f32_e32 v19, 1.0, v18
	s_delay_alu instid0(VALU_DEP_1) | instskip(NEXT) | instid1(VALU_DEP_1)
	v_cvt_f64_f32_e32 v[16:17], v19
	v_frexp_exp_i32_f64_e32 v16, v[16:17]
	v_frexp_mant_f32_e32 v17, v19
	s_delay_alu instid0(VALU_DEP_1) | instskip(SKIP_1) | instid1(VALU_DEP_1)
	v_cmp_gt_f32_e32 vcc_lo, 0x3f2aaaab, v17
	v_add_f32_e32 v17, -1.0, v19
	v_sub_f32_e32 v21, v17, v19
	v_sub_f32_e32 v17, v18, v17
	s_delay_alu instid0(VALU_DEP_2) | instskip(NEXT) | instid1(VALU_DEP_1)
	v_add_f32_e32 v21, 1.0, v21
	v_add_f32_e32 v17, v17, v21
	v_cmp_gt_f32_e64 s15, 0x33800000, v18
	v_subrev_co_ci_u32_e32 v16, vcc_lo, 0, v16, vcc_lo
	v_cmp_eq_f32_e32 vcc_lo, 0x7f800000, v18
	s_delay_alu instid0(VALU_DEP_2) | instskip(SKIP_2) | instid1(VALU_DEP_2)
	v_sub_nc_u32_e32 v20, 0, v16
	v_cvt_f32_i32_e32 v16, v16
	s_or_b32 vcc_lo, s15, vcc_lo
	v_ldexp_f32 v19, v19, v20
	v_ldexp_f32 v17, v17, v20
	s_delay_alu instid0(VALU_DEP_2) | instskip(NEXT) | instid1(VALU_DEP_1)
	v_add_f32_e32 v22, 1.0, v19
	v_dual_add_f32 v20, -1.0, v19 :: v_dual_add_f32 v21, -1.0, v22
	s_delay_alu instid0(VALU_DEP_1) | instskip(NEXT) | instid1(VALU_DEP_2)
	v_add_f32_e32 v23, 1.0, v20
	v_sub_f32_e32 v21, v19, v21
	s_delay_alu instid0(VALU_DEP_2) | instskip(NEXT) | instid1(VALU_DEP_2)
	v_sub_f32_e32 v19, v19, v23
	v_add_f32_e32 v21, v17, v21
	s_delay_alu instid0(VALU_DEP_2) | instskip(NEXT) | instid1(VALU_DEP_1)
	v_add_f32_e32 v17, v17, v19
	v_add_f32_e32 v24, v20, v17
	s_delay_alu instid0(VALU_DEP_1) | instskip(NEXT) | instid1(VALU_DEP_1)
	v_dual_add_f32 v23, v22, v21 :: v_dual_sub_f32 v20, v20, v24
	v_rcp_f32_e32 v19, v23
	v_sub_f32_e32 v22, v22, v23
	s_delay_alu instid0(VALU_DEP_1) | instskip(SKIP_2) | instid1(VALU_DEP_1)
	v_add_f32_e32 v21, v21, v22
	s_waitcnt_depctr 0xfff
	v_mul_f32_e32 v25, v24, v19
	v_mul_f32_e32 v26, v23, v25
	s_delay_alu instid0(VALU_DEP_1) | instskip(NEXT) | instid1(VALU_DEP_1)
	v_fma_f32 v22, v25, v23, -v26
	v_fmac_f32_e32 v22, v25, v21
	s_delay_alu instid0(VALU_DEP_1) | instskip(NEXT) | instid1(VALU_DEP_1)
	v_add_f32_e32 v27, v26, v22
	v_sub_f32_e32 v28, v24, v27
	s_delay_alu instid0(VALU_DEP_1) | instskip(SKIP_1) | instid1(VALU_DEP_2)
	v_sub_f32_e32 v24, v24, v28
	v_dual_add_f32 v17, v17, v20 :: v_dual_sub_f32 v20, v27, v26
	v_sub_f32_e32 v24, v24, v27
	s_delay_alu instid0(VALU_DEP_1) | instskip(NEXT) | instid1(VALU_DEP_1)
	v_dual_sub_f32 v20, v20, v22 :: v_dual_add_f32 v17, v17, v24
	v_add_f32_e32 v17, v20, v17
	s_delay_alu instid0(VALU_DEP_1) | instskip(NEXT) | instid1(VALU_DEP_1)
	v_add_f32_e32 v20, v28, v17
	v_mul_f32_e32 v22, v19, v20
	s_delay_alu instid0(VALU_DEP_1) | instskip(NEXT) | instid1(VALU_DEP_1)
	v_dual_sub_f32 v27, v28, v20 :: v_dual_mul_f32 v24, v23, v22
	v_add_f32_e32 v17, v17, v27
	s_delay_alu instid0(VALU_DEP_2) | instskip(NEXT) | instid1(VALU_DEP_1)
	v_fma_f32 v23, v22, v23, -v24
	v_fmac_f32_e32 v23, v22, v21
	s_delay_alu instid0(VALU_DEP_1) | instskip(NEXT) | instid1(VALU_DEP_1)
	v_add_f32_e32 v21, v24, v23
	v_sub_f32_e32 v26, v20, v21
	s_delay_alu instid0(VALU_DEP_1) | instskip(NEXT) | instid1(VALU_DEP_1)
	v_sub_f32_e32 v20, v20, v26
	v_sub_f32_e32 v20, v20, v21
	s_delay_alu instid0(VALU_DEP_1) | instskip(SKIP_2) | instid1(VALU_DEP_1)
	v_add_f32_e32 v17, v17, v20
	v_add_f32_e32 v20, v25, v22
	v_sub_f32_e32 v24, v21, v24
	v_sub_f32_e32 v21, v24, v23
	s_delay_alu instid0(VALU_DEP_1) | instskip(NEXT) | instid1(VALU_DEP_4)
	v_add_f32_e32 v17, v21, v17
	v_sub_f32_e32 v21, v20, v25
	s_delay_alu instid0(VALU_DEP_2) | instskip(NEXT) | instid1(VALU_DEP_2)
	v_add_f32_e32 v17, v26, v17
	v_sub_f32_e32 v21, v22, v21
	s_delay_alu instid0(VALU_DEP_2) | instskip(NEXT) | instid1(VALU_DEP_1)
	v_mul_f32_e32 v17, v19, v17
	v_add_f32_e32 v17, v21, v17
	s_delay_alu instid0(VALU_DEP_1) | instskip(NEXT) | instid1(VALU_DEP_1)
	v_add_f32_e32 v19, v20, v17
	v_mul_f32_e32 v21, v19, v19
	s_delay_alu instid0(VALU_DEP_1) | instskip(SKIP_1) | instid1(VALU_DEP_2)
	v_fmaak_f32 v22, s54, v21, 0x3ecc95a3
	v_mul_f32_e32 v23, v19, v21
	v_fmaak_f32 v21, v21, v22, 0x3f2aaada
	v_ldexp_f32 v22, v19, 1
	s_delay_alu instid0(VALU_DEP_2) | instskip(SKIP_1) | instid1(VALU_DEP_2)
	v_mul_f32_e32 v21, v23, v21
	v_sub_f32_e32 v19, v19, v20
	v_dual_mul_f32 v23, 0x3f317218, v16 :: v_dual_add_f32 v20, v22, v21
	s_delay_alu instid0(VALU_DEP_2) | instskip(NEXT) | instid1(VALU_DEP_2)
	v_sub_f32_e32 v17, v17, v19
	v_sub_f32_e32 v19, v20, v22
	s_delay_alu instid0(VALU_DEP_3) | instskip(NEXT) | instid1(VALU_DEP_3)
	v_fma_f32 v22, 0x3f317218, v16, -v23
	v_ldexp_f32 v17, v17, 1
	s_delay_alu instid0(VALU_DEP_2) | instskip(NEXT) | instid1(VALU_DEP_1)
	v_dual_sub_f32 v19, v21, v19 :: v_dual_fmac_f32 v22, 0xb102e308, v16
	v_dual_add_f32 v16, v17, v19 :: v_dual_add_f32 v17, v23, v22
	s_delay_alu instid0(VALU_DEP_1) | instskip(NEXT) | instid1(VALU_DEP_1)
	v_add_f32_e32 v19, v20, v16
	v_dual_add_f32 v21, v17, v19 :: v_dual_sub_f32 v20, v19, v20
	s_delay_alu instid0(VALU_DEP_1) | instskip(NEXT) | instid1(VALU_DEP_2)
	v_sub_f32_e32 v24, v21, v17
	v_dual_sub_f32 v23, v17, v23 :: v_dual_sub_f32 v16, v16, v20
	s_delay_alu instid0(VALU_DEP_1) | instskip(SKIP_1) | instid1(VALU_DEP_2)
	v_dual_sub_f32 v25, v21, v24 :: v_dual_sub_f32 v22, v22, v23
	v_sub_f32_e32 v19, v19, v24
	v_dual_sub_f32 v17, v17, v25 :: v_dual_add_f32 v20, v22, v16
	s_delay_alu instid0(VALU_DEP_1) | instskip(NEXT) | instid1(VALU_DEP_2)
	v_add_f32_e32 v17, v19, v17
	v_sub_f32_e32 v19, v20, v22
	s_delay_alu instid0(VALU_DEP_2) | instskip(NEXT) | instid1(VALU_DEP_2)
	v_add_f32_e32 v17, v20, v17
	v_sub_f32_e32 v20, v20, v19
	s_delay_alu instid0(VALU_DEP_2) | instskip(NEXT) | instid1(VALU_DEP_1)
	v_dual_sub_f32 v16, v16, v19 :: v_dual_add_f32 v23, v21, v17
	v_dual_sub_f32 v20, v22, v20 :: v_dual_sub_f32 v19, v23, v21
	s_delay_alu instid0(VALU_DEP_1) | instskip(NEXT) | instid1(VALU_DEP_1)
	v_dual_add_f32 v16, v16, v20 :: v_dual_sub_f32 v17, v17, v19
	v_add_f32_e32 v16, v16, v17
	s_delay_alu instid0(VALU_DEP_1) | instskip(NEXT) | instid1(VALU_DEP_1)
	v_add_f32_e32 v16, v23, v16
	v_cndmask_b32_e32 v64, v16, v18, vcc_lo
.LBB59_24:                              ;   in Loop: Header=BB59_12 Depth=1
	s_or_b32 exec_lo, exec_lo, s16
	v_lshlrev_b32_e32 v16, 16, v5
	s_delay_alu instid0(VALU_DEP_1) | instskip(NEXT) | instid1(VALU_DEP_1)
	v_add_f32_e32 v65, s57, v16
	v_cmp_ge_f32_e32 vcc_lo, 0x41a00000, v65
	s_and_b32 s15, s67, vcc_lo
	s_delay_alu instid0(SALU_CYCLE_1)
	s_and_saveexec_b32 s16, s15
	s_cbranch_execz .LBB59_26
; %bb.25:                               ;   in Loop: Header=BB59_12 Depth=1
	v_mul_f32_e32 v16, 0x3fb8aa3b, v65
	v_cmp_ngt_f32_e32 vcc_lo, 0xc2ce8ed0, v65
	s_delay_alu instid0(VALU_DEP_2) | instskip(SKIP_1) | instid1(VALU_DEP_2)
	v_rndne_f32_e32 v17, v16
	v_fma_f32 v18, 0x3fb8aa3b, v65, -v16
	v_sub_f32_e32 v16, v16, v17
	s_delay_alu instid0(VALU_DEP_2) | instskip(SKIP_1) | instid1(VALU_DEP_2)
	v_fmac_f32_e32 v18, 0x32a5705f, v65
	v_cvt_i32_f32_e32 v17, v17
	v_add_f32_e32 v16, v16, v18
	s_delay_alu instid0(VALU_DEP_1) | instskip(SKIP_2) | instid1(VALU_DEP_1)
	v_exp_f32_e32 v16, v16
	s_waitcnt_depctr 0xfff
	v_ldexp_f32 v16, v16, v17
	v_cndmask_b32_e32 v16, 0, v16, vcc_lo
	v_cmp_nlt_f32_e32 vcc_lo, 0x42b17218, v65
	s_delay_alu instid0(VALU_DEP_2) | instskip(NEXT) | instid1(VALU_DEP_1)
	v_cndmask_b32_e32 v18, 0x7f800000, v16, vcc_lo
	v_add_f32_e32 v19, 1.0, v18
	s_delay_alu instid0(VALU_DEP_1) | instskip(NEXT) | instid1(VALU_DEP_1)
	v_cvt_f64_f32_e32 v[16:17], v19
	v_frexp_exp_i32_f64_e32 v16, v[16:17]
	v_frexp_mant_f32_e32 v17, v19
	s_delay_alu instid0(VALU_DEP_1) | instskip(SKIP_1) | instid1(VALU_DEP_1)
	v_cmp_gt_f32_e32 vcc_lo, 0x3f2aaaab, v17
	v_add_f32_e32 v17, -1.0, v19
	v_sub_f32_e32 v21, v17, v19
	v_sub_f32_e32 v17, v18, v17
	s_delay_alu instid0(VALU_DEP_2) | instskip(NEXT) | instid1(VALU_DEP_1)
	v_add_f32_e32 v21, 1.0, v21
	v_add_f32_e32 v17, v17, v21
	v_cmp_gt_f32_e64 s15, 0x33800000, v18
	v_subrev_co_ci_u32_e32 v16, vcc_lo, 0, v16, vcc_lo
	v_cmp_eq_f32_e32 vcc_lo, 0x7f800000, v18
	s_delay_alu instid0(VALU_DEP_2) | instskip(SKIP_2) | instid1(VALU_DEP_2)
	v_sub_nc_u32_e32 v20, 0, v16
	v_cvt_f32_i32_e32 v16, v16
	s_or_b32 vcc_lo, s15, vcc_lo
	v_ldexp_f32 v19, v19, v20
	v_ldexp_f32 v17, v17, v20
	s_delay_alu instid0(VALU_DEP_2) | instskip(NEXT) | instid1(VALU_DEP_1)
	v_add_f32_e32 v22, 1.0, v19
	v_dual_add_f32 v20, -1.0, v19 :: v_dual_add_f32 v21, -1.0, v22
	s_delay_alu instid0(VALU_DEP_1) | instskip(NEXT) | instid1(VALU_DEP_2)
	v_add_f32_e32 v23, 1.0, v20
	v_sub_f32_e32 v21, v19, v21
	s_delay_alu instid0(VALU_DEP_2) | instskip(NEXT) | instid1(VALU_DEP_2)
	v_sub_f32_e32 v19, v19, v23
	v_add_f32_e32 v21, v17, v21
	s_delay_alu instid0(VALU_DEP_2) | instskip(NEXT) | instid1(VALU_DEP_1)
	v_add_f32_e32 v17, v17, v19
	v_add_f32_e32 v24, v20, v17
	s_delay_alu instid0(VALU_DEP_1) | instskip(NEXT) | instid1(VALU_DEP_1)
	v_dual_add_f32 v23, v22, v21 :: v_dual_sub_f32 v20, v20, v24
	v_rcp_f32_e32 v19, v23
	v_sub_f32_e32 v22, v22, v23
	s_delay_alu instid0(VALU_DEP_1) | instskip(SKIP_2) | instid1(VALU_DEP_1)
	v_add_f32_e32 v21, v21, v22
	s_waitcnt_depctr 0xfff
	v_mul_f32_e32 v25, v24, v19
	v_mul_f32_e32 v26, v23, v25
	s_delay_alu instid0(VALU_DEP_1) | instskip(NEXT) | instid1(VALU_DEP_1)
	v_fma_f32 v22, v25, v23, -v26
	v_fmac_f32_e32 v22, v25, v21
	s_delay_alu instid0(VALU_DEP_1) | instskip(NEXT) | instid1(VALU_DEP_1)
	v_add_f32_e32 v27, v26, v22
	v_sub_f32_e32 v28, v24, v27
	s_delay_alu instid0(VALU_DEP_1) | instskip(SKIP_1) | instid1(VALU_DEP_2)
	v_sub_f32_e32 v24, v24, v28
	v_dual_add_f32 v17, v17, v20 :: v_dual_sub_f32 v20, v27, v26
	v_sub_f32_e32 v24, v24, v27
	s_delay_alu instid0(VALU_DEP_1) | instskip(NEXT) | instid1(VALU_DEP_1)
	v_dual_sub_f32 v20, v20, v22 :: v_dual_add_f32 v17, v17, v24
	v_add_f32_e32 v17, v20, v17
	s_delay_alu instid0(VALU_DEP_1) | instskip(NEXT) | instid1(VALU_DEP_1)
	v_add_f32_e32 v20, v28, v17
	v_mul_f32_e32 v22, v19, v20
	s_delay_alu instid0(VALU_DEP_1) | instskip(NEXT) | instid1(VALU_DEP_1)
	v_dual_sub_f32 v27, v28, v20 :: v_dual_mul_f32 v24, v23, v22
	v_add_f32_e32 v17, v17, v27
	s_delay_alu instid0(VALU_DEP_2) | instskip(NEXT) | instid1(VALU_DEP_1)
	v_fma_f32 v23, v22, v23, -v24
	v_fmac_f32_e32 v23, v22, v21
	s_delay_alu instid0(VALU_DEP_1) | instskip(NEXT) | instid1(VALU_DEP_1)
	v_add_f32_e32 v21, v24, v23
	v_sub_f32_e32 v26, v20, v21
	s_delay_alu instid0(VALU_DEP_1) | instskip(NEXT) | instid1(VALU_DEP_1)
	v_sub_f32_e32 v20, v20, v26
	v_sub_f32_e32 v20, v20, v21
	s_delay_alu instid0(VALU_DEP_1) | instskip(SKIP_2) | instid1(VALU_DEP_1)
	v_add_f32_e32 v17, v17, v20
	v_add_f32_e32 v20, v25, v22
	v_sub_f32_e32 v24, v21, v24
	v_sub_f32_e32 v21, v24, v23
	s_delay_alu instid0(VALU_DEP_1) | instskip(NEXT) | instid1(VALU_DEP_4)
	v_add_f32_e32 v17, v21, v17
	v_sub_f32_e32 v21, v20, v25
	s_delay_alu instid0(VALU_DEP_2) | instskip(NEXT) | instid1(VALU_DEP_2)
	v_add_f32_e32 v17, v26, v17
	v_sub_f32_e32 v21, v22, v21
	s_delay_alu instid0(VALU_DEP_2) | instskip(NEXT) | instid1(VALU_DEP_1)
	v_mul_f32_e32 v17, v19, v17
	v_add_f32_e32 v17, v21, v17
	s_delay_alu instid0(VALU_DEP_1) | instskip(NEXT) | instid1(VALU_DEP_1)
	v_add_f32_e32 v19, v20, v17
	v_mul_f32_e32 v21, v19, v19
	s_delay_alu instid0(VALU_DEP_1) | instskip(SKIP_1) | instid1(VALU_DEP_2)
	v_fmaak_f32 v22, s54, v21, 0x3ecc95a3
	v_mul_f32_e32 v23, v19, v21
	v_fmaak_f32 v21, v21, v22, 0x3f2aaada
	v_ldexp_f32 v22, v19, 1
	s_delay_alu instid0(VALU_DEP_2) | instskip(SKIP_1) | instid1(VALU_DEP_2)
	v_mul_f32_e32 v21, v23, v21
	v_sub_f32_e32 v19, v19, v20
	v_dual_mul_f32 v23, 0x3f317218, v16 :: v_dual_add_f32 v20, v22, v21
	s_delay_alu instid0(VALU_DEP_2) | instskip(NEXT) | instid1(VALU_DEP_2)
	v_sub_f32_e32 v17, v17, v19
	v_sub_f32_e32 v19, v20, v22
	s_delay_alu instid0(VALU_DEP_3) | instskip(NEXT) | instid1(VALU_DEP_3)
	v_fma_f32 v22, 0x3f317218, v16, -v23
	v_ldexp_f32 v17, v17, 1
	s_delay_alu instid0(VALU_DEP_2) | instskip(NEXT) | instid1(VALU_DEP_1)
	v_dual_sub_f32 v19, v21, v19 :: v_dual_fmac_f32 v22, 0xb102e308, v16
	v_dual_add_f32 v16, v17, v19 :: v_dual_add_f32 v17, v23, v22
	s_delay_alu instid0(VALU_DEP_1) | instskip(NEXT) | instid1(VALU_DEP_1)
	v_add_f32_e32 v19, v20, v16
	v_dual_add_f32 v21, v17, v19 :: v_dual_sub_f32 v20, v19, v20
	s_delay_alu instid0(VALU_DEP_1) | instskip(NEXT) | instid1(VALU_DEP_2)
	v_sub_f32_e32 v24, v21, v17
	v_dual_sub_f32 v23, v17, v23 :: v_dual_sub_f32 v16, v16, v20
	s_delay_alu instid0(VALU_DEP_1) | instskip(SKIP_1) | instid1(VALU_DEP_2)
	v_dual_sub_f32 v25, v21, v24 :: v_dual_sub_f32 v22, v22, v23
	v_sub_f32_e32 v19, v19, v24
	v_dual_sub_f32 v17, v17, v25 :: v_dual_add_f32 v20, v22, v16
	s_delay_alu instid0(VALU_DEP_1) | instskip(NEXT) | instid1(VALU_DEP_2)
	v_add_f32_e32 v17, v19, v17
	v_sub_f32_e32 v19, v20, v22
	s_delay_alu instid0(VALU_DEP_2) | instskip(NEXT) | instid1(VALU_DEP_2)
	v_add_f32_e32 v17, v20, v17
	v_sub_f32_e32 v20, v20, v19
	s_delay_alu instid0(VALU_DEP_2) | instskip(NEXT) | instid1(VALU_DEP_1)
	v_dual_sub_f32 v16, v16, v19 :: v_dual_add_f32 v23, v21, v17
	v_dual_sub_f32 v20, v22, v20 :: v_dual_sub_f32 v19, v23, v21
	s_delay_alu instid0(VALU_DEP_1) | instskip(NEXT) | instid1(VALU_DEP_1)
	v_dual_add_f32 v16, v16, v20 :: v_dual_sub_f32 v17, v17, v19
	v_add_f32_e32 v16, v16, v17
	s_delay_alu instid0(VALU_DEP_1) | instskip(NEXT) | instid1(VALU_DEP_1)
	v_add_f32_e32 v16, v23, v16
	v_cndmask_b32_e32 v65, v16, v18, vcc_lo
.LBB59_26:                              ;   in Loop: Header=BB59_12 Depth=1
	s_or_b32 exec_lo, exec_lo, s16
	v_and_b32_e32 v16, 0xffff0000, v5
	s_delay_alu instid0(VALU_DEP_1) | instskip(NEXT) | instid1(VALU_DEP_1)
	v_add_f32_e32 v66, s57, v16
	v_cmp_ge_f32_e32 vcc_lo, 0x41a00000, v66
	s_and_b32 s15, s67, vcc_lo
	s_delay_alu instid0(SALU_CYCLE_1)
	s_and_saveexec_b32 s16, s15
	s_cbranch_execz .LBB59_28
; %bb.27:                               ;   in Loop: Header=BB59_12 Depth=1
	v_mul_f32_e32 v16, 0x3fb8aa3b, v66
	v_cmp_ngt_f32_e32 vcc_lo, 0xc2ce8ed0, v66
	s_delay_alu instid0(VALU_DEP_2) | instskip(SKIP_1) | instid1(VALU_DEP_2)
	v_rndne_f32_e32 v17, v16
	v_fma_f32 v18, 0x3fb8aa3b, v66, -v16
	v_sub_f32_e32 v16, v16, v17
	s_delay_alu instid0(VALU_DEP_2) | instskip(SKIP_1) | instid1(VALU_DEP_2)
	v_fmac_f32_e32 v18, 0x32a5705f, v66
	v_cvt_i32_f32_e32 v17, v17
	v_add_f32_e32 v16, v16, v18
	s_delay_alu instid0(VALU_DEP_1) | instskip(SKIP_2) | instid1(VALU_DEP_1)
	v_exp_f32_e32 v16, v16
	s_waitcnt_depctr 0xfff
	v_ldexp_f32 v16, v16, v17
	v_cndmask_b32_e32 v16, 0, v16, vcc_lo
	v_cmp_nlt_f32_e32 vcc_lo, 0x42b17218, v66
	s_delay_alu instid0(VALU_DEP_2) | instskip(NEXT) | instid1(VALU_DEP_1)
	v_cndmask_b32_e32 v18, 0x7f800000, v16, vcc_lo
	v_add_f32_e32 v19, 1.0, v18
	s_delay_alu instid0(VALU_DEP_1) | instskip(NEXT) | instid1(VALU_DEP_1)
	v_cvt_f64_f32_e32 v[16:17], v19
	v_frexp_exp_i32_f64_e32 v16, v[16:17]
	v_frexp_mant_f32_e32 v17, v19
	s_delay_alu instid0(VALU_DEP_1) | instskip(SKIP_1) | instid1(VALU_DEP_1)
	v_cmp_gt_f32_e32 vcc_lo, 0x3f2aaaab, v17
	v_add_f32_e32 v17, -1.0, v19
	v_sub_f32_e32 v21, v17, v19
	v_sub_f32_e32 v17, v18, v17
	s_delay_alu instid0(VALU_DEP_2) | instskip(NEXT) | instid1(VALU_DEP_1)
	v_add_f32_e32 v21, 1.0, v21
	v_add_f32_e32 v17, v17, v21
	v_cmp_gt_f32_e64 s15, 0x33800000, v18
	v_subrev_co_ci_u32_e32 v16, vcc_lo, 0, v16, vcc_lo
	v_cmp_eq_f32_e32 vcc_lo, 0x7f800000, v18
	s_delay_alu instid0(VALU_DEP_2) | instskip(SKIP_2) | instid1(VALU_DEP_2)
	v_sub_nc_u32_e32 v20, 0, v16
	v_cvt_f32_i32_e32 v16, v16
	s_or_b32 vcc_lo, s15, vcc_lo
	v_ldexp_f32 v19, v19, v20
	v_ldexp_f32 v17, v17, v20
	s_delay_alu instid0(VALU_DEP_2) | instskip(NEXT) | instid1(VALU_DEP_1)
	v_add_f32_e32 v22, 1.0, v19
	v_dual_add_f32 v20, -1.0, v19 :: v_dual_add_f32 v21, -1.0, v22
	s_delay_alu instid0(VALU_DEP_1) | instskip(NEXT) | instid1(VALU_DEP_2)
	v_add_f32_e32 v23, 1.0, v20
	v_sub_f32_e32 v21, v19, v21
	s_delay_alu instid0(VALU_DEP_2) | instskip(NEXT) | instid1(VALU_DEP_2)
	v_sub_f32_e32 v19, v19, v23
	v_add_f32_e32 v21, v17, v21
	s_delay_alu instid0(VALU_DEP_2) | instskip(NEXT) | instid1(VALU_DEP_1)
	v_add_f32_e32 v17, v17, v19
	v_add_f32_e32 v24, v20, v17
	s_delay_alu instid0(VALU_DEP_1) | instskip(NEXT) | instid1(VALU_DEP_1)
	v_dual_add_f32 v23, v22, v21 :: v_dual_sub_f32 v20, v20, v24
	v_rcp_f32_e32 v19, v23
	v_sub_f32_e32 v22, v22, v23
	s_delay_alu instid0(VALU_DEP_1) | instskip(SKIP_2) | instid1(VALU_DEP_1)
	v_add_f32_e32 v21, v21, v22
	s_waitcnt_depctr 0xfff
	v_mul_f32_e32 v25, v24, v19
	v_mul_f32_e32 v26, v23, v25
	s_delay_alu instid0(VALU_DEP_1) | instskip(NEXT) | instid1(VALU_DEP_1)
	v_fma_f32 v22, v25, v23, -v26
	v_fmac_f32_e32 v22, v25, v21
	s_delay_alu instid0(VALU_DEP_1) | instskip(NEXT) | instid1(VALU_DEP_1)
	v_add_f32_e32 v27, v26, v22
	v_sub_f32_e32 v28, v24, v27
	s_delay_alu instid0(VALU_DEP_1) | instskip(SKIP_1) | instid1(VALU_DEP_2)
	v_sub_f32_e32 v24, v24, v28
	v_dual_add_f32 v17, v17, v20 :: v_dual_sub_f32 v20, v27, v26
	v_sub_f32_e32 v24, v24, v27
	s_delay_alu instid0(VALU_DEP_1) | instskip(NEXT) | instid1(VALU_DEP_1)
	v_dual_sub_f32 v20, v20, v22 :: v_dual_add_f32 v17, v17, v24
	v_add_f32_e32 v17, v20, v17
	s_delay_alu instid0(VALU_DEP_1) | instskip(NEXT) | instid1(VALU_DEP_1)
	v_add_f32_e32 v20, v28, v17
	v_mul_f32_e32 v22, v19, v20
	s_delay_alu instid0(VALU_DEP_1) | instskip(NEXT) | instid1(VALU_DEP_1)
	v_dual_sub_f32 v27, v28, v20 :: v_dual_mul_f32 v24, v23, v22
	v_add_f32_e32 v17, v17, v27
	s_delay_alu instid0(VALU_DEP_2) | instskip(NEXT) | instid1(VALU_DEP_1)
	v_fma_f32 v23, v22, v23, -v24
	v_fmac_f32_e32 v23, v22, v21
	s_delay_alu instid0(VALU_DEP_1) | instskip(NEXT) | instid1(VALU_DEP_1)
	v_add_f32_e32 v21, v24, v23
	v_sub_f32_e32 v26, v20, v21
	s_delay_alu instid0(VALU_DEP_1) | instskip(NEXT) | instid1(VALU_DEP_1)
	v_sub_f32_e32 v20, v20, v26
	v_sub_f32_e32 v20, v20, v21
	s_delay_alu instid0(VALU_DEP_1) | instskip(SKIP_2) | instid1(VALU_DEP_1)
	v_add_f32_e32 v17, v17, v20
	v_add_f32_e32 v20, v25, v22
	v_sub_f32_e32 v24, v21, v24
	v_sub_f32_e32 v21, v24, v23
	s_delay_alu instid0(VALU_DEP_1) | instskip(NEXT) | instid1(VALU_DEP_4)
	v_add_f32_e32 v17, v21, v17
	v_sub_f32_e32 v21, v20, v25
	s_delay_alu instid0(VALU_DEP_2) | instskip(NEXT) | instid1(VALU_DEP_2)
	v_add_f32_e32 v17, v26, v17
	v_sub_f32_e32 v21, v22, v21
	s_delay_alu instid0(VALU_DEP_2) | instskip(NEXT) | instid1(VALU_DEP_1)
	v_mul_f32_e32 v17, v19, v17
	v_add_f32_e32 v17, v21, v17
	s_delay_alu instid0(VALU_DEP_1) | instskip(NEXT) | instid1(VALU_DEP_1)
	v_add_f32_e32 v19, v20, v17
	v_mul_f32_e32 v21, v19, v19
	s_delay_alu instid0(VALU_DEP_1) | instskip(SKIP_1) | instid1(VALU_DEP_2)
	v_fmaak_f32 v22, s54, v21, 0x3ecc95a3
	v_mul_f32_e32 v23, v19, v21
	v_fmaak_f32 v21, v21, v22, 0x3f2aaada
	v_ldexp_f32 v22, v19, 1
	s_delay_alu instid0(VALU_DEP_2) | instskip(SKIP_1) | instid1(VALU_DEP_2)
	v_mul_f32_e32 v21, v23, v21
	v_sub_f32_e32 v19, v19, v20
	v_dual_mul_f32 v23, 0x3f317218, v16 :: v_dual_add_f32 v20, v22, v21
	s_delay_alu instid0(VALU_DEP_2) | instskip(NEXT) | instid1(VALU_DEP_2)
	v_sub_f32_e32 v17, v17, v19
	v_sub_f32_e32 v19, v20, v22
	s_delay_alu instid0(VALU_DEP_3) | instskip(NEXT) | instid1(VALU_DEP_3)
	v_fma_f32 v22, 0x3f317218, v16, -v23
	v_ldexp_f32 v17, v17, 1
	s_delay_alu instid0(VALU_DEP_2) | instskip(NEXT) | instid1(VALU_DEP_1)
	v_dual_sub_f32 v19, v21, v19 :: v_dual_fmac_f32 v22, 0xb102e308, v16
	v_dual_add_f32 v16, v17, v19 :: v_dual_add_f32 v17, v23, v22
	s_delay_alu instid0(VALU_DEP_1) | instskip(NEXT) | instid1(VALU_DEP_1)
	v_add_f32_e32 v19, v20, v16
	v_dual_add_f32 v21, v17, v19 :: v_dual_sub_f32 v20, v19, v20
	s_delay_alu instid0(VALU_DEP_1) | instskip(NEXT) | instid1(VALU_DEP_2)
	v_sub_f32_e32 v24, v21, v17
	v_dual_sub_f32 v23, v17, v23 :: v_dual_sub_f32 v16, v16, v20
	s_delay_alu instid0(VALU_DEP_1) | instskip(SKIP_1) | instid1(VALU_DEP_2)
	v_dual_sub_f32 v25, v21, v24 :: v_dual_sub_f32 v22, v22, v23
	v_sub_f32_e32 v19, v19, v24
	v_dual_sub_f32 v17, v17, v25 :: v_dual_add_f32 v20, v22, v16
	s_delay_alu instid0(VALU_DEP_1) | instskip(NEXT) | instid1(VALU_DEP_2)
	v_add_f32_e32 v17, v19, v17
	v_sub_f32_e32 v19, v20, v22
	s_delay_alu instid0(VALU_DEP_2) | instskip(NEXT) | instid1(VALU_DEP_2)
	v_add_f32_e32 v17, v20, v17
	v_sub_f32_e32 v20, v20, v19
	s_delay_alu instid0(VALU_DEP_2) | instskip(NEXT) | instid1(VALU_DEP_1)
	v_dual_sub_f32 v16, v16, v19 :: v_dual_add_f32 v23, v21, v17
	v_dual_sub_f32 v20, v22, v20 :: v_dual_sub_f32 v19, v23, v21
	s_delay_alu instid0(VALU_DEP_1) | instskip(NEXT) | instid1(VALU_DEP_1)
	v_dual_add_f32 v16, v16, v20 :: v_dual_sub_f32 v17, v17, v19
	v_add_f32_e32 v16, v16, v17
	s_delay_alu instid0(VALU_DEP_1) | instskip(NEXT) | instid1(VALU_DEP_1)
	v_add_f32_e32 v16, v23, v16
	v_cndmask_b32_e32 v66, v16, v18, vcc_lo
.LBB59_28:                              ;   in Loop: Header=BB59_12 Depth=1
	s_or_b32 exec_lo, exec_lo, s16
	v_lshlrev_b32_e32 v16, 16, v6
	s_delay_alu instid0(VALU_DEP_1) | instskip(NEXT) | instid1(VALU_DEP_1)
	v_add_f32_e32 v67, s57, v16
	v_cmp_ge_f32_e32 vcc_lo, 0x41a00000, v67
	s_and_b32 s15, s67, vcc_lo
	s_delay_alu instid0(SALU_CYCLE_1)
	s_and_saveexec_b32 s16, s15
	s_cbranch_execz .LBB59_30
; %bb.29:                               ;   in Loop: Header=BB59_12 Depth=1
	v_mul_f32_e32 v16, 0x3fb8aa3b, v67
	v_cmp_ngt_f32_e32 vcc_lo, 0xc2ce8ed0, v67
	s_delay_alu instid0(VALU_DEP_2) | instskip(SKIP_1) | instid1(VALU_DEP_2)
	v_rndne_f32_e32 v17, v16
	v_fma_f32 v18, 0x3fb8aa3b, v67, -v16
	v_sub_f32_e32 v16, v16, v17
	s_delay_alu instid0(VALU_DEP_2) | instskip(SKIP_1) | instid1(VALU_DEP_2)
	v_fmac_f32_e32 v18, 0x32a5705f, v67
	v_cvt_i32_f32_e32 v17, v17
	v_add_f32_e32 v16, v16, v18
	s_delay_alu instid0(VALU_DEP_1) | instskip(SKIP_2) | instid1(VALU_DEP_1)
	v_exp_f32_e32 v16, v16
	s_waitcnt_depctr 0xfff
	v_ldexp_f32 v16, v16, v17
	v_cndmask_b32_e32 v16, 0, v16, vcc_lo
	v_cmp_nlt_f32_e32 vcc_lo, 0x42b17218, v67
	s_delay_alu instid0(VALU_DEP_2) | instskip(NEXT) | instid1(VALU_DEP_1)
	v_cndmask_b32_e32 v18, 0x7f800000, v16, vcc_lo
	v_add_f32_e32 v19, 1.0, v18
	s_delay_alu instid0(VALU_DEP_1) | instskip(NEXT) | instid1(VALU_DEP_1)
	v_cvt_f64_f32_e32 v[16:17], v19
	v_frexp_exp_i32_f64_e32 v16, v[16:17]
	v_frexp_mant_f32_e32 v17, v19
	s_delay_alu instid0(VALU_DEP_1) | instskip(SKIP_1) | instid1(VALU_DEP_1)
	v_cmp_gt_f32_e32 vcc_lo, 0x3f2aaaab, v17
	v_add_f32_e32 v17, -1.0, v19
	v_sub_f32_e32 v21, v17, v19
	v_sub_f32_e32 v17, v18, v17
	s_delay_alu instid0(VALU_DEP_2) | instskip(NEXT) | instid1(VALU_DEP_1)
	v_add_f32_e32 v21, 1.0, v21
	v_add_f32_e32 v17, v17, v21
	v_cmp_gt_f32_e64 s15, 0x33800000, v18
	v_subrev_co_ci_u32_e32 v16, vcc_lo, 0, v16, vcc_lo
	v_cmp_eq_f32_e32 vcc_lo, 0x7f800000, v18
	s_delay_alu instid0(VALU_DEP_2) | instskip(SKIP_2) | instid1(VALU_DEP_2)
	v_sub_nc_u32_e32 v20, 0, v16
	v_cvt_f32_i32_e32 v16, v16
	s_or_b32 vcc_lo, s15, vcc_lo
	v_ldexp_f32 v19, v19, v20
	v_ldexp_f32 v17, v17, v20
	s_delay_alu instid0(VALU_DEP_2) | instskip(NEXT) | instid1(VALU_DEP_1)
	v_add_f32_e32 v22, 1.0, v19
	v_dual_add_f32 v20, -1.0, v19 :: v_dual_add_f32 v21, -1.0, v22
	s_delay_alu instid0(VALU_DEP_1) | instskip(NEXT) | instid1(VALU_DEP_2)
	v_add_f32_e32 v23, 1.0, v20
	v_sub_f32_e32 v21, v19, v21
	s_delay_alu instid0(VALU_DEP_2) | instskip(NEXT) | instid1(VALU_DEP_2)
	v_sub_f32_e32 v19, v19, v23
	v_add_f32_e32 v21, v17, v21
	s_delay_alu instid0(VALU_DEP_2) | instskip(NEXT) | instid1(VALU_DEP_1)
	v_add_f32_e32 v17, v17, v19
	v_add_f32_e32 v24, v20, v17
	s_delay_alu instid0(VALU_DEP_1) | instskip(NEXT) | instid1(VALU_DEP_1)
	v_dual_add_f32 v23, v22, v21 :: v_dual_sub_f32 v20, v20, v24
	v_rcp_f32_e32 v19, v23
	v_sub_f32_e32 v22, v22, v23
	s_delay_alu instid0(VALU_DEP_1) | instskip(SKIP_2) | instid1(VALU_DEP_1)
	v_add_f32_e32 v21, v21, v22
	s_waitcnt_depctr 0xfff
	v_mul_f32_e32 v25, v24, v19
	v_mul_f32_e32 v26, v23, v25
	s_delay_alu instid0(VALU_DEP_1) | instskip(NEXT) | instid1(VALU_DEP_1)
	v_fma_f32 v22, v25, v23, -v26
	v_fmac_f32_e32 v22, v25, v21
	s_delay_alu instid0(VALU_DEP_1) | instskip(NEXT) | instid1(VALU_DEP_1)
	v_add_f32_e32 v27, v26, v22
	v_sub_f32_e32 v28, v24, v27
	s_delay_alu instid0(VALU_DEP_1) | instskip(SKIP_1) | instid1(VALU_DEP_2)
	v_sub_f32_e32 v24, v24, v28
	v_dual_add_f32 v17, v17, v20 :: v_dual_sub_f32 v20, v27, v26
	v_sub_f32_e32 v24, v24, v27
	s_delay_alu instid0(VALU_DEP_1) | instskip(NEXT) | instid1(VALU_DEP_1)
	v_dual_sub_f32 v20, v20, v22 :: v_dual_add_f32 v17, v17, v24
	v_add_f32_e32 v17, v20, v17
	s_delay_alu instid0(VALU_DEP_1) | instskip(NEXT) | instid1(VALU_DEP_1)
	v_add_f32_e32 v20, v28, v17
	v_mul_f32_e32 v22, v19, v20
	s_delay_alu instid0(VALU_DEP_1) | instskip(NEXT) | instid1(VALU_DEP_1)
	v_dual_sub_f32 v27, v28, v20 :: v_dual_mul_f32 v24, v23, v22
	v_add_f32_e32 v17, v17, v27
	s_delay_alu instid0(VALU_DEP_2) | instskip(NEXT) | instid1(VALU_DEP_1)
	v_fma_f32 v23, v22, v23, -v24
	v_fmac_f32_e32 v23, v22, v21
	s_delay_alu instid0(VALU_DEP_1) | instskip(NEXT) | instid1(VALU_DEP_1)
	v_add_f32_e32 v21, v24, v23
	v_sub_f32_e32 v26, v20, v21
	s_delay_alu instid0(VALU_DEP_1) | instskip(NEXT) | instid1(VALU_DEP_1)
	v_sub_f32_e32 v20, v20, v26
	v_sub_f32_e32 v20, v20, v21
	s_delay_alu instid0(VALU_DEP_1) | instskip(SKIP_2) | instid1(VALU_DEP_1)
	v_add_f32_e32 v17, v17, v20
	v_add_f32_e32 v20, v25, v22
	v_sub_f32_e32 v24, v21, v24
	v_sub_f32_e32 v21, v24, v23
	s_delay_alu instid0(VALU_DEP_1) | instskip(NEXT) | instid1(VALU_DEP_4)
	v_add_f32_e32 v17, v21, v17
	v_sub_f32_e32 v21, v20, v25
	s_delay_alu instid0(VALU_DEP_2) | instskip(NEXT) | instid1(VALU_DEP_2)
	v_add_f32_e32 v17, v26, v17
	v_sub_f32_e32 v21, v22, v21
	s_delay_alu instid0(VALU_DEP_2) | instskip(NEXT) | instid1(VALU_DEP_1)
	v_mul_f32_e32 v17, v19, v17
	v_add_f32_e32 v17, v21, v17
	s_delay_alu instid0(VALU_DEP_1) | instskip(NEXT) | instid1(VALU_DEP_1)
	v_add_f32_e32 v19, v20, v17
	v_mul_f32_e32 v21, v19, v19
	s_delay_alu instid0(VALU_DEP_1) | instskip(SKIP_1) | instid1(VALU_DEP_2)
	v_fmaak_f32 v22, s54, v21, 0x3ecc95a3
	v_mul_f32_e32 v23, v19, v21
	v_fmaak_f32 v21, v21, v22, 0x3f2aaada
	v_ldexp_f32 v22, v19, 1
	s_delay_alu instid0(VALU_DEP_2) | instskip(SKIP_1) | instid1(VALU_DEP_2)
	v_mul_f32_e32 v21, v23, v21
	v_sub_f32_e32 v19, v19, v20
	v_dual_mul_f32 v23, 0x3f317218, v16 :: v_dual_add_f32 v20, v22, v21
	s_delay_alu instid0(VALU_DEP_2) | instskip(NEXT) | instid1(VALU_DEP_2)
	v_sub_f32_e32 v17, v17, v19
	v_sub_f32_e32 v19, v20, v22
	s_delay_alu instid0(VALU_DEP_3) | instskip(NEXT) | instid1(VALU_DEP_3)
	v_fma_f32 v22, 0x3f317218, v16, -v23
	v_ldexp_f32 v17, v17, 1
	s_delay_alu instid0(VALU_DEP_2) | instskip(NEXT) | instid1(VALU_DEP_1)
	v_dual_sub_f32 v19, v21, v19 :: v_dual_fmac_f32 v22, 0xb102e308, v16
	v_dual_add_f32 v16, v17, v19 :: v_dual_add_f32 v17, v23, v22
	s_delay_alu instid0(VALU_DEP_1) | instskip(NEXT) | instid1(VALU_DEP_1)
	v_add_f32_e32 v19, v20, v16
	v_dual_add_f32 v21, v17, v19 :: v_dual_sub_f32 v20, v19, v20
	s_delay_alu instid0(VALU_DEP_1) | instskip(NEXT) | instid1(VALU_DEP_2)
	v_sub_f32_e32 v24, v21, v17
	v_dual_sub_f32 v23, v17, v23 :: v_dual_sub_f32 v16, v16, v20
	s_delay_alu instid0(VALU_DEP_1) | instskip(SKIP_1) | instid1(VALU_DEP_2)
	v_dual_sub_f32 v25, v21, v24 :: v_dual_sub_f32 v22, v22, v23
	v_sub_f32_e32 v19, v19, v24
	v_dual_sub_f32 v17, v17, v25 :: v_dual_add_f32 v20, v22, v16
	s_delay_alu instid0(VALU_DEP_1) | instskip(NEXT) | instid1(VALU_DEP_2)
	v_add_f32_e32 v17, v19, v17
	v_sub_f32_e32 v19, v20, v22
	s_delay_alu instid0(VALU_DEP_2) | instskip(NEXT) | instid1(VALU_DEP_2)
	v_add_f32_e32 v17, v20, v17
	v_sub_f32_e32 v20, v20, v19
	s_delay_alu instid0(VALU_DEP_2) | instskip(NEXT) | instid1(VALU_DEP_1)
	v_dual_sub_f32 v16, v16, v19 :: v_dual_add_f32 v23, v21, v17
	v_dual_sub_f32 v20, v22, v20 :: v_dual_sub_f32 v19, v23, v21
	s_delay_alu instid0(VALU_DEP_1) | instskip(NEXT) | instid1(VALU_DEP_1)
	v_dual_add_f32 v16, v16, v20 :: v_dual_sub_f32 v17, v17, v19
	v_add_f32_e32 v16, v16, v17
	s_delay_alu instid0(VALU_DEP_1) | instskip(NEXT) | instid1(VALU_DEP_1)
	v_add_f32_e32 v16, v23, v16
	v_cndmask_b32_e32 v67, v16, v18, vcc_lo
.LBB59_30:                              ;   in Loop: Header=BB59_12 Depth=1
	s_or_b32 exec_lo, exec_lo, s16
	v_and_b32_e32 v16, 0xffff0000, v6
	s_delay_alu instid0(VALU_DEP_1) | instskip(NEXT) | instid1(VALU_DEP_1)
	v_add_f32_e32 v68, s57, v16
	v_cmp_ge_f32_e32 vcc_lo, 0x41a00000, v68
	s_and_b32 s15, s67, vcc_lo
	s_delay_alu instid0(SALU_CYCLE_1)
	s_and_saveexec_b32 s16, s15
	s_cbranch_execz .LBB59_32
; %bb.31:                               ;   in Loop: Header=BB59_12 Depth=1
	v_mul_f32_e32 v16, 0x3fb8aa3b, v68
	v_cmp_ngt_f32_e32 vcc_lo, 0xc2ce8ed0, v68
	s_delay_alu instid0(VALU_DEP_2) | instskip(SKIP_1) | instid1(VALU_DEP_2)
	v_rndne_f32_e32 v17, v16
	v_fma_f32 v18, 0x3fb8aa3b, v68, -v16
	v_sub_f32_e32 v16, v16, v17
	s_delay_alu instid0(VALU_DEP_2) | instskip(SKIP_1) | instid1(VALU_DEP_2)
	v_fmac_f32_e32 v18, 0x32a5705f, v68
	v_cvt_i32_f32_e32 v17, v17
	v_add_f32_e32 v16, v16, v18
	s_delay_alu instid0(VALU_DEP_1) | instskip(SKIP_2) | instid1(VALU_DEP_1)
	v_exp_f32_e32 v16, v16
	s_waitcnt_depctr 0xfff
	v_ldexp_f32 v16, v16, v17
	v_cndmask_b32_e32 v16, 0, v16, vcc_lo
	v_cmp_nlt_f32_e32 vcc_lo, 0x42b17218, v68
	s_delay_alu instid0(VALU_DEP_2) | instskip(NEXT) | instid1(VALU_DEP_1)
	v_cndmask_b32_e32 v18, 0x7f800000, v16, vcc_lo
	v_add_f32_e32 v19, 1.0, v18
	s_delay_alu instid0(VALU_DEP_1) | instskip(NEXT) | instid1(VALU_DEP_1)
	v_cvt_f64_f32_e32 v[16:17], v19
	v_frexp_exp_i32_f64_e32 v16, v[16:17]
	v_frexp_mant_f32_e32 v17, v19
	s_delay_alu instid0(VALU_DEP_1) | instskip(SKIP_1) | instid1(VALU_DEP_1)
	v_cmp_gt_f32_e32 vcc_lo, 0x3f2aaaab, v17
	v_add_f32_e32 v17, -1.0, v19
	v_sub_f32_e32 v21, v17, v19
	v_sub_f32_e32 v17, v18, v17
	s_delay_alu instid0(VALU_DEP_2) | instskip(NEXT) | instid1(VALU_DEP_1)
	v_add_f32_e32 v21, 1.0, v21
	v_add_f32_e32 v17, v17, v21
	v_cmp_gt_f32_e64 s15, 0x33800000, v18
	v_subrev_co_ci_u32_e32 v16, vcc_lo, 0, v16, vcc_lo
	v_cmp_eq_f32_e32 vcc_lo, 0x7f800000, v18
	s_delay_alu instid0(VALU_DEP_2) | instskip(SKIP_2) | instid1(VALU_DEP_2)
	v_sub_nc_u32_e32 v20, 0, v16
	v_cvt_f32_i32_e32 v16, v16
	s_or_b32 vcc_lo, s15, vcc_lo
	v_ldexp_f32 v19, v19, v20
	v_ldexp_f32 v17, v17, v20
	s_delay_alu instid0(VALU_DEP_2) | instskip(NEXT) | instid1(VALU_DEP_1)
	v_add_f32_e32 v22, 1.0, v19
	v_dual_add_f32 v20, -1.0, v19 :: v_dual_add_f32 v21, -1.0, v22
	s_delay_alu instid0(VALU_DEP_1) | instskip(NEXT) | instid1(VALU_DEP_2)
	v_add_f32_e32 v23, 1.0, v20
	v_sub_f32_e32 v21, v19, v21
	s_delay_alu instid0(VALU_DEP_2) | instskip(NEXT) | instid1(VALU_DEP_2)
	v_sub_f32_e32 v19, v19, v23
	v_add_f32_e32 v21, v17, v21
	s_delay_alu instid0(VALU_DEP_2) | instskip(NEXT) | instid1(VALU_DEP_1)
	v_add_f32_e32 v17, v17, v19
	v_add_f32_e32 v24, v20, v17
	s_delay_alu instid0(VALU_DEP_1) | instskip(NEXT) | instid1(VALU_DEP_1)
	v_dual_add_f32 v23, v22, v21 :: v_dual_sub_f32 v20, v20, v24
	v_rcp_f32_e32 v19, v23
	v_sub_f32_e32 v22, v22, v23
	s_delay_alu instid0(VALU_DEP_1) | instskip(SKIP_2) | instid1(VALU_DEP_1)
	v_add_f32_e32 v21, v21, v22
	s_waitcnt_depctr 0xfff
	v_mul_f32_e32 v25, v24, v19
	v_mul_f32_e32 v26, v23, v25
	s_delay_alu instid0(VALU_DEP_1) | instskip(NEXT) | instid1(VALU_DEP_1)
	v_fma_f32 v22, v25, v23, -v26
	v_fmac_f32_e32 v22, v25, v21
	s_delay_alu instid0(VALU_DEP_1) | instskip(NEXT) | instid1(VALU_DEP_1)
	v_add_f32_e32 v27, v26, v22
	v_sub_f32_e32 v28, v24, v27
	s_delay_alu instid0(VALU_DEP_1) | instskip(SKIP_1) | instid1(VALU_DEP_2)
	v_sub_f32_e32 v24, v24, v28
	v_dual_add_f32 v17, v17, v20 :: v_dual_sub_f32 v20, v27, v26
	v_sub_f32_e32 v24, v24, v27
	s_delay_alu instid0(VALU_DEP_1) | instskip(NEXT) | instid1(VALU_DEP_1)
	v_dual_sub_f32 v20, v20, v22 :: v_dual_add_f32 v17, v17, v24
	v_add_f32_e32 v17, v20, v17
	s_delay_alu instid0(VALU_DEP_1) | instskip(NEXT) | instid1(VALU_DEP_1)
	v_add_f32_e32 v20, v28, v17
	v_mul_f32_e32 v22, v19, v20
	s_delay_alu instid0(VALU_DEP_1) | instskip(NEXT) | instid1(VALU_DEP_1)
	v_dual_sub_f32 v27, v28, v20 :: v_dual_mul_f32 v24, v23, v22
	v_add_f32_e32 v17, v17, v27
	s_delay_alu instid0(VALU_DEP_2) | instskip(NEXT) | instid1(VALU_DEP_1)
	v_fma_f32 v23, v22, v23, -v24
	v_fmac_f32_e32 v23, v22, v21
	s_delay_alu instid0(VALU_DEP_1) | instskip(NEXT) | instid1(VALU_DEP_1)
	v_add_f32_e32 v21, v24, v23
	v_sub_f32_e32 v26, v20, v21
	s_delay_alu instid0(VALU_DEP_1) | instskip(NEXT) | instid1(VALU_DEP_1)
	v_sub_f32_e32 v20, v20, v26
	v_sub_f32_e32 v20, v20, v21
	s_delay_alu instid0(VALU_DEP_1) | instskip(SKIP_2) | instid1(VALU_DEP_1)
	v_add_f32_e32 v17, v17, v20
	v_add_f32_e32 v20, v25, v22
	v_sub_f32_e32 v24, v21, v24
	v_sub_f32_e32 v21, v24, v23
	s_delay_alu instid0(VALU_DEP_1) | instskip(NEXT) | instid1(VALU_DEP_4)
	v_add_f32_e32 v17, v21, v17
	v_sub_f32_e32 v21, v20, v25
	s_delay_alu instid0(VALU_DEP_2) | instskip(NEXT) | instid1(VALU_DEP_2)
	v_add_f32_e32 v17, v26, v17
	v_sub_f32_e32 v21, v22, v21
	s_delay_alu instid0(VALU_DEP_2) | instskip(NEXT) | instid1(VALU_DEP_1)
	v_mul_f32_e32 v17, v19, v17
	v_add_f32_e32 v17, v21, v17
	s_delay_alu instid0(VALU_DEP_1) | instskip(NEXT) | instid1(VALU_DEP_1)
	v_add_f32_e32 v19, v20, v17
	v_mul_f32_e32 v21, v19, v19
	s_delay_alu instid0(VALU_DEP_1) | instskip(SKIP_1) | instid1(VALU_DEP_2)
	v_fmaak_f32 v22, s54, v21, 0x3ecc95a3
	v_mul_f32_e32 v23, v19, v21
	v_fmaak_f32 v21, v21, v22, 0x3f2aaada
	v_ldexp_f32 v22, v19, 1
	s_delay_alu instid0(VALU_DEP_2) | instskip(SKIP_1) | instid1(VALU_DEP_2)
	v_mul_f32_e32 v21, v23, v21
	v_sub_f32_e32 v19, v19, v20
	v_dual_mul_f32 v23, 0x3f317218, v16 :: v_dual_add_f32 v20, v22, v21
	s_delay_alu instid0(VALU_DEP_2) | instskip(NEXT) | instid1(VALU_DEP_2)
	v_sub_f32_e32 v17, v17, v19
	v_sub_f32_e32 v19, v20, v22
	s_delay_alu instid0(VALU_DEP_3) | instskip(NEXT) | instid1(VALU_DEP_3)
	v_fma_f32 v22, 0x3f317218, v16, -v23
	v_ldexp_f32 v17, v17, 1
	s_delay_alu instid0(VALU_DEP_2) | instskip(NEXT) | instid1(VALU_DEP_1)
	v_dual_sub_f32 v19, v21, v19 :: v_dual_fmac_f32 v22, 0xb102e308, v16
	v_dual_add_f32 v16, v17, v19 :: v_dual_add_f32 v17, v23, v22
	s_delay_alu instid0(VALU_DEP_1) | instskip(NEXT) | instid1(VALU_DEP_1)
	v_add_f32_e32 v19, v20, v16
	v_dual_add_f32 v21, v17, v19 :: v_dual_sub_f32 v20, v19, v20
	s_delay_alu instid0(VALU_DEP_1) | instskip(NEXT) | instid1(VALU_DEP_2)
	v_sub_f32_e32 v24, v21, v17
	v_dual_sub_f32 v23, v17, v23 :: v_dual_sub_f32 v16, v16, v20
	s_delay_alu instid0(VALU_DEP_1) | instskip(SKIP_1) | instid1(VALU_DEP_2)
	v_dual_sub_f32 v25, v21, v24 :: v_dual_sub_f32 v22, v22, v23
	v_sub_f32_e32 v19, v19, v24
	v_dual_sub_f32 v17, v17, v25 :: v_dual_add_f32 v20, v22, v16
	s_delay_alu instid0(VALU_DEP_1) | instskip(NEXT) | instid1(VALU_DEP_2)
	v_add_f32_e32 v17, v19, v17
	v_sub_f32_e32 v19, v20, v22
	s_delay_alu instid0(VALU_DEP_2) | instskip(NEXT) | instid1(VALU_DEP_2)
	v_add_f32_e32 v17, v20, v17
	v_sub_f32_e32 v20, v20, v19
	s_delay_alu instid0(VALU_DEP_2) | instskip(NEXT) | instid1(VALU_DEP_1)
	v_dual_sub_f32 v16, v16, v19 :: v_dual_add_f32 v23, v21, v17
	v_dual_sub_f32 v20, v22, v20 :: v_dual_sub_f32 v19, v23, v21
	s_delay_alu instid0(VALU_DEP_1) | instskip(NEXT) | instid1(VALU_DEP_1)
	v_dual_add_f32 v16, v16, v20 :: v_dual_sub_f32 v17, v17, v19
	v_add_f32_e32 v16, v16, v17
	s_delay_alu instid0(VALU_DEP_1) | instskip(NEXT) | instid1(VALU_DEP_1)
	v_add_f32_e32 v16, v23, v16
	v_cndmask_b32_e32 v68, v16, v18, vcc_lo
.LBB59_32:                              ;   in Loop: Header=BB59_12 Depth=1
	s_or_b32 exec_lo, exec_lo, s16
	v_lshlrev_b32_e32 v16, 16, v7
	s_delay_alu instid0(VALU_DEP_1) | instskip(NEXT) | instid1(VALU_DEP_1)
	v_add_f32_e32 v69, s57, v16
	v_cmp_ge_f32_e32 vcc_lo, 0x41a00000, v69
	s_and_b32 s15, s67, vcc_lo
	s_delay_alu instid0(SALU_CYCLE_1)
	s_and_saveexec_b32 s16, s15
	s_cbranch_execz .LBB59_34
; %bb.33:                               ;   in Loop: Header=BB59_12 Depth=1
	v_mul_f32_e32 v16, 0x3fb8aa3b, v69
	v_cmp_ngt_f32_e32 vcc_lo, 0xc2ce8ed0, v69
	s_delay_alu instid0(VALU_DEP_2) | instskip(SKIP_1) | instid1(VALU_DEP_2)
	v_rndne_f32_e32 v17, v16
	v_fma_f32 v18, 0x3fb8aa3b, v69, -v16
	v_sub_f32_e32 v16, v16, v17
	s_delay_alu instid0(VALU_DEP_2) | instskip(SKIP_1) | instid1(VALU_DEP_2)
	v_fmac_f32_e32 v18, 0x32a5705f, v69
	v_cvt_i32_f32_e32 v17, v17
	v_add_f32_e32 v16, v16, v18
	s_delay_alu instid0(VALU_DEP_1) | instskip(SKIP_2) | instid1(VALU_DEP_1)
	v_exp_f32_e32 v16, v16
	s_waitcnt_depctr 0xfff
	v_ldexp_f32 v16, v16, v17
	v_cndmask_b32_e32 v16, 0, v16, vcc_lo
	v_cmp_nlt_f32_e32 vcc_lo, 0x42b17218, v69
	s_delay_alu instid0(VALU_DEP_2) | instskip(NEXT) | instid1(VALU_DEP_1)
	v_cndmask_b32_e32 v18, 0x7f800000, v16, vcc_lo
	v_add_f32_e32 v19, 1.0, v18
	s_delay_alu instid0(VALU_DEP_1) | instskip(NEXT) | instid1(VALU_DEP_1)
	v_cvt_f64_f32_e32 v[16:17], v19
	v_frexp_exp_i32_f64_e32 v16, v[16:17]
	v_frexp_mant_f32_e32 v17, v19
	s_delay_alu instid0(VALU_DEP_1) | instskip(SKIP_1) | instid1(VALU_DEP_1)
	v_cmp_gt_f32_e32 vcc_lo, 0x3f2aaaab, v17
	v_add_f32_e32 v17, -1.0, v19
	v_sub_f32_e32 v21, v17, v19
	v_sub_f32_e32 v17, v18, v17
	s_delay_alu instid0(VALU_DEP_2) | instskip(NEXT) | instid1(VALU_DEP_1)
	v_add_f32_e32 v21, 1.0, v21
	v_add_f32_e32 v17, v17, v21
	v_cmp_gt_f32_e64 s15, 0x33800000, v18
	v_subrev_co_ci_u32_e32 v16, vcc_lo, 0, v16, vcc_lo
	v_cmp_eq_f32_e32 vcc_lo, 0x7f800000, v18
	s_delay_alu instid0(VALU_DEP_2) | instskip(SKIP_2) | instid1(VALU_DEP_2)
	v_sub_nc_u32_e32 v20, 0, v16
	v_cvt_f32_i32_e32 v16, v16
	s_or_b32 vcc_lo, s15, vcc_lo
	v_ldexp_f32 v19, v19, v20
	v_ldexp_f32 v17, v17, v20
	s_delay_alu instid0(VALU_DEP_2) | instskip(NEXT) | instid1(VALU_DEP_1)
	v_add_f32_e32 v22, 1.0, v19
	v_dual_add_f32 v20, -1.0, v19 :: v_dual_add_f32 v21, -1.0, v22
	s_delay_alu instid0(VALU_DEP_1) | instskip(NEXT) | instid1(VALU_DEP_2)
	v_add_f32_e32 v23, 1.0, v20
	v_sub_f32_e32 v21, v19, v21
	s_delay_alu instid0(VALU_DEP_2) | instskip(NEXT) | instid1(VALU_DEP_2)
	v_sub_f32_e32 v19, v19, v23
	v_add_f32_e32 v21, v17, v21
	s_delay_alu instid0(VALU_DEP_2) | instskip(NEXT) | instid1(VALU_DEP_1)
	v_add_f32_e32 v17, v17, v19
	v_add_f32_e32 v24, v20, v17
	s_delay_alu instid0(VALU_DEP_1) | instskip(NEXT) | instid1(VALU_DEP_1)
	v_dual_add_f32 v23, v22, v21 :: v_dual_sub_f32 v20, v20, v24
	v_rcp_f32_e32 v19, v23
	v_sub_f32_e32 v22, v22, v23
	s_delay_alu instid0(VALU_DEP_1) | instskip(SKIP_2) | instid1(VALU_DEP_1)
	v_add_f32_e32 v21, v21, v22
	s_waitcnt_depctr 0xfff
	v_mul_f32_e32 v25, v24, v19
	v_mul_f32_e32 v26, v23, v25
	s_delay_alu instid0(VALU_DEP_1) | instskip(NEXT) | instid1(VALU_DEP_1)
	v_fma_f32 v22, v25, v23, -v26
	v_fmac_f32_e32 v22, v25, v21
	s_delay_alu instid0(VALU_DEP_1) | instskip(NEXT) | instid1(VALU_DEP_1)
	v_add_f32_e32 v27, v26, v22
	v_sub_f32_e32 v28, v24, v27
	s_delay_alu instid0(VALU_DEP_1) | instskip(SKIP_1) | instid1(VALU_DEP_2)
	v_sub_f32_e32 v24, v24, v28
	v_dual_add_f32 v17, v17, v20 :: v_dual_sub_f32 v20, v27, v26
	v_sub_f32_e32 v24, v24, v27
	s_delay_alu instid0(VALU_DEP_1) | instskip(NEXT) | instid1(VALU_DEP_1)
	v_dual_sub_f32 v20, v20, v22 :: v_dual_add_f32 v17, v17, v24
	v_add_f32_e32 v17, v20, v17
	s_delay_alu instid0(VALU_DEP_1) | instskip(NEXT) | instid1(VALU_DEP_1)
	v_add_f32_e32 v20, v28, v17
	v_mul_f32_e32 v22, v19, v20
	s_delay_alu instid0(VALU_DEP_1) | instskip(NEXT) | instid1(VALU_DEP_1)
	v_dual_sub_f32 v27, v28, v20 :: v_dual_mul_f32 v24, v23, v22
	v_add_f32_e32 v17, v17, v27
	s_delay_alu instid0(VALU_DEP_2) | instskip(NEXT) | instid1(VALU_DEP_1)
	v_fma_f32 v23, v22, v23, -v24
	v_fmac_f32_e32 v23, v22, v21
	s_delay_alu instid0(VALU_DEP_1) | instskip(NEXT) | instid1(VALU_DEP_1)
	v_add_f32_e32 v21, v24, v23
	v_sub_f32_e32 v26, v20, v21
	s_delay_alu instid0(VALU_DEP_1) | instskip(NEXT) | instid1(VALU_DEP_1)
	v_sub_f32_e32 v20, v20, v26
	v_sub_f32_e32 v20, v20, v21
	s_delay_alu instid0(VALU_DEP_1) | instskip(SKIP_2) | instid1(VALU_DEP_1)
	v_add_f32_e32 v17, v17, v20
	v_add_f32_e32 v20, v25, v22
	v_sub_f32_e32 v24, v21, v24
	v_sub_f32_e32 v21, v24, v23
	s_delay_alu instid0(VALU_DEP_1) | instskip(NEXT) | instid1(VALU_DEP_4)
	v_add_f32_e32 v17, v21, v17
	v_sub_f32_e32 v21, v20, v25
	s_delay_alu instid0(VALU_DEP_2) | instskip(NEXT) | instid1(VALU_DEP_2)
	v_add_f32_e32 v17, v26, v17
	v_sub_f32_e32 v21, v22, v21
	s_delay_alu instid0(VALU_DEP_2) | instskip(NEXT) | instid1(VALU_DEP_1)
	v_mul_f32_e32 v17, v19, v17
	v_add_f32_e32 v17, v21, v17
	s_delay_alu instid0(VALU_DEP_1) | instskip(NEXT) | instid1(VALU_DEP_1)
	v_add_f32_e32 v19, v20, v17
	v_mul_f32_e32 v21, v19, v19
	s_delay_alu instid0(VALU_DEP_1) | instskip(SKIP_1) | instid1(VALU_DEP_2)
	v_fmaak_f32 v22, s54, v21, 0x3ecc95a3
	v_mul_f32_e32 v23, v19, v21
	v_fmaak_f32 v21, v21, v22, 0x3f2aaada
	v_ldexp_f32 v22, v19, 1
	s_delay_alu instid0(VALU_DEP_2) | instskip(SKIP_1) | instid1(VALU_DEP_2)
	v_mul_f32_e32 v21, v23, v21
	v_sub_f32_e32 v19, v19, v20
	v_dual_mul_f32 v23, 0x3f317218, v16 :: v_dual_add_f32 v20, v22, v21
	s_delay_alu instid0(VALU_DEP_2) | instskip(NEXT) | instid1(VALU_DEP_2)
	v_sub_f32_e32 v17, v17, v19
	v_sub_f32_e32 v19, v20, v22
	s_delay_alu instid0(VALU_DEP_3) | instskip(NEXT) | instid1(VALU_DEP_3)
	v_fma_f32 v22, 0x3f317218, v16, -v23
	v_ldexp_f32 v17, v17, 1
	s_delay_alu instid0(VALU_DEP_2) | instskip(NEXT) | instid1(VALU_DEP_1)
	v_dual_sub_f32 v19, v21, v19 :: v_dual_fmac_f32 v22, 0xb102e308, v16
	v_dual_add_f32 v16, v17, v19 :: v_dual_add_f32 v17, v23, v22
	s_delay_alu instid0(VALU_DEP_1) | instskip(NEXT) | instid1(VALU_DEP_1)
	v_add_f32_e32 v19, v20, v16
	v_dual_add_f32 v21, v17, v19 :: v_dual_sub_f32 v20, v19, v20
	s_delay_alu instid0(VALU_DEP_1) | instskip(NEXT) | instid1(VALU_DEP_2)
	v_sub_f32_e32 v24, v21, v17
	v_dual_sub_f32 v23, v17, v23 :: v_dual_sub_f32 v16, v16, v20
	s_delay_alu instid0(VALU_DEP_1) | instskip(SKIP_1) | instid1(VALU_DEP_2)
	v_dual_sub_f32 v25, v21, v24 :: v_dual_sub_f32 v22, v22, v23
	v_sub_f32_e32 v19, v19, v24
	v_dual_sub_f32 v17, v17, v25 :: v_dual_add_f32 v20, v22, v16
	s_delay_alu instid0(VALU_DEP_1) | instskip(NEXT) | instid1(VALU_DEP_2)
	v_add_f32_e32 v17, v19, v17
	v_sub_f32_e32 v19, v20, v22
	s_delay_alu instid0(VALU_DEP_2) | instskip(NEXT) | instid1(VALU_DEP_2)
	v_add_f32_e32 v17, v20, v17
	v_sub_f32_e32 v20, v20, v19
	s_delay_alu instid0(VALU_DEP_2) | instskip(NEXT) | instid1(VALU_DEP_1)
	v_dual_sub_f32 v16, v16, v19 :: v_dual_add_f32 v23, v21, v17
	v_dual_sub_f32 v20, v22, v20 :: v_dual_sub_f32 v19, v23, v21
	s_delay_alu instid0(VALU_DEP_1) | instskip(NEXT) | instid1(VALU_DEP_1)
	v_dual_add_f32 v16, v16, v20 :: v_dual_sub_f32 v17, v17, v19
	v_add_f32_e32 v16, v16, v17
	s_delay_alu instid0(VALU_DEP_1) | instskip(NEXT) | instid1(VALU_DEP_1)
	v_add_f32_e32 v16, v23, v16
	v_cndmask_b32_e32 v69, v16, v18, vcc_lo
.LBB59_34:                              ;   in Loop: Header=BB59_12 Depth=1
	s_or_b32 exec_lo, exec_lo, s16
	v_and_b32_e32 v16, 0xffff0000, v7
	s_delay_alu instid0(VALU_DEP_1) | instskip(NEXT) | instid1(VALU_DEP_1)
	v_add_f32_e32 v70, s57, v16
	v_cmp_ge_f32_e32 vcc_lo, 0x41a00000, v70
	s_and_b32 s15, s67, vcc_lo
	s_delay_alu instid0(SALU_CYCLE_1)
	s_and_saveexec_b32 s16, s15
	s_cbranch_execz .LBB59_36
; %bb.35:                               ;   in Loop: Header=BB59_12 Depth=1
	v_mul_f32_e32 v16, 0x3fb8aa3b, v70
	v_cmp_ngt_f32_e32 vcc_lo, 0xc2ce8ed0, v70
	s_delay_alu instid0(VALU_DEP_2) | instskip(SKIP_1) | instid1(VALU_DEP_2)
	v_rndne_f32_e32 v17, v16
	v_fma_f32 v18, 0x3fb8aa3b, v70, -v16
	v_sub_f32_e32 v16, v16, v17
	s_delay_alu instid0(VALU_DEP_2) | instskip(SKIP_1) | instid1(VALU_DEP_2)
	v_fmac_f32_e32 v18, 0x32a5705f, v70
	v_cvt_i32_f32_e32 v17, v17
	v_add_f32_e32 v16, v16, v18
	s_delay_alu instid0(VALU_DEP_1) | instskip(SKIP_2) | instid1(VALU_DEP_1)
	v_exp_f32_e32 v16, v16
	s_waitcnt_depctr 0xfff
	v_ldexp_f32 v16, v16, v17
	v_cndmask_b32_e32 v16, 0, v16, vcc_lo
	v_cmp_nlt_f32_e32 vcc_lo, 0x42b17218, v70
	s_delay_alu instid0(VALU_DEP_2) | instskip(NEXT) | instid1(VALU_DEP_1)
	v_cndmask_b32_e32 v18, 0x7f800000, v16, vcc_lo
	v_add_f32_e32 v19, 1.0, v18
	s_delay_alu instid0(VALU_DEP_1) | instskip(NEXT) | instid1(VALU_DEP_1)
	v_cvt_f64_f32_e32 v[16:17], v19
	v_frexp_exp_i32_f64_e32 v16, v[16:17]
	v_frexp_mant_f32_e32 v17, v19
	s_delay_alu instid0(VALU_DEP_1) | instskip(SKIP_1) | instid1(VALU_DEP_1)
	v_cmp_gt_f32_e32 vcc_lo, 0x3f2aaaab, v17
	v_add_f32_e32 v17, -1.0, v19
	v_sub_f32_e32 v21, v17, v19
	v_sub_f32_e32 v17, v18, v17
	s_delay_alu instid0(VALU_DEP_2) | instskip(NEXT) | instid1(VALU_DEP_1)
	v_add_f32_e32 v21, 1.0, v21
	v_add_f32_e32 v17, v17, v21
	v_cmp_gt_f32_e64 s15, 0x33800000, v18
	v_subrev_co_ci_u32_e32 v16, vcc_lo, 0, v16, vcc_lo
	v_cmp_eq_f32_e32 vcc_lo, 0x7f800000, v18
	s_delay_alu instid0(VALU_DEP_2) | instskip(SKIP_2) | instid1(VALU_DEP_2)
	v_sub_nc_u32_e32 v20, 0, v16
	v_cvt_f32_i32_e32 v16, v16
	s_or_b32 vcc_lo, s15, vcc_lo
	v_ldexp_f32 v19, v19, v20
	v_ldexp_f32 v17, v17, v20
	s_delay_alu instid0(VALU_DEP_2) | instskip(NEXT) | instid1(VALU_DEP_1)
	v_add_f32_e32 v22, 1.0, v19
	v_dual_add_f32 v20, -1.0, v19 :: v_dual_add_f32 v21, -1.0, v22
	s_delay_alu instid0(VALU_DEP_1) | instskip(NEXT) | instid1(VALU_DEP_2)
	v_add_f32_e32 v23, 1.0, v20
	v_sub_f32_e32 v21, v19, v21
	s_delay_alu instid0(VALU_DEP_2) | instskip(NEXT) | instid1(VALU_DEP_2)
	v_sub_f32_e32 v19, v19, v23
	v_add_f32_e32 v21, v17, v21
	s_delay_alu instid0(VALU_DEP_2) | instskip(NEXT) | instid1(VALU_DEP_1)
	v_add_f32_e32 v17, v17, v19
	v_add_f32_e32 v24, v20, v17
	s_delay_alu instid0(VALU_DEP_1) | instskip(NEXT) | instid1(VALU_DEP_1)
	v_dual_add_f32 v23, v22, v21 :: v_dual_sub_f32 v20, v20, v24
	v_rcp_f32_e32 v19, v23
	v_sub_f32_e32 v22, v22, v23
	s_delay_alu instid0(VALU_DEP_1) | instskip(SKIP_2) | instid1(VALU_DEP_1)
	v_add_f32_e32 v21, v21, v22
	s_waitcnt_depctr 0xfff
	v_mul_f32_e32 v25, v24, v19
	v_mul_f32_e32 v26, v23, v25
	s_delay_alu instid0(VALU_DEP_1) | instskip(NEXT) | instid1(VALU_DEP_1)
	v_fma_f32 v22, v25, v23, -v26
	v_fmac_f32_e32 v22, v25, v21
	s_delay_alu instid0(VALU_DEP_1) | instskip(NEXT) | instid1(VALU_DEP_1)
	v_add_f32_e32 v27, v26, v22
	v_sub_f32_e32 v28, v24, v27
	s_delay_alu instid0(VALU_DEP_1) | instskip(SKIP_1) | instid1(VALU_DEP_2)
	v_sub_f32_e32 v24, v24, v28
	v_dual_add_f32 v17, v17, v20 :: v_dual_sub_f32 v20, v27, v26
	v_sub_f32_e32 v24, v24, v27
	s_delay_alu instid0(VALU_DEP_1) | instskip(NEXT) | instid1(VALU_DEP_1)
	v_dual_sub_f32 v20, v20, v22 :: v_dual_add_f32 v17, v17, v24
	v_add_f32_e32 v17, v20, v17
	s_delay_alu instid0(VALU_DEP_1) | instskip(NEXT) | instid1(VALU_DEP_1)
	v_add_f32_e32 v20, v28, v17
	v_mul_f32_e32 v22, v19, v20
	s_delay_alu instid0(VALU_DEP_1) | instskip(NEXT) | instid1(VALU_DEP_1)
	v_dual_sub_f32 v27, v28, v20 :: v_dual_mul_f32 v24, v23, v22
	v_add_f32_e32 v17, v17, v27
	s_delay_alu instid0(VALU_DEP_2) | instskip(NEXT) | instid1(VALU_DEP_1)
	v_fma_f32 v23, v22, v23, -v24
	v_fmac_f32_e32 v23, v22, v21
	s_delay_alu instid0(VALU_DEP_1) | instskip(NEXT) | instid1(VALU_DEP_1)
	v_add_f32_e32 v21, v24, v23
	v_sub_f32_e32 v26, v20, v21
	s_delay_alu instid0(VALU_DEP_1) | instskip(NEXT) | instid1(VALU_DEP_1)
	v_sub_f32_e32 v20, v20, v26
	v_sub_f32_e32 v20, v20, v21
	s_delay_alu instid0(VALU_DEP_1) | instskip(SKIP_2) | instid1(VALU_DEP_1)
	v_add_f32_e32 v17, v17, v20
	v_add_f32_e32 v20, v25, v22
	v_sub_f32_e32 v24, v21, v24
	v_sub_f32_e32 v21, v24, v23
	s_delay_alu instid0(VALU_DEP_1) | instskip(NEXT) | instid1(VALU_DEP_4)
	v_add_f32_e32 v17, v21, v17
	v_sub_f32_e32 v21, v20, v25
	s_delay_alu instid0(VALU_DEP_2) | instskip(NEXT) | instid1(VALU_DEP_2)
	v_add_f32_e32 v17, v26, v17
	v_sub_f32_e32 v21, v22, v21
	s_delay_alu instid0(VALU_DEP_2) | instskip(NEXT) | instid1(VALU_DEP_1)
	v_mul_f32_e32 v17, v19, v17
	v_add_f32_e32 v17, v21, v17
	s_delay_alu instid0(VALU_DEP_1) | instskip(NEXT) | instid1(VALU_DEP_1)
	v_add_f32_e32 v19, v20, v17
	v_mul_f32_e32 v21, v19, v19
	s_delay_alu instid0(VALU_DEP_1) | instskip(SKIP_1) | instid1(VALU_DEP_2)
	v_fmaak_f32 v22, s54, v21, 0x3ecc95a3
	v_mul_f32_e32 v23, v19, v21
	v_fmaak_f32 v21, v21, v22, 0x3f2aaada
	v_ldexp_f32 v22, v19, 1
	s_delay_alu instid0(VALU_DEP_2) | instskip(SKIP_1) | instid1(VALU_DEP_2)
	v_mul_f32_e32 v21, v23, v21
	v_sub_f32_e32 v19, v19, v20
	v_dual_mul_f32 v23, 0x3f317218, v16 :: v_dual_add_f32 v20, v22, v21
	s_delay_alu instid0(VALU_DEP_2) | instskip(NEXT) | instid1(VALU_DEP_2)
	v_sub_f32_e32 v17, v17, v19
	v_sub_f32_e32 v19, v20, v22
	s_delay_alu instid0(VALU_DEP_3) | instskip(NEXT) | instid1(VALU_DEP_3)
	v_fma_f32 v22, 0x3f317218, v16, -v23
	v_ldexp_f32 v17, v17, 1
	s_delay_alu instid0(VALU_DEP_2) | instskip(NEXT) | instid1(VALU_DEP_1)
	v_dual_sub_f32 v19, v21, v19 :: v_dual_fmac_f32 v22, 0xb102e308, v16
	v_dual_add_f32 v16, v17, v19 :: v_dual_add_f32 v17, v23, v22
	s_delay_alu instid0(VALU_DEP_1) | instskip(NEXT) | instid1(VALU_DEP_1)
	v_add_f32_e32 v19, v20, v16
	v_dual_add_f32 v21, v17, v19 :: v_dual_sub_f32 v20, v19, v20
	s_delay_alu instid0(VALU_DEP_1) | instskip(NEXT) | instid1(VALU_DEP_2)
	v_sub_f32_e32 v24, v21, v17
	v_dual_sub_f32 v23, v17, v23 :: v_dual_sub_f32 v16, v16, v20
	s_delay_alu instid0(VALU_DEP_1) | instskip(SKIP_1) | instid1(VALU_DEP_2)
	v_dual_sub_f32 v25, v21, v24 :: v_dual_sub_f32 v22, v22, v23
	v_sub_f32_e32 v19, v19, v24
	v_dual_sub_f32 v17, v17, v25 :: v_dual_add_f32 v20, v22, v16
	s_delay_alu instid0(VALU_DEP_1) | instskip(NEXT) | instid1(VALU_DEP_2)
	v_add_f32_e32 v17, v19, v17
	v_sub_f32_e32 v19, v20, v22
	s_delay_alu instid0(VALU_DEP_2) | instskip(NEXT) | instid1(VALU_DEP_2)
	v_add_f32_e32 v17, v20, v17
	v_sub_f32_e32 v20, v20, v19
	s_delay_alu instid0(VALU_DEP_2) | instskip(NEXT) | instid1(VALU_DEP_1)
	v_dual_sub_f32 v16, v16, v19 :: v_dual_add_f32 v23, v21, v17
	v_dual_sub_f32 v20, v22, v20 :: v_dual_sub_f32 v19, v23, v21
	s_delay_alu instid0(VALU_DEP_1) | instskip(NEXT) | instid1(VALU_DEP_1)
	v_dual_add_f32 v16, v16, v20 :: v_dual_sub_f32 v17, v17, v19
	v_add_f32_e32 v16, v16, v17
	s_delay_alu instid0(VALU_DEP_1) | instskip(NEXT) | instid1(VALU_DEP_1)
	v_add_f32_e32 v16, v23, v16
	v_cndmask_b32_e32 v70, v16, v18, vcc_lo
.LBB59_36:                              ;   in Loop: Header=BB59_12 Depth=1
	s_or_b32 exec_lo, exec_lo, s16
	s_waitcnt lgkmcnt(0)
	v_lshlrev_b32_e32 v16, 16, v0
	s_delay_alu instid0(VALU_DEP_1) | instskip(NEXT) | instid1(VALU_DEP_1)
	v_add_f32_e32 v71, s57, v16
	v_cmp_ge_f32_e32 vcc_lo, 0x41a00000, v71
	s_and_b32 s15, s67, vcc_lo
	s_delay_alu instid0(SALU_CYCLE_1)
	s_and_saveexec_b32 s16, s15
	s_cbranch_execz .LBB59_38
; %bb.37:                               ;   in Loop: Header=BB59_12 Depth=1
	v_mul_f32_e32 v16, 0x3fb8aa3b, v71
	v_cmp_ngt_f32_e32 vcc_lo, 0xc2ce8ed0, v71
	s_delay_alu instid0(VALU_DEP_2) | instskip(SKIP_1) | instid1(VALU_DEP_2)
	v_rndne_f32_e32 v17, v16
	v_fma_f32 v18, 0x3fb8aa3b, v71, -v16
	v_sub_f32_e32 v16, v16, v17
	s_delay_alu instid0(VALU_DEP_2) | instskip(SKIP_1) | instid1(VALU_DEP_2)
	v_fmac_f32_e32 v18, 0x32a5705f, v71
	v_cvt_i32_f32_e32 v17, v17
	v_add_f32_e32 v16, v16, v18
	s_delay_alu instid0(VALU_DEP_1) | instskip(SKIP_2) | instid1(VALU_DEP_1)
	v_exp_f32_e32 v16, v16
	s_waitcnt_depctr 0xfff
	v_ldexp_f32 v16, v16, v17
	v_cndmask_b32_e32 v16, 0, v16, vcc_lo
	v_cmp_nlt_f32_e32 vcc_lo, 0x42b17218, v71
	s_delay_alu instid0(VALU_DEP_2) | instskip(NEXT) | instid1(VALU_DEP_1)
	v_cndmask_b32_e32 v18, 0x7f800000, v16, vcc_lo
	v_add_f32_e32 v19, 1.0, v18
	s_delay_alu instid0(VALU_DEP_1) | instskip(NEXT) | instid1(VALU_DEP_1)
	v_cvt_f64_f32_e32 v[16:17], v19
	v_frexp_exp_i32_f64_e32 v16, v[16:17]
	v_frexp_mant_f32_e32 v17, v19
	s_delay_alu instid0(VALU_DEP_1) | instskip(SKIP_1) | instid1(VALU_DEP_1)
	v_cmp_gt_f32_e32 vcc_lo, 0x3f2aaaab, v17
	v_add_f32_e32 v17, -1.0, v19
	v_sub_f32_e32 v21, v17, v19
	v_sub_f32_e32 v17, v18, v17
	s_delay_alu instid0(VALU_DEP_2) | instskip(NEXT) | instid1(VALU_DEP_1)
	v_add_f32_e32 v21, 1.0, v21
	v_add_f32_e32 v17, v17, v21
	v_cmp_gt_f32_e64 s15, 0x33800000, v18
	v_subrev_co_ci_u32_e32 v16, vcc_lo, 0, v16, vcc_lo
	v_cmp_eq_f32_e32 vcc_lo, 0x7f800000, v18
	s_delay_alu instid0(VALU_DEP_2) | instskip(SKIP_2) | instid1(VALU_DEP_2)
	v_sub_nc_u32_e32 v20, 0, v16
	v_cvt_f32_i32_e32 v16, v16
	s_or_b32 vcc_lo, s15, vcc_lo
	v_ldexp_f32 v19, v19, v20
	v_ldexp_f32 v17, v17, v20
	s_delay_alu instid0(VALU_DEP_2) | instskip(NEXT) | instid1(VALU_DEP_1)
	v_add_f32_e32 v22, 1.0, v19
	v_dual_add_f32 v20, -1.0, v19 :: v_dual_add_f32 v21, -1.0, v22
	s_delay_alu instid0(VALU_DEP_1) | instskip(NEXT) | instid1(VALU_DEP_2)
	v_add_f32_e32 v23, 1.0, v20
	v_sub_f32_e32 v21, v19, v21
	s_delay_alu instid0(VALU_DEP_2) | instskip(NEXT) | instid1(VALU_DEP_2)
	v_sub_f32_e32 v19, v19, v23
	v_add_f32_e32 v21, v17, v21
	s_delay_alu instid0(VALU_DEP_2) | instskip(NEXT) | instid1(VALU_DEP_1)
	v_add_f32_e32 v17, v17, v19
	v_add_f32_e32 v24, v20, v17
	s_delay_alu instid0(VALU_DEP_1) | instskip(NEXT) | instid1(VALU_DEP_1)
	v_dual_add_f32 v23, v22, v21 :: v_dual_sub_f32 v20, v20, v24
	v_rcp_f32_e32 v19, v23
	v_sub_f32_e32 v22, v22, v23
	s_delay_alu instid0(VALU_DEP_1) | instskip(SKIP_2) | instid1(VALU_DEP_1)
	v_add_f32_e32 v21, v21, v22
	s_waitcnt_depctr 0xfff
	v_mul_f32_e32 v25, v24, v19
	v_mul_f32_e32 v26, v23, v25
	s_delay_alu instid0(VALU_DEP_1) | instskip(NEXT) | instid1(VALU_DEP_1)
	v_fma_f32 v22, v25, v23, -v26
	v_fmac_f32_e32 v22, v25, v21
	s_delay_alu instid0(VALU_DEP_1) | instskip(NEXT) | instid1(VALU_DEP_1)
	v_add_f32_e32 v27, v26, v22
	v_sub_f32_e32 v28, v24, v27
	s_delay_alu instid0(VALU_DEP_1) | instskip(SKIP_1) | instid1(VALU_DEP_2)
	v_sub_f32_e32 v24, v24, v28
	v_dual_add_f32 v17, v17, v20 :: v_dual_sub_f32 v20, v27, v26
	v_sub_f32_e32 v24, v24, v27
	s_delay_alu instid0(VALU_DEP_1) | instskip(NEXT) | instid1(VALU_DEP_1)
	v_dual_sub_f32 v20, v20, v22 :: v_dual_add_f32 v17, v17, v24
	v_add_f32_e32 v17, v20, v17
	s_delay_alu instid0(VALU_DEP_1) | instskip(NEXT) | instid1(VALU_DEP_1)
	v_add_f32_e32 v20, v28, v17
	v_mul_f32_e32 v22, v19, v20
	s_delay_alu instid0(VALU_DEP_1) | instskip(NEXT) | instid1(VALU_DEP_1)
	v_dual_sub_f32 v27, v28, v20 :: v_dual_mul_f32 v24, v23, v22
	v_add_f32_e32 v17, v17, v27
	s_delay_alu instid0(VALU_DEP_2) | instskip(NEXT) | instid1(VALU_DEP_1)
	v_fma_f32 v23, v22, v23, -v24
	v_fmac_f32_e32 v23, v22, v21
	s_delay_alu instid0(VALU_DEP_1) | instskip(NEXT) | instid1(VALU_DEP_1)
	v_add_f32_e32 v21, v24, v23
	v_sub_f32_e32 v26, v20, v21
	s_delay_alu instid0(VALU_DEP_1) | instskip(NEXT) | instid1(VALU_DEP_1)
	v_sub_f32_e32 v20, v20, v26
	v_sub_f32_e32 v20, v20, v21
	s_delay_alu instid0(VALU_DEP_1) | instskip(SKIP_2) | instid1(VALU_DEP_1)
	v_add_f32_e32 v17, v17, v20
	v_add_f32_e32 v20, v25, v22
	v_sub_f32_e32 v24, v21, v24
	v_sub_f32_e32 v21, v24, v23
	s_delay_alu instid0(VALU_DEP_1) | instskip(NEXT) | instid1(VALU_DEP_4)
	v_add_f32_e32 v17, v21, v17
	v_sub_f32_e32 v21, v20, v25
	s_delay_alu instid0(VALU_DEP_2) | instskip(NEXT) | instid1(VALU_DEP_2)
	v_add_f32_e32 v17, v26, v17
	v_sub_f32_e32 v21, v22, v21
	s_delay_alu instid0(VALU_DEP_2) | instskip(NEXT) | instid1(VALU_DEP_1)
	v_mul_f32_e32 v17, v19, v17
	v_add_f32_e32 v17, v21, v17
	s_delay_alu instid0(VALU_DEP_1) | instskip(NEXT) | instid1(VALU_DEP_1)
	v_add_f32_e32 v19, v20, v17
	v_mul_f32_e32 v21, v19, v19
	s_delay_alu instid0(VALU_DEP_1) | instskip(SKIP_1) | instid1(VALU_DEP_2)
	v_fmaak_f32 v22, s54, v21, 0x3ecc95a3
	v_mul_f32_e32 v23, v19, v21
	v_fmaak_f32 v21, v21, v22, 0x3f2aaada
	v_ldexp_f32 v22, v19, 1
	s_delay_alu instid0(VALU_DEP_2) | instskip(SKIP_1) | instid1(VALU_DEP_2)
	v_mul_f32_e32 v21, v23, v21
	v_sub_f32_e32 v19, v19, v20
	v_dual_mul_f32 v23, 0x3f317218, v16 :: v_dual_add_f32 v20, v22, v21
	s_delay_alu instid0(VALU_DEP_2) | instskip(NEXT) | instid1(VALU_DEP_2)
	v_sub_f32_e32 v17, v17, v19
	v_sub_f32_e32 v19, v20, v22
	s_delay_alu instid0(VALU_DEP_3) | instskip(NEXT) | instid1(VALU_DEP_3)
	v_fma_f32 v22, 0x3f317218, v16, -v23
	v_ldexp_f32 v17, v17, 1
	s_delay_alu instid0(VALU_DEP_2) | instskip(NEXT) | instid1(VALU_DEP_1)
	v_dual_sub_f32 v19, v21, v19 :: v_dual_fmac_f32 v22, 0xb102e308, v16
	v_dual_add_f32 v16, v17, v19 :: v_dual_add_f32 v17, v23, v22
	s_delay_alu instid0(VALU_DEP_1) | instskip(NEXT) | instid1(VALU_DEP_1)
	v_add_f32_e32 v19, v20, v16
	v_dual_add_f32 v21, v17, v19 :: v_dual_sub_f32 v20, v19, v20
	s_delay_alu instid0(VALU_DEP_1) | instskip(NEXT) | instid1(VALU_DEP_2)
	v_sub_f32_e32 v24, v21, v17
	v_dual_sub_f32 v23, v17, v23 :: v_dual_sub_f32 v16, v16, v20
	s_delay_alu instid0(VALU_DEP_1) | instskip(SKIP_1) | instid1(VALU_DEP_2)
	v_dual_sub_f32 v25, v21, v24 :: v_dual_sub_f32 v22, v22, v23
	v_sub_f32_e32 v19, v19, v24
	v_dual_sub_f32 v17, v17, v25 :: v_dual_add_f32 v20, v22, v16
	s_delay_alu instid0(VALU_DEP_1) | instskip(NEXT) | instid1(VALU_DEP_2)
	v_add_f32_e32 v17, v19, v17
	v_sub_f32_e32 v19, v20, v22
	s_delay_alu instid0(VALU_DEP_2) | instskip(NEXT) | instid1(VALU_DEP_2)
	v_add_f32_e32 v17, v20, v17
	v_sub_f32_e32 v20, v20, v19
	s_delay_alu instid0(VALU_DEP_2) | instskip(NEXT) | instid1(VALU_DEP_1)
	v_dual_sub_f32 v16, v16, v19 :: v_dual_add_f32 v23, v21, v17
	v_dual_sub_f32 v20, v22, v20 :: v_dual_sub_f32 v19, v23, v21
	s_delay_alu instid0(VALU_DEP_1) | instskip(NEXT) | instid1(VALU_DEP_1)
	v_dual_add_f32 v16, v16, v20 :: v_dual_sub_f32 v17, v17, v19
	v_add_f32_e32 v16, v16, v17
	s_delay_alu instid0(VALU_DEP_1) | instskip(NEXT) | instid1(VALU_DEP_1)
	v_add_f32_e32 v16, v23, v16
	v_cndmask_b32_e32 v71, v16, v18, vcc_lo
.LBB59_38:                              ;   in Loop: Header=BB59_12 Depth=1
	s_or_b32 exec_lo, exec_lo, s16
	v_and_b32_e32 v16, 0xffff0000, v0
	s_delay_alu instid0(VALU_DEP_1) | instskip(NEXT) | instid1(VALU_DEP_1)
	v_add_f32_e32 v72, s57, v16
	v_cmp_ge_f32_e32 vcc_lo, 0x41a00000, v72
	s_and_b32 s15, s67, vcc_lo
	s_delay_alu instid0(SALU_CYCLE_1)
	s_and_saveexec_b32 s16, s15
	s_cbranch_execz .LBB59_40
; %bb.39:                               ;   in Loop: Header=BB59_12 Depth=1
	v_mul_f32_e32 v16, 0x3fb8aa3b, v72
	v_cmp_ngt_f32_e32 vcc_lo, 0xc2ce8ed0, v72
	s_delay_alu instid0(VALU_DEP_2) | instskip(SKIP_1) | instid1(VALU_DEP_2)
	v_rndne_f32_e32 v17, v16
	v_fma_f32 v18, 0x3fb8aa3b, v72, -v16
	v_sub_f32_e32 v16, v16, v17
	s_delay_alu instid0(VALU_DEP_2) | instskip(SKIP_1) | instid1(VALU_DEP_2)
	v_fmac_f32_e32 v18, 0x32a5705f, v72
	v_cvt_i32_f32_e32 v17, v17
	v_add_f32_e32 v16, v16, v18
	s_delay_alu instid0(VALU_DEP_1) | instskip(SKIP_2) | instid1(VALU_DEP_1)
	v_exp_f32_e32 v16, v16
	s_waitcnt_depctr 0xfff
	v_ldexp_f32 v16, v16, v17
	v_cndmask_b32_e32 v16, 0, v16, vcc_lo
	v_cmp_nlt_f32_e32 vcc_lo, 0x42b17218, v72
	s_delay_alu instid0(VALU_DEP_2) | instskip(NEXT) | instid1(VALU_DEP_1)
	v_cndmask_b32_e32 v18, 0x7f800000, v16, vcc_lo
	v_add_f32_e32 v19, 1.0, v18
	s_delay_alu instid0(VALU_DEP_1) | instskip(NEXT) | instid1(VALU_DEP_1)
	v_cvt_f64_f32_e32 v[16:17], v19
	v_frexp_exp_i32_f64_e32 v16, v[16:17]
	v_frexp_mant_f32_e32 v17, v19
	s_delay_alu instid0(VALU_DEP_1) | instskip(SKIP_1) | instid1(VALU_DEP_1)
	v_cmp_gt_f32_e32 vcc_lo, 0x3f2aaaab, v17
	v_add_f32_e32 v17, -1.0, v19
	v_sub_f32_e32 v21, v17, v19
	v_sub_f32_e32 v17, v18, v17
	s_delay_alu instid0(VALU_DEP_2) | instskip(NEXT) | instid1(VALU_DEP_1)
	v_add_f32_e32 v21, 1.0, v21
	v_add_f32_e32 v17, v17, v21
	v_cmp_gt_f32_e64 s15, 0x33800000, v18
	v_subrev_co_ci_u32_e32 v16, vcc_lo, 0, v16, vcc_lo
	v_cmp_eq_f32_e32 vcc_lo, 0x7f800000, v18
	s_delay_alu instid0(VALU_DEP_2) | instskip(SKIP_2) | instid1(VALU_DEP_2)
	v_sub_nc_u32_e32 v20, 0, v16
	v_cvt_f32_i32_e32 v16, v16
	s_or_b32 vcc_lo, s15, vcc_lo
	v_ldexp_f32 v19, v19, v20
	v_ldexp_f32 v17, v17, v20
	s_delay_alu instid0(VALU_DEP_2) | instskip(NEXT) | instid1(VALU_DEP_1)
	v_add_f32_e32 v22, 1.0, v19
	v_dual_add_f32 v20, -1.0, v19 :: v_dual_add_f32 v21, -1.0, v22
	s_delay_alu instid0(VALU_DEP_1) | instskip(NEXT) | instid1(VALU_DEP_2)
	v_add_f32_e32 v23, 1.0, v20
	v_sub_f32_e32 v21, v19, v21
	s_delay_alu instid0(VALU_DEP_2) | instskip(NEXT) | instid1(VALU_DEP_2)
	v_sub_f32_e32 v19, v19, v23
	v_add_f32_e32 v21, v17, v21
	s_delay_alu instid0(VALU_DEP_2) | instskip(NEXT) | instid1(VALU_DEP_1)
	v_add_f32_e32 v17, v17, v19
	v_add_f32_e32 v24, v20, v17
	s_delay_alu instid0(VALU_DEP_1) | instskip(NEXT) | instid1(VALU_DEP_1)
	v_dual_add_f32 v23, v22, v21 :: v_dual_sub_f32 v20, v20, v24
	v_rcp_f32_e32 v19, v23
	v_sub_f32_e32 v22, v22, v23
	s_delay_alu instid0(VALU_DEP_1) | instskip(SKIP_2) | instid1(VALU_DEP_1)
	v_add_f32_e32 v21, v21, v22
	s_waitcnt_depctr 0xfff
	v_mul_f32_e32 v25, v24, v19
	v_mul_f32_e32 v26, v23, v25
	s_delay_alu instid0(VALU_DEP_1) | instskip(NEXT) | instid1(VALU_DEP_1)
	v_fma_f32 v22, v25, v23, -v26
	v_fmac_f32_e32 v22, v25, v21
	s_delay_alu instid0(VALU_DEP_1) | instskip(NEXT) | instid1(VALU_DEP_1)
	v_add_f32_e32 v27, v26, v22
	v_sub_f32_e32 v28, v24, v27
	s_delay_alu instid0(VALU_DEP_1) | instskip(SKIP_1) | instid1(VALU_DEP_2)
	v_sub_f32_e32 v24, v24, v28
	v_dual_add_f32 v17, v17, v20 :: v_dual_sub_f32 v20, v27, v26
	v_sub_f32_e32 v24, v24, v27
	s_delay_alu instid0(VALU_DEP_1) | instskip(NEXT) | instid1(VALU_DEP_1)
	v_dual_sub_f32 v20, v20, v22 :: v_dual_add_f32 v17, v17, v24
	v_add_f32_e32 v17, v20, v17
	s_delay_alu instid0(VALU_DEP_1) | instskip(NEXT) | instid1(VALU_DEP_1)
	v_add_f32_e32 v20, v28, v17
	v_mul_f32_e32 v22, v19, v20
	s_delay_alu instid0(VALU_DEP_1) | instskip(NEXT) | instid1(VALU_DEP_1)
	v_dual_sub_f32 v27, v28, v20 :: v_dual_mul_f32 v24, v23, v22
	v_add_f32_e32 v17, v17, v27
	s_delay_alu instid0(VALU_DEP_2) | instskip(NEXT) | instid1(VALU_DEP_1)
	v_fma_f32 v23, v22, v23, -v24
	v_fmac_f32_e32 v23, v22, v21
	s_delay_alu instid0(VALU_DEP_1) | instskip(NEXT) | instid1(VALU_DEP_1)
	v_add_f32_e32 v21, v24, v23
	v_sub_f32_e32 v26, v20, v21
	s_delay_alu instid0(VALU_DEP_1) | instskip(NEXT) | instid1(VALU_DEP_1)
	v_sub_f32_e32 v20, v20, v26
	v_sub_f32_e32 v20, v20, v21
	s_delay_alu instid0(VALU_DEP_1) | instskip(SKIP_2) | instid1(VALU_DEP_1)
	v_add_f32_e32 v17, v17, v20
	v_add_f32_e32 v20, v25, v22
	v_sub_f32_e32 v24, v21, v24
	v_sub_f32_e32 v21, v24, v23
	s_delay_alu instid0(VALU_DEP_1) | instskip(NEXT) | instid1(VALU_DEP_4)
	v_add_f32_e32 v17, v21, v17
	v_sub_f32_e32 v21, v20, v25
	s_delay_alu instid0(VALU_DEP_2) | instskip(NEXT) | instid1(VALU_DEP_2)
	v_add_f32_e32 v17, v26, v17
	v_sub_f32_e32 v21, v22, v21
	s_delay_alu instid0(VALU_DEP_2) | instskip(NEXT) | instid1(VALU_DEP_1)
	v_mul_f32_e32 v17, v19, v17
	v_add_f32_e32 v17, v21, v17
	s_delay_alu instid0(VALU_DEP_1) | instskip(NEXT) | instid1(VALU_DEP_1)
	v_add_f32_e32 v19, v20, v17
	v_mul_f32_e32 v21, v19, v19
	s_delay_alu instid0(VALU_DEP_1) | instskip(SKIP_1) | instid1(VALU_DEP_2)
	v_fmaak_f32 v22, s54, v21, 0x3ecc95a3
	v_mul_f32_e32 v23, v19, v21
	v_fmaak_f32 v21, v21, v22, 0x3f2aaada
	v_ldexp_f32 v22, v19, 1
	s_delay_alu instid0(VALU_DEP_2) | instskip(SKIP_1) | instid1(VALU_DEP_2)
	v_mul_f32_e32 v21, v23, v21
	v_sub_f32_e32 v19, v19, v20
	v_dual_mul_f32 v23, 0x3f317218, v16 :: v_dual_add_f32 v20, v22, v21
	s_delay_alu instid0(VALU_DEP_2) | instskip(NEXT) | instid1(VALU_DEP_2)
	v_sub_f32_e32 v17, v17, v19
	v_sub_f32_e32 v19, v20, v22
	s_delay_alu instid0(VALU_DEP_3) | instskip(NEXT) | instid1(VALU_DEP_3)
	v_fma_f32 v22, 0x3f317218, v16, -v23
	v_ldexp_f32 v17, v17, 1
	s_delay_alu instid0(VALU_DEP_2) | instskip(NEXT) | instid1(VALU_DEP_1)
	v_dual_sub_f32 v19, v21, v19 :: v_dual_fmac_f32 v22, 0xb102e308, v16
	v_dual_add_f32 v16, v17, v19 :: v_dual_add_f32 v17, v23, v22
	s_delay_alu instid0(VALU_DEP_1) | instskip(NEXT) | instid1(VALU_DEP_1)
	v_add_f32_e32 v19, v20, v16
	v_dual_add_f32 v21, v17, v19 :: v_dual_sub_f32 v20, v19, v20
	s_delay_alu instid0(VALU_DEP_1) | instskip(NEXT) | instid1(VALU_DEP_2)
	v_sub_f32_e32 v24, v21, v17
	v_dual_sub_f32 v23, v17, v23 :: v_dual_sub_f32 v16, v16, v20
	s_delay_alu instid0(VALU_DEP_1) | instskip(SKIP_1) | instid1(VALU_DEP_2)
	v_dual_sub_f32 v25, v21, v24 :: v_dual_sub_f32 v22, v22, v23
	v_sub_f32_e32 v19, v19, v24
	v_dual_sub_f32 v17, v17, v25 :: v_dual_add_f32 v20, v22, v16
	s_delay_alu instid0(VALU_DEP_1) | instskip(NEXT) | instid1(VALU_DEP_2)
	v_add_f32_e32 v17, v19, v17
	v_sub_f32_e32 v19, v20, v22
	s_delay_alu instid0(VALU_DEP_2) | instskip(NEXT) | instid1(VALU_DEP_2)
	v_add_f32_e32 v17, v20, v17
	v_sub_f32_e32 v20, v20, v19
	s_delay_alu instid0(VALU_DEP_2) | instskip(NEXT) | instid1(VALU_DEP_1)
	v_dual_sub_f32 v16, v16, v19 :: v_dual_add_f32 v23, v21, v17
	v_dual_sub_f32 v20, v22, v20 :: v_dual_sub_f32 v19, v23, v21
	s_delay_alu instid0(VALU_DEP_1) | instskip(NEXT) | instid1(VALU_DEP_1)
	v_dual_add_f32 v16, v16, v20 :: v_dual_sub_f32 v17, v17, v19
	v_add_f32_e32 v16, v16, v17
	s_delay_alu instid0(VALU_DEP_1) | instskip(NEXT) | instid1(VALU_DEP_1)
	v_add_f32_e32 v16, v23, v16
	v_cndmask_b32_e32 v72, v16, v18, vcc_lo
.LBB59_40:                              ;   in Loop: Header=BB59_12 Depth=1
	s_or_b32 exec_lo, exec_lo, s16
	v_lshlrev_b32_e32 v16, 16, v1
	s_delay_alu instid0(VALU_DEP_1) | instskip(NEXT) | instid1(VALU_DEP_1)
	v_add_f32_e32 v73, s57, v16
	v_cmp_ge_f32_e32 vcc_lo, 0x41a00000, v73
	s_and_b32 s15, s67, vcc_lo
	s_delay_alu instid0(SALU_CYCLE_1)
	s_and_saveexec_b32 s16, s15
	s_cbranch_execz .LBB59_42
; %bb.41:                               ;   in Loop: Header=BB59_12 Depth=1
	v_mul_f32_e32 v16, 0x3fb8aa3b, v73
	v_cmp_ngt_f32_e32 vcc_lo, 0xc2ce8ed0, v73
	s_delay_alu instid0(VALU_DEP_2) | instskip(SKIP_1) | instid1(VALU_DEP_2)
	v_rndne_f32_e32 v17, v16
	v_fma_f32 v18, 0x3fb8aa3b, v73, -v16
	v_sub_f32_e32 v16, v16, v17
	s_delay_alu instid0(VALU_DEP_2) | instskip(SKIP_1) | instid1(VALU_DEP_2)
	v_fmac_f32_e32 v18, 0x32a5705f, v73
	v_cvt_i32_f32_e32 v17, v17
	v_add_f32_e32 v16, v16, v18
	s_delay_alu instid0(VALU_DEP_1) | instskip(SKIP_2) | instid1(VALU_DEP_1)
	v_exp_f32_e32 v16, v16
	s_waitcnt_depctr 0xfff
	v_ldexp_f32 v16, v16, v17
	v_cndmask_b32_e32 v16, 0, v16, vcc_lo
	v_cmp_nlt_f32_e32 vcc_lo, 0x42b17218, v73
	s_delay_alu instid0(VALU_DEP_2) | instskip(NEXT) | instid1(VALU_DEP_1)
	v_cndmask_b32_e32 v18, 0x7f800000, v16, vcc_lo
	v_add_f32_e32 v19, 1.0, v18
	s_delay_alu instid0(VALU_DEP_1) | instskip(NEXT) | instid1(VALU_DEP_1)
	v_cvt_f64_f32_e32 v[16:17], v19
	v_frexp_exp_i32_f64_e32 v16, v[16:17]
	v_frexp_mant_f32_e32 v17, v19
	s_delay_alu instid0(VALU_DEP_1) | instskip(SKIP_1) | instid1(VALU_DEP_1)
	v_cmp_gt_f32_e32 vcc_lo, 0x3f2aaaab, v17
	v_add_f32_e32 v17, -1.0, v19
	v_sub_f32_e32 v21, v17, v19
	v_sub_f32_e32 v17, v18, v17
	s_delay_alu instid0(VALU_DEP_2) | instskip(NEXT) | instid1(VALU_DEP_1)
	v_add_f32_e32 v21, 1.0, v21
	v_add_f32_e32 v17, v17, v21
	v_cmp_gt_f32_e64 s15, 0x33800000, v18
	v_subrev_co_ci_u32_e32 v16, vcc_lo, 0, v16, vcc_lo
	v_cmp_eq_f32_e32 vcc_lo, 0x7f800000, v18
	s_delay_alu instid0(VALU_DEP_2) | instskip(SKIP_2) | instid1(VALU_DEP_2)
	v_sub_nc_u32_e32 v20, 0, v16
	v_cvt_f32_i32_e32 v16, v16
	s_or_b32 vcc_lo, s15, vcc_lo
	v_ldexp_f32 v19, v19, v20
	v_ldexp_f32 v17, v17, v20
	s_delay_alu instid0(VALU_DEP_2) | instskip(NEXT) | instid1(VALU_DEP_1)
	v_add_f32_e32 v22, 1.0, v19
	v_dual_add_f32 v20, -1.0, v19 :: v_dual_add_f32 v21, -1.0, v22
	s_delay_alu instid0(VALU_DEP_1) | instskip(NEXT) | instid1(VALU_DEP_2)
	v_add_f32_e32 v23, 1.0, v20
	v_sub_f32_e32 v21, v19, v21
	s_delay_alu instid0(VALU_DEP_2) | instskip(NEXT) | instid1(VALU_DEP_2)
	v_sub_f32_e32 v19, v19, v23
	v_add_f32_e32 v21, v17, v21
	s_delay_alu instid0(VALU_DEP_2) | instskip(NEXT) | instid1(VALU_DEP_1)
	v_add_f32_e32 v17, v17, v19
	v_add_f32_e32 v24, v20, v17
	s_delay_alu instid0(VALU_DEP_1) | instskip(NEXT) | instid1(VALU_DEP_1)
	v_dual_add_f32 v23, v22, v21 :: v_dual_sub_f32 v20, v20, v24
	v_rcp_f32_e32 v19, v23
	v_sub_f32_e32 v22, v22, v23
	s_delay_alu instid0(VALU_DEP_1) | instskip(SKIP_2) | instid1(VALU_DEP_1)
	v_add_f32_e32 v21, v21, v22
	s_waitcnt_depctr 0xfff
	v_mul_f32_e32 v25, v24, v19
	v_mul_f32_e32 v26, v23, v25
	s_delay_alu instid0(VALU_DEP_1) | instskip(NEXT) | instid1(VALU_DEP_1)
	v_fma_f32 v22, v25, v23, -v26
	v_fmac_f32_e32 v22, v25, v21
	s_delay_alu instid0(VALU_DEP_1) | instskip(NEXT) | instid1(VALU_DEP_1)
	v_add_f32_e32 v27, v26, v22
	v_sub_f32_e32 v28, v24, v27
	s_delay_alu instid0(VALU_DEP_1) | instskip(SKIP_1) | instid1(VALU_DEP_2)
	v_sub_f32_e32 v24, v24, v28
	v_dual_add_f32 v17, v17, v20 :: v_dual_sub_f32 v20, v27, v26
	v_sub_f32_e32 v24, v24, v27
	s_delay_alu instid0(VALU_DEP_1) | instskip(NEXT) | instid1(VALU_DEP_1)
	v_dual_sub_f32 v20, v20, v22 :: v_dual_add_f32 v17, v17, v24
	v_add_f32_e32 v17, v20, v17
	s_delay_alu instid0(VALU_DEP_1) | instskip(NEXT) | instid1(VALU_DEP_1)
	v_add_f32_e32 v20, v28, v17
	v_mul_f32_e32 v22, v19, v20
	s_delay_alu instid0(VALU_DEP_1) | instskip(NEXT) | instid1(VALU_DEP_1)
	v_dual_sub_f32 v27, v28, v20 :: v_dual_mul_f32 v24, v23, v22
	v_add_f32_e32 v17, v17, v27
	s_delay_alu instid0(VALU_DEP_2) | instskip(NEXT) | instid1(VALU_DEP_1)
	v_fma_f32 v23, v22, v23, -v24
	v_fmac_f32_e32 v23, v22, v21
	s_delay_alu instid0(VALU_DEP_1) | instskip(NEXT) | instid1(VALU_DEP_1)
	v_add_f32_e32 v21, v24, v23
	v_sub_f32_e32 v26, v20, v21
	s_delay_alu instid0(VALU_DEP_1) | instskip(NEXT) | instid1(VALU_DEP_1)
	v_sub_f32_e32 v20, v20, v26
	v_sub_f32_e32 v20, v20, v21
	s_delay_alu instid0(VALU_DEP_1) | instskip(SKIP_2) | instid1(VALU_DEP_1)
	v_add_f32_e32 v17, v17, v20
	v_add_f32_e32 v20, v25, v22
	v_sub_f32_e32 v24, v21, v24
	v_sub_f32_e32 v21, v24, v23
	s_delay_alu instid0(VALU_DEP_1) | instskip(NEXT) | instid1(VALU_DEP_4)
	v_add_f32_e32 v17, v21, v17
	v_sub_f32_e32 v21, v20, v25
	s_delay_alu instid0(VALU_DEP_2) | instskip(NEXT) | instid1(VALU_DEP_2)
	v_add_f32_e32 v17, v26, v17
	v_sub_f32_e32 v21, v22, v21
	s_delay_alu instid0(VALU_DEP_2) | instskip(NEXT) | instid1(VALU_DEP_1)
	v_mul_f32_e32 v17, v19, v17
	v_add_f32_e32 v17, v21, v17
	s_delay_alu instid0(VALU_DEP_1) | instskip(NEXT) | instid1(VALU_DEP_1)
	v_add_f32_e32 v19, v20, v17
	v_mul_f32_e32 v21, v19, v19
	s_delay_alu instid0(VALU_DEP_1) | instskip(SKIP_1) | instid1(VALU_DEP_2)
	v_fmaak_f32 v22, s54, v21, 0x3ecc95a3
	v_mul_f32_e32 v23, v19, v21
	v_fmaak_f32 v21, v21, v22, 0x3f2aaada
	v_ldexp_f32 v22, v19, 1
	s_delay_alu instid0(VALU_DEP_2) | instskip(SKIP_1) | instid1(VALU_DEP_2)
	v_mul_f32_e32 v21, v23, v21
	v_sub_f32_e32 v19, v19, v20
	v_dual_mul_f32 v23, 0x3f317218, v16 :: v_dual_add_f32 v20, v22, v21
	s_delay_alu instid0(VALU_DEP_2) | instskip(NEXT) | instid1(VALU_DEP_2)
	v_sub_f32_e32 v17, v17, v19
	v_sub_f32_e32 v19, v20, v22
	s_delay_alu instid0(VALU_DEP_3) | instskip(NEXT) | instid1(VALU_DEP_3)
	v_fma_f32 v22, 0x3f317218, v16, -v23
	v_ldexp_f32 v17, v17, 1
	s_delay_alu instid0(VALU_DEP_2) | instskip(NEXT) | instid1(VALU_DEP_1)
	v_dual_sub_f32 v19, v21, v19 :: v_dual_fmac_f32 v22, 0xb102e308, v16
	v_dual_add_f32 v16, v17, v19 :: v_dual_add_f32 v17, v23, v22
	s_delay_alu instid0(VALU_DEP_1) | instskip(NEXT) | instid1(VALU_DEP_1)
	v_add_f32_e32 v19, v20, v16
	v_dual_add_f32 v21, v17, v19 :: v_dual_sub_f32 v20, v19, v20
	s_delay_alu instid0(VALU_DEP_1) | instskip(NEXT) | instid1(VALU_DEP_2)
	v_sub_f32_e32 v24, v21, v17
	v_dual_sub_f32 v23, v17, v23 :: v_dual_sub_f32 v16, v16, v20
	s_delay_alu instid0(VALU_DEP_1) | instskip(SKIP_1) | instid1(VALU_DEP_2)
	v_dual_sub_f32 v25, v21, v24 :: v_dual_sub_f32 v22, v22, v23
	v_sub_f32_e32 v19, v19, v24
	v_dual_sub_f32 v17, v17, v25 :: v_dual_add_f32 v20, v22, v16
	s_delay_alu instid0(VALU_DEP_1) | instskip(NEXT) | instid1(VALU_DEP_2)
	v_add_f32_e32 v17, v19, v17
	v_sub_f32_e32 v19, v20, v22
	s_delay_alu instid0(VALU_DEP_2) | instskip(NEXT) | instid1(VALU_DEP_2)
	v_add_f32_e32 v17, v20, v17
	v_sub_f32_e32 v20, v20, v19
	s_delay_alu instid0(VALU_DEP_2) | instskip(NEXT) | instid1(VALU_DEP_1)
	v_dual_sub_f32 v16, v16, v19 :: v_dual_add_f32 v23, v21, v17
	v_dual_sub_f32 v20, v22, v20 :: v_dual_sub_f32 v19, v23, v21
	s_delay_alu instid0(VALU_DEP_1) | instskip(NEXT) | instid1(VALU_DEP_1)
	v_dual_add_f32 v16, v16, v20 :: v_dual_sub_f32 v17, v17, v19
	v_add_f32_e32 v16, v16, v17
	s_delay_alu instid0(VALU_DEP_1) | instskip(NEXT) | instid1(VALU_DEP_1)
	v_add_f32_e32 v16, v23, v16
	v_cndmask_b32_e32 v73, v16, v18, vcc_lo
.LBB59_42:                              ;   in Loop: Header=BB59_12 Depth=1
	s_or_b32 exec_lo, exec_lo, s16
	v_and_b32_e32 v16, 0xffff0000, v1
	s_delay_alu instid0(VALU_DEP_1) | instskip(NEXT) | instid1(VALU_DEP_1)
	v_add_f32_e32 v74, s57, v16
	v_cmp_ge_f32_e32 vcc_lo, 0x41a00000, v74
	s_and_b32 s15, s67, vcc_lo
	s_delay_alu instid0(SALU_CYCLE_1)
	s_and_saveexec_b32 s16, s15
	s_cbranch_execz .LBB59_44
; %bb.43:                               ;   in Loop: Header=BB59_12 Depth=1
	v_mul_f32_e32 v16, 0x3fb8aa3b, v74
	v_cmp_ngt_f32_e32 vcc_lo, 0xc2ce8ed0, v74
	s_delay_alu instid0(VALU_DEP_2) | instskip(SKIP_1) | instid1(VALU_DEP_2)
	v_rndne_f32_e32 v17, v16
	v_fma_f32 v18, 0x3fb8aa3b, v74, -v16
	v_sub_f32_e32 v16, v16, v17
	s_delay_alu instid0(VALU_DEP_2) | instskip(SKIP_1) | instid1(VALU_DEP_2)
	v_fmac_f32_e32 v18, 0x32a5705f, v74
	v_cvt_i32_f32_e32 v17, v17
	v_add_f32_e32 v16, v16, v18
	s_delay_alu instid0(VALU_DEP_1) | instskip(SKIP_2) | instid1(VALU_DEP_1)
	v_exp_f32_e32 v16, v16
	s_waitcnt_depctr 0xfff
	v_ldexp_f32 v16, v16, v17
	v_cndmask_b32_e32 v16, 0, v16, vcc_lo
	v_cmp_nlt_f32_e32 vcc_lo, 0x42b17218, v74
	s_delay_alu instid0(VALU_DEP_2) | instskip(NEXT) | instid1(VALU_DEP_1)
	v_cndmask_b32_e32 v18, 0x7f800000, v16, vcc_lo
	v_add_f32_e32 v19, 1.0, v18
	s_delay_alu instid0(VALU_DEP_1) | instskip(NEXT) | instid1(VALU_DEP_1)
	v_cvt_f64_f32_e32 v[16:17], v19
	v_frexp_exp_i32_f64_e32 v16, v[16:17]
	v_frexp_mant_f32_e32 v17, v19
	s_delay_alu instid0(VALU_DEP_1) | instskip(SKIP_1) | instid1(VALU_DEP_1)
	v_cmp_gt_f32_e32 vcc_lo, 0x3f2aaaab, v17
	v_add_f32_e32 v17, -1.0, v19
	v_sub_f32_e32 v21, v17, v19
	v_sub_f32_e32 v17, v18, v17
	s_delay_alu instid0(VALU_DEP_2) | instskip(NEXT) | instid1(VALU_DEP_1)
	v_add_f32_e32 v21, 1.0, v21
	v_add_f32_e32 v17, v17, v21
	v_cmp_gt_f32_e64 s15, 0x33800000, v18
	v_subrev_co_ci_u32_e32 v16, vcc_lo, 0, v16, vcc_lo
	v_cmp_eq_f32_e32 vcc_lo, 0x7f800000, v18
	s_delay_alu instid0(VALU_DEP_2) | instskip(SKIP_2) | instid1(VALU_DEP_2)
	v_sub_nc_u32_e32 v20, 0, v16
	v_cvt_f32_i32_e32 v16, v16
	s_or_b32 vcc_lo, s15, vcc_lo
	v_ldexp_f32 v19, v19, v20
	v_ldexp_f32 v17, v17, v20
	s_delay_alu instid0(VALU_DEP_2) | instskip(NEXT) | instid1(VALU_DEP_1)
	v_add_f32_e32 v22, 1.0, v19
	v_dual_add_f32 v20, -1.0, v19 :: v_dual_add_f32 v21, -1.0, v22
	s_delay_alu instid0(VALU_DEP_1) | instskip(NEXT) | instid1(VALU_DEP_2)
	v_add_f32_e32 v23, 1.0, v20
	v_sub_f32_e32 v21, v19, v21
	s_delay_alu instid0(VALU_DEP_2) | instskip(NEXT) | instid1(VALU_DEP_2)
	v_sub_f32_e32 v19, v19, v23
	v_add_f32_e32 v21, v17, v21
	s_delay_alu instid0(VALU_DEP_2) | instskip(NEXT) | instid1(VALU_DEP_1)
	v_add_f32_e32 v17, v17, v19
	v_add_f32_e32 v24, v20, v17
	s_delay_alu instid0(VALU_DEP_1) | instskip(NEXT) | instid1(VALU_DEP_1)
	v_dual_add_f32 v23, v22, v21 :: v_dual_sub_f32 v20, v20, v24
	v_rcp_f32_e32 v19, v23
	v_sub_f32_e32 v22, v22, v23
	s_delay_alu instid0(VALU_DEP_1) | instskip(SKIP_2) | instid1(VALU_DEP_1)
	v_add_f32_e32 v21, v21, v22
	s_waitcnt_depctr 0xfff
	v_mul_f32_e32 v25, v24, v19
	v_mul_f32_e32 v26, v23, v25
	s_delay_alu instid0(VALU_DEP_1) | instskip(NEXT) | instid1(VALU_DEP_1)
	v_fma_f32 v22, v25, v23, -v26
	v_fmac_f32_e32 v22, v25, v21
	s_delay_alu instid0(VALU_DEP_1) | instskip(NEXT) | instid1(VALU_DEP_1)
	v_add_f32_e32 v27, v26, v22
	v_sub_f32_e32 v28, v24, v27
	s_delay_alu instid0(VALU_DEP_1) | instskip(SKIP_1) | instid1(VALU_DEP_2)
	v_sub_f32_e32 v24, v24, v28
	v_dual_add_f32 v17, v17, v20 :: v_dual_sub_f32 v20, v27, v26
	v_sub_f32_e32 v24, v24, v27
	s_delay_alu instid0(VALU_DEP_1) | instskip(NEXT) | instid1(VALU_DEP_1)
	v_dual_sub_f32 v20, v20, v22 :: v_dual_add_f32 v17, v17, v24
	v_add_f32_e32 v17, v20, v17
	s_delay_alu instid0(VALU_DEP_1) | instskip(NEXT) | instid1(VALU_DEP_1)
	v_add_f32_e32 v20, v28, v17
	v_mul_f32_e32 v22, v19, v20
	s_delay_alu instid0(VALU_DEP_1) | instskip(NEXT) | instid1(VALU_DEP_1)
	v_dual_sub_f32 v27, v28, v20 :: v_dual_mul_f32 v24, v23, v22
	v_add_f32_e32 v17, v17, v27
	s_delay_alu instid0(VALU_DEP_2) | instskip(NEXT) | instid1(VALU_DEP_1)
	v_fma_f32 v23, v22, v23, -v24
	v_fmac_f32_e32 v23, v22, v21
	s_delay_alu instid0(VALU_DEP_1) | instskip(NEXT) | instid1(VALU_DEP_1)
	v_add_f32_e32 v21, v24, v23
	v_sub_f32_e32 v26, v20, v21
	s_delay_alu instid0(VALU_DEP_1) | instskip(NEXT) | instid1(VALU_DEP_1)
	v_sub_f32_e32 v20, v20, v26
	v_sub_f32_e32 v20, v20, v21
	s_delay_alu instid0(VALU_DEP_1) | instskip(SKIP_2) | instid1(VALU_DEP_1)
	v_add_f32_e32 v17, v17, v20
	v_add_f32_e32 v20, v25, v22
	v_sub_f32_e32 v24, v21, v24
	v_sub_f32_e32 v21, v24, v23
	s_delay_alu instid0(VALU_DEP_1) | instskip(NEXT) | instid1(VALU_DEP_4)
	v_add_f32_e32 v17, v21, v17
	v_sub_f32_e32 v21, v20, v25
	s_delay_alu instid0(VALU_DEP_2) | instskip(NEXT) | instid1(VALU_DEP_2)
	v_add_f32_e32 v17, v26, v17
	v_sub_f32_e32 v21, v22, v21
	s_delay_alu instid0(VALU_DEP_2) | instskip(NEXT) | instid1(VALU_DEP_1)
	v_mul_f32_e32 v17, v19, v17
	v_add_f32_e32 v17, v21, v17
	s_delay_alu instid0(VALU_DEP_1) | instskip(NEXT) | instid1(VALU_DEP_1)
	v_add_f32_e32 v19, v20, v17
	v_mul_f32_e32 v21, v19, v19
	s_delay_alu instid0(VALU_DEP_1) | instskip(SKIP_1) | instid1(VALU_DEP_2)
	v_fmaak_f32 v22, s54, v21, 0x3ecc95a3
	v_mul_f32_e32 v23, v19, v21
	v_fmaak_f32 v21, v21, v22, 0x3f2aaada
	v_ldexp_f32 v22, v19, 1
	s_delay_alu instid0(VALU_DEP_2) | instskip(SKIP_1) | instid1(VALU_DEP_2)
	v_mul_f32_e32 v21, v23, v21
	v_sub_f32_e32 v19, v19, v20
	v_dual_mul_f32 v23, 0x3f317218, v16 :: v_dual_add_f32 v20, v22, v21
	s_delay_alu instid0(VALU_DEP_2) | instskip(NEXT) | instid1(VALU_DEP_2)
	v_sub_f32_e32 v17, v17, v19
	v_sub_f32_e32 v19, v20, v22
	s_delay_alu instid0(VALU_DEP_3) | instskip(NEXT) | instid1(VALU_DEP_3)
	v_fma_f32 v22, 0x3f317218, v16, -v23
	v_ldexp_f32 v17, v17, 1
	s_delay_alu instid0(VALU_DEP_2) | instskip(NEXT) | instid1(VALU_DEP_1)
	v_dual_sub_f32 v19, v21, v19 :: v_dual_fmac_f32 v22, 0xb102e308, v16
	v_dual_add_f32 v16, v17, v19 :: v_dual_add_f32 v17, v23, v22
	s_delay_alu instid0(VALU_DEP_1) | instskip(NEXT) | instid1(VALU_DEP_1)
	v_add_f32_e32 v19, v20, v16
	v_dual_add_f32 v21, v17, v19 :: v_dual_sub_f32 v20, v19, v20
	s_delay_alu instid0(VALU_DEP_1) | instskip(NEXT) | instid1(VALU_DEP_2)
	v_sub_f32_e32 v24, v21, v17
	v_dual_sub_f32 v23, v17, v23 :: v_dual_sub_f32 v16, v16, v20
	s_delay_alu instid0(VALU_DEP_1) | instskip(SKIP_1) | instid1(VALU_DEP_2)
	v_dual_sub_f32 v25, v21, v24 :: v_dual_sub_f32 v22, v22, v23
	v_sub_f32_e32 v19, v19, v24
	v_dual_sub_f32 v17, v17, v25 :: v_dual_add_f32 v20, v22, v16
	s_delay_alu instid0(VALU_DEP_1) | instskip(NEXT) | instid1(VALU_DEP_2)
	v_add_f32_e32 v17, v19, v17
	v_sub_f32_e32 v19, v20, v22
	s_delay_alu instid0(VALU_DEP_2) | instskip(NEXT) | instid1(VALU_DEP_2)
	v_add_f32_e32 v17, v20, v17
	v_sub_f32_e32 v20, v20, v19
	s_delay_alu instid0(VALU_DEP_2) | instskip(NEXT) | instid1(VALU_DEP_1)
	v_dual_sub_f32 v16, v16, v19 :: v_dual_add_f32 v23, v21, v17
	v_dual_sub_f32 v20, v22, v20 :: v_dual_sub_f32 v19, v23, v21
	s_delay_alu instid0(VALU_DEP_1) | instskip(NEXT) | instid1(VALU_DEP_1)
	v_dual_add_f32 v16, v16, v20 :: v_dual_sub_f32 v17, v17, v19
	v_add_f32_e32 v16, v16, v17
	s_delay_alu instid0(VALU_DEP_1) | instskip(NEXT) | instid1(VALU_DEP_1)
	v_add_f32_e32 v16, v23, v16
	v_cndmask_b32_e32 v74, v16, v18, vcc_lo
.LBB59_44:                              ;   in Loop: Header=BB59_12 Depth=1
	s_or_b32 exec_lo, exec_lo, s16
	v_lshlrev_b32_e32 v16, 16, v2
	s_delay_alu instid0(VALU_DEP_1) | instskip(NEXT) | instid1(VALU_DEP_1)
	v_add_f32_e32 v75, s57, v16
	v_cmp_ge_f32_e32 vcc_lo, 0x41a00000, v75
	s_and_b32 s15, s67, vcc_lo
	s_delay_alu instid0(SALU_CYCLE_1)
	s_and_saveexec_b32 s16, s15
	s_cbranch_execz .LBB59_46
; %bb.45:                               ;   in Loop: Header=BB59_12 Depth=1
	v_mul_f32_e32 v16, 0x3fb8aa3b, v75
	v_cmp_ngt_f32_e32 vcc_lo, 0xc2ce8ed0, v75
	s_delay_alu instid0(VALU_DEP_2) | instskip(SKIP_1) | instid1(VALU_DEP_2)
	v_rndne_f32_e32 v17, v16
	v_fma_f32 v18, 0x3fb8aa3b, v75, -v16
	v_sub_f32_e32 v16, v16, v17
	s_delay_alu instid0(VALU_DEP_2) | instskip(SKIP_1) | instid1(VALU_DEP_2)
	v_fmac_f32_e32 v18, 0x32a5705f, v75
	v_cvt_i32_f32_e32 v17, v17
	v_add_f32_e32 v16, v16, v18
	s_delay_alu instid0(VALU_DEP_1) | instskip(SKIP_2) | instid1(VALU_DEP_1)
	v_exp_f32_e32 v16, v16
	s_waitcnt_depctr 0xfff
	v_ldexp_f32 v16, v16, v17
	v_cndmask_b32_e32 v16, 0, v16, vcc_lo
	v_cmp_nlt_f32_e32 vcc_lo, 0x42b17218, v75
	s_delay_alu instid0(VALU_DEP_2) | instskip(NEXT) | instid1(VALU_DEP_1)
	v_cndmask_b32_e32 v18, 0x7f800000, v16, vcc_lo
	v_add_f32_e32 v19, 1.0, v18
	s_delay_alu instid0(VALU_DEP_1) | instskip(NEXT) | instid1(VALU_DEP_1)
	v_cvt_f64_f32_e32 v[16:17], v19
	v_frexp_exp_i32_f64_e32 v16, v[16:17]
	v_frexp_mant_f32_e32 v17, v19
	s_delay_alu instid0(VALU_DEP_1) | instskip(SKIP_1) | instid1(VALU_DEP_1)
	v_cmp_gt_f32_e32 vcc_lo, 0x3f2aaaab, v17
	v_add_f32_e32 v17, -1.0, v19
	v_sub_f32_e32 v21, v17, v19
	v_sub_f32_e32 v17, v18, v17
	s_delay_alu instid0(VALU_DEP_2) | instskip(NEXT) | instid1(VALU_DEP_1)
	v_add_f32_e32 v21, 1.0, v21
	v_add_f32_e32 v17, v17, v21
	v_cmp_gt_f32_e64 s15, 0x33800000, v18
	v_subrev_co_ci_u32_e32 v16, vcc_lo, 0, v16, vcc_lo
	v_cmp_eq_f32_e32 vcc_lo, 0x7f800000, v18
	s_delay_alu instid0(VALU_DEP_2) | instskip(SKIP_2) | instid1(VALU_DEP_2)
	v_sub_nc_u32_e32 v20, 0, v16
	v_cvt_f32_i32_e32 v16, v16
	s_or_b32 vcc_lo, s15, vcc_lo
	v_ldexp_f32 v19, v19, v20
	v_ldexp_f32 v17, v17, v20
	s_delay_alu instid0(VALU_DEP_2) | instskip(NEXT) | instid1(VALU_DEP_1)
	v_add_f32_e32 v22, 1.0, v19
	v_dual_add_f32 v20, -1.0, v19 :: v_dual_add_f32 v21, -1.0, v22
	s_delay_alu instid0(VALU_DEP_1) | instskip(NEXT) | instid1(VALU_DEP_2)
	v_add_f32_e32 v23, 1.0, v20
	v_sub_f32_e32 v21, v19, v21
	s_delay_alu instid0(VALU_DEP_2) | instskip(NEXT) | instid1(VALU_DEP_2)
	v_sub_f32_e32 v19, v19, v23
	v_add_f32_e32 v21, v17, v21
	s_delay_alu instid0(VALU_DEP_2) | instskip(NEXT) | instid1(VALU_DEP_1)
	v_add_f32_e32 v17, v17, v19
	v_add_f32_e32 v24, v20, v17
	s_delay_alu instid0(VALU_DEP_1) | instskip(NEXT) | instid1(VALU_DEP_1)
	v_dual_add_f32 v23, v22, v21 :: v_dual_sub_f32 v20, v20, v24
	v_rcp_f32_e32 v19, v23
	v_sub_f32_e32 v22, v22, v23
	s_delay_alu instid0(VALU_DEP_1) | instskip(SKIP_2) | instid1(VALU_DEP_1)
	v_add_f32_e32 v21, v21, v22
	s_waitcnt_depctr 0xfff
	v_mul_f32_e32 v25, v24, v19
	v_mul_f32_e32 v26, v23, v25
	s_delay_alu instid0(VALU_DEP_1) | instskip(NEXT) | instid1(VALU_DEP_1)
	v_fma_f32 v22, v25, v23, -v26
	v_fmac_f32_e32 v22, v25, v21
	s_delay_alu instid0(VALU_DEP_1) | instskip(NEXT) | instid1(VALU_DEP_1)
	v_add_f32_e32 v27, v26, v22
	v_sub_f32_e32 v28, v24, v27
	s_delay_alu instid0(VALU_DEP_1) | instskip(SKIP_1) | instid1(VALU_DEP_2)
	v_sub_f32_e32 v24, v24, v28
	v_dual_add_f32 v17, v17, v20 :: v_dual_sub_f32 v20, v27, v26
	v_sub_f32_e32 v24, v24, v27
	s_delay_alu instid0(VALU_DEP_1) | instskip(NEXT) | instid1(VALU_DEP_1)
	v_dual_sub_f32 v20, v20, v22 :: v_dual_add_f32 v17, v17, v24
	v_add_f32_e32 v17, v20, v17
	s_delay_alu instid0(VALU_DEP_1) | instskip(NEXT) | instid1(VALU_DEP_1)
	v_add_f32_e32 v20, v28, v17
	v_mul_f32_e32 v22, v19, v20
	s_delay_alu instid0(VALU_DEP_1) | instskip(NEXT) | instid1(VALU_DEP_1)
	v_dual_sub_f32 v27, v28, v20 :: v_dual_mul_f32 v24, v23, v22
	v_add_f32_e32 v17, v17, v27
	s_delay_alu instid0(VALU_DEP_2) | instskip(NEXT) | instid1(VALU_DEP_1)
	v_fma_f32 v23, v22, v23, -v24
	v_fmac_f32_e32 v23, v22, v21
	s_delay_alu instid0(VALU_DEP_1) | instskip(NEXT) | instid1(VALU_DEP_1)
	v_add_f32_e32 v21, v24, v23
	v_sub_f32_e32 v26, v20, v21
	s_delay_alu instid0(VALU_DEP_1) | instskip(NEXT) | instid1(VALU_DEP_1)
	v_sub_f32_e32 v20, v20, v26
	v_sub_f32_e32 v20, v20, v21
	s_delay_alu instid0(VALU_DEP_1) | instskip(SKIP_2) | instid1(VALU_DEP_1)
	v_add_f32_e32 v17, v17, v20
	v_add_f32_e32 v20, v25, v22
	v_sub_f32_e32 v24, v21, v24
	v_sub_f32_e32 v21, v24, v23
	s_delay_alu instid0(VALU_DEP_1) | instskip(NEXT) | instid1(VALU_DEP_4)
	v_add_f32_e32 v17, v21, v17
	v_sub_f32_e32 v21, v20, v25
	s_delay_alu instid0(VALU_DEP_2) | instskip(NEXT) | instid1(VALU_DEP_2)
	v_add_f32_e32 v17, v26, v17
	v_sub_f32_e32 v21, v22, v21
	s_delay_alu instid0(VALU_DEP_2) | instskip(NEXT) | instid1(VALU_DEP_1)
	v_mul_f32_e32 v17, v19, v17
	v_add_f32_e32 v17, v21, v17
	s_delay_alu instid0(VALU_DEP_1) | instskip(NEXT) | instid1(VALU_DEP_1)
	v_add_f32_e32 v19, v20, v17
	v_mul_f32_e32 v21, v19, v19
	s_delay_alu instid0(VALU_DEP_1) | instskip(SKIP_1) | instid1(VALU_DEP_2)
	v_fmaak_f32 v22, s54, v21, 0x3ecc95a3
	v_mul_f32_e32 v23, v19, v21
	v_fmaak_f32 v21, v21, v22, 0x3f2aaada
	v_ldexp_f32 v22, v19, 1
	s_delay_alu instid0(VALU_DEP_2) | instskip(SKIP_1) | instid1(VALU_DEP_2)
	v_mul_f32_e32 v21, v23, v21
	v_sub_f32_e32 v19, v19, v20
	v_dual_mul_f32 v23, 0x3f317218, v16 :: v_dual_add_f32 v20, v22, v21
	s_delay_alu instid0(VALU_DEP_2) | instskip(NEXT) | instid1(VALU_DEP_2)
	v_sub_f32_e32 v17, v17, v19
	v_sub_f32_e32 v19, v20, v22
	s_delay_alu instid0(VALU_DEP_3) | instskip(NEXT) | instid1(VALU_DEP_3)
	v_fma_f32 v22, 0x3f317218, v16, -v23
	v_ldexp_f32 v17, v17, 1
	s_delay_alu instid0(VALU_DEP_2) | instskip(NEXT) | instid1(VALU_DEP_1)
	v_dual_sub_f32 v19, v21, v19 :: v_dual_fmac_f32 v22, 0xb102e308, v16
	v_dual_add_f32 v16, v17, v19 :: v_dual_add_f32 v17, v23, v22
	s_delay_alu instid0(VALU_DEP_1) | instskip(NEXT) | instid1(VALU_DEP_1)
	v_add_f32_e32 v19, v20, v16
	v_dual_add_f32 v21, v17, v19 :: v_dual_sub_f32 v20, v19, v20
	s_delay_alu instid0(VALU_DEP_1) | instskip(NEXT) | instid1(VALU_DEP_2)
	v_sub_f32_e32 v24, v21, v17
	v_dual_sub_f32 v23, v17, v23 :: v_dual_sub_f32 v16, v16, v20
	s_delay_alu instid0(VALU_DEP_1) | instskip(SKIP_1) | instid1(VALU_DEP_2)
	v_dual_sub_f32 v25, v21, v24 :: v_dual_sub_f32 v22, v22, v23
	v_sub_f32_e32 v19, v19, v24
	v_dual_sub_f32 v17, v17, v25 :: v_dual_add_f32 v20, v22, v16
	s_delay_alu instid0(VALU_DEP_1) | instskip(NEXT) | instid1(VALU_DEP_2)
	v_add_f32_e32 v17, v19, v17
	v_sub_f32_e32 v19, v20, v22
	s_delay_alu instid0(VALU_DEP_2) | instskip(NEXT) | instid1(VALU_DEP_2)
	v_add_f32_e32 v17, v20, v17
	v_sub_f32_e32 v20, v20, v19
	s_delay_alu instid0(VALU_DEP_2) | instskip(NEXT) | instid1(VALU_DEP_1)
	v_dual_sub_f32 v16, v16, v19 :: v_dual_add_f32 v23, v21, v17
	v_dual_sub_f32 v20, v22, v20 :: v_dual_sub_f32 v19, v23, v21
	s_delay_alu instid0(VALU_DEP_1) | instskip(NEXT) | instid1(VALU_DEP_1)
	v_dual_add_f32 v16, v16, v20 :: v_dual_sub_f32 v17, v17, v19
	v_add_f32_e32 v16, v16, v17
	s_delay_alu instid0(VALU_DEP_1) | instskip(NEXT) | instid1(VALU_DEP_1)
	v_add_f32_e32 v16, v23, v16
	v_cndmask_b32_e32 v75, v16, v18, vcc_lo
.LBB59_46:                              ;   in Loop: Header=BB59_12 Depth=1
	s_or_b32 exec_lo, exec_lo, s16
	v_and_b32_e32 v16, 0xffff0000, v2
	s_delay_alu instid0(VALU_DEP_1) | instskip(NEXT) | instid1(VALU_DEP_1)
	v_add_f32_e32 v76, s57, v16
	v_cmp_ge_f32_e32 vcc_lo, 0x41a00000, v76
	s_and_b32 s15, s67, vcc_lo
	s_delay_alu instid0(SALU_CYCLE_1)
	s_and_saveexec_b32 s16, s15
	s_cbranch_execz .LBB59_48
; %bb.47:                               ;   in Loop: Header=BB59_12 Depth=1
	v_mul_f32_e32 v16, 0x3fb8aa3b, v76
	v_cmp_ngt_f32_e32 vcc_lo, 0xc2ce8ed0, v76
	s_delay_alu instid0(VALU_DEP_2) | instskip(SKIP_1) | instid1(VALU_DEP_2)
	v_rndne_f32_e32 v17, v16
	v_fma_f32 v18, 0x3fb8aa3b, v76, -v16
	v_sub_f32_e32 v16, v16, v17
	s_delay_alu instid0(VALU_DEP_2) | instskip(SKIP_1) | instid1(VALU_DEP_2)
	v_fmac_f32_e32 v18, 0x32a5705f, v76
	v_cvt_i32_f32_e32 v17, v17
	v_add_f32_e32 v16, v16, v18
	s_delay_alu instid0(VALU_DEP_1) | instskip(SKIP_2) | instid1(VALU_DEP_1)
	v_exp_f32_e32 v16, v16
	s_waitcnt_depctr 0xfff
	v_ldexp_f32 v16, v16, v17
	v_cndmask_b32_e32 v16, 0, v16, vcc_lo
	v_cmp_nlt_f32_e32 vcc_lo, 0x42b17218, v76
	s_delay_alu instid0(VALU_DEP_2) | instskip(NEXT) | instid1(VALU_DEP_1)
	v_cndmask_b32_e32 v18, 0x7f800000, v16, vcc_lo
	v_add_f32_e32 v19, 1.0, v18
	s_delay_alu instid0(VALU_DEP_1) | instskip(NEXT) | instid1(VALU_DEP_1)
	v_cvt_f64_f32_e32 v[16:17], v19
	v_frexp_exp_i32_f64_e32 v16, v[16:17]
	v_frexp_mant_f32_e32 v17, v19
	s_delay_alu instid0(VALU_DEP_1) | instskip(SKIP_1) | instid1(VALU_DEP_1)
	v_cmp_gt_f32_e32 vcc_lo, 0x3f2aaaab, v17
	v_add_f32_e32 v17, -1.0, v19
	v_sub_f32_e32 v21, v17, v19
	v_sub_f32_e32 v17, v18, v17
	s_delay_alu instid0(VALU_DEP_2) | instskip(NEXT) | instid1(VALU_DEP_1)
	v_add_f32_e32 v21, 1.0, v21
	v_add_f32_e32 v17, v17, v21
	v_cmp_gt_f32_e64 s15, 0x33800000, v18
	v_subrev_co_ci_u32_e32 v16, vcc_lo, 0, v16, vcc_lo
	v_cmp_eq_f32_e32 vcc_lo, 0x7f800000, v18
	s_delay_alu instid0(VALU_DEP_2) | instskip(SKIP_2) | instid1(VALU_DEP_2)
	v_sub_nc_u32_e32 v20, 0, v16
	v_cvt_f32_i32_e32 v16, v16
	s_or_b32 vcc_lo, s15, vcc_lo
	v_ldexp_f32 v19, v19, v20
	v_ldexp_f32 v17, v17, v20
	s_delay_alu instid0(VALU_DEP_2) | instskip(NEXT) | instid1(VALU_DEP_1)
	v_add_f32_e32 v22, 1.0, v19
	v_dual_add_f32 v20, -1.0, v19 :: v_dual_add_f32 v21, -1.0, v22
	s_delay_alu instid0(VALU_DEP_1) | instskip(NEXT) | instid1(VALU_DEP_2)
	v_add_f32_e32 v23, 1.0, v20
	v_sub_f32_e32 v21, v19, v21
	s_delay_alu instid0(VALU_DEP_2) | instskip(NEXT) | instid1(VALU_DEP_2)
	v_sub_f32_e32 v19, v19, v23
	v_add_f32_e32 v21, v17, v21
	s_delay_alu instid0(VALU_DEP_2) | instskip(NEXT) | instid1(VALU_DEP_1)
	v_add_f32_e32 v17, v17, v19
	v_add_f32_e32 v24, v20, v17
	s_delay_alu instid0(VALU_DEP_1) | instskip(NEXT) | instid1(VALU_DEP_1)
	v_dual_add_f32 v23, v22, v21 :: v_dual_sub_f32 v20, v20, v24
	v_rcp_f32_e32 v19, v23
	v_sub_f32_e32 v22, v22, v23
	s_delay_alu instid0(VALU_DEP_1) | instskip(SKIP_2) | instid1(VALU_DEP_1)
	v_add_f32_e32 v21, v21, v22
	s_waitcnt_depctr 0xfff
	v_mul_f32_e32 v25, v24, v19
	v_mul_f32_e32 v26, v23, v25
	s_delay_alu instid0(VALU_DEP_1) | instskip(NEXT) | instid1(VALU_DEP_1)
	v_fma_f32 v22, v25, v23, -v26
	v_fmac_f32_e32 v22, v25, v21
	s_delay_alu instid0(VALU_DEP_1) | instskip(NEXT) | instid1(VALU_DEP_1)
	v_add_f32_e32 v27, v26, v22
	v_sub_f32_e32 v28, v24, v27
	s_delay_alu instid0(VALU_DEP_1) | instskip(SKIP_1) | instid1(VALU_DEP_2)
	v_sub_f32_e32 v24, v24, v28
	v_dual_add_f32 v17, v17, v20 :: v_dual_sub_f32 v20, v27, v26
	v_sub_f32_e32 v24, v24, v27
	s_delay_alu instid0(VALU_DEP_1) | instskip(NEXT) | instid1(VALU_DEP_1)
	v_dual_sub_f32 v20, v20, v22 :: v_dual_add_f32 v17, v17, v24
	v_add_f32_e32 v17, v20, v17
	s_delay_alu instid0(VALU_DEP_1) | instskip(NEXT) | instid1(VALU_DEP_1)
	v_add_f32_e32 v20, v28, v17
	v_mul_f32_e32 v22, v19, v20
	s_delay_alu instid0(VALU_DEP_1) | instskip(NEXT) | instid1(VALU_DEP_1)
	v_dual_sub_f32 v27, v28, v20 :: v_dual_mul_f32 v24, v23, v22
	v_add_f32_e32 v17, v17, v27
	s_delay_alu instid0(VALU_DEP_2) | instskip(NEXT) | instid1(VALU_DEP_1)
	v_fma_f32 v23, v22, v23, -v24
	v_fmac_f32_e32 v23, v22, v21
	s_delay_alu instid0(VALU_DEP_1) | instskip(NEXT) | instid1(VALU_DEP_1)
	v_add_f32_e32 v21, v24, v23
	v_sub_f32_e32 v26, v20, v21
	s_delay_alu instid0(VALU_DEP_1) | instskip(NEXT) | instid1(VALU_DEP_1)
	v_sub_f32_e32 v20, v20, v26
	v_sub_f32_e32 v20, v20, v21
	s_delay_alu instid0(VALU_DEP_1) | instskip(SKIP_2) | instid1(VALU_DEP_1)
	v_add_f32_e32 v17, v17, v20
	v_add_f32_e32 v20, v25, v22
	v_sub_f32_e32 v24, v21, v24
	v_sub_f32_e32 v21, v24, v23
	s_delay_alu instid0(VALU_DEP_1) | instskip(NEXT) | instid1(VALU_DEP_4)
	v_add_f32_e32 v17, v21, v17
	v_sub_f32_e32 v21, v20, v25
	s_delay_alu instid0(VALU_DEP_2) | instskip(NEXT) | instid1(VALU_DEP_2)
	v_add_f32_e32 v17, v26, v17
	v_sub_f32_e32 v21, v22, v21
	s_delay_alu instid0(VALU_DEP_2) | instskip(NEXT) | instid1(VALU_DEP_1)
	v_mul_f32_e32 v17, v19, v17
	v_add_f32_e32 v17, v21, v17
	s_delay_alu instid0(VALU_DEP_1) | instskip(NEXT) | instid1(VALU_DEP_1)
	v_add_f32_e32 v19, v20, v17
	v_mul_f32_e32 v21, v19, v19
	s_delay_alu instid0(VALU_DEP_1) | instskip(SKIP_1) | instid1(VALU_DEP_2)
	v_fmaak_f32 v22, s54, v21, 0x3ecc95a3
	v_mul_f32_e32 v23, v19, v21
	v_fmaak_f32 v21, v21, v22, 0x3f2aaada
	v_ldexp_f32 v22, v19, 1
	s_delay_alu instid0(VALU_DEP_2) | instskip(SKIP_1) | instid1(VALU_DEP_2)
	v_mul_f32_e32 v21, v23, v21
	v_sub_f32_e32 v19, v19, v20
	v_dual_mul_f32 v23, 0x3f317218, v16 :: v_dual_add_f32 v20, v22, v21
	s_delay_alu instid0(VALU_DEP_2) | instskip(NEXT) | instid1(VALU_DEP_2)
	v_sub_f32_e32 v17, v17, v19
	v_sub_f32_e32 v19, v20, v22
	s_delay_alu instid0(VALU_DEP_3) | instskip(NEXT) | instid1(VALU_DEP_3)
	v_fma_f32 v22, 0x3f317218, v16, -v23
	v_ldexp_f32 v17, v17, 1
	s_delay_alu instid0(VALU_DEP_2) | instskip(NEXT) | instid1(VALU_DEP_1)
	v_dual_sub_f32 v19, v21, v19 :: v_dual_fmac_f32 v22, 0xb102e308, v16
	v_dual_add_f32 v16, v17, v19 :: v_dual_add_f32 v17, v23, v22
	s_delay_alu instid0(VALU_DEP_1) | instskip(NEXT) | instid1(VALU_DEP_1)
	v_add_f32_e32 v19, v20, v16
	v_dual_add_f32 v21, v17, v19 :: v_dual_sub_f32 v20, v19, v20
	s_delay_alu instid0(VALU_DEP_1) | instskip(NEXT) | instid1(VALU_DEP_2)
	v_sub_f32_e32 v24, v21, v17
	v_dual_sub_f32 v23, v17, v23 :: v_dual_sub_f32 v16, v16, v20
	s_delay_alu instid0(VALU_DEP_1) | instskip(SKIP_1) | instid1(VALU_DEP_2)
	v_dual_sub_f32 v25, v21, v24 :: v_dual_sub_f32 v22, v22, v23
	v_sub_f32_e32 v19, v19, v24
	v_dual_sub_f32 v17, v17, v25 :: v_dual_add_f32 v20, v22, v16
	s_delay_alu instid0(VALU_DEP_1) | instskip(NEXT) | instid1(VALU_DEP_2)
	v_add_f32_e32 v17, v19, v17
	v_sub_f32_e32 v19, v20, v22
	s_delay_alu instid0(VALU_DEP_2) | instskip(NEXT) | instid1(VALU_DEP_2)
	v_add_f32_e32 v17, v20, v17
	v_sub_f32_e32 v20, v20, v19
	s_delay_alu instid0(VALU_DEP_2) | instskip(NEXT) | instid1(VALU_DEP_1)
	v_dual_sub_f32 v16, v16, v19 :: v_dual_add_f32 v23, v21, v17
	v_dual_sub_f32 v20, v22, v20 :: v_dual_sub_f32 v19, v23, v21
	s_delay_alu instid0(VALU_DEP_1) | instskip(NEXT) | instid1(VALU_DEP_1)
	v_dual_add_f32 v16, v16, v20 :: v_dual_sub_f32 v17, v17, v19
	v_add_f32_e32 v16, v16, v17
	s_delay_alu instid0(VALU_DEP_1) | instskip(NEXT) | instid1(VALU_DEP_1)
	v_add_f32_e32 v16, v23, v16
	v_cndmask_b32_e32 v76, v16, v18, vcc_lo
.LBB59_48:                              ;   in Loop: Header=BB59_12 Depth=1
	s_or_b32 exec_lo, exec_lo, s16
	v_lshlrev_b32_e32 v16, 16, v3
	s_delay_alu instid0(VALU_DEP_1) | instskip(NEXT) | instid1(VALU_DEP_1)
	v_add_f32_e32 v77, s57, v16
	v_cmp_ge_f32_e32 vcc_lo, 0x41a00000, v77
	s_and_b32 s15, s67, vcc_lo
	s_delay_alu instid0(SALU_CYCLE_1)
	s_and_saveexec_b32 s16, s15
	s_cbranch_execz .LBB59_50
; %bb.49:                               ;   in Loop: Header=BB59_12 Depth=1
	v_mul_f32_e32 v16, 0x3fb8aa3b, v77
	v_cmp_ngt_f32_e32 vcc_lo, 0xc2ce8ed0, v77
	s_delay_alu instid0(VALU_DEP_2) | instskip(SKIP_1) | instid1(VALU_DEP_2)
	v_rndne_f32_e32 v17, v16
	v_fma_f32 v18, 0x3fb8aa3b, v77, -v16
	v_sub_f32_e32 v16, v16, v17
	s_delay_alu instid0(VALU_DEP_2) | instskip(SKIP_1) | instid1(VALU_DEP_2)
	v_fmac_f32_e32 v18, 0x32a5705f, v77
	v_cvt_i32_f32_e32 v17, v17
	v_add_f32_e32 v16, v16, v18
	s_delay_alu instid0(VALU_DEP_1) | instskip(SKIP_2) | instid1(VALU_DEP_1)
	v_exp_f32_e32 v16, v16
	s_waitcnt_depctr 0xfff
	v_ldexp_f32 v16, v16, v17
	v_cndmask_b32_e32 v16, 0, v16, vcc_lo
	v_cmp_nlt_f32_e32 vcc_lo, 0x42b17218, v77
	s_delay_alu instid0(VALU_DEP_2) | instskip(NEXT) | instid1(VALU_DEP_1)
	v_cndmask_b32_e32 v18, 0x7f800000, v16, vcc_lo
	v_add_f32_e32 v19, 1.0, v18
	s_delay_alu instid0(VALU_DEP_1) | instskip(NEXT) | instid1(VALU_DEP_1)
	v_cvt_f64_f32_e32 v[16:17], v19
	v_frexp_exp_i32_f64_e32 v16, v[16:17]
	v_frexp_mant_f32_e32 v17, v19
	s_delay_alu instid0(VALU_DEP_1) | instskip(SKIP_1) | instid1(VALU_DEP_1)
	v_cmp_gt_f32_e32 vcc_lo, 0x3f2aaaab, v17
	v_add_f32_e32 v17, -1.0, v19
	v_sub_f32_e32 v21, v17, v19
	v_sub_f32_e32 v17, v18, v17
	s_delay_alu instid0(VALU_DEP_2) | instskip(NEXT) | instid1(VALU_DEP_1)
	v_add_f32_e32 v21, 1.0, v21
	v_add_f32_e32 v17, v17, v21
	v_cmp_gt_f32_e64 s15, 0x33800000, v18
	v_subrev_co_ci_u32_e32 v16, vcc_lo, 0, v16, vcc_lo
	v_cmp_eq_f32_e32 vcc_lo, 0x7f800000, v18
	s_delay_alu instid0(VALU_DEP_2) | instskip(SKIP_2) | instid1(VALU_DEP_2)
	v_sub_nc_u32_e32 v20, 0, v16
	v_cvt_f32_i32_e32 v16, v16
	s_or_b32 vcc_lo, s15, vcc_lo
	v_ldexp_f32 v19, v19, v20
	v_ldexp_f32 v17, v17, v20
	s_delay_alu instid0(VALU_DEP_2) | instskip(NEXT) | instid1(VALU_DEP_1)
	v_add_f32_e32 v22, 1.0, v19
	v_dual_add_f32 v20, -1.0, v19 :: v_dual_add_f32 v21, -1.0, v22
	s_delay_alu instid0(VALU_DEP_1) | instskip(NEXT) | instid1(VALU_DEP_2)
	v_add_f32_e32 v23, 1.0, v20
	v_sub_f32_e32 v21, v19, v21
	s_delay_alu instid0(VALU_DEP_2) | instskip(NEXT) | instid1(VALU_DEP_2)
	v_sub_f32_e32 v19, v19, v23
	v_add_f32_e32 v21, v17, v21
	s_delay_alu instid0(VALU_DEP_2) | instskip(NEXT) | instid1(VALU_DEP_1)
	v_add_f32_e32 v17, v17, v19
	v_add_f32_e32 v24, v20, v17
	s_delay_alu instid0(VALU_DEP_1) | instskip(NEXT) | instid1(VALU_DEP_1)
	v_dual_add_f32 v23, v22, v21 :: v_dual_sub_f32 v20, v20, v24
	v_rcp_f32_e32 v19, v23
	v_sub_f32_e32 v22, v22, v23
	s_delay_alu instid0(VALU_DEP_1) | instskip(SKIP_2) | instid1(VALU_DEP_1)
	v_add_f32_e32 v21, v21, v22
	s_waitcnt_depctr 0xfff
	v_mul_f32_e32 v25, v24, v19
	v_mul_f32_e32 v26, v23, v25
	s_delay_alu instid0(VALU_DEP_1) | instskip(NEXT) | instid1(VALU_DEP_1)
	v_fma_f32 v22, v25, v23, -v26
	v_fmac_f32_e32 v22, v25, v21
	s_delay_alu instid0(VALU_DEP_1) | instskip(NEXT) | instid1(VALU_DEP_1)
	v_add_f32_e32 v27, v26, v22
	v_sub_f32_e32 v28, v24, v27
	s_delay_alu instid0(VALU_DEP_1) | instskip(SKIP_1) | instid1(VALU_DEP_2)
	v_sub_f32_e32 v24, v24, v28
	v_dual_add_f32 v17, v17, v20 :: v_dual_sub_f32 v20, v27, v26
	v_sub_f32_e32 v24, v24, v27
	s_delay_alu instid0(VALU_DEP_1) | instskip(NEXT) | instid1(VALU_DEP_1)
	v_dual_sub_f32 v20, v20, v22 :: v_dual_add_f32 v17, v17, v24
	v_add_f32_e32 v17, v20, v17
	s_delay_alu instid0(VALU_DEP_1) | instskip(NEXT) | instid1(VALU_DEP_1)
	v_add_f32_e32 v20, v28, v17
	v_mul_f32_e32 v22, v19, v20
	s_delay_alu instid0(VALU_DEP_1) | instskip(NEXT) | instid1(VALU_DEP_1)
	v_dual_sub_f32 v27, v28, v20 :: v_dual_mul_f32 v24, v23, v22
	v_add_f32_e32 v17, v17, v27
	s_delay_alu instid0(VALU_DEP_2) | instskip(NEXT) | instid1(VALU_DEP_1)
	v_fma_f32 v23, v22, v23, -v24
	v_fmac_f32_e32 v23, v22, v21
	s_delay_alu instid0(VALU_DEP_1) | instskip(NEXT) | instid1(VALU_DEP_1)
	v_add_f32_e32 v21, v24, v23
	v_sub_f32_e32 v26, v20, v21
	s_delay_alu instid0(VALU_DEP_1) | instskip(NEXT) | instid1(VALU_DEP_1)
	v_sub_f32_e32 v20, v20, v26
	v_sub_f32_e32 v20, v20, v21
	s_delay_alu instid0(VALU_DEP_1) | instskip(SKIP_2) | instid1(VALU_DEP_1)
	v_add_f32_e32 v17, v17, v20
	v_add_f32_e32 v20, v25, v22
	v_sub_f32_e32 v24, v21, v24
	v_sub_f32_e32 v21, v24, v23
	s_delay_alu instid0(VALU_DEP_1) | instskip(NEXT) | instid1(VALU_DEP_4)
	v_add_f32_e32 v17, v21, v17
	v_sub_f32_e32 v21, v20, v25
	s_delay_alu instid0(VALU_DEP_2) | instskip(NEXT) | instid1(VALU_DEP_2)
	v_add_f32_e32 v17, v26, v17
	v_sub_f32_e32 v21, v22, v21
	s_delay_alu instid0(VALU_DEP_2) | instskip(NEXT) | instid1(VALU_DEP_1)
	v_mul_f32_e32 v17, v19, v17
	v_add_f32_e32 v17, v21, v17
	s_delay_alu instid0(VALU_DEP_1) | instskip(NEXT) | instid1(VALU_DEP_1)
	v_add_f32_e32 v19, v20, v17
	v_mul_f32_e32 v21, v19, v19
	s_delay_alu instid0(VALU_DEP_1) | instskip(SKIP_1) | instid1(VALU_DEP_2)
	v_fmaak_f32 v22, s54, v21, 0x3ecc95a3
	v_mul_f32_e32 v23, v19, v21
	v_fmaak_f32 v21, v21, v22, 0x3f2aaada
	v_ldexp_f32 v22, v19, 1
	s_delay_alu instid0(VALU_DEP_2) | instskip(SKIP_1) | instid1(VALU_DEP_2)
	v_mul_f32_e32 v21, v23, v21
	v_sub_f32_e32 v19, v19, v20
	v_dual_mul_f32 v23, 0x3f317218, v16 :: v_dual_add_f32 v20, v22, v21
	s_delay_alu instid0(VALU_DEP_2) | instskip(NEXT) | instid1(VALU_DEP_2)
	v_sub_f32_e32 v17, v17, v19
	v_sub_f32_e32 v19, v20, v22
	s_delay_alu instid0(VALU_DEP_3) | instskip(NEXT) | instid1(VALU_DEP_3)
	v_fma_f32 v22, 0x3f317218, v16, -v23
	v_ldexp_f32 v17, v17, 1
	s_delay_alu instid0(VALU_DEP_2) | instskip(NEXT) | instid1(VALU_DEP_1)
	v_dual_sub_f32 v19, v21, v19 :: v_dual_fmac_f32 v22, 0xb102e308, v16
	v_dual_add_f32 v16, v17, v19 :: v_dual_add_f32 v17, v23, v22
	s_delay_alu instid0(VALU_DEP_1) | instskip(NEXT) | instid1(VALU_DEP_1)
	v_add_f32_e32 v19, v20, v16
	v_dual_add_f32 v21, v17, v19 :: v_dual_sub_f32 v20, v19, v20
	s_delay_alu instid0(VALU_DEP_1) | instskip(NEXT) | instid1(VALU_DEP_2)
	v_sub_f32_e32 v24, v21, v17
	v_dual_sub_f32 v23, v17, v23 :: v_dual_sub_f32 v16, v16, v20
	s_delay_alu instid0(VALU_DEP_1) | instskip(SKIP_1) | instid1(VALU_DEP_2)
	v_dual_sub_f32 v25, v21, v24 :: v_dual_sub_f32 v22, v22, v23
	v_sub_f32_e32 v19, v19, v24
	v_dual_sub_f32 v17, v17, v25 :: v_dual_add_f32 v20, v22, v16
	s_delay_alu instid0(VALU_DEP_1) | instskip(NEXT) | instid1(VALU_DEP_2)
	v_add_f32_e32 v17, v19, v17
	v_sub_f32_e32 v19, v20, v22
	s_delay_alu instid0(VALU_DEP_2) | instskip(NEXT) | instid1(VALU_DEP_2)
	v_add_f32_e32 v17, v20, v17
	v_sub_f32_e32 v20, v20, v19
	s_delay_alu instid0(VALU_DEP_2) | instskip(NEXT) | instid1(VALU_DEP_1)
	v_dual_sub_f32 v16, v16, v19 :: v_dual_add_f32 v23, v21, v17
	v_dual_sub_f32 v20, v22, v20 :: v_dual_sub_f32 v19, v23, v21
	s_delay_alu instid0(VALU_DEP_1) | instskip(NEXT) | instid1(VALU_DEP_1)
	v_dual_add_f32 v16, v16, v20 :: v_dual_sub_f32 v17, v17, v19
	v_add_f32_e32 v16, v16, v17
	s_delay_alu instid0(VALU_DEP_1) | instskip(NEXT) | instid1(VALU_DEP_1)
	v_add_f32_e32 v16, v23, v16
	v_cndmask_b32_e32 v77, v16, v18, vcc_lo
.LBB59_50:                              ;   in Loop: Header=BB59_12 Depth=1
	s_or_b32 exec_lo, exec_lo, s16
	v_and_b32_e32 v16, 0xffff0000, v3
	s_delay_alu instid0(VALU_DEP_1) | instskip(NEXT) | instid1(VALU_DEP_1)
	v_add_f32_e32 v94, s57, v16
	v_cmp_ge_f32_e32 vcc_lo, 0x41a00000, v94
	s_and_b32 s15, s67, vcc_lo
	s_delay_alu instid0(SALU_CYCLE_1)
	s_and_saveexec_b32 s16, s15
	s_cbranch_execz .LBB59_52
; %bb.51:                               ;   in Loop: Header=BB59_12 Depth=1
	v_mul_f32_e32 v16, 0x3fb8aa3b, v94
	v_cmp_ngt_f32_e32 vcc_lo, 0xc2ce8ed0, v94
	s_delay_alu instid0(VALU_DEP_2) | instskip(SKIP_1) | instid1(VALU_DEP_2)
	v_rndne_f32_e32 v17, v16
	v_fma_f32 v18, 0x3fb8aa3b, v94, -v16
	v_sub_f32_e32 v16, v16, v17
	s_delay_alu instid0(VALU_DEP_2) | instskip(SKIP_1) | instid1(VALU_DEP_2)
	v_fmac_f32_e32 v18, 0x32a5705f, v94
	v_cvt_i32_f32_e32 v17, v17
	v_add_f32_e32 v16, v16, v18
	s_delay_alu instid0(VALU_DEP_1) | instskip(SKIP_2) | instid1(VALU_DEP_1)
	v_exp_f32_e32 v16, v16
	s_waitcnt_depctr 0xfff
	v_ldexp_f32 v16, v16, v17
	v_cndmask_b32_e32 v16, 0, v16, vcc_lo
	v_cmp_nlt_f32_e32 vcc_lo, 0x42b17218, v94
	s_delay_alu instid0(VALU_DEP_2) | instskip(NEXT) | instid1(VALU_DEP_1)
	v_cndmask_b32_e32 v18, 0x7f800000, v16, vcc_lo
	v_add_f32_e32 v19, 1.0, v18
	s_delay_alu instid0(VALU_DEP_1) | instskip(NEXT) | instid1(VALU_DEP_1)
	v_cvt_f64_f32_e32 v[16:17], v19
	v_frexp_exp_i32_f64_e32 v16, v[16:17]
	v_frexp_mant_f32_e32 v17, v19
	s_delay_alu instid0(VALU_DEP_1) | instskip(SKIP_1) | instid1(VALU_DEP_1)
	v_cmp_gt_f32_e32 vcc_lo, 0x3f2aaaab, v17
	v_add_f32_e32 v17, -1.0, v19
	v_sub_f32_e32 v21, v17, v19
	v_sub_f32_e32 v17, v18, v17
	s_delay_alu instid0(VALU_DEP_2) | instskip(NEXT) | instid1(VALU_DEP_1)
	v_add_f32_e32 v21, 1.0, v21
	v_add_f32_e32 v17, v17, v21
	v_cmp_gt_f32_e64 s15, 0x33800000, v18
	v_subrev_co_ci_u32_e32 v16, vcc_lo, 0, v16, vcc_lo
	v_cmp_eq_f32_e32 vcc_lo, 0x7f800000, v18
	s_delay_alu instid0(VALU_DEP_2) | instskip(SKIP_2) | instid1(VALU_DEP_2)
	v_sub_nc_u32_e32 v20, 0, v16
	v_cvt_f32_i32_e32 v16, v16
	s_or_b32 vcc_lo, s15, vcc_lo
	v_ldexp_f32 v19, v19, v20
	v_ldexp_f32 v17, v17, v20
	s_delay_alu instid0(VALU_DEP_2) | instskip(NEXT) | instid1(VALU_DEP_1)
	v_add_f32_e32 v22, 1.0, v19
	v_dual_add_f32 v20, -1.0, v19 :: v_dual_add_f32 v21, -1.0, v22
	s_delay_alu instid0(VALU_DEP_1) | instskip(NEXT) | instid1(VALU_DEP_2)
	v_add_f32_e32 v23, 1.0, v20
	v_sub_f32_e32 v21, v19, v21
	s_delay_alu instid0(VALU_DEP_2) | instskip(NEXT) | instid1(VALU_DEP_2)
	v_sub_f32_e32 v19, v19, v23
	v_add_f32_e32 v21, v17, v21
	s_delay_alu instid0(VALU_DEP_2) | instskip(NEXT) | instid1(VALU_DEP_1)
	v_add_f32_e32 v17, v17, v19
	v_add_f32_e32 v24, v20, v17
	s_delay_alu instid0(VALU_DEP_1) | instskip(NEXT) | instid1(VALU_DEP_1)
	v_dual_add_f32 v23, v22, v21 :: v_dual_sub_f32 v20, v20, v24
	v_rcp_f32_e32 v19, v23
	v_sub_f32_e32 v22, v22, v23
	s_delay_alu instid0(VALU_DEP_1) | instskip(SKIP_2) | instid1(VALU_DEP_1)
	v_add_f32_e32 v21, v21, v22
	s_waitcnt_depctr 0xfff
	v_mul_f32_e32 v25, v24, v19
	v_mul_f32_e32 v26, v23, v25
	s_delay_alu instid0(VALU_DEP_1) | instskip(NEXT) | instid1(VALU_DEP_1)
	v_fma_f32 v22, v25, v23, -v26
	v_fmac_f32_e32 v22, v25, v21
	s_delay_alu instid0(VALU_DEP_1) | instskip(NEXT) | instid1(VALU_DEP_1)
	v_add_f32_e32 v27, v26, v22
	v_sub_f32_e32 v28, v24, v27
	s_delay_alu instid0(VALU_DEP_1) | instskip(SKIP_1) | instid1(VALU_DEP_2)
	v_sub_f32_e32 v24, v24, v28
	v_dual_add_f32 v17, v17, v20 :: v_dual_sub_f32 v20, v27, v26
	v_sub_f32_e32 v24, v24, v27
	s_delay_alu instid0(VALU_DEP_1) | instskip(NEXT) | instid1(VALU_DEP_1)
	v_dual_sub_f32 v20, v20, v22 :: v_dual_add_f32 v17, v17, v24
	v_add_f32_e32 v17, v20, v17
	s_delay_alu instid0(VALU_DEP_1) | instskip(NEXT) | instid1(VALU_DEP_1)
	v_add_f32_e32 v20, v28, v17
	v_mul_f32_e32 v22, v19, v20
	s_delay_alu instid0(VALU_DEP_1) | instskip(NEXT) | instid1(VALU_DEP_1)
	v_dual_sub_f32 v27, v28, v20 :: v_dual_mul_f32 v24, v23, v22
	v_add_f32_e32 v17, v17, v27
	s_delay_alu instid0(VALU_DEP_2) | instskip(NEXT) | instid1(VALU_DEP_1)
	v_fma_f32 v23, v22, v23, -v24
	v_fmac_f32_e32 v23, v22, v21
	s_delay_alu instid0(VALU_DEP_1) | instskip(NEXT) | instid1(VALU_DEP_1)
	v_add_f32_e32 v21, v24, v23
	v_sub_f32_e32 v26, v20, v21
	s_delay_alu instid0(VALU_DEP_1) | instskip(NEXT) | instid1(VALU_DEP_1)
	v_sub_f32_e32 v20, v20, v26
	v_sub_f32_e32 v20, v20, v21
	s_delay_alu instid0(VALU_DEP_1) | instskip(SKIP_2) | instid1(VALU_DEP_1)
	v_add_f32_e32 v17, v17, v20
	v_add_f32_e32 v20, v25, v22
	v_sub_f32_e32 v24, v21, v24
	v_sub_f32_e32 v21, v24, v23
	s_delay_alu instid0(VALU_DEP_1) | instskip(NEXT) | instid1(VALU_DEP_4)
	v_add_f32_e32 v17, v21, v17
	v_sub_f32_e32 v21, v20, v25
	s_delay_alu instid0(VALU_DEP_2) | instskip(NEXT) | instid1(VALU_DEP_2)
	v_add_f32_e32 v17, v26, v17
	v_sub_f32_e32 v21, v22, v21
	s_delay_alu instid0(VALU_DEP_2) | instskip(NEXT) | instid1(VALU_DEP_1)
	v_mul_f32_e32 v17, v19, v17
	v_add_f32_e32 v17, v21, v17
	s_delay_alu instid0(VALU_DEP_1) | instskip(NEXT) | instid1(VALU_DEP_1)
	v_add_f32_e32 v19, v20, v17
	v_mul_f32_e32 v21, v19, v19
	s_delay_alu instid0(VALU_DEP_1) | instskip(SKIP_1) | instid1(VALU_DEP_2)
	v_fmaak_f32 v22, s54, v21, 0x3ecc95a3
	v_mul_f32_e32 v23, v19, v21
	v_fmaak_f32 v21, v21, v22, 0x3f2aaada
	v_ldexp_f32 v22, v19, 1
	s_delay_alu instid0(VALU_DEP_2) | instskip(SKIP_1) | instid1(VALU_DEP_2)
	v_mul_f32_e32 v21, v23, v21
	v_sub_f32_e32 v19, v19, v20
	v_dual_mul_f32 v23, 0x3f317218, v16 :: v_dual_add_f32 v20, v22, v21
	s_delay_alu instid0(VALU_DEP_2) | instskip(NEXT) | instid1(VALU_DEP_2)
	v_sub_f32_e32 v17, v17, v19
	v_sub_f32_e32 v19, v20, v22
	s_delay_alu instid0(VALU_DEP_3) | instskip(NEXT) | instid1(VALU_DEP_3)
	v_fma_f32 v22, 0x3f317218, v16, -v23
	v_ldexp_f32 v17, v17, 1
	s_delay_alu instid0(VALU_DEP_2) | instskip(NEXT) | instid1(VALU_DEP_1)
	v_dual_sub_f32 v19, v21, v19 :: v_dual_fmac_f32 v22, 0xb102e308, v16
	v_dual_add_f32 v16, v17, v19 :: v_dual_add_f32 v17, v23, v22
	s_delay_alu instid0(VALU_DEP_1) | instskip(NEXT) | instid1(VALU_DEP_1)
	v_add_f32_e32 v19, v20, v16
	v_dual_add_f32 v21, v17, v19 :: v_dual_sub_f32 v20, v19, v20
	s_delay_alu instid0(VALU_DEP_1) | instskip(NEXT) | instid1(VALU_DEP_2)
	v_sub_f32_e32 v24, v21, v17
	v_dual_sub_f32 v23, v17, v23 :: v_dual_sub_f32 v16, v16, v20
	s_delay_alu instid0(VALU_DEP_1) | instskip(SKIP_1) | instid1(VALU_DEP_2)
	v_dual_sub_f32 v25, v21, v24 :: v_dual_sub_f32 v22, v22, v23
	v_sub_f32_e32 v19, v19, v24
	v_dual_sub_f32 v17, v17, v25 :: v_dual_add_f32 v20, v22, v16
	s_delay_alu instid0(VALU_DEP_1) | instskip(NEXT) | instid1(VALU_DEP_2)
	v_add_f32_e32 v17, v19, v17
	v_sub_f32_e32 v19, v20, v22
	s_delay_alu instid0(VALU_DEP_2) | instskip(NEXT) | instid1(VALU_DEP_2)
	v_add_f32_e32 v17, v20, v17
	v_sub_f32_e32 v20, v20, v19
	s_delay_alu instid0(VALU_DEP_2) | instskip(NEXT) | instid1(VALU_DEP_1)
	v_dual_sub_f32 v16, v16, v19 :: v_dual_add_f32 v23, v21, v17
	v_dual_sub_f32 v20, v22, v20 :: v_dual_sub_f32 v19, v23, v21
	s_delay_alu instid0(VALU_DEP_1) | instskip(NEXT) | instid1(VALU_DEP_1)
	v_dual_add_f32 v16, v16, v20 :: v_dual_sub_f32 v17, v17, v19
	v_add_f32_e32 v16, v16, v17
	s_delay_alu instid0(VALU_DEP_1) | instskip(NEXT) | instid1(VALU_DEP_1)
	v_add_f32_e32 v16, v23, v16
	v_cndmask_b32_e32 v94, v16, v18, vcc_lo
.LBB59_52:                              ;   in Loop: Header=BB59_12 Depth=1
	s_or_b32 exec_lo, exec_lo, s16
	v_lshlrev_b32_e32 v31, 16, v12
	v_and_b32_e32 v30, 0xffff0000, v12
	v_lshlrev_b32_e32 v20, 16, v9
	v_lshlrev_b32_e32 v16, 16, v11
	v_and_b32_e32 v21, 0xffff0000, v8
	v_mul_f32_e32 v93, s58, v31
	v_dual_mul_f32 v92, s58, v30 :: v_dual_lshlrev_b32 v29, 16, v13
	v_lshlrev_b32_e32 v24, 16, v15
	s_delay_alu instid0(VALU_DEP_4) | instskip(SKIP_1) | instid1(VALU_DEP_4)
	v_dual_mul_f32 v82, s58, v21 :: v_dual_and_b32 v17, 0xffff0000, v10
	v_and_b32_e32 v28, 0xffff0000, v13
	v_mul_f32_e32 v91, s58, v29
	s_delay_alu instid0(VALU_DEP_4) | instskip(NEXT) | instid1(VALU_DEP_4)
	v_mul_f32_e32 v89, s58, v24
	v_dual_mul_f32 v78, s58, v17 :: v_dual_lshlrev_b32 v27, 16, v14
	s_delay_alu instid0(VALU_DEP_4) | instskip(NEXT) | instid1(VALU_DEP_2)
	v_dual_mul_f32 v86, s58, v28 :: v_dual_and_b32 v23, 0xffff0000, v15
	v_dual_mul_f32 v90, s58, v27 :: v_dual_and_b32 v25, 0xffff0000, v14
	v_dual_mul_f32 v83, s58, v20 :: v_dual_lshlrev_b32 v18, 16, v10
	v_mul_f32_e32 v79, s58, v16
	v_and_b32_e32 v19, 0xffff0000, v9
	s_delay_alu instid0(VALU_DEP_4) | instskip(SKIP_1) | instid1(VALU_DEP_3)
	v_dual_mul_f32 v87, s58, v25 :: v_dual_lshlrev_b32 v22, 16, v8
	v_and_b32_e32 v26, 0xffff0000, v11
	v_dual_mul_f32 v80, s58, v18 :: v_dual_mul_f32 v81, s58, v19
	s_delay_alu instid0(VALU_DEP_3) | instskip(NEXT) | instid1(VALU_DEP_3)
	v_dual_mul_f32 v85, s58, v22 :: v_dual_mul_f32 v88, s58, v23
	v_mul_f32_e32 v84, s58, v26
	s_lshl_b32 s38, s72, 11
	s_and_b32 vcc_lo, exec_lo, s68
	s_barrier
	buffer_gl0_inv
	s_cbranch_vccz .LBB59_11
; %bb.53:                               ;   in Loop: Header=BB59_12 Depth=1
	v_dual_mul_f32 v95, v94, v26 :: v_dual_mul_f32 v100, v77, v16
	v_add_co_u32 v26, s15, s41, v61
	s_delay_alu instid0(VALU_DEP_1) | instskip(SKIP_1) | instid1(VALU_DEP_1)
	v_add_co_ci_u32_e64 v32, null, s62, 0, s15
	v_add_co_u32 v33, s15, s45, v61
	v_add_co_ci_u32_e64 v99, null, s63, 0, s15
	s_delay_alu instid0(VALU_DEP_4) | instskip(NEXT) | instid1(VALU_DEP_4)
	v_add_co_u32 v96, vcc_lo, v26, v62
	v_add_co_ci_u32_e32 v97, vcc_lo, 0, v32, vcc_lo
	s_delay_alu instid0(VALU_DEP_4)
	v_add_co_u32 v98, vcc_lo, v33, v62
	s_sub_i32 s26, s34, s38
	v_add_co_ci_u32_e32 v99, vcc_lo, 0, v99, vcc_lo
	v_cmp_gt_u32_e32 vcc_lo, s26, v40
	s_cmp_lg_u32 s72, 0
	v_cmp_gt_u32_e64 s17, s26, v47
	s_cselect_b32 s39, -1, 0
	s_cmp_eq_u32 s72, s70
	v_cmp_gt_u32_e64 s18, s26, v48
	s_cselect_b32 s73, -1, 0
	s_or_b32 s15, s69, vcc_lo
	v_cmp_gt_u32_e32 vcc_lo, s26, v46
	v_cmp_gt_u32_e64 s19, s26, v49
	v_cmp_gt_u32_e64 s20, s26, v50
	;; [unrolled: 1-line block ×4, first 2 shown]
	s_or_b32 s16, s69, vcc_lo
	v_cmp_gt_u32_e32 vcc_lo, s26, v51
	v_cmp_gt_u32_e64 s24, s26, v54
	v_cmp_gt_u32_e64 s25, s26, v55
	;; [unrolled: 1-line block ×4, first 2 shown]
	s_or_b32 s21, s69, vcc_lo
	v_cmp_gt_u32_e32 vcc_lo, s26, v56
	v_cmp_gt_u32_e64 s29, s26, v59
	v_cmp_gt_u32_e64 s30, s26, v60
	v_dual_mul_f32 v101, v76, v17 :: v_dual_mul_f32 v102, v75, v18
	v_dual_mul_f32 v103, v74, v19 :: v_dual_mul_f32 v104, v73, v20
	v_dual_mul_f32 v105, v72, v21 :: v_dual_mul_f32 v106, v71, v22
	v_dual_mul_f32 v107, v70, v23 :: v_dual_mul_f32 v108, v69, v24
	v_dual_mul_f32 v109, v68, v25 :: v_dual_mul_f32 v110, v67, v27
	v_dual_mul_f32 v111, v66, v28 :: v_dual_mul_f32 v112, v65, v29
	v_dual_mul_f32 v113, v64, v30 :: v_dual_mul_f32 v114, v63, v31
	s_mov_b32 s52, 0
	s_or_b32 s17, s69, s17
	s_or_b32 s18, s69, s18
	;; [unrolled: 1-line block ×8, first 2 shown]
	s_or_b32 s26, s69, vcc_lo
	s_or_b32 s27, s69, s27
	s_or_b32 s28, s69, s28
	;; [unrolled: 1-line block ×4, first 2 shown]
	s_mov_b32 s42, s52
	s_mov_b32 s46, s52
	;; [unrolled: 1-line block ×5, first 2 shown]
	s_branch .LBB59_55
.LBB59_54:                              ;   in Loop: Header=BB59_55 Depth=2
	s_or_b32 exec_lo, exec_lo, s31
	v_cndmask_b32_e64 v25, v144, v27, s14
	v_cndmask_b32_e64 v26, v143, v26, s14
	s_add_i32 s74, s74, -1
	s_add_i32 s75, s75, 8
	s_add_i32 s48, s48, s50
	v_fma_f32 v25, v25, v118, v117
	v_mul_f32_e32 v26, v26, v118
	s_add_i32 s46, s46, s44
	s_add_i32 s42, s42, s40
	;; [unrolled: 1-line block ×3, first 2 shown]
	v_cndmask_b32_e64 v25, v25, v117, s13
	v_cndmask_b32_e64 v26, v26, v118, s13
	s_cmp_eq_u32 s74, 0
	v_and_b32_e32 v27, 0xffff0000, v22
	s_waitcnt lgkmcnt(0)
	s_delay_alu instid0(VALU_DEP_2) | instskip(SKIP_1) | instid1(VALU_DEP_2)
	v_dual_fmac_f32 v25, v24, v26 :: v_dual_and_b32 v24, 0xffff0000, v20
	v_lshlrev_b32_e32 v20, 16, v20
	v_fmac_f32_e32 v28, v25, v120
	s_delay_alu instid0(VALU_DEP_1) | instskip(NEXT) | instid1(VALU_DEP_1)
	v_fmac_f32_e32 v29, v28, v121
	v_fmac_f32_e32 v30, v29, v123
	s_delay_alu instid0(VALU_DEP_4) | instskip(SKIP_1) | instid1(VALU_DEP_3)
	v_dual_fmac_f32 v93, v25, v20 :: v_dual_and_b32 v26, 0xffff0000, v21
	v_lshlrev_b32_e32 v21, 16, v21
	v_dual_fmac_f32 v31, v30, v126 :: v_dual_and_b32 v32, 0xffff0000, v23
	v_dual_fmac_f32 v92, v28, v24 :: v_dual_lshlrev_b32 v23, 16, v23
	s_delay_alu instid0(VALU_DEP_3) | instskip(NEXT) | instid1(VALU_DEP_3)
	v_dual_fmac_f32 v91, v29, v21 :: v_dual_fmac_f32 v86, v30, v26
	v_dual_fmac_f32 v115, v31, v127 :: v_dual_and_b32 v118, 0xffff0000, v18
	s_delay_alu instid0(VALU_DEP_1) | instskip(SKIP_1) | instid1(VALU_DEP_1)
	v_fmac_f32_e32 v87, v115, v27
	v_fmac_f32_e32 v116, v115, v128
	v_dual_fmac_f32 v89, v116, v23 :: v_dual_lshlrev_b32 v18, 16, v18
	v_fmac_f32_e32 v119, v116, v129
	s_delay_alu instid0(VALU_DEP_1) | instskip(NEXT) | instid1(VALU_DEP_1)
	v_fmac_f32_e32 v122, v119, v131
	v_fmac_f32_e32 v124, v122, v132
	s_delay_alu instid0(VALU_DEP_1) | instskip(NEXT) | instid1(VALU_DEP_1)
	v_dual_fmac_f32 v125, v124, v133 :: v_dual_lshlrev_b32 v22, 16, v22
	v_dual_fmac_f32 v130, v125, v141 :: v_dual_and_b32 v33, 0xffff0000, v16
	v_and_b32_e32 v117, 0xffff0000, v17
	v_dual_fmac_f32 v88, v119, v32 :: v_dual_lshlrev_b32 v17, 16, v17
	s_delay_alu instid0(VALU_DEP_3) | instskip(NEXT) | instid1(VALU_DEP_2)
	v_fmac_f32_e32 v134, v130, v136
	v_dual_fmac_f32 v83, v125, v17 :: v_dual_lshlrev_b32 v16, 16, v16
	s_delay_alu instid0(VALU_DEP_2) | instskip(SKIP_1) | instid1(VALU_DEP_3)
	v_dual_fmac_f32 v135, v134, v138 :: v_dual_and_b32 v120, 0xffff0000, v19
	v_dual_fmac_f32 v90, v31, v22 :: v_dual_lshlrev_b32 v19, 16, v19
	v_fmac_f32_e32 v85, v122, v16
	s_delay_alu instid0(VALU_DEP_3) | instskip(SKIP_1) | instid1(VALU_DEP_2)
	v_dual_fmac_f32 v137, v135, v140 :: v_dual_fmac_f32 v82, v124, v33
	v_dual_fmac_f32 v81, v130, v117 :: v_dual_fmac_f32 v78, v135, v118
	;; [unrolled: 1-line block ×3, first 2 shown]
	v_fmac_f32_e32 v139, v137, v142
	s_delay_alu instid0(VALU_DEP_1)
	v_fmac_f32_e32 v84, v139, v120
	s_cbranch_scc1 .LBB59_11
.LBB59_55:                              ;   Parent Loop BB59_12 Depth=1
                                        ; =>  This Inner Loop Header: Depth=2
	s_lshl_b64 s[76:77], s[52:53], 2
	s_mov_b32 s43, s53
	s_add_u32 s76, s61, s76
	s_addc_u32 s77, s51, s77
	s_lshl_b64 s[78:79], s[42:43], 1
	s_mov_b32 s47, s53
	v_add_co_u32 v20, vcc_lo, v96, s78
	v_add_co_ci_u32_e32 v21, vcc_lo, s79, v97, vcc_lo
	s_lshl_b64 s[78:79], s[46:47], 1
	s_clause 0x1
	global_load_b128 v[16:19], v[20:21], off
	global_load_b128 v[20:23], v[20:21], off offset:512
	v_add_co_u32 v24, vcc_lo, v98, s78
	v_add_co_ci_u32_e32 v25, vcc_lo, s79, v99, vcc_lo
	global_load_b32 v115, v34, s[76:77]
	s_and_not1_b32 vcc_lo, exec_lo, s39
	s_waitcnt vmcnt(2)
	ds_store_b128 v35, v[16:19]
	s_waitcnt vmcnt(1)
	ds_store_b128 v36, v[20:23] offset:512
	; wave barrier
	s_clause 0x1
	global_load_b128 v[16:19], v[24:25], off
	global_load_b128 v[20:23], v[24:25], off offset:512
	ds_load_b128 v[28:31], v37
	ds_load_b128 v[24:27], v37 offset:16
	s_waitcnt vmcnt(1)
	ds_store_b128 v35, v[16:19] offset:4224
	s_waitcnt vmcnt(0)
	ds_store_b128 v38, v[20:23] offset:512
	; wave barrier
	ds_load_b128 v[20:23], v37 offset:4224
	ds_load_b128 v[16:19], v39 offset:16
	s_cbranch_vccnz .LBB59_57
; %bb.56:                               ;   in Loop: Header=BB59_55 Depth=2
	v_mov_b32_e32 v32, s75
	ds_load_b64 v[32:33], v32
	s_cbranch_execz .LBB59_58
	s_branch .LBB59_61
.LBB59_57:                              ;   in Loop: Header=BB59_55 Depth=2
                                        ; implicit-def: $vgpr32
.LBB59_58:                              ;   in Loop: Header=BB59_55 Depth=2
	s_waitcnt lgkmcnt(0)
	v_mov_b32_e32 v33, 0
	s_and_not1_b32 vcc_lo, exec_lo, s56
	s_cbranch_vccnz .LBB59_60
; %bb.59:                               ;   in Loop: Header=BB59_55 Depth=2
	s_mov_b32 s49, s53
	s_delay_alu instid0(SALU_CYCLE_1) | instskip(NEXT) | instid1(SALU_CYCLE_1)
	s_lshl_b64 s[76:77], s[48:49], 2
	s_add_u32 s76, s64, s76
	s_addc_u32 s77, s65, s77
	global_load_b32 v33, v34, s[76:77]
.LBB59_60:                              ;   in Loop: Header=BB59_55 Depth=2
	v_mov_b32_e32 v32, 1.0
.LBB59_61:                              ;   in Loop: Header=BB59_55 Depth=2
	s_waitcnt lgkmcnt(5)
	v_dual_mul_f32 v137, 0x3fb8aa3b, v115 :: v_dual_lshlrev_b32 v116, 16, v29
	v_lshlrev_b32_e32 v115, 16, v28
	v_and_b32_e32 v28, 0xffff0000, v28
	v_and_b32_e32 v119, 0xffff0000, v29
	s_delay_alu instid0(VALU_DEP_4) | instskip(SKIP_3) | instid1(VALU_DEP_3)
	v_dual_mul_f32 v29, v137, v63 :: v_dual_and_b32 v124, 0xffff0000, v30
	v_mul_f32_e32 v118, v137, v66
	s_waitcnt lgkmcnt(4)
	v_dual_mul_f32 v115, v114, v115 :: v_dual_lshlrev_b32 v130, 16, v24
	v_cmp_gt_f32_e32 vcc_lo, 0xc2fc0000, v29
	v_dual_mul_f32 v131, v137, v73 :: v_dual_lshlrev_b32 v134, 16, v26
	s_delay_alu instid0(VALU_DEP_3)
	v_mul_f32_e32 v130, v106, v130
	v_mul_f32_e32 v142, v137, v94
	v_cndmask_b32_e64 v29, 0, 0x42800000, vcc_lo
	v_lshlrev_b32_e32 v122, 16, v30
	v_mul_f32_e32 v30, v137, v64
	v_cndmask_b32_e64 v117, 1.0, 0x1f800000, vcc_lo
	v_mul_f32_e32 v28, v113, v28
	v_dual_fmac_f32 v29, v137, v63 :: v_dual_mul_f32 v116, v112, v116
	s_delay_alu instid0(VALU_DEP_4) | instskip(NEXT) | instid1(VALU_DEP_3)
	v_cmp_gt_f32_e64 s31, 0xc2fc0000, v30
	v_cndmask_b32_e64 v28, 0, v28, s16
	s_delay_alu instid0(VALU_DEP_3) | instskip(SKIP_1) | instid1(VALU_DEP_3)
	v_exp_f32_e32 v29, v29
	v_and_b32_e32 v128, 0xffff0000, v31
	v_cndmask_b32_e64 v30, 0, 0x42800000, s31
	v_lshlrev_b32_e32 v125, 16, v31
	v_mul_f32_e32 v31, v137, v65
	v_mul_f32_e32 v124, v109, v124
	s_delay_alu instid0(VALU_DEP_4) | instskip(SKIP_1) | instid1(VALU_DEP_4)
	v_fmac_f32_e32 v30, v137, v64
	v_mul_f32_e32 v129, v137, v71
	v_cmp_gt_f32_e32 vcc_lo, 0xc2fc0000, v31
	s_delay_alu instid0(TRANS32_DEP_1)
	v_mul_f32_e32 v29, v29, v117
	v_cndmask_b32_e64 v117, 0, v115, s15
	v_exp_f32_e32 v30, v30
	v_cndmask_b32_e64 v115, 1.0, 0x1f800000, s31
	v_cndmask_b32_e64 v31, 0, 0x42800000, vcc_lo
	v_cmp_gt_f32_e64 s31, 0xc2fc0000, v118
	v_and_b32_e32 v24, 0xffff0000, v24
	v_lshlrev_b32_e32 v132, 16, v25
	v_cndmask_b32_e64 v118, 1.0, v29, s15
	v_fmac_f32_e32 v31, v137, v65
	v_cndmask_b32_e64 v120, 0, 0x42800000, s31
	v_lshlrev_b32_e32 v139, 16, v27
	v_mul_f32_e32 v29, v30, v115
	v_and_b32_e32 v27, 0xffff0000, v27
	v_exp_f32_e32 v30, v31
	v_fmac_f32_e32 v120, v137, v66
	v_mul_f32_e32 v31, v137, v67
	v_cndmask_b32_e64 v115, 1.0, 0x1f800000, vcc_lo
	v_dual_mul_f32 v140, v137, v76 :: v_dual_and_b32 v25, 0xffff0000, v25
	v_mul_f32_e32 v27, v95, v27
	v_exp_f32_e32 v123, v120
	v_cmp_gt_f32_e32 vcc_lo, 0xc2fc0000, v31
	v_cndmask_b32_e64 v120, 1.0, v29, s16
	s_delay_alu instid0(TRANS32_DEP_2)
	v_mul_f32_e32 v30, v30, v115
	v_cndmask_b32_e64 v115, 1.0, 0x1f800000, s31
	v_cndmask_b32_e64 v29, 0, v116, s17
	v_cndmask_b32_e64 v31, 0, 0x42800000, vcc_lo
	v_mul_f32_e32 v116, v137, v68
	v_and_b32_e32 v26, 0xffff0000, v26
	v_cndmask_b32_e64 v121, 1.0, v30, s17
	v_mul_f32_e32 v115, v123, v115
	v_fmac_f32_e32 v31, v137, v67
	v_cmp_gt_f32_e64 s31, 0xc2fc0000, v116
	v_dual_mul_f32 v30, v111, v119 :: v_dual_mul_f32 v119, v137, v69
	s_delay_alu instid0(VALU_DEP_4) | instskip(NEXT) | instid1(VALU_DEP_4)
	v_cndmask_b32_e64 v123, 1.0, v115, s18
	v_exp_f32_e32 v31, v31
	s_delay_alu instid0(VALU_DEP_3)
	v_cndmask_b32_e64 v116, 0, 0x42800000, s31
	v_cndmask_b32_e64 v115, 1.0, 0x1f800000, vcc_lo
	v_cmp_gt_f32_e32 vcc_lo, 0xc2fc0000, v119
	v_cndmask_b32_e64 v127, 1.0, 0x1f800000, s31
	v_dual_mul_f32 v24, v105, v24 :: v_dual_mul_f32 v139, v100, v139
	v_fmac_f32_e32 v116, v137, v68
	v_cndmask_b32_e64 v119, 0, 0x42800000, vcc_lo
	v_fma_f32 v138, v120, v117, v28
	s_delay_alu instid0(TRANS32_DEP_1)
	v_mul_f32_e32 v115, v31, v115
	v_mul_f32_e32 v31, v110, v122
	v_exp_f32_e32 v116, v116
	v_fmac_f32_e32 v119, v137, v69
	v_cndmask_b32_e64 v30, 0, v30, s18
	v_mul_f32_e32 v26, v101, v26
	v_cndmask_b32_e64 v31, 0, v31, s19
	v_dual_mul_f32 v25, v103, v25 :: v_dual_mul_f32 v134, v102, v134
	s_waitcnt_depctr 0xfff
	v_mul_f32_e32 v116, v116, v127
	v_exp_f32_e32 v119, v119
	v_mul_f32_e32 v126, v137, v70
	v_cndmask_b32_e64 v134, 0, v134, s27
	s_delay_alu instid0(VALU_DEP_3) | instskip(SKIP_1) | instid1(VALU_DEP_4)
	v_cndmask_b32_e64 v127, 1.0, v116, s20
	v_mul_f32_e32 v116, v108, v125
	v_cmp_gt_f32_e64 s33, 0xc2fc0000, v126
	v_cndmask_b32_e64 v126, 1.0, v115, s19
	v_cndmask_b32_e64 v115, 0, v124, s20
	v_cndmask_b32_e64 v124, 1.0, 0x1f800000, vcc_lo
	v_cmp_gt_f32_e32 vcc_lo, 0xc2fc0000, v129
	v_cndmask_b32_e64 v122, 0, 0x42800000, s33
	v_mul_f32_e32 v129, v107, v128
	v_cndmask_b32_e64 v116, 0, v116, s21
	v_mul_f32_e32 v119, v119, v124
	v_cndmask_b32_e64 v124, 1.0, 0x1f800000, s33
	v_fmac_f32_e32 v122, v137, v70
	v_cndmask_b32_e64 v125, 0, 0x42800000, vcc_lo
	v_cmp_gt_f32_e64 s33, 0xc2fc0000, v131
	v_cndmask_b32_e64 v128, 1.0, v119, s21
	v_cndmask_b32_e64 v119, 0, v129, s22
	v_exp_f32_e32 v122, v122
	v_fmac_f32_e32 v125, v137, v71
	v_mul_f32_e32 v131, v137, v74
	v_cndmask_b32_e64 v133, 1.0, 0x1f800000, vcc_lo
	s_delay_alu instid0(VALU_DEP_2)
	v_cmp_gt_f32_e32 vcc_lo, 0xc2fc0000, v131
	s_waitcnt_depctr 0xfff
	v_mul_f32_e32 v122, v122, v124
	v_mul_f32_e32 v124, v137, v72
	v_cndmask_b32_e64 v135, 0, 0x42800000, vcc_lo
	v_cndmask_b32_e64 v136, 1.0, 0x1f800000, vcc_lo
	s_delay_alu instid0(VALU_DEP_4) | instskip(NEXT) | instid1(VALU_DEP_4)
	v_cndmask_b32_e64 v129, 1.0, v122, s22
	v_cmp_gt_f32_e64 s31, 0xc2fc0000, v124
	v_exp_f32_e32 v122, v125
	v_cndmask_b32_e64 v125, 0, 0x42800000, s33
	s_delay_alu instid0(VALU_DEP_2)
	v_cndmask_b32_e64 v124, 0, 0x42800000, s31
	s_waitcnt_depctr 0xfff
	v_dual_fmac_f32 v124, v137, v72 :: v_dual_mul_f32 v131, v122, v133
	v_cndmask_b32_e64 v122, 0, v130, s23
	v_cndmask_b32_e64 v130, 1.0, 0x1f800000, s31
	v_cmp_gt_f32_e64 s31, 0xc2fc0000, v140
	s_delay_alu instid0(VALU_DEP_4)
	v_exp_f32_e32 v124, v124
	v_fmac_f32_e32 v125, v137, v73
	v_cndmask_b32_e64 v133, 1.0, 0x1f800000, s33
	v_cndmask_b32_e64 v131, 1.0, v131, s23
	;; [unrolled: 1-line block ×3, first 2 shown]
	v_fmac_f32_e32 v135, v137, v74
	s_waitcnt_depctr 0xfff
	v_mul_f32_e32 v130, v124, v130
	v_exp_f32_e32 v125, v125
	v_exp_f32_e32 v135, v135
	v_cndmask_b32_e64 v124, 0, v24, s24
	v_mul_f32_e32 v24, v104, v132
	v_cndmask_b32_e64 v132, 1.0, v130, s24
	v_mul_f32_e32 v130, v137, v75
	s_delay_alu instid0(VALU_DEP_1) | instskip(NEXT) | instid1(TRANS32_DEP_2)
	v_cmp_gt_f32_e32 vcc_lo, 0xc2fc0000, v130
	v_mul_f32_e32 v133, v125, v133
	v_cndmask_b32_e64 v125, 0, v24, s25
	s_delay_alu instid0(TRANS32_DEP_1)
	v_mul_f32_e32 v24, v135, v136
	v_cndmask_b32_e64 v130, 0, v25, s26
	v_cndmask_b32_e64 v135, 0, 0x42800000, vcc_lo
	v_mul_f32_e32 v136, v120, v118
	v_cndmask_b32_e64 v133, 1.0, v133, s25
	v_cndmask_b32_e64 v141, 1.0, v24, s26
	v_cndmask_b32_e64 v24, 1.0, 0x1f800000, vcc_lo
	v_fmac_f32_e32 v135, v137, v75
	v_mul_f32_e32 v25, v136, v121
	v_fma_f32 v136, v138, v121, v29
	v_cndmask_b32_e64 v138, 0, 0x42800000, s31
	v_cmp_gt_f32_e64 s31, 0xc2fc0000, v142
	v_exp_f32_e32 v135, v135
	v_mul_f32_e32 v25, v25, v123
	v_fma_f32 v136, v136, v123, v30
	v_fmac_f32_e32 v138, v137, v76
	s_delay_alu instid0(VALU_DEP_3) | instskip(NEXT) | instid1(VALU_DEP_3)
	v_mul_f32_e32 v25, v25, v126
	v_fma_f32 v136, v136, v126, v31
	s_delay_alu instid0(VALU_DEP_3)
	v_exp_f32_e32 v138, v138
	s_delay_alu instid0(TRANS32_DEP_2) | instid1(VALU_DEP_2)
	v_dual_mul_f32 v24, v135, v24 :: v_dual_mul_f32 v25, v25, v127
	s_delay_alu instid0(VALU_DEP_2) | instskip(NEXT) | instid1(VALU_DEP_2)
	v_fma_f32 v135, v136, v127, v115
	v_cndmask_b32_e64 v136, 1.0, v24, s27
	s_delay_alu instid0(VALU_DEP_3) | instskip(NEXT) | instid1(VALU_DEP_3)
	v_mul_f32_e32 v24, v25, v128
	v_fma_f32 v25, v135, v128, v116
	s_waitcnt_depctr 0xfff
	v_mul_f32_e32 v138, v138, v140
	v_mul_f32_e32 v24, v24, v129
	;; [unrolled: 1-line block ×3, first 2 shown]
	v_fma_f32 v25, v25, v129, v119
	s_delay_alu instid0(VALU_DEP_4) | instskip(NEXT) | instid1(VALU_DEP_4)
	v_cndmask_b32_e64 v138, 1.0, v138, s28
	v_mul_f32_e32 v24, v24, v131
	s_delay_alu instid0(VALU_DEP_4) | instskip(NEXT) | instid1(VALU_DEP_4)
	v_cmp_gt_f32_e32 vcc_lo, 0xc2fc0000, v135
	v_fma_f32 v25, v25, v131, v122
	v_cndmask_b32_e64 v135, 0, v26, s28
	v_cndmask_b32_e64 v26, 0, 0x42800000, s31
	v_mul_f32_e32 v24, v24, v132
	v_cndmask_b32_e64 v140, 0, 0x42800000, vcc_lo
	v_fma_f32 v25, v25, v132, v124
	s_delay_alu instid0(VALU_DEP_4) | instskip(NEXT) | instid1(VALU_DEP_4)
	v_fmac_f32_e32 v26, v137, v94
	v_mul_f32_e32 v24, v24, v133
	s_delay_alu instid0(VALU_DEP_4) | instskip(NEXT) | instid1(VALU_DEP_4)
	v_fmac_f32_e32 v140, v137, v77
	v_fma_f32 v25, v25, v133, v125
	v_cndmask_b32_e64 v137, 1.0, 0x1f800000, vcc_lo
	v_exp_f32_e32 v26, v26
	v_mul_f32_e32 v24, v24, v141
	v_exp_f32_e32 v140, v140
	v_fma_f32 v25, v25, v141, v130
	s_delay_alu instid0(VALU_DEP_2) | instskip(NEXT) | instid1(VALU_DEP_2)
	v_mul_f32_e32 v24, v24, v136
	v_fma_f32 v25, v25, v136, v134
	s_delay_alu instid0(VALU_DEP_2)
	v_mul_f32_e32 v24, v24, v138
	s_waitcnt_depctr 0xfff
	v_mul_f32_e32 v140, v140, v137
	v_cndmask_b32_e64 v137, 0, v139, s29
	v_cndmask_b32_e64 v139, 1.0, 0x1f800000, s31
	v_fma_f32 v25, v25, v138, v135
	s_delay_alu instid0(VALU_DEP_4) | instskip(NEXT) | instid1(VALU_DEP_3)
	v_cndmask_b32_e64 v140, 1.0, v140, s29
	v_mul_f32_e32 v26, v26, v139
	v_cndmask_b32_e64 v139, 0, v27, s30
	s_delay_alu instid0(VALU_DEP_3) | instskip(SKIP_1) | instid1(VALU_DEP_4)
	v_mul_f32_e32 v24, v24, v140
	v_fma_f32 v25, v25, v140, v137
	v_cndmask_b32_e64 v142, 1.0, v26, s30
	s_delay_alu instid0(VALU_DEP_1) | instskip(NEXT) | instid1(VALU_DEP_3)
	v_mul_f32_e32 v24, v24, v142
	v_fma_f32 v25, v25, v142, v139
	s_delay_alu instid0(VALU_DEP_2) | instskip(NEXT) | instid1(VALU_DEP_2)
	v_mov_b32_dpp v27, v24 row_shr:1 row_mask:0xf bank_mask:0xf
	v_mov_b32_dpp v26, v25 row_shr:1 row_mask:0xf bank_mask:0xf
	s_and_saveexec_b32 s31, s2
; %bb.62:                               ;   in Loop: Header=BB59_55 Depth=2
	s_delay_alu instid0(VALU_DEP_2) | instskip(NEXT) | instid1(VALU_DEP_1)
	v_mul_f32_e32 v27, v24, v27
	v_dual_fmac_f32 v25, v24, v26 :: v_dual_mov_b32 v24, v27
; %bb.63:                               ;   in Loop: Header=BB59_55 Depth=2
	s_or_b32 exec_lo, exec_lo, s31
	s_delay_alu instid0(VALU_DEP_1) | instskip(NEXT) | instid1(VALU_DEP_2)
	v_mov_b32_dpp v26, v24 row_shr:2 row_mask:0xf bank_mask:0xf
	v_mov_b32_dpp v27, v25 row_shr:2 row_mask:0xf bank_mask:0xf
	s_and_saveexec_b32 s31, s3
; %bb.64:                               ;   in Loop: Header=BB59_55 Depth=2
	s_delay_alu instid0(VALU_DEP_1) | instskip(NEXT) | instid1(VALU_DEP_3)
	v_fmac_f32_e32 v25, v24, v27
	v_mul_f32_e32 v24, v24, v26
; %bb.65:                               ;   in Loop: Header=BB59_55 Depth=2
	s_or_b32 exec_lo, exec_lo, s31
	s_delay_alu instid0(VALU_DEP_1) | instskip(NEXT) | instid1(VALU_DEP_3)
	v_mov_b32_dpp v26, v24 row_shr:4 row_mask:0xf bank_mask:0xf
	v_mov_b32_dpp v27, v25 row_shr:4 row_mask:0xf bank_mask:0xf
	s_and_saveexec_b32 s31, s4
; %bb.66:                               ;   in Loop: Header=BB59_55 Depth=2
	s_delay_alu instid0(VALU_DEP_1) | instskip(NEXT) | instid1(VALU_DEP_3)
	v_fmac_f32_e32 v25, v24, v27
	v_mul_f32_e32 v24, v24, v26
; %bb.67:                               ;   in Loop: Header=BB59_55 Depth=2
	s_or_b32 exec_lo, exec_lo, s31
	s_delay_alu instid0(VALU_DEP_1) | instskip(NEXT) | instid1(VALU_DEP_3)
	v_mov_b32_dpp v26, v24 row_shr:8 row_mask:0xf bank_mask:0xf
	v_mov_b32_dpp v27, v25 row_shr:8 row_mask:0xf bank_mask:0xf
	s_and_saveexec_b32 s31, s5
; %bb.68:                               ;   in Loop: Header=BB59_55 Depth=2
	s_delay_alu instid0(VALU_DEP_1) | instskip(NEXT) | instid1(VALU_DEP_3)
	v_fmac_f32_e32 v25, v24, v27
	v_mul_f32_e32 v24, v24, v26
; %bb.69:                               ;   in Loop: Header=BB59_55 Depth=2
	s_or_b32 exec_lo, exec_lo, s31
	ds_swizzle_b32 v27, v24 offset:swizzle(BROADCAST,32,15)
	ds_swizzle_b32 v26, v25 offset:swizzle(BROADCAST,32,15)
	s_and_saveexec_b32 s31, s6
	s_cbranch_execz .LBB59_71
; %bb.70:                               ;   in Loop: Header=BB59_55 Depth=2
	s_waitcnt lgkmcnt(1)
	v_mul_f32_e32 v27, v24, v27
	s_waitcnt lgkmcnt(0)
	s_delay_alu instid0(VALU_DEP_1)
	v_dual_fmac_f32 v25, v24, v26 :: v_dual_mov_b32 v24, v27
.LBB59_71:                              ;   in Loop: Header=BB59_55 Depth=2
	s_or_b32 exec_lo, exec_lo, s31
	s_and_saveexec_b32 s31, s7
	s_cbranch_execz .LBB59_73
; %bb.72:                               ;   in Loop: Header=BB59_55 Depth=2
	ds_store_b64 v41, v[24:25] offset:8448
.LBB59_73:                              ;   in Loop: Header=BB59_55 Depth=2
	s_or_b32 exec_lo, exec_lo, s31
	s_waitcnt vmcnt(0) lgkmcnt(0)
	s_waitcnt_vscnt null, 0x0
	s_barrier
	buffer_gl0_inv
	s_and_saveexec_b32 s31, s8
	s_cbranch_execz .LBB59_77
; %bb.74:                               ;   in Loop: Header=BB59_55 Depth=2
	ds_load_b64 v[26:27], v42 offset:8448
	s_waitcnt lgkmcnt(0)
	v_mov_b32_dpp v145, v26 row_shr:1 row_mask:0xf bank_mask:0xf
	v_mov_b32_dpp v144, v27 row_shr:1 row_mask:0xf bank_mask:0xf
	v_mov_b32_e32 v143, v26
	s_and_saveexec_b32 s33, s9
; %bb.75:                               ;   in Loop: Header=BB59_55 Depth=2
	s_delay_alu instid0(VALU_DEP_3) | instskip(NEXT) | instid1(VALU_DEP_1)
	v_mul_f32_e32 v143, v26, v145
	v_dual_fmac_f32 v27, v26, v144 :: v_dual_mov_b32 v26, v143
; %bb.76:                               ;   in Loop: Header=BB59_55 Depth=2
	s_or_b32 exec_lo, exec_lo, s33
	v_mov_b32_dpp v143, v143 row_shr:2 row_mask:0xf bank_mask:0xf
	s_delay_alu instid0(VALU_DEP_2) | instskip(NEXT) | instid1(VALU_DEP_2)
	v_mov_b32_dpp v144, v27 row_shr:2 row_mask:0xf bank_mask:0xf
	v_mul_f32_e32 v143, v26, v143
	s_delay_alu instid0(VALU_DEP_2) | instskip(NEXT) | instid1(VALU_DEP_2)
	v_fma_f32 v144, v26, v144, v27
	v_cndmask_b32_e64 v26, v26, v143, s10
	s_delay_alu instid0(VALU_DEP_2)
	v_cndmask_b32_e64 v27, v27, v144, s10
	ds_store_b64 v42, v[26:27] offset:8448
.LBB59_77:                              ;   in Loop: Header=BB59_55 Depth=2
	s_or_b32 exec_lo, exec_lo, s31
	s_waitcnt lgkmcnt(0)
	s_barrier
	buffer_gl0_inv
                                        ; implicit-def: $vgpr27
	s_and_saveexec_b32 s31, s12
	s_cbranch_execz .LBB59_79
; %bb.78:                               ;   in Loop: Header=BB59_55 Depth=2
	ds_load_b64 v[26:27], v41 offset:8440
	s_waitcnt lgkmcnt(0)
	v_mul_f32_e32 v143, v24, v26
	s_delay_alu instid0(VALU_DEP_1)
	v_dual_fmac_f32 v25, v24, v27 :: v_dual_mov_b32 v24, v143
.LBB59_79:                              ;   in Loop: Header=BB59_55 Depth=2
	s_or_b32 exec_lo, exec_lo, s31
	ds_bpermute_b32 v143, v43, v24
	ds_bpermute_b32 v144, v43, v25
	s_and_saveexec_b32 s31, s11
	s_cbranch_execz .LBB59_83
; %bb.80:                               ;   in Loop: Header=BB59_55 Depth=2
	ds_load_b64 v[24:25], v34 offset:8472
	s_and_saveexec_b32 s33, s13
	s_cbranch_execz .LBB59_82
; %bb.81:                               ;   in Loop: Header=BB59_55 Depth=2
	ds_store_b64 v34, v[32:33] offset:8472
.LBB59_82:                              ;   in Loop: Header=BB59_55 Depth=2
	s_or_b32 exec_lo, exec_lo, s33
	s_waitcnt lgkmcnt(0)
	v_fmac_f32_e32 v25, v33, v24
	s_delay_alu instid0(VALU_DEP_1)
	v_dual_mul_f32 v32, v32, v24 :: v_dual_mov_b32 v33, v25
.LBB59_83:                              ;   in Loop: Header=BB59_55 Depth=2
	s_or_b32 exec_lo, exec_lo, s31
	s_waitcnt lgkmcnt(0)
	s_barrier
	buffer_gl0_inv
	ds_load_b32 v24, v34 offset:8476
	s_and_saveexec_b32 s31, s13
	s_cbranch_execz .LBB59_54
; %bb.84:                               ;   in Loop: Header=BB59_55 Depth=2
	v_mov_b32_e32 v25, s75
	s_and_not1_b32 vcc_lo, exec_lo, s73
	ds_store_b64 v25, v[32:33]
	s_cbranch_vccnz .LBB59_54
; %bb.85:                               ;   in Loop: Header=BB59_55 Depth=2
	s_mov_b32 s49, s53
	s_delay_alu instid0(SALU_CYCLE_1) | instskip(NEXT) | instid1(SALU_CYCLE_1)
	s_lshl_b64 s[76:77], s[48:49], 2
	s_add_u32 s76, s64, s76
	s_addc_u32 s77, s65, s77
	global_store_b32 v34, v33, s[76:77]
	s_branch .LBB59_54
.LBB59_86:
	s_nop 0
	s_sendmsg sendmsg(MSG_DEALLOC_VGPRS)
	s_endpgm
	.section	.rodata,"a",@progbits
	.p2align	6, 0x0
	.amdhsa_kernel _Z25selective_scan_fwd_kernelI32Selective_Scan_fwd_kernel_traitsILi128ELi16ELi1ELb1ELb1ELb1ELb0ELb0EN3c108BFloat16EffEEv13SSMParamsBase
		.amdhsa_group_segment_fixed_size 0
		.amdhsa_private_segment_fixed_size 0
		.amdhsa_kernarg_size 248
		.amdhsa_user_sgpr_count 14
		.amdhsa_user_sgpr_dispatch_ptr 0
		.amdhsa_user_sgpr_queue_ptr 0
		.amdhsa_user_sgpr_kernarg_segment_ptr 1
		.amdhsa_user_sgpr_dispatch_id 0
		.amdhsa_user_sgpr_private_segment_size 0
		.amdhsa_wavefront_size32 1
		.amdhsa_uses_dynamic_stack 0
		.amdhsa_enable_private_segment 0
		.amdhsa_system_sgpr_workgroup_id_x 1
		.amdhsa_system_sgpr_workgroup_id_y 1
		.amdhsa_system_sgpr_workgroup_id_z 0
		.amdhsa_system_sgpr_workgroup_info 0
		.amdhsa_system_vgpr_workitem_id 0
		.amdhsa_next_free_vgpr 146
		.amdhsa_next_free_sgpr 80
		.amdhsa_reserve_vcc 1
		.amdhsa_float_round_mode_32 0
		.amdhsa_float_round_mode_16_64 0
		.amdhsa_float_denorm_mode_32 3
		.amdhsa_float_denorm_mode_16_64 3
		.amdhsa_dx10_clamp 1
		.amdhsa_ieee_mode 1
		.amdhsa_fp16_overflow 0
		.amdhsa_workgroup_processor_mode 1
		.amdhsa_memory_ordered 1
		.amdhsa_forward_progress 0
		.amdhsa_shared_vgpr_count 0
		.amdhsa_exception_fp_ieee_invalid_op 0
		.amdhsa_exception_fp_denorm_src 0
		.amdhsa_exception_fp_ieee_div_zero 0
		.amdhsa_exception_fp_ieee_overflow 0
		.amdhsa_exception_fp_ieee_underflow 0
		.amdhsa_exception_fp_ieee_inexact 0
		.amdhsa_exception_int_div_zero 0
	.end_amdhsa_kernel
	.section	.text._Z25selective_scan_fwd_kernelI32Selective_Scan_fwd_kernel_traitsILi128ELi16ELi1ELb1ELb1ELb1ELb0ELb0EN3c108BFloat16EffEEv13SSMParamsBase,"axG",@progbits,_Z25selective_scan_fwd_kernelI32Selective_Scan_fwd_kernel_traitsILi128ELi16ELi1ELb1ELb1ELb1ELb0ELb0EN3c108BFloat16EffEEv13SSMParamsBase,comdat
.Lfunc_end59:
	.size	_Z25selective_scan_fwd_kernelI32Selective_Scan_fwd_kernel_traitsILi128ELi16ELi1ELb1ELb1ELb1ELb0ELb0EN3c108BFloat16EffEEv13SSMParamsBase, .Lfunc_end59-_Z25selective_scan_fwd_kernelI32Selective_Scan_fwd_kernel_traitsILi128ELi16ELi1ELb1ELb1ELb1ELb0ELb0EN3c108BFloat16EffEEv13SSMParamsBase
                                        ; -- End function
	.section	.AMDGPU.csdata,"",@progbits
; Kernel info:
; codeLenInByte = 18376
; NumSgprs: 82
; NumVgprs: 146
; ScratchSize: 0
; MemoryBound: 1
; FloatMode: 240
; IeeeMode: 1
; LDSByteSize: 0 bytes/workgroup (compile time only)
; SGPRBlocks: 10
; VGPRBlocks: 18
; NumSGPRsForWavesPerEU: 82
; NumVGPRsForWavesPerEU: 146
; Occupancy: 9
; WaveLimiterHint : 1
; COMPUTE_PGM_RSRC2:SCRATCH_EN: 0
; COMPUTE_PGM_RSRC2:USER_SGPR: 14
; COMPUTE_PGM_RSRC2:TRAP_HANDLER: 0
; COMPUTE_PGM_RSRC2:TGID_X_EN: 1
; COMPUTE_PGM_RSRC2:TGID_Y_EN: 1
; COMPUTE_PGM_RSRC2:TGID_Z_EN: 0
; COMPUTE_PGM_RSRC2:TIDIG_COMP_CNT: 0
	.section	.text._Z25selective_scan_fwd_kernelI32Selective_Scan_fwd_kernel_traitsILi128ELi16ELi1ELb0ELb1ELb1ELb1ELb1EN3c108BFloat16EffEEv13SSMParamsBase,"axG",@progbits,_Z25selective_scan_fwd_kernelI32Selective_Scan_fwd_kernel_traitsILi128ELi16ELi1ELb0ELb1ELb1ELb1ELb1EN3c108BFloat16EffEEv13SSMParamsBase,comdat
	.protected	_Z25selective_scan_fwd_kernelI32Selective_Scan_fwd_kernel_traitsILi128ELi16ELi1ELb0ELb1ELb1ELb1ELb1EN3c108BFloat16EffEEv13SSMParamsBase ; -- Begin function _Z25selective_scan_fwd_kernelI32Selective_Scan_fwd_kernel_traitsILi128ELi16ELi1ELb0ELb1ELb1ELb1ELb1EN3c108BFloat16EffEEv13SSMParamsBase
	.globl	_Z25selective_scan_fwd_kernelI32Selective_Scan_fwd_kernel_traitsILi128ELi16ELi1ELb0ELb1ELb1ELb1ELb1EN3c108BFloat16EffEEv13SSMParamsBase
	.p2align	8
	.type	_Z25selective_scan_fwd_kernelI32Selective_Scan_fwd_kernel_traitsILi128ELi16ELi1ELb0ELb1ELb1ELb1ELb1EN3c108BFloat16EffEEv13SSMParamsBase,@function
_Z25selective_scan_fwd_kernelI32Selective_Scan_fwd_kernel_traitsILi128ELi16ELi1ELb0ELb1ELb1ELb1ELb1EN3c108BFloat16EffEEv13SSMParamsBase: ; @_Z25selective_scan_fwd_kernelI32Selective_Scan_fwd_kernel_traitsILi128ELi16ELi1ELb0ELb1ELb1ELb1ELb1EN3c108BFloat16EffEEv13SSMParamsBase
; %bb.0:
	s_clause 0x2
	s_load_b32 s11, s[0:1], 0x18
	s_load_b256 s[36:43], s[0:1], 0xc8
	s_load_b128 s[4:7], s[0:1], 0xe8
	s_mov_b32 s34, s15
	s_ashr_i32 s15, s14, 31
	s_mov_b32 s66, 0
	s_lshl_b64 s[8:9], s[14:15], 2
	s_waitcnt lgkmcnt(0)
	s_abs_i32 s10, s11
	s_add_u32 s2, s42, s8
	v_cvt_f32_u32_e32 v1, s10
	s_addc_u32 s3, s43, s9
	s_cmp_eq_u64 s[6:7], 0
	s_delay_alu instid0(VALU_DEP_1) | instskip(SKIP_2) | instid1(VALU_DEP_1)
	v_rcp_iflag_f32_e32 v1, v1
	s_waitcnt_depctr 0xfff
	v_mul_f32_e32 v1, 0x4f7ffffe, v1
	v_cvt_u32_f32_e32 v1, v1
	s_delay_alu instid0(VALU_DEP_1)
	v_readfirstlane_b32 s12, v1
	s_cbranch_scc1 .LBB60_2
; %bb.1:
	v_mov_b32_e32 v1, 0
	s_add_u32 s6, s6, s14
	s_addc_u32 s7, s7, s15
	global_load_u8 v1, v1, s[6:7]
	s_waitcnt vmcnt(0)
	v_and_b32_e32 v1, 1, v1
	s_delay_alu instid0(VALU_DEP_1)
	v_cmp_eq_u32_e64 s66, 1, v1
.LBB60_2:
	s_load_b64 s[6:7], s[0:1], 0x20
	s_cmp_eq_u64 s[4:5], 0
	s_cbranch_scc1 .LBB60_4
; %bb.3:
	s_add_u32 s4, s4, s8
	s_addc_u32 s5, s5, s9
	s_load_b32 s14, s[4:5], 0x0
	s_waitcnt lgkmcnt(0)
	s_ashr_i32 s15, s14, 31
.LBB60_4:
	s_waitcnt lgkmcnt(0)
	s_cmp_eq_u64 s[6:7], s[14:15]
	s_cbranch_scc1 .LBB60_302
; %bb.5:
	s_load_b512 s[16:31], s[0:1], 0x88
	s_load_b64 s[42:43], s[2:3], 0x0
	s_mov_b32 s67, 0
	s_mov_b32 s68, 0
	s_waitcnt lgkmcnt(0)
	s_cmp_eq_u64 s[22:23], 0
	s_cbranch_scc1 .LBB60_7
; %bb.6:
	s_ashr_i32 s35, s34, 31
	s_delay_alu instid0(SALU_CYCLE_1) | instskip(NEXT) | instid1(SALU_CYCLE_1)
	s_lshl_b64 s[2:3], s[34:35], 2
	s_add_u32 s2, s22, s2
	s_addc_u32 s3, s23, s3
	s_load_b32 s68, s[2:3], 0x0
.LBB60_7:
	s_cmp_eq_u64 s[28:29], 0
	s_cbranch_scc1 .LBB60_9
; %bb.8:
	s_ashr_i32 s35, s34, 31
	s_delay_alu instid0(SALU_CYCLE_1) | instskip(NEXT) | instid1(SALU_CYCLE_1)
	s_lshl_b64 s[2:3], s[34:35], 2
	s_add_u32 s2, s28, s2
	s_addc_u32 s3, s29, s3
	s_load_b32 s67, s[2:3], 0x0
.LBB60_9:
	s_sub_i32 s69, s43, s42
	s_delay_alu instid0(SALU_CYCLE_1)
	s_cmp_lt_i32 s69, 1
	s_cbranch_scc1 .LBB60_302
; %bb.10:
	s_sub_i32 s2, 0, s10
	s_load_b256 s[48:55], s[0:1], 0x4c
	s_mul_i32 s2, s2, s12
	s_abs_i32 s3, s34
	s_mul_hi_u32 s2, s12, s2
	s_ashr_i32 s5, s11, 31
	s_add_i32 s12, s12, s2
	s_ashr_i32 s2, s34, 31
	s_mul_hi_u32 s4, s3, s12
	s_xor_b32 s5, s2, s5
	s_mul_i32 s6, s4, s10
	s_load_b256 s[56:63], s[0:1], 0x2c
	s_sub_i32 s2, s3, s6
	s_add_i32 s3, s4, 1
	s_sub_i32 s6, s2, s10
	s_cmp_ge_u32 s2, s10
	s_mov_b32 s65, 0
	s_cselect_b32 s3, s3, s4
	s_cselect_b32 s2, s6, s2
	s_add_i32 s4, s3, 1
	s_cmp_ge_u32 s2, s10
	s_waitcnt lgkmcnt(0)
	s_mul_i32 s64, s42, s50
	s_cselect_b32 s4, s4, s3
	s_lshl_b64 s[2:3], s[64:65], 1
	s_xor_b32 s4, s4, s5
	s_mul_i32 s64, s51, s34
	s_sub_i32 s6, s4, s5
	s_add_u32 s4, s24, s2
	s_addc_u32 s5, s25, s3
	s_lshl_b64 s[2:3], s[64:65], 1
	s_mul_i32 s64, s42, s52
	s_add_u32 s63, s4, s2
	s_addc_u32 s70, s5, s3
	s_lshl_b64 s[2:3], s[64:65], 1
	s_mul_i32 s64, s53, s34
	;; [unrolled: 4-line block ×3, first 2 shown]
	s_add_u32 s71, s4, s2
	s_addc_u32 s56, s5, s3
	s_load_b64 s[4:5], s[0:1], 0x7c
	v_dual_mov_b32 v21, 0 :: v_dual_lshlrev_b32 v18, 4, v0
	s_lshl_b64 s[2:3], s[64:65], 2
	s_mul_i32 s64, s42, s58
	s_add_u32 s72, s16, s2
	v_mbcnt_lo_u32_b32 v19, -1, 0
	v_and_b32_e32 v1, 0x600, v18
	s_addc_u32 s73, s17, s3
	s_lshl_b64 s[2:3], s[64:65], 1
	s_mul_i32 s64, s6, s61
	s_add_u32 s7, s18, s2
	s_addc_u32 s8, s19, s3
	s_clause 0x3
	s_load_b128 s[16:19], s[0:1], 0x6c
	s_load_b32 s75, s[0:1], 0x84
	s_load_b32 s78, s[0:1], 0xc
	s_load_b32 s0, s[0:1], 0x28
	v_or_b32_e32 v20, v19, v1
	s_lshl_b64 s[2:3], s[64:65], 1
	s_mul_i32 s64, s42, s62
	s_add_u32 s61, s7, s2
	s_addc_u32 s62, s8, s3
	s_lshl_b64 s[2:3], s[64:65], 1
	s_mul_i32 s64, s6, s49
	v_or_b32_e32 v24, 0x60, v20
	v_and_b32_e32 v14, 0x60, v0
	s_add_u32 s7, s20, s2
	s_addc_u32 s6, s21, s3
	s_lshl_b64 s[2:3], s[64:65], 1
	s_waitcnt lgkmcnt(0)
	s_mul_i32 s64, s14, s4
	s_add_u32 s49, s7, s2
	s_addc_u32 s74, s6, s3
	s_lshl_b64 s[2:3], s[64:65], 2
	v_or_b32_e32 v26, 0xa0, v20
	v_or_b32_e32 v28, 0xe0, v20
	;; [unrolled: 1-line block ×5, first 2 shown]
	v_lshrrev_b32_e32 v2, 5, v24
	v_or_b32_e32 v36, 0x1e0, v20
	v_or_b32_e32 v16, v19, v14
	s_mul_i32 s64, s5, s34
	s_add_u32 s4, s36, s2
	s_addc_u32 s5, s37, s3
	s_lshl_b64 s[2:3], s[64:65], 2
	v_or_b32_e32 v23, 64, v20
	s_add_u32 s76, s4, s2
	v_or_b32_e32 v25, 0x80, v20
	v_or_b32_e32 v27, 0xc0, v20
	;; [unrolled: 1-line block ×6, first 2 shown]
	v_and_b32_e32 v2, 50, v2
	v_lshrrev_b32_e32 v5, 5, v26
	v_lshrrev_b32_e32 v8, 5, v28
	;; [unrolled: 1-line block ×6, first 2 shown]
	v_lshrrev_b16 v50, 1, v16
	s_addc_u32 s77, s5, s3
	s_add_i32 s2, s69, 0x7ff
	v_lshrrev_b32_e32 v3, 5, v1
	s_lshr_b32 s79, s2, 11
	s_bitcmp1_b32 s0, 0
	v_lshrrev_b32_e32 v4, 5, v23
	v_lshrrev_b32_e32 v6, 5, v25
	v_add_lshl_u32 v2, v2, v20, 1
	v_and_b32_e32 v5, 52, v5
	v_lshrrev_b32_e32 v7, 5, v27
	v_and_b32_e32 v8, 54, v8
	v_lshrrev_b32_e32 v10, 5, v29
	;; [unrolled: 2-line block ×5, first 2 shown]
	v_and_b32_e32 v51, 62, v49
	v_lshlrev_b32_e32 v16, 4, v16
	v_and_b32_e32 v52, 62, v50
	s_cselect_b32 s80, -1, 0
	s_cmp_gt_i32 s78, 0
	v_add_lshl_u32 v3, v3, v20, 1
	s_cselect_b32 s81, -1, 0
	s_add_i32 s0, 0, 0x1080
	v_add_lshl_u32 v4, v4, v20, 1
	v_add_lshl_u32 v6, v6, v20, 1
	v_add_nc_u32_e32 v39, 0, v2
	v_add_lshl_u32 v5, v5, v20, 1
	v_add_lshl_u32 v7, v7, v20, 1
	;; [unrolled: 1-line block ×12, first 2 shown]
	v_add_nc_u32_e32 v55, s0, v2
	v_and_b32_e32 v2, 15, v19
	s_and_b32 s1, s69, 0x7ff
	v_add_nc_u32_e32 v51, 0, v67
	v_add_nc_u32_e32 v53, s0, v3
	;; [unrolled: 1-line block ×15, first 2 shown]
	s_cmp_eq_u32 s1, 0
	v_add_nc_u32_e32 v68, s0, v16
	v_cmp_ne_u32_e64 s0, 0, v2
	v_cmp_lt_u32_e64 s1, 1, v2
	v_cmp_lt_u32_e64 s2, 3, v2
	;; [unrolled: 1-line block ×3, first 2 shown]
	v_add_nc_u32_e32 v2, -1, v19
	v_add_nc_u32_e32 v37, 0, v3
	v_lshrrev_b32_e32 v3, 2, v0
	s_mul_i32 s64, s42, s16
	v_add_nc_u32_e32 v41, 0, v5
	v_or_b32_e32 v5, 31, v14
	v_cmp_gt_i32_e32 vcc_lo, 0, v2
	s_cselect_b32 s82, -1, 0
	s_lshl_b64 s[12:13], s[64:65], 1
	v_and_b32_e32 v3, 24, v3
	s_add_i32 s83, s79, -1
	v_cndmask_b32_e32 v2, v2, v19, vcc_lo
	s_mul_i32 s64, s17, s34
	s_add_u32 s16, s30, s12
	s_addc_u32 s13, s31, s13
	s_lshl_b64 s[14:15], s[64:65], 1
	v_cmp_eq_u32_e64 s5, v5, v0
	v_cmp_gt_u32_e64 s6, 4, v0
	v_lshl_add_u32 v70, v0, 3, 0
	v_cmp_gt_u32_e64 s9, 32, v0
	v_cmp_lt_u32_e64 s10, 31, v0
	v_cmp_eq_u32_e64 s11, 0, v0
	s_mul_i32 s64, s42, s54
	v_lshlrev_b32_e32 v0, 1, v19
	s_add_u32 s16, s16, s14
	v_add_nc_u32_e32 v38, 0, v4
	v_and_b32_e32 v4, 16, v19
	v_add_nc_u32_e32 v69, 0, v3
	v_and_b32_e32 v3, 3, v19
	s_addc_u32 s13, s13, s15
	s_lshl_b64 s[14:15], s[64:65], 1
	s_mul_i32 s64, s55, s34
	s_add_u32 s17, s38, s14
	v_lshlrev_b32_e32 v71, 2, v2
	s_addc_u32 s20, s39, s15
	s_lshl_b64 s[14:15], s[64:65], 1
	v_add_co_u32 v2, s16, s16, v0
	s_mul_i32 s64, s42, s18
	v_cmp_ne_u32_e64 s4, 0, v4
	v_cmp_ne_u32_e64 s7, 0, v3
	v_cmp_lt_u32_e64 s8, 1, v3
	v_add_co_ci_u32_e64 v3, null, s13, 0, s16
	s_add_u32 s13, s17, s14
	v_lshlrev_b32_e32 v4, 1, v1
	s_addc_u32 s16, s20, s15
	s_lshl_b64 s[14:15], s[64:65], 1
	s_mul_i32 s64, s19, s34
	s_add_u32 s17, s40, s14
	s_addc_u32 s18, s41, s15
	s_lshl_b64 s[14:15], s[64:65], 1
	v_add_co_u32 v72, vcc_lo, v2, v4
	v_add_co_u32 v2, s13, s13, v0
	s_add_u32 s14, s17, s14
	v_add_co_ci_u32_e32 v73, vcc_lo, 0, v3, vcc_lo
	v_add_co_ci_u32_e64 v3, null, s16, 0, s13
	s_addc_u32 s15, s18, s15
	v_add_co_u32 v0, s13, s14, v0
	s_delay_alu instid0(VALU_DEP_1) | instskip(SKIP_2) | instid1(VALU_DEP_4)
	v_add_co_ci_u32_e64 v5, null, s15, 0, s13
	v_add_co_u32 v74, vcc_lo, v2, v4
	v_add_co_ci_u32_e32 v75, vcc_lo, 0, v3, vcc_lo
	v_add_co_u32 v76, vcc_lo, v0, v4
	v_or_b32_e32 v22, 32, v20
	v_add_nc_u32_e32 v40, 0, v6
	v_add_nc_u32_e32 v42, 0, v7
	;; [unrolled: 1-line block ×11, first 2 shown]
	v_cmp_eq_u32_e64 s12, 0, v19
	v_add_co_ci_u32_e32 v77, vcc_lo, 0, v5, vcc_lo
	v_or_b32_e32 v78, 1, v18
	v_or_b32_e32 v79, 2, v18
	;; [unrolled: 1-line block ×15, first 2 shown]
	v_lshlrev_b32_e32 v93, 1, v1
	s_mov_b32 s84, 0x3e9b6dac
	s_add_i32 s85, 0, 0x2120
	s_mov_b32 s86, 0
	s_branch .LBB60_12
.LBB60_11:                              ;   in Loop: Header=BB60_12 Depth=1
	s_or_b32 exec_lo, exec_lo, s13
	s_add_u32 s71, s71, 0x1000
	s_addc_u32 s56, s56, 0
	s_add_u32 s63, s63, 0x1000
	s_addc_u32 s70, s70, 0
	;; [unrolled: 2-line block ×4, first 2 shown]
	s_add_i32 s86, s86, 1
	s_delay_alu instid0(SALU_CYCLE_1)
	s_cmp_lg_u32 s86, s79
	s_cbranch_scc0 .LBB60_302
.LBB60_12:                              ; =>This Loop Header: Depth=1
                                        ;     Child Loop BB60_109 Depth 2
	s_waitcnt lgkmcnt(14)
	v_lshlrev_b32_e32 v16, 1, v19
	s_lshl_b32 s50, s86, 11
	s_waitcnt lgkmcnt(0)
	v_mov_b32_e32 v2, 0
	s_sub_i32 s41, s69, s50
	v_add_co_u32 v0, s13, s63, v16
	s_delay_alu instid0(VALU_DEP_1) | instskip(SKIP_1) | instid1(VALU_DEP_3)
	v_add_co_ci_u32_e64 v1, null, s70, 0, s13
	v_cmp_gt_u32_e64 s13, s41, v20
	v_add_co_u32 v0, vcc_lo, v0, v93
	s_delay_alu instid0(VALU_DEP_3)
	v_add_co_ci_u32_e32 v1, vcc_lo, 0, v1, vcc_lo
	s_waitcnt_vscnt null, 0x0
	s_barrier
	buffer_gl0_inv
	s_and_saveexec_b32 s14, s13
	s_cbranch_execz .LBB60_14
; %bb.13:                               ;   in Loop: Header=BB60_12 Depth=1
	global_load_u16 v2, v[0:1], off
.LBB60_14:                              ;   in Loop: Header=BB60_12 Depth=1
	s_or_b32 exec_lo, exec_lo, s14
	v_cmp_gt_u32_e64 s14, s41, v22
	v_dual_mov_b32 v3, 0 :: v_dual_mov_b32 v4, 0
	s_delay_alu instid0(VALU_DEP_2)
	s_and_saveexec_b32 s15, s14
	s_cbranch_execz .LBB60_16
; %bb.15:                               ;   in Loop: Header=BB60_12 Depth=1
	global_load_u16 v4, v[0:1], off offset:64
.LBB60_16:                              ;   in Loop: Header=BB60_12 Depth=1
	s_or_b32 exec_lo, exec_lo, s15
	v_cmp_gt_u32_e64 s15, s41, v23
	s_delay_alu instid0(VALU_DEP_1)
	s_and_saveexec_b32 s16, s15
	s_cbranch_execz .LBB60_18
; %bb.17:                               ;   in Loop: Header=BB60_12 Depth=1
	global_load_u16 v3, v[0:1], off offset:128
.LBB60_18:                              ;   in Loop: Header=BB60_12 Depth=1
	s_or_b32 exec_lo, exec_lo, s16
	v_cmp_gt_u32_e64 s16, s41, v24
	v_dual_mov_b32 v5, 0 :: v_dual_mov_b32 v6, 0
	s_delay_alu instid0(VALU_DEP_2)
	s_and_saveexec_b32 s17, s16
	s_cbranch_execz .LBB60_20
; %bb.19:                               ;   in Loop: Header=BB60_12 Depth=1
	global_load_u16 v6, v[0:1], off offset:192
.LBB60_20:                              ;   in Loop: Header=BB60_12 Depth=1
	s_or_b32 exec_lo, exec_lo, s17
	v_cmp_gt_u32_e64 s17, s41, v25
	s_delay_alu instid0(VALU_DEP_1)
	s_and_saveexec_b32 s18, s17
	s_cbranch_execz .LBB60_22
; %bb.21:                               ;   in Loop: Header=BB60_12 Depth=1
	global_load_u16 v5, v[0:1], off offset:256
.LBB60_22:                              ;   in Loop: Header=BB60_12 Depth=1
	;; [unrolled: 17-line block ×3, first 2 shown]
	s_or_b32 exec_lo, exec_lo, s20
	v_cmp_gt_u32_e64 s20, s41, v28
	v_mov_b32_e32 v9, 0
	v_mov_b32_e32 v11, 0
	s_delay_alu instid0(VALU_DEP_3)
	s_and_saveexec_b32 s21, s20
	s_cbranch_execz .LBB60_28
; %bb.27:                               ;   in Loop: Header=BB60_12 Depth=1
	global_load_u16 v11, v[0:1], off offset:448
.LBB60_28:                              ;   in Loop: Header=BB60_12 Depth=1
	s_or_b32 exec_lo, exec_lo, s21
	v_cmp_gt_u32_e64 s21, s41, v29
	s_delay_alu instid0(VALU_DEP_1)
	s_and_saveexec_b32 s22, s21
	s_cbranch_execz .LBB60_30
; %bb.29:                               ;   in Loop: Header=BB60_12 Depth=1
	global_load_u16 v9, v[0:1], off offset:512
.LBB60_30:                              ;   in Loop: Header=BB60_12 Depth=1
	s_or_b32 exec_lo, exec_lo, s22
	v_cmp_gt_u32_e64 s22, s41, v30
	v_dual_mov_b32 v12, 0 :: v_dual_mov_b32 v13, 0
	s_delay_alu instid0(VALU_DEP_2)
	s_and_saveexec_b32 s23, s22
	s_cbranch_execz .LBB60_32
; %bb.31:                               ;   in Loop: Header=BB60_12 Depth=1
	global_load_u16 v13, v[0:1], off offset:576
.LBB60_32:                              ;   in Loop: Header=BB60_12 Depth=1
	s_or_b32 exec_lo, exec_lo, s23
	v_cmp_gt_u32_e64 s23, s41, v31
	s_delay_alu instid0(VALU_DEP_1)
	s_and_saveexec_b32 s24, s23
	s_cbranch_execz .LBB60_34
; %bb.33:                               ;   in Loop: Header=BB60_12 Depth=1
	global_load_u16 v12, v[0:1], off offset:640
.LBB60_34:                              ;   in Loop: Header=BB60_12 Depth=1
	s_or_b32 exec_lo, exec_lo, s24
	v_cmp_gt_u32_e64 s24, s41, v32
	v_dual_mov_b32 v14, 0 :: v_dual_mov_b32 v15, 0
	s_delay_alu instid0(VALU_DEP_2)
	;; [unrolled: 17-line block ×4, first 2 shown]
	s_and_saveexec_b32 s29, s28
	s_cbranch_execz .LBB60_44
; %bb.43:                               ;   in Loop: Header=BB60_12 Depth=1
	global_load_u16 v95, v[0:1], off offset:960
.LBB60_44:                              ;   in Loop: Header=BB60_12 Depth=1
	s_or_b32 exec_lo, exec_lo, s29
	s_waitcnt vmcnt(0)
	ds_store_b16 v37, v2
	ds_store_b16 v37, v4 offset:64
	ds_store_b16 v38, v3 offset:128
	;; [unrolled: 1-line block ×15, first 2 shown]
	; wave barrier
	ds_load_b128 v[0:3], v52
	ds_load_b128 v[4:7], v52 offset:16
	v_add_co_u32 v8, s29, s71, v16
	s_delay_alu instid0(VALU_DEP_1) | instskip(SKIP_1) | instid1(VALU_DEP_2)
	v_add_co_ci_u32_e64 v9, null, s56, 0, s29
	s_waitcnt lgkmcnt(0)
	v_add_co_u32 v8, vcc_lo, v8, v93
	s_delay_alu instid0(VALU_DEP_2)
	v_add_co_ci_u32_e32 v9, vcc_lo, 0, v9, vcc_lo
	s_barrier
	buffer_gl0_inv
	s_and_saveexec_b32 s29, s13
	s_cbranch_execz .LBB60_46
; %bb.45:                               ;   in Loop: Header=BB60_12 Depth=1
	global_load_u16 v10, v[8:9], off
.LBB60_46:                              ;   in Loop: Header=BB60_12 Depth=1
	s_or_b32 exec_lo, exec_lo, s29
	v_dual_mov_b32 v11, 0 :: v_dual_mov_b32 v12, 0
	s_and_saveexec_b32 s29, s14
	s_cbranch_execz .LBB60_48
; %bb.47:                               ;   in Loop: Header=BB60_12 Depth=1
	global_load_u16 v12, v[8:9], off offset:64
.LBB60_48:                              ;   in Loop: Header=BB60_12 Depth=1
	s_or_b32 exec_lo, exec_lo, s29
	s_and_saveexec_b32 s29, s15
	s_cbranch_execz .LBB60_50
; %bb.49:                               ;   in Loop: Header=BB60_12 Depth=1
	global_load_u16 v11, v[8:9], off offset:128
.LBB60_50:                              ;   in Loop: Header=BB60_12 Depth=1
	s_or_b32 exec_lo, exec_lo, s29
	v_dual_mov_b32 v13, 0 :: v_dual_mov_b32 v14, 0
	s_and_saveexec_b32 s29, s16
	s_cbranch_execz .LBB60_52
; %bb.51:                               ;   in Loop: Header=BB60_12 Depth=1
	global_load_u16 v14, v[8:9], off offset:192
.LBB60_52:                              ;   in Loop: Header=BB60_12 Depth=1
	s_or_b32 exec_lo, exec_lo, s29
	s_and_saveexec_b32 s29, s17
	s_cbranch_execz .LBB60_54
; %bb.53:                               ;   in Loop: Header=BB60_12 Depth=1
	global_load_u16 v13, v[8:9], off offset:256
.LBB60_54:                              ;   in Loop: Header=BB60_12 Depth=1
	s_or_b32 exec_lo, exec_lo, s29
	v_mov_b32_e32 v15, 0
	v_mov_b32_e32 v17, 0
	s_and_saveexec_b32 s29, s18
	s_cbranch_execz .LBB60_56
; %bb.55:                               ;   in Loop: Header=BB60_12 Depth=1
	global_load_u16 v17, v[8:9], off offset:320
.LBB60_56:                              ;   in Loop: Header=BB60_12 Depth=1
	s_or_b32 exec_lo, exec_lo, s29
	s_and_saveexec_b32 s29, s19
	s_cbranch_execz .LBB60_58
; %bb.57:                               ;   in Loop: Header=BB60_12 Depth=1
	global_load_u16 v15, v[8:9], off offset:384
.LBB60_58:                              ;   in Loop: Header=BB60_12 Depth=1
	s_or_b32 exec_lo, exec_lo, s29
	v_dual_mov_b32 v94, 0 :: v_dual_mov_b32 v95, 0
	s_and_saveexec_b32 s29, s20
	s_cbranch_execz .LBB60_60
; %bb.59:                               ;   in Loop: Header=BB60_12 Depth=1
	global_load_u16 v95, v[8:9], off offset:448
.LBB60_60:                              ;   in Loop: Header=BB60_12 Depth=1
	s_or_b32 exec_lo, exec_lo, s29
	s_and_saveexec_b32 s29, s21
	s_cbranch_execz .LBB60_62
; %bb.61:                               ;   in Loop: Header=BB60_12 Depth=1
	global_load_u16 v94, v[8:9], off offset:512
.LBB60_62:                              ;   in Loop: Header=BB60_12 Depth=1
	s_or_b32 exec_lo, exec_lo, s29
	v_dual_mov_b32 v96, 0 :: v_dual_mov_b32 v97, 0
	s_and_saveexec_b32 s29, s22
	s_cbranch_execz .LBB60_64
; %bb.63:                               ;   in Loop: Header=BB60_12 Depth=1
	global_load_u16 v97, v[8:9], off offset:576
.LBB60_64:                              ;   in Loop: Header=BB60_12 Depth=1
	s_or_b32 exec_lo, exec_lo, s29
	s_and_saveexec_b32 s29, s23
	s_cbranch_execz .LBB60_66
; %bb.65:                               ;   in Loop: Header=BB60_12 Depth=1
	global_load_u16 v96, v[8:9], off offset:640
.LBB60_66:                              ;   in Loop: Header=BB60_12 Depth=1
	s_or_b32 exec_lo, exec_lo, s29
	v_dual_mov_b32 v98, 0 :: v_dual_mov_b32 v99, 0
	s_and_saveexec_b32 s29, s24
	s_cbranch_execz .LBB60_68
; %bb.67:                               ;   in Loop: Header=BB60_12 Depth=1
	global_load_u16 v99, v[8:9], off offset:704
.LBB60_68:                              ;   in Loop: Header=BB60_12 Depth=1
	s_or_b32 exec_lo, exec_lo, s29
	s_and_saveexec_b32 s29, s25
	s_cbranch_execz .LBB60_70
; %bb.69:                               ;   in Loop: Header=BB60_12 Depth=1
	global_load_u16 v98, v[8:9], off offset:768
.LBB60_70:                              ;   in Loop: Header=BB60_12 Depth=1
	s_or_b32 exec_lo, exec_lo, s29
	v_dual_mov_b32 v100, 0 :: v_dual_mov_b32 v101, 0
	s_and_saveexec_b32 s29, s26
	s_cbranch_execnz .LBB60_269
; %bb.71:                               ;   in Loop: Header=BB60_12 Depth=1
	s_or_b32 exec_lo, exec_lo, s29
	s_and_saveexec_b32 s29, s27
	s_cbranch_execnz .LBB60_270
.LBB60_72:                              ;   in Loop: Header=BB60_12 Depth=1
	s_or_b32 exec_lo, exec_lo, s29
	v_mov_b32_e32 v102, 0
	s_and_saveexec_b32 s29, s28
	s_cbranch_execz .LBB60_74
.LBB60_73:                              ;   in Loop: Header=BB60_12 Depth=1
	global_load_u16 v102, v[8:9], off offset:960
.LBB60_74:                              ;   in Loop: Header=BB60_12 Depth=1
	s_or_b32 exec_lo, exec_lo, s29
	s_waitcnt vmcnt(0)
	ds_store_b16 v37, v10
	ds_store_b16 v37, v12 offset:64
	ds_store_b16 v38, v11 offset:128
	;; [unrolled: 1-line block ×15, first 2 shown]
	; wave barrier
	ds_load_b128 v[12:15], v52
	ds_load_b128 v[8:11], v52 offset:16
	s_waitcnt lgkmcnt(1)
	v_lshlrev_b32_e32 v17, 16, v12
	s_delay_alu instid0(VALU_DEP_1) | instskip(NEXT) | instid1(VALU_DEP_1)
	v_add_f32_e32 v94, s67, v17
	v_cmp_ge_f32_e32 vcc_lo, 0x41a00000, v94
	s_and_b32 s29, s80, vcc_lo
	s_delay_alu instid0(SALU_CYCLE_1)
	s_and_saveexec_b32 s30, s29
	s_cbranch_execz .LBB60_76
; %bb.75:                               ;   in Loop: Header=BB60_12 Depth=1
	v_mul_f32_e32 v17, 0x3fb8aa3b, v94
	v_cmp_ngt_f32_e32 vcc_lo, 0xc2ce8ed0, v94
	s_delay_alu instid0(VALU_DEP_2) | instskip(SKIP_1) | instid1(VALU_DEP_1)
	v_rndne_f32_e32 v95, v17
	v_fma_f32 v96, 0x3fb8aa3b, v94, -v17
	v_dual_sub_f32 v17, v17, v95 :: v_dual_fmac_f32 v96, 0x32a5705f, v94
	v_cvt_i32_f32_e32 v95, v95
	s_delay_alu instid0(VALU_DEP_2) | instskip(NEXT) | instid1(VALU_DEP_1)
	v_add_f32_e32 v17, v17, v96
	v_exp_f32_e32 v17, v17
	s_waitcnt_depctr 0xfff
	v_ldexp_f32 v17, v17, v95
	s_delay_alu instid0(VALU_DEP_1) | instskip(SKIP_1) | instid1(VALU_DEP_2)
	v_cndmask_b32_e32 v17, 0, v17, vcc_lo
	v_cmp_nlt_f32_e32 vcc_lo, 0x42b17218, v94
	v_cndmask_b32_e32 v17, 0x7f800000, v17, vcc_lo
	s_delay_alu instid0(VALU_DEP_1) | instskip(NEXT) | instid1(VALU_DEP_1)
	v_add_f32_e32 v96, 1.0, v17
	v_cvt_f64_f32_e32 v[94:95], v96
	s_delay_alu instid0(VALU_DEP_1) | instskip(SKIP_1) | instid1(VALU_DEP_1)
	v_frexp_exp_i32_f64_e32 v94, v[94:95]
	v_frexp_mant_f32_e32 v95, v96
	v_cmp_gt_f32_e32 vcc_lo, 0x3f2aaaab, v95
	v_add_f32_e32 v95, -1.0, v96
	s_delay_alu instid0(VALU_DEP_1) | instskip(NEXT) | instid1(VALU_DEP_1)
	v_dual_sub_f32 v98, v95, v96 :: v_dual_sub_f32 v95, v17, v95
	v_add_f32_e32 v98, 1.0, v98
	v_subrev_co_ci_u32_e32 v94, vcc_lo, 0, v94, vcc_lo
	s_delay_alu instid0(VALU_DEP_1) | instskip(SKIP_1) | instid1(VALU_DEP_2)
	v_sub_nc_u32_e32 v97, 0, v94
	v_cvt_f32_i32_e32 v94, v94
	v_ldexp_f32 v96, v96, v97
	v_add_f32_e32 v95, v95, v98
	s_delay_alu instid0(VALU_DEP_1) | instskip(NEXT) | instid1(VALU_DEP_3)
	v_ldexp_f32 v95, v95, v97
	v_add_f32_e32 v99, 1.0, v96
	s_delay_alu instid0(VALU_DEP_1) | instskip(NEXT) | instid1(VALU_DEP_1)
	v_add_f32_e32 v98, -1.0, v99
	v_sub_f32_e32 v98, v96, v98
	v_cmp_eq_f32_e32 vcc_lo, 0x7f800000, v17
	v_cmp_gt_f32_e64 s29, 0x33800000, v17
	s_delay_alu instid0(VALU_DEP_3) | instskip(NEXT) | instid1(VALU_DEP_2)
	v_dual_add_f32 v98, v95, v98 :: v_dual_add_f32 v97, -1.0, v96
	s_or_b32 vcc_lo, s29, vcc_lo
	s_delay_alu instid0(VALU_DEP_1) | instskip(NEXT) | instid1(VALU_DEP_1)
	v_add_f32_e32 v100, 1.0, v97
	v_sub_f32_e32 v96, v96, v100
	s_delay_alu instid0(VALU_DEP_3) | instskip(NEXT) | instid1(VALU_DEP_1)
	v_add_f32_e32 v100, v99, v98
	v_sub_f32_e32 v99, v99, v100
	s_delay_alu instid0(VALU_DEP_3) | instskip(SKIP_1) | instid1(VALU_DEP_2)
	v_add_f32_e32 v95, v95, v96
	v_rcp_f32_e32 v96, v100
	v_add_f32_e32 v98, v98, v99
	s_delay_alu instid0(VALU_DEP_2) | instskip(NEXT) | instid1(VALU_DEP_1)
	v_add_f32_e32 v101, v97, v95
	v_sub_f32_e32 v97, v97, v101
	s_waitcnt_depctr 0xfff
	v_dual_mul_f32 v102, v101, v96 :: v_dual_add_f32 v95, v95, v97
	s_delay_alu instid0(VALU_DEP_1) | instskip(NEXT) | instid1(VALU_DEP_1)
	v_mul_f32_e32 v103, v100, v102
	v_fma_f32 v99, v102, v100, -v103
	s_delay_alu instid0(VALU_DEP_1) | instskip(NEXT) | instid1(VALU_DEP_1)
	v_fmac_f32_e32 v99, v102, v98
	v_add_f32_e32 v104, v103, v99
	s_delay_alu instid0(VALU_DEP_1) | instskip(NEXT) | instid1(VALU_DEP_1)
	v_sub_f32_e32 v105, v101, v104
	v_sub_f32_e32 v101, v101, v105
	;; [unrolled: 1-line block ×3, first 2 shown]
	s_delay_alu instid0(VALU_DEP_2) | instskip(NEXT) | instid1(VALU_DEP_2)
	v_sub_f32_e32 v101, v101, v104
	v_sub_f32_e32 v97, v97, v99
	s_delay_alu instid0(VALU_DEP_2) | instskip(NEXT) | instid1(VALU_DEP_1)
	v_add_f32_e32 v95, v95, v101
	v_add_f32_e32 v95, v97, v95
	s_delay_alu instid0(VALU_DEP_1) | instskip(NEXT) | instid1(VALU_DEP_1)
	v_add_f32_e32 v97, v105, v95
	v_mul_f32_e32 v99, v96, v97
	s_delay_alu instid0(VALU_DEP_1) | instskip(NEXT) | instid1(VALU_DEP_1)
	v_dual_sub_f32 v104, v105, v97 :: v_dual_mul_f32 v101, v100, v99
	v_add_f32_e32 v95, v95, v104
	s_delay_alu instid0(VALU_DEP_2) | instskip(NEXT) | instid1(VALU_DEP_1)
	v_fma_f32 v100, v99, v100, -v101
	v_fmac_f32_e32 v100, v99, v98
	s_delay_alu instid0(VALU_DEP_1) | instskip(NEXT) | instid1(VALU_DEP_1)
	v_add_f32_e32 v98, v101, v100
	v_sub_f32_e32 v103, v97, v98
	v_sub_f32_e32 v101, v98, v101
	s_delay_alu instid0(VALU_DEP_2) | instskip(NEXT) | instid1(VALU_DEP_1)
	v_sub_f32_e32 v97, v97, v103
	v_sub_f32_e32 v97, v97, v98
	s_delay_alu instid0(VALU_DEP_1) | instskip(SKIP_1) | instid1(VALU_DEP_1)
	v_dual_sub_f32 v98, v101, v100 :: v_dual_add_f32 v95, v95, v97
	v_add_f32_e32 v97, v102, v99
	v_dual_add_f32 v95, v98, v95 :: v_dual_sub_f32 v98, v97, v102
	s_delay_alu instid0(VALU_DEP_1) | instskip(NEXT) | instid1(VALU_DEP_1)
	v_add_f32_e32 v95, v103, v95
	v_dual_sub_f32 v98, v99, v98 :: v_dual_mul_f32 v95, v96, v95
	s_delay_alu instid0(VALU_DEP_1) | instskip(NEXT) | instid1(VALU_DEP_1)
	v_add_f32_e32 v95, v98, v95
	v_add_f32_e32 v96, v97, v95
	s_delay_alu instid0(VALU_DEP_1) | instskip(NEXT) | instid1(VALU_DEP_1)
	v_mul_f32_e32 v98, v96, v96
	v_fmaak_f32 v99, s84, v98, 0x3ecc95a3
	v_mul_f32_e32 v100, v96, v98
	s_delay_alu instid0(VALU_DEP_2) | instskip(SKIP_2) | instid1(VALU_DEP_3)
	v_fmaak_f32 v98, v98, v99, 0x3f2aaada
	v_ldexp_f32 v99, v96, 1
	v_sub_f32_e32 v96, v96, v97
	v_mul_f32_e32 v98, v100, v98
	s_delay_alu instid0(VALU_DEP_2) | instskip(NEXT) | instid1(VALU_DEP_2)
	v_dual_mul_f32 v100, 0x3f317218, v94 :: v_dual_sub_f32 v95, v95, v96
	v_add_f32_e32 v97, v99, v98
	s_delay_alu instid0(VALU_DEP_2) | instskip(NEXT) | instid1(VALU_DEP_2)
	v_ldexp_f32 v95, v95, 1
	v_sub_f32_e32 v96, v97, v99
	s_delay_alu instid0(VALU_DEP_4) | instskip(NEXT) | instid1(VALU_DEP_1)
	v_fma_f32 v99, 0x3f317218, v94, -v100
	v_dual_sub_f32 v96, v98, v96 :: v_dual_fmac_f32 v99, 0xb102e308, v94
	s_delay_alu instid0(VALU_DEP_1) | instskip(NEXT) | instid1(VALU_DEP_1)
	v_dual_add_f32 v94, v95, v96 :: v_dual_add_f32 v95, v100, v99
	v_add_f32_e32 v96, v97, v94
	s_delay_alu instid0(VALU_DEP_2) | instskip(NEXT) | instid1(VALU_DEP_2)
	v_sub_f32_e32 v100, v95, v100
	v_dual_add_f32 v98, v95, v96 :: v_dual_sub_f32 v97, v96, v97
	s_delay_alu instid0(VALU_DEP_2) | instskip(NEXT) | instid1(VALU_DEP_2)
	v_sub_f32_e32 v99, v99, v100
	v_sub_f32_e32 v101, v98, v95
	s_delay_alu instid0(VALU_DEP_3) | instskip(NEXT) | instid1(VALU_DEP_2)
	v_sub_f32_e32 v94, v94, v97
	v_sub_f32_e32 v102, v98, v101
	s_delay_alu instid0(VALU_DEP_2) | instskip(NEXT) | instid1(VALU_DEP_2)
	v_dual_sub_f32 v96, v96, v101 :: v_dual_add_f32 v97, v99, v94
	v_sub_f32_e32 v95, v95, v102
	s_delay_alu instid0(VALU_DEP_1) | instskip(NEXT) | instid1(VALU_DEP_3)
	v_add_f32_e32 v95, v96, v95
	v_sub_f32_e32 v96, v97, v99
	s_delay_alu instid0(VALU_DEP_2) | instskip(NEXT) | instid1(VALU_DEP_2)
	v_add_f32_e32 v95, v97, v95
	v_sub_f32_e32 v97, v97, v96
	v_sub_f32_e32 v94, v94, v96
	s_delay_alu instid0(VALU_DEP_2) | instskip(NEXT) | instid1(VALU_DEP_1)
	v_dual_add_f32 v100, v98, v95 :: v_dual_sub_f32 v97, v99, v97
	v_sub_f32_e32 v96, v100, v98
	s_delay_alu instid0(VALU_DEP_1) | instskip(NEXT) | instid1(VALU_DEP_1)
	v_dual_add_f32 v94, v94, v97 :: v_dual_sub_f32 v95, v95, v96
	v_add_f32_e32 v94, v94, v95
	s_delay_alu instid0(VALU_DEP_1) | instskip(NEXT) | instid1(VALU_DEP_1)
	v_add_f32_e32 v94, v100, v94
	v_cndmask_b32_e32 v94, v94, v17, vcc_lo
.LBB60_76:                              ;   in Loop: Header=BB60_12 Depth=1
	s_or_b32 exec_lo, exec_lo, s30
	v_and_b32_e32 v12, 0xffff0000, v12
	s_delay_alu instid0(VALU_DEP_1) | instskip(NEXT) | instid1(VALU_DEP_1)
	v_add_f32_e32 v95, s67, v12
	v_cmp_ge_f32_e32 vcc_lo, 0x41a00000, v95
	s_and_b32 s29, s80, vcc_lo
	s_delay_alu instid0(SALU_CYCLE_1)
	s_and_saveexec_b32 s30, s29
	s_cbranch_execz .LBB60_78
; %bb.77:                               ;   in Loop: Header=BB60_12 Depth=1
	v_mul_f32_e32 v12, 0x3fb8aa3b, v95
	v_cmp_ngt_f32_e32 vcc_lo, 0xc2ce8ed0, v95
	s_delay_alu instid0(VALU_DEP_2) | instskip(SKIP_1) | instid1(VALU_DEP_2)
	v_rndne_f32_e32 v17, v12
	v_fma_f32 v96, 0x3fb8aa3b, v95, -v12
	v_sub_f32_e32 v12, v12, v17
	s_delay_alu instid0(VALU_DEP_2) | instskip(SKIP_1) | instid1(VALU_DEP_2)
	v_fmac_f32_e32 v96, 0x32a5705f, v95
	v_cvt_i32_f32_e32 v17, v17
	v_add_f32_e32 v12, v12, v96
	s_delay_alu instid0(VALU_DEP_1) | instskip(SKIP_2) | instid1(VALU_DEP_1)
	v_exp_f32_e32 v12, v12
	s_waitcnt_depctr 0xfff
	v_ldexp_f32 v12, v12, v17
	v_cndmask_b32_e32 v12, 0, v12, vcc_lo
	v_cmp_nlt_f32_e32 vcc_lo, 0x42b17218, v95
	s_delay_alu instid0(VALU_DEP_2) | instskip(NEXT) | instid1(VALU_DEP_1)
	v_cndmask_b32_e32 v12, 0x7f800000, v12, vcc_lo
	v_add_f32_e32 v17, 1.0, v12
	s_delay_alu instid0(VALU_DEP_1) | instskip(NEXT) | instid1(VALU_DEP_1)
	v_cvt_f64_f32_e32 v[95:96], v17
	v_frexp_exp_i32_f64_e32 v95, v[95:96]
	v_frexp_mant_f32_e32 v96, v17
	s_delay_alu instid0(VALU_DEP_1) | instskip(SKIP_1) | instid1(VALU_DEP_1)
	v_cmp_gt_f32_e32 vcc_lo, 0x3f2aaaab, v96
	v_add_f32_e32 v96, -1.0, v17
	v_sub_f32_e32 v98, v96, v17
	v_sub_f32_e32 v96, v12, v96
	s_delay_alu instid0(VALU_DEP_2) | instskip(NEXT) | instid1(VALU_DEP_1)
	v_add_f32_e32 v98, 1.0, v98
	v_add_f32_e32 v96, v96, v98
	v_subrev_co_ci_u32_e32 v95, vcc_lo, 0, v95, vcc_lo
	s_delay_alu instid0(VALU_DEP_1) | instskip(SKIP_1) | instid1(VALU_DEP_2)
	v_sub_nc_u32_e32 v97, 0, v95
	v_cvt_f32_i32_e32 v95, v95
	v_ldexp_f32 v17, v17, v97
	v_ldexp_f32 v96, v96, v97
	s_delay_alu instid0(VALU_DEP_2) | instskip(NEXT) | instid1(VALU_DEP_1)
	v_add_f32_e32 v99, 1.0, v17
	v_dual_add_f32 v97, -1.0, v17 :: v_dual_add_f32 v98, -1.0, v99
	s_delay_alu instid0(VALU_DEP_1) | instskip(NEXT) | instid1(VALU_DEP_2)
	v_add_f32_e32 v100, 1.0, v97
	v_sub_f32_e32 v98, v17, v98
	s_delay_alu instid0(VALU_DEP_2) | instskip(NEXT) | instid1(VALU_DEP_1)
	v_sub_f32_e32 v17, v17, v100
	v_add_f32_e32 v17, v96, v17
	s_delay_alu instid0(VALU_DEP_1) | instskip(SKIP_2) | instid1(VALU_DEP_3)
	v_add_f32_e32 v101, v97, v17
	v_cmp_eq_f32_e32 vcc_lo, 0x7f800000, v12
	v_cmp_gt_f32_e64 s29, 0x33800000, v12
	v_dual_sub_f32 v97, v97, v101 :: v_dual_add_f32 v98, v96, v98
	s_delay_alu instid0(VALU_DEP_2) | instskip(NEXT) | instid1(VALU_DEP_1)
	s_or_b32 vcc_lo, s29, vcc_lo
	v_dual_add_f32 v17, v17, v97 :: v_dual_add_f32 v100, v99, v98
	s_delay_alu instid0(VALU_DEP_1) | instskip(SKIP_1) | instid1(VALU_DEP_1)
	v_rcp_f32_e32 v96, v100
	v_sub_f32_e32 v99, v99, v100
	v_add_f32_e32 v98, v98, v99
	s_waitcnt_depctr 0xfff
	v_mul_f32_e32 v102, v101, v96
	s_delay_alu instid0(VALU_DEP_1) | instskip(NEXT) | instid1(VALU_DEP_1)
	v_mul_f32_e32 v103, v100, v102
	v_fma_f32 v99, v102, v100, -v103
	s_delay_alu instid0(VALU_DEP_1) | instskip(NEXT) | instid1(VALU_DEP_1)
	v_fmac_f32_e32 v99, v102, v98
	v_add_f32_e32 v104, v103, v99
	s_delay_alu instid0(VALU_DEP_1) | instskip(SKIP_1) | instid1(VALU_DEP_2)
	v_sub_f32_e32 v105, v101, v104
	v_sub_f32_e32 v97, v104, v103
	;; [unrolled: 1-line block ×3, first 2 shown]
	s_delay_alu instid0(VALU_DEP_2) | instskip(NEXT) | instid1(VALU_DEP_2)
	v_sub_f32_e32 v97, v97, v99
	v_sub_f32_e32 v101, v101, v104
	s_delay_alu instid0(VALU_DEP_1) | instskip(NEXT) | instid1(VALU_DEP_1)
	v_add_f32_e32 v17, v17, v101
	v_add_f32_e32 v17, v97, v17
	s_delay_alu instid0(VALU_DEP_1) | instskip(NEXT) | instid1(VALU_DEP_1)
	v_add_f32_e32 v97, v105, v17
	v_mul_f32_e32 v99, v96, v97
	s_delay_alu instid0(VALU_DEP_1) | instskip(NEXT) | instid1(VALU_DEP_1)
	v_mul_f32_e32 v101, v100, v99
	v_fma_f32 v100, v99, v100, -v101
	s_delay_alu instid0(VALU_DEP_1) | instskip(SKIP_1) | instid1(VALU_DEP_2)
	v_fmac_f32_e32 v100, v99, v98
	v_sub_f32_e32 v104, v105, v97
	v_add_f32_e32 v98, v101, v100
	s_delay_alu instid0(VALU_DEP_2) | instskip(NEXT) | instid1(VALU_DEP_2)
	v_add_f32_e32 v17, v17, v104
	v_sub_f32_e32 v103, v97, v98
	s_delay_alu instid0(VALU_DEP_1) | instskip(NEXT) | instid1(VALU_DEP_1)
	v_sub_f32_e32 v97, v97, v103
	v_sub_f32_e32 v97, v97, v98
	s_delay_alu instid0(VALU_DEP_1) | instskip(SKIP_2) | instid1(VALU_DEP_1)
	v_add_f32_e32 v17, v17, v97
	v_add_f32_e32 v97, v102, v99
	v_sub_f32_e32 v101, v98, v101
	v_sub_f32_e32 v98, v101, v100
	s_delay_alu instid0(VALU_DEP_1) | instskip(NEXT) | instid1(VALU_DEP_1)
	v_dual_add_f32 v17, v98, v17 :: v_dual_sub_f32 v98, v97, v102
	v_add_f32_e32 v17, v103, v17
	s_delay_alu instid0(VALU_DEP_1) | instskip(NEXT) | instid1(VALU_DEP_1)
	v_dual_sub_f32 v98, v99, v98 :: v_dual_mul_f32 v17, v96, v17
	v_add_f32_e32 v17, v98, v17
	s_delay_alu instid0(VALU_DEP_1) | instskip(NEXT) | instid1(VALU_DEP_1)
	v_add_f32_e32 v96, v97, v17
	v_mul_f32_e32 v98, v96, v96
	s_delay_alu instid0(VALU_DEP_1) | instskip(SKIP_1) | instid1(VALU_DEP_2)
	v_fmaak_f32 v99, s84, v98, 0x3ecc95a3
	v_mul_f32_e32 v100, v96, v98
	v_fmaak_f32 v98, v98, v99, 0x3f2aaada
	v_ldexp_f32 v99, v96, 1
	s_delay_alu instid0(VALU_DEP_2) | instskip(SKIP_1) | instid1(VALU_DEP_2)
	v_mul_f32_e32 v98, v100, v98
	v_sub_f32_e32 v96, v96, v97
	v_dual_mul_f32 v100, 0x3f317218, v95 :: v_dual_add_f32 v97, v99, v98
	s_delay_alu instid0(VALU_DEP_2) | instskip(NEXT) | instid1(VALU_DEP_2)
	v_sub_f32_e32 v17, v17, v96
	v_sub_f32_e32 v96, v97, v99
	s_delay_alu instid0(VALU_DEP_3) | instskip(NEXT) | instid1(VALU_DEP_3)
	v_fma_f32 v99, 0x3f317218, v95, -v100
	v_ldexp_f32 v17, v17, 1
	s_delay_alu instid0(VALU_DEP_2) | instskip(NEXT) | instid1(VALU_DEP_1)
	v_dual_sub_f32 v96, v98, v96 :: v_dual_fmac_f32 v99, 0xb102e308, v95
	v_add_f32_e32 v17, v17, v96
	s_delay_alu instid0(VALU_DEP_1) | instskip(NEXT) | instid1(VALU_DEP_1)
	v_dual_add_f32 v95, v100, v99 :: v_dual_add_f32 v96, v97, v17
	v_sub_f32_e32 v100, v95, v100
	s_delay_alu instid0(VALU_DEP_2) | instskip(NEXT) | instid1(VALU_DEP_2)
	v_dual_add_f32 v98, v95, v96 :: v_dual_sub_f32 v97, v96, v97
	v_sub_f32_e32 v99, v99, v100
	s_delay_alu instid0(VALU_DEP_2) | instskip(NEXT) | instid1(VALU_DEP_1)
	v_sub_f32_e32 v101, v98, v95
	v_sub_f32_e32 v102, v98, v101
	;; [unrolled: 1-line block ×4, first 2 shown]
	s_delay_alu instid0(VALU_DEP_1) | instskip(NEXT) | instid1(VALU_DEP_4)
	v_add_f32_e32 v97, v99, v17
	v_sub_f32_e32 v95, v95, v102
	s_delay_alu instid0(VALU_DEP_1) | instskip(NEXT) | instid1(VALU_DEP_3)
	v_add_f32_e32 v95, v96, v95
	v_sub_f32_e32 v96, v97, v99
	s_delay_alu instid0(VALU_DEP_2) | instskip(NEXT) | instid1(VALU_DEP_2)
	v_add_f32_e32 v95, v97, v95
	v_sub_f32_e32 v97, v97, v96
	s_delay_alu instid0(VALU_DEP_2) | instskip(NEXT) | instid1(VALU_DEP_1)
	v_dual_sub_f32 v17, v17, v96 :: v_dual_add_f32 v100, v98, v95
	v_dual_sub_f32 v96, v100, v98 :: v_dual_sub_f32 v97, v99, v97
	s_delay_alu instid0(VALU_DEP_1) | instskip(NEXT) | instid1(VALU_DEP_2)
	v_sub_f32_e32 v95, v95, v96
	v_add_f32_e32 v17, v17, v97
	s_delay_alu instid0(VALU_DEP_1) | instskip(NEXT) | instid1(VALU_DEP_1)
	v_add_f32_e32 v17, v17, v95
	v_add_f32_e32 v17, v100, v17
	s_delay_alu instid0(VALU_DEP_1)
	v_cndmask_b32_e32 v95, v17, v12, vcc_lo
.LBB60_78:                              ;   in Loop: Header=BB60_12 Depth=1
	s_or_b32 exec_lo, exec_lo, s30
	v_lshlrev_b32_e32 v12, 16, v13
	s_delay_alu instid0(VALU_DEP_1) | instskip(NEXT) | instid1(VALU_DEP_1)
	v_add_f32_e32 v96, s67, v12
	v_cmp_ge_f32_e32 vcc_lo, 0x41a00000, v96
	s_and_b32 s29, s80, vcc_lo
	s_delay_alu instid0(SALU_CYCLE_1)
	s_and_saveexec_b32 s30, s29
	s_cbranch_execz .LBB60_80
; %bb.79:                               ;   in Loop: Header=BB60_12 Depth=1
	v_mul_f32_e32 v12, 0x3fb8aa3b, v96
	v_cmp_ngt_f32_e32 vcc_lo, 0xc2ce8ed0, v96
	s_delay_alu instid0(VALU_DEP_2) | instskip(SKIP_1) | instid1(VALU_DEP_1)
	v_rndne_f32_e32 v17, v12
	v_fma_f32 v97, 0x3fb8aa3b, v96, -v12
	v_dual_sub_f32 v12, v12, v17 :: v_dual_fmac_f32 v97, 0x32a5705f, v96
	v_cvt_i32_f32_e32 v17, v17
	s_delay_alu instid0(VALU_DEP_2) | instskip(NEXT) | instid1(VALU_DEP_1)
	v_add_f32_e32 v12, v12, v97
	v_exp_f32_e32 v12, v12
	s_waitcnt_depctr 0xfff
	v_ldexp_f32 v12, v12, v17
	s_delay_alu instid0(VALU_DEP_1) | instskip(SKIP_1) | instid1(VALU_DEP_2)
	v_cndmask_b32_e32 v12, 0, v12, vcc_lo
	v_cmp_nlt_f32_e32 vcc_lo, 0x42b17218, v96
	v_cndmask_b32_e32 v12, 0x7f800000, v12, vcc_lo
	s_delay_alu instid0(VALU_DEP_1) | instskip(NEXT) | instid1(VALU_DEP_1)
	v_add_f32_e32 v17, 1.0, v12
	v_cvt_f64_f32_e32 v[96:97], v17
	s_delay_alu instid0(VALU_DEP_1) | instskip(SKIP_1) | instid1(VALU_DEP_1)
	v_frexp_exp_i32_f64_e32 v96, v[96:97]
	v_frexp_mant_f32_e32 v97, v17
	v_cmp_gt_f32_e32 vcc_lo, 0x3f2aaaab, v97
	v_add_f32_e32 v97, -1.0, v17
	s_delay_alu instid0(VALU_DEP_1) | instskip(SKIP_1) | instid1(VALU_DEP_2)
	v_sub_f32_e32 v99, v97, v17
	v_sub_f32_e32 v97, v12, v97
	v_add_f32_e32 v99, 1.0, v99
	s_delay_alu instid0(VALU_DEP_1) | instskip(SKIP_3) | instid1(VALU_DEP_2)
	v_add_f32_e32 v97, v97, v99
	v_cmp_gt_f32_e64 s29, 0x33800000, v12
	v_subrev_co_ci_u32_e32 v96, vcc_lo, 0, v96, vcc_lo
	v_cmp_eq_f32_e32 vcc_lo, 0x7f800000, v12
	v_sub_nc_u32_e32 v98, 0, v96
	v_cvt_f32_i32_e32 v96, v96
	s_or_b32 vcc_lo, s29, vcc_lo
	s_delay_alu instid0(VALU_DEP_2) | instskip(SKIP_1) | instid1(VALU_DEP_2)
	v_ldexp_f32 v17, v17, v98
	v_ldexp_f32 v97, v97, v98
	v_add_f32_e32 v100, 1.0, v17
	s_delay_alu instid0(VALU_DEP_1) | instskip(NEXT) | instid1(VALU_DEP_1)
	v_dual_add_f32 v98, -1.0, v17 :: v_dual_add_f32 v99, -1.0, v100
	v_add_f32_e32 v101, 1.0, v98
	s_delay_alu instid0(VALU_DEP_2) | instskip(NEXT) | instid1(VALU_DEP_2)
	v_sub_f32_e32 v99, v17, v99
	v_sub_f32_e32 v17, v17, v101
	s_delay_alu instid0(VALU_DEP_1) | instskip(NEXT) | instid1(VALU_DEP_1)
	v_add_f32_e32 v17, v97, v17
	v_dual_add_f32 v102, v98, v17 :: v_dual_add_f32 v99, v97, v99
	s_delay_alu instid0(VALU_DEP_1) | instskip(NEXT) | instid1(VALU_DEP_1)
	v_dual_sub_f32 v98, v98, v102 :: v_dual_add_f32 v101, v100, v99
	v_rcp_f32_e32 v97, v101
	v_sub_f32_e32 v100, v100, v101
	s_delay_alu instid0(VALU_DEP_1) | instskip(SKIP_2) | instid1(VALU_DEP_1)
	v_add_f32_e32 v99, v99, v100
	s_waitcnt_depctr 0xfff
	v_mul_f32_e32 v103, v102, v97
	v_mul_f32_e32 v104, v101, v103
	s_delay_alu instid0(VALU_DEP_1) | instskip(NEXT) | instid1(VALU_DEP_1)
	v_fma_f32 v100, v103, v101, -v104
	v_fmac_f32_e32 v100, v103, v99
	s_delay_alu instid0(VALU_DEP_1) | instskip(NEXT) | instid1(VALU_DEP_1)
	v_add_f32_e32 v105, v104, v100
	v_sub_f32_e32 v106, v102, v105
	s_delay_alu instid0(VALU_DEP_1) | instskip(SKIP_2) | instid1(VALU_DEP_3)
	v_sub_f32_e32 v102, v102, v106
	v_add_f32_e32 v17, v17, v98
	v_sub_f32_e32 v98, v105, v104
	v_sub_f32_e32 v102, v102, v105
	s_delay_alu instid0(VALU_DEP_1) | instskip(NEXT) | instid1(VALU_DEP_1)
	v_dual_sub_f32 v98, v98, v100 :: v_dual_add_f32 v17, v17, v102
	v_add_f32_e32 v17, v98, v17
	s_delay_alu instid0(VALU_DEP_1) | instskip(NEXT) | instid1(VALU_DEP_1)
	v_add_f32_e32 v98, v106, v17
	v_mul_f32_e32 v100, v97, v98
	s_delay_alu instid0(VALU_DEP_1) | instskip(NEXT) | instid1(VALU_DEP_1)
	v_dual_sub_f32 v105, v106, v98 :: v_dual_mul_f32 v102, v101, v100
	v_add_f32_e32 v17, v17, v105
	s_delay_alu instid0(VALU_DEP_2) | instskip(NEXT) | instid1(VALU_DEP_1)
	v_fma_f32 v101, v100, v101, -v102
	v_fmac_f32_e32 v101, v100, v99
	s_delay_alu instid0(VALU_DEP_1) | instskip(NEXT) | instid1(VALU_DEP_1)
	v_add_f32_e32 v99, v102, v101
	v_sub_f32_e32 v104, v98, v99
	s_delay_alu instid0(VALU_DEP_1) | instskip(NEXT) | instid1(VALU_DEP_1)
	v_sub_f32_e32 v98, v98, v104
	v_sub_f32_e32 v98, v98, v99
	s_delay_alu instid0(VALU_DEP_1) | instskip(SKIP_1) | instid1(VALU_DEP_1)
	v_dual_add_f32 v17, v17, v98 :: v_dual_add_f32 v98, v103, v100
	v_sub_f32_e32 v102, v99, v102
	v_sub_f32_e32 v99, v102, v101
	s_delay_alu instid0(VALU_DEP_1) | instskip(NEXT) | instid1(VALU_DEP_4)
	v_add_f32_e32 v17, v99, v17
	v_sub_f32_e32 v99, v98, v103
	s_delay_alu instid0(VALU_DEP_2) | instskip(NEXT) | instid1(VALU_DEP_2)
	v_add_f32_e32 v17, v104, v17
	v_sub_f32_e32 v99, v100, v99
	s_delay_alu instid0(VALU_DEP_2) | instskip(NEXT) | instid1(VALU_DEP_1)
	v_mul_f32_e32 v17, v97, v17
	v_add_f32_e32 v17, v99, v17
	s_delay_alu instid0(VALU_DEP_1) | instskip(NEXT) | instid1(VALU_DEP_1)
	v_add_f32_e32 v97, v98, v17
	v_mul_f32_e32 v99, v97, v97
	s_delay_alu instid0(VALU_DEP_1) | instskip(SKIP_1) | instid1(VALU_DEP_2)
	v_fmaak_f32 v100, s84, v99, 0x3ecc95a3
	v_mul_f32_e32 v101, v97, v99
	v_fmaak_f32 v99, v99, v100, 0x3f2aaada
	v_ldexp_f32 v100, v97, 1
	v_sub_f32_e32 v97, v97, v98
	s_delay_alu instid0(VALU_DEP_3) | instskip(SKIP_1) | instid1(VALU_DEP_2)
	v_mul_f32_e32 v99, v101, v99
	v_mul_f32_e32 v101, 0x3f317218, v96
	v_dual_sub_f32 v17, v17, v97 :: v_dual_add_f32 v98, v100, v99
	s_delay_alu instid0(VALU_DEP_1) | instskip(NEXT) | instid1(VALU_DEP_2)
	v_ldexp_f32 v17, v17, 1
	v_sub_f32_e32 v97, v98, v100
	s_delay_alu instid0(VALU_DEP_4) | instskip(NEXT) | instid1(VALU_DEP_1)
	v_fma_f32 v100, 0x3f317218, v96, -v101
	v_dual_sub_f32 v97, v99, v97 :: v_dual_fmac_f32 v100, 0xb102e308, v96
	s_delay_alu instid0(VALU_DEP_1) | instskip(NEXT) | instid1(VALU_DEP_1)
	v_add_f32_e32 v17, v17, v97
	v_dual_add_f32 v96, v101, v100 :: v_dual_add_f32 v97, v98, v17
	s_delay_alu instid0(VALU_DEP_1) | instskip(NEXT) | instid1(VALU_DEP_2)
	v_sub_f32_e32 v101, v96, v101
	v_dual_add_f32 v99, v96, v97 :: v_dual_sub_f32 v98, v97, v98
	s_delay_alu instid0(VALU_DEP_2) | instskip(NEXT) | instid1(VALU_DEP_2)
	v_sub_f32_e32 v100, v100, v101
	v_dual_sub_f32 v102, v99, v96 :: v_dual_sub_f32 v17, v17, v98
	s_delay_alu instid0(VALU_DEP_1) | instskip(NEXT) | instid1(VALU_DEP_2)
	v_sub_f32_e32 v103, v99, v102
	v_dual_sub_f32 v97, v97, v102 :: v_dual_add_f32 v98, v100, v17
	s_delay_alu instid0(VALU_DEP_2) | instskip(NEXT) | instid1(VALU_DEP_1)
	v_sub_f32_e32 v96, v96, v103
	v_add_f32_e32 v96, v97, v96
	s_delay_alu instid0(VALU_DEP_3) | instskip(NEXT) | instid1(VALU_DEP_2)
	v_sub_f32_e32 v97, v98, v100
	v_add_f32_e32 v96, v98, v96
	s_delay_alu instid0(VALU_DEP_2) | instskip(SKIP_1) | instid1(VALU_DEP_2)
	v_sub_f32_e32 v98, v98, v97
	v_sub_f32_e32 v17, v17, v97
	v_dual_add_f32 v101, v99, v96 :: v_dual_sub_f32 v98, v100, v98
	s_delay_alu instid0(VALU_DEP_1) | instskip(NEXT) | instid1(VALU_DEP_1)
	v_sub_f32_e32 v97, v101, v99
	v_dual_add_f32 v17, v17, v98 :: v_dual_sub_f32 v96, v96, v97
	s_delay_alu instid0(VALU_DEP_1) | instskip(NEXT) | instid1(VALU_DEP_1)
	v_add_f32_e32 v17, v17, v96
	v_add_f32_e32 v17, v101, v17
	s_delay_alu instid0(VALU_DEP_1)
	v_cndmask_b32_e32 v96, v17, v12, vcc_lo
.LBB60_80:                              ;   in Loop: Header=BB60_12 Depth=1
	s_or_b32 exec_lo, exec_lo, s30
	v_and_b32_e32 v12, 0xffff0000, v13
	s_delay_alu instid0(VALU_DEP_1) | instskip(NEXT) | instid1(VALU_DEP_1)
	v_add_f32_e32 v97, s67, v12
	v_cmp_ge_f32_e32 vcc_lo, 0x41a00000, v97
	s_and_b32 s29, s80, vcc_lo
	s_delay_alu instid0(SALU_CYCLE_1)
	s_and_saveexec_b32 s30, s29
	s_cbranch_execz .LBB60_82
; %bb.81:                               ;   in Loop: Header=BB60_12 Depth=1
	v_mul_f32_e32 v12, 0x3fb8aa3b, v97
	v_cmp_ngt_f32_e32 vcc_lo, 0xc2ce8ed0, v97
	s_delay_alu instid0(VALU_DEP_2) | instskip(SKIP_1) | instid1(VALU_DEP_2)
	v_rndne_f32_e32 v13, v12
	v_fma_f32 v17, 0x3fb8aa3b, v97, -v12
	v_sub_f32_e32 v12, v12, v13
	s_delay_alu instid0(VALU_DEP_2) | instskip(SKIP_1) | instid1(VALU_DEP_2)
	v_fmac_f32_e32 v17, 0x32a5705f, v97
	v_cvt_i32_f32_e32 v13, v13
	v_add_f32_e32 v12, v12, v17
	s_delay_alu instid0(VALU_DEP_1) | instskip(SKIP_2) | instid1(VALU_DEP_1)
	v_exp_f32_e32 v12, v12
	s_waitcnt_depctr 0xfff
	v_ldexp_f32 v12, v12, v13
	v_cndmask_b32_e32 v12, 0, v12, vcc_lo
	v_cmp_nlt_f32_e32 vcc_lo, 0x42b17218, v97
	s_delay_alu instid0(VALU_DEP_2) | instskip(NEXT) | instid1(VALU_DEP_1)
	v_cndmask_b32_e32 v17, 0x7f800000, v12, vcc_lo
	v_add_f32_e32 v97, 1.0, v17
	s_delay_alu instid0(VALU_DEP_1) | instskip(NEXT) | instid1(VALU_DEP_1)
	v_cvt_f64_f32_e32 v[12:13], v97
	v_frexp_exp_i32_f64_e32 v12, v[12:13]
	v_frexp_mant_f32_e32 v13, v97
	s_delay_alu instid0(VALU_DEP_1) | instskip(SKIP_1) | instid1(VALU_DEP_1)
	v_cmp_gt_f32_e32 vcc_lo, 0x3f2aaaab, v13
	v_add_f32_e32 v13, -1.0, v97
	v_sub_f32_e32 v99, v13, v97
	s_delay_alu instid0(VALU_DEP_1) | instskip(SKIP_1) | instid1(VALU_DEP_1)
	v_add_f32_e32 v99, 1.0, v99
	v_subrev_co_ci_u32_e32 v12, vcc_lo, 0, v12, vcc_lo
	v_sub_nc_u32_e32 v98, 0, v12
	v_cvt_f32_i32_e32 v12, v12
	s_delay_alu instid0(VALU_DEP_2) | instskip(NEXT) | instid1(VALU_DEP_1)
	v_ldexp_f32 v97, v97, v98
	v_add_f32_e32 v100, 1.0, v97
	v_sub_f32_e32 v13, v17, v13
	v_cmp_eq_f32_e32 vcc_lo, 0x7f800000, v17
	v_cmp_gt_f32_e64 s29, 0x33800000, v17
	s_delay_alu instid0(VALU_DEP_3) | instskip(SKIP_1) | instid1(VALU_DEP_3)
	v_add_f32_e32 v13, v13, v99
	v_add_f32_e32 v99, -1.0, v100
	s_or_b32 vcc_lo, s29, vcc_lo
	s_delay_alu instid0(VALU_DEP_2) | instskip(NEXT) | instid1(VALU_DEP_2)
	v_ldexp_f32 v13, v13, v98
	v_dual_add_f32 v98, -1.0, v97 :: v_dual_sub_f32 v99, v97, v99
	s_delay_alu instid0(VALU_DEP_1) | instskip(NEXT) | instid1(VALU_DEP_2)
	v_add_f32_e32 v101, 1.0, v98
	v_add_f32_e32 v99, v13, v99
	s_delay_alu instid0(VALU_DEP_2) | instskip(NEXT) | instid1(VALU_DEP_1)
	v_sub_f32_e32 v97, v97, v101
	v_add_f32_e32 v13, v13, v97
	s_delay_alu instid0(VALU_DEP_1) | instskip(NEXT) | instid1(VALU_DEP_1)
	v_dual_add_f32 v102, v98, v13 :: v_dual_add_f32 v101, v100, v99
	v_sub_f32_e32 v98, v98, v102
	s_delay_alu instid0(VALU_DEP_2) | instskip(NEXT) | instid1(VALU_DEP_1)
	v_rcp_f32_e32 v97, v101
	v_dual_sub_f32 v100, v100, v101 :: v_dual_add_f32 v13, v13, v98
	s_delay_alu instid0(VALU_DEP_1) | instskip(SKIP_2) | instid1(VALU_DEP_1)
	v_add_f32_e32 v99, v99, v100
	s_waitcnt_depctr 0xfff
	v_mul_f32_e32 v103, v102, v97
	v_mul_f32_e32 v104, v101, v103
	s_delay_alu instid0(VALU_DEP_1) | instskip(NEXT) | instid1(VALU_DEP_1)
	v_fma_f32 v100, v103, v101, -v104
	v_fmac_f32_e32 v100, v103, v99
	s_delay_alu instid0(VALU_DEP_1) | instskip(NEXT) | instid1(VALU_DEP_1)
	v_add_f32_e32 v105, v104, v100
	v_sub_f32_e32 v106, v102, v105
	v_sub_f32_e32 v98, v105, v104
	s_delay_alu instid0(VALU_DEP_2) | instskip(NEXT) | instid1(VALU_DEP_2)
	v_sub_f32_e32 v102, v102, v106
	v_sub_f32_e32 v98, v98, v100
	s_delay_alu instid0(VALU_DEP_2) | instskip(NEXT) | instid1(VALU_DEP_1)
	v_sub_f32_e32 v102, v102, v105
	v_add_f32_e32 v13, v13, v102
	s_delay_alu instid0(VALU_DEP_1) | instskip(NEXT) | instid1(VALU_DEP_1)
	v_add_f32_e32 v13, v98, v13
	v_add_f32_e32 v98, v106, v13
	s_delay_alu instid0(VALU_DEP_1) | instskip(NEXT) | instid1(VALU_DEP_1)
	v_mul_f32_e32 v100, v97, v98
	v_dual_sub_f32 v105, v106, v98 :: v_dual_mul_f32 v102, v101, v100
	s_delay_alu instid0(VALU_DEP_1) | instskip(NEXT) | instid1(VALU_DEP_1)
	v_fma_f32 v101, v100, v101, -v102
	v_fmac_f32_e32 v101, v100, v99
	s_delay_alu instid0(VALU_DEP_1) | instskip(NEXT) | instid1(VALU_DEP_1)
	v_add_f32_e32 v99, v102, v101
	v_dual_add_f32 v13, v13, v105 :: v_dual_sub_f32 v104, v98, v99
	s_delay_alu instid0(VALU_DEP_1) | instskip(NEXT) | instid1(VALU_DEP_1)
	v_sub_f32_e32 v98, v98, v104
	v_sub_f32_e32 v98, v98, v99
	s_delay_alu instid0(VALU_DEP_1) | instskip(SKIP_1) | instid1(VALU_DEP_1)
	v_dual_add_f32 v13, v13, v98 :: v_dual_add_f32 v98, v103, v100
	v_sub_f32_e32 v102, v99, v102
	v_sub_f32_e32 v99, v102, v101
	s_delay_alu instid0(VALU_DEP_1) | instskip(NEXT) | instid1(VALU_DEP_4)
	v_add_f32_e32 v13, v99, v13
	v_sub_f32_e32 v99, v98, v103
	s_delay_alu instid0(VALU_DEP_2) | instskip(NEXT) | instid1(VALU_DEP_2)
	v_add_f32_e32 v13, v104, v13
	v_sub_f32_e32 v99, v100, v99
	s_delay_alu instid0(VALU_DEP_2) | instskip(NEXT) | instid1(VALU_DEP_1)
	v_mul_f32_e32 v13, v97, v13
	v_add_f32_e32 v13, v99, v13
	s_delay_alu instid0(VALU_DEP_1) | instskip(NEXT) | instid1(VALU_DEP_1)
	v_add_f32_e32 v97, v98, v13
	v_mul_f32_e32 v99, v97, v97
	s_delay_alu instid0(VALU_DEP_1) | instskip(SKIP_1) | instid1(VALU_DEP_2)
	v_fmaak_f32 v100, s84, v99, 0x3ecc95a3
	v_mul_f32_e32 v101, v97, v99
	v_fmaak_f32 v99, v99, v100, 0x3f2aaada
	v_ldexp_f32 v100, v97, 1
	v_sub_f32_e32 v97, v97, v98
	s_delay_alu instid0(VALU_DEP_3) | instskip(SKIP_1) | instid1(VALU_DEP_2)
	v_mul_f32_e32 v99, v101, v99
	v_mul_f32_e32 v101, 0x3f317218, v12
	v_dual_sub_f32 v13, v13, v97 :: v_dual_add_f32 v98, v100, v99
	s_delay_alu instid0(VALU_DEP_1) | instskip(NEXT) | instid1(VALU_DEP_2)
	v_ldexp_f32 v13, v13, 1
	v_sub_f32_e32 v97, v98, v100
	s_delay_alu instid0(VALU_DEP_4) | instskip(NEXT) | instid1(VALU_DEP_1)
	v_fma_f32 v100, 0x3f317218, v12, -v101
	v_dual_sub_f32 v97, v99, v97 :: v_dual_fmac_f32 v100, 0xb102e308, v12
	s_delay_alu instid0(VALU_DEP_1) | instskip(NEXT) | instid1(VALU_DEP_2)
	v_add_f32_e32 v12, v13, v97
	v_add_f32_e32 v13, v101, v100
	s_delay_alu instid0(VALU_DEP_2) | instskip(NEXT) | instid1(VALU_DEP_2)
	v_add_f32_e32 v97, v98, v12
	v_sub_f32_e32 v101, v13, v101
	s_delay_alu instid0(VALU_DEP_2) | instskip(SKIP_1) | instid1(VALU_DEP_3)
	v_add_f32_e32 v99, v13, v97
	v_sub_f32_e32 v98, v97, v98
	v_sub_f32_e32 v100, v100, v101
	s_delay_alu instid0(VALU_DEP_3) | instskip(NEXT) | instid1(VALU_DEP_3)
	v_sub_f32_e32 v102, v99, v13
	v_sub_f32_e32 v12, v12, v98
	s_delay_alu instid0(VALU_DEP_2) | instskip(NEXT) | instid1(VALU_DEP_2)
	v_sub_f32_e32 v103, v99, v102
	v_dual_sub_f32 v97, v97, v102 :: v_dual_add_f32 v98, v100, v12
	s_delay_alu instid0(VALU_DEP_2) | instskip(NEXT) | instid1(VALU_DEP_1)
	v_sub_f32_e32 v13, v13, v103
	v_add_f32_e32 v13, v97, v13
	s_delay_alu instid0(VALU_DEP_3) | instskip(NEXT) | instid1(VALU_DEP_2)
	v_sub_f32_e32 v97, v98, v100
	v_add_f32_e32 v13, v98, v13
	s_delay_alu instid0(VALU_DEP_2) | instskip(SKIP_1) | instid1(VALU_DEP_1)
	v_sub_f32_e32 v12, v12, v97
	v_sub_f32_e32 v98, v98, v97
	v_dual_add_f32 v101, v99, v13 :: v_dual_sub_f32 v98, v100, v98
	s_delay_alu instid0(VALU_DEP_1) | instskip(NEXT) | instid1(VALU_DEP_1)
	v_dual_sub_f32 v97, v101, v99 :: v_dual_add_f32 v12, v12, v98
	v_sub_f32_e32 v13, v13, v97
	s_delay_alu instid0(VALU_DEP_1) | instskip(NEXT) | instid1(VALU_DEP_1)
	v_add_f32_e32 v12, v12, v13
	v_add_f32_e32 v12, v101, v12
	s_delay_alu instid0(VALU_DEP_1)
	v_cndmask_b32_e32 v97, v12, v17, vcc_lo
.LBB60_82:                              ;   in Loop: Header=BB60_12 Depth=1
	s_or_b32 exec_lo, exec_lo, s30
	v_lshlrev_b32_e32 v12, 16, v14
	s_delay_alu instid0(VALU_DEP_1) | instskip(NEXT) | instid1(VALU_DEP_1)
	v_add_f32_e32 v98, s67, v12
	v_cmp_ge_f32_e32 vcc_lo, 0x41a00000, v98
	s_and_b32 s29, s80, vcc_lo
	s_delay_alu instid0(SALU_CYCLE_1)
	s_and_saveexec_b32 s30, s29
	s_cbranch_execz .LBB60_84
; %bb.83:                               ;   in Loop: Header=BB60_12 Depth=1
	v_mul_f32_e32 v12, 0x3fb8aa3b, v98
	v_cmp_ngt_f32_e32 vcc_lo, 0xc2ce8ed0, v98
	s_delay_alu instid0(VALU_DEP_2) | instskip(SKIP_1) | instid1(VALU_DEP_1)
	v_rndne_f32_e32 v13, v12
	v_fma_f32 v17, 0x3fb8aa3b, v98, -v12
	v_dual_sub_f32 v12, v12, v13 :: v_dual_fmac_f32 v17, 0x32a5705f, v98
	v_cvt_i32_f32_e32 v13, v13
	s_delay_alu instid0(VALU_DEP_2) | instskip(NEXT) | instid1(VALU_DEP_1)
	v_add_f32_e32 v12, v12, v17
	v_exp_f32_e32 v12, v12
	s_waitcnt_depctr 0xfff
	v_ldexp_f32 v12, v12, v13
	s_delay_alu instid0(VALU_DEP_1) | instskip(SKIP_1) | instid1(VALU_DEP_2)
	v_cndmask_b32_e32 v12, 0, v12, vcc_lo
	v_cmp_nlt_f32_e32 vcc_lo, 0x42b17218, v98
	v_cndmask_b32_e32 v17, 0x7f800000, v12, vcc_lo
	s_delay_alu instid0(VALU_DEP_1) | instskip(NEXT) | instid1(VALU_DEP_1)
	v_add_f32_e32 v98, 1.0, v17
	v_cvt_f64_f32_e32 v[12:13], v98
	s_delay_alu instid0(VALU_DEP_1) | instskip(SKIP_1) | instid1(VALU_DEP_1)
	v_frexp_exp_i32_f64_e32 v12, v[12:13]
	v_frexp_mant_f32_e32 v13, v98
	v_cmp_gt_f32_e32 vcc_lo, 0x3f2aaaab, v13
	v_add_f32_e32 v13, -1.0, v98
	s_delay_alu instid0(VALU_DEP_1) | instskip(SKIP_2) | instid1(VALU_DEP_3)
	v_sub_f32_e32 v100, v13, v98
	v_sub_f32_e32 v13, v17, v13
	v_cmp_gt_f32_e64 s29, 0x33800000, v17
	v_add_f32_e32 v100, 1.0, v100
	s_delay_alu instid0(VALU_DEP_1) | instskip(SKIP_2) | instid1(VALU_DEP_2)
	v_add_f32_e32 v13, v13, v100
	v_subrev_co_ci_u32_e32 v12, vcc_lo, 0, v12, vcc_lo
	v_cmp_eq_f32_e32 vcc_lo, 0x7f800000, v17
	v_sub_nc_u32_e32 v99, 0, v12
	v_cvt_f32_i32_e32 v12, v12
	s_or_b32 vcc_lo, s29, vcc_lo
	s_delay_alu instid0(VALU_DEP_2) | instskip(SKIP_1) | instid1(VALU_DEP_2)
	v_ldexp_f32 v98, v98, v99
	v_ldexp_f32 v13, v13, v99
	v_add_f32_e32 v99, -1.0, v98
	s_delay_alu instid0(VALU_DEP_1) | instskip(NEXT) | instid1(VALU_DEP_1)
	v_dual_add_f32 v101, 1.0, v98 :: v_dual_add_f32 v102, 1.0, v99
	v_add_f32_e32 v100, -1.0, v101
	s_delay_alu instid0(VALU_DEP_1) | instskip(NEXT) | instid1(VALU_DEP_3)
	v_sub_f32_e32 v100, v98, v100
	v_sub_f32_e32 v98, v98, v102
	s_delay_alu instid0(VALU_DEP_2) | instskip(NEXT) | instid1(VALU_DEP_2)
	v_add_f32_e32 v100, v13, v100
	v_add_f32_e32 v13, v13, v98
	s_delay_alu instid0(VALU_DEP_1) | instskip(NEXT) | instid1(VALU_DEP_1)
	v_dual_add_f32 v103, v99, v13 :: v_dual_add_f32 v102, v101, v100
	v_sub_f32_e32 v99, v99, v103
	s_delay_alu instid0(VALU_DEP_2) | instskip(SKIP_1) | instid1(VALU_DEP_1)
	v_rcp_f32_e32 v98, v102
	v_sub_f32_e32 v101, v101, v102
	v_dual_add_f32 v13, v13, v99 :: v_dual_add_f32 v100, v100, v101
	s_waitcnt_depctr 0xfff
	v_mul_f32_e32 v104, v103, v98
	s_delay_alu instid0(VALU_DEP_1) | instskip(NEXT) | instid1(VALU_DEP_1)
	v_mul_f32_e32 v105, v102, v104
	v_fma_f32 v101, v104, v102, -v105
	s_delay_alu instid0(VALU_DEP_1) | instskip(NEXT) | instid1(VALU_DEP_1)
	v_fmac_f32_e32 v101, v104, v100
	v_add_f32_e32 v106, v105, v101
	s_delay_alu instid0(VALU_DEP_1) | instskip(SKIP_1) | instid1(VALU_DEP_2)
	v_sub_f32_e32 v107, v103, v106
	v_sub_f32_e32 v99, v106, v105
	v_sub_f32_e32 v103, v103, v107
	s_delay_alu instid0(VALU_DEP_2) | instskip(NEXT) | instid1(VALU_DEP_2)
	v_sub_f32_e32 v99, v99, v101
	v_sub_f32_e32 v103, v103, v106
	s_delay_alu instid0(VALU_DEP_1) | instskip(NEXT) | instid1(VALU_DEP_1)
	v_add_f32_e32 v13, v13, v103
	v_add_f32_e32 v13, v99, v13
	s_delay_alu instid0(VALU_DEP_1) | instskip(NEXT) | instid1(VALU_DEP_1)
	v_add_f32_e32 v99, v107, v13
	v_mul_f32_e32 v101, v98, v99
	s_delay_alu instid0(VALU_DEP_1) | instskip(NEXT) | instid1(VALU_DEP_1)
	v_dual_sub_f32 v106, v107, v99 :: v_dual_mul_f32 v103, v102, v101
	v_add_f32_e32 v13, v13, v106
	s_delay_alu instid0(VALU_DEP_2) | instskip(NEXT) | instid1(VALU_DEP_1)
	v_fma_f32 v102, v101, v102, -v103
	v_fmac_f32_e32 v102, v101, v100
	s_delay_alu instid0(VALU_DEP_1) | instskip(NEXT) | instid1(VALU_DEP_1)
	v_add_f32_e32 v100, v103, v102
	v_sub_f32_e32 v105, v99, v100
	s_delay_alu instid0(VALU_DEP_1) | instskip(NEXT) | instid1(VALU_DEP_1)
	v_sub_f32_e32 v99, v99, v105
	v_sub_f32_e32 v99, v99, v100
	s_delay_alu instid0(VALU_DEP_1) | instskip(SKIP_2) | instid1(VALU_DEP_1)
	v_add_f32_e32 v13, v13, v99
	v_add_f32_e32 v99, v104, v101
	v_sub_f32_e32 v103, v100, v103
	v_sub_f32_e32 v100, v103, v102
	s_delay_alu instid0(VALU_DEP_1) | instskip(NEXT) | instid1(VALU_DEP_1)
	v_dual_add_f32 v13, v100, v13 :: v_dual_sub_f32 v100, v99, v104
	v_add_f32_e32 v13, v105, v13
	s_delay_alu instid0(VALU_DEP_1) | instskip(NEXT) | instid1(VALU_DEP_1)
	v_dual_sub_f32 v100, v101, v100 :: v_dual_mul_f32 v13, v98, v13
	v_add_f32_e32 v13, v100, v13
	s_delay_alu instid0(VALU_DEP_1) | instskip(NEXT) | instid1(VALU_DEP_1)
	v_add_f32_e32 v98, v99, v13
	v_mul_f32_e32 v100, v98, v98
	s_delay_alu instid0(VALU_DEP_1) | instskip(SKIP_1) | instid1(VALU_DEP_2)
	v_fmaak_f32 v101, s84, v100, 0x3ecc95a3
	v_mul_f32_e32 v102, v98, v100
	v_fmaak_f32 v100, v100, v101, 0x3f2aaada
	v_ldexp_f32 v101, v98, 1
	v_sub_f32_e32 v98, v98, v99
	s_delay_alu instid0(VALU_DEP_3) | instskip(NEXT) | instid1(VALU_DEP_2)
	v_mul_f32_e32 v100, v102, v100
	v_dual_mul_f32 v102, 0x3f317218, v12 :: v_dual_sub_f32 v13, v13, v98
	s_delay_alu instid0(VALU_DEP_2) | instskip(NEXT) | instid1(VALU_DEP_2)
	v_add_f32_e32 v99, v101, v100
	v_ldexp_f32 v13, v13, 1
	s_delay_alu instid0(VALU_DEP_2) | instskip(NEXT) | instid1(VALU_DEP_4)
	v_sub_f32_e32 v98, v99, v101
	v_fma_f32 v101, 0x3f317218, v12, -v102
	s_delay_alu instid0(VALU_DEP_1) | instskip(NEXT) | instid1(VALU_DEP_1)
	v_dual_sub_f32 v98, v100, v98 :: v_dual_fmac_f32 v101, 0xb102e308, v12
	v_add_f32_e32 v12, v13, v98
	s_delay_alu instid0(VALU_DEP_1) | instskip(NEXT) | instid1(VALU_DEP_1)
	v_add_f32_e32 v98, v99, v12
	v_sub_f32_e32 v99, v98, v99
	s_delay_alu instid0(VALU_DEP_1) | instskip(NEXT) | instid1(VALU_DEP_1)
	v_dual_sub_f32 v12, v12, v99 :: v_dual_add_f32 v13, v102, v101
	v_add_f32_e32 v100, v13, v98
	s_delay_alu instid0(VALU_DEP_1) | instskip(NEXT) | instid1(VALU_DEP_1)
	v_dual_sub_f32 v102, v13, v102 :: v_dual_sub_f32 v103, v100, v13
	v_dual_sub_f32 v101, v101, v102 :: v_dual_sub_f32 v104, v100, v103
	s_delay_alu instid0(VALU_DEP_1) | instskip(NEXT) | instid1(VALU_DEP_2)
	v_dual_sub_f32 v98, v98, v103 :: v_dual_add_f32 v99, v101, v12
	v_sub_f32_e32 v13, v13, v104
	s_delay_alu instid0(VALU_DEP_1) | instskip(NEXT) | instid1(VALU_DEP_3)
	v_add_f32_e32 v13, v98, v13
	v_sub_f32_e32 v98, v99, v101
	s_delay_alu instid0(VALU_DEP_2) | instskip(NEXT) | instid1(VALU_DEP_2)
	v_add_f32_e32 v13, v99, v13
	v_sub_f32_e32 v99, v99, v98
	v_sub_f32_e32 v12, v12, v98
	s_delay_alu instid0(VALU_DEP_2) | instskip(NEXT) | instid1(VALU_DEP_1)
	v_dual_add_f32 v102, v100, v13 :: v_dual_sub_f32 v99, v101, v99
	v_sub_f32_e32 v98, v102, v100
	s_delay_alu instid0(VALU_DEP_1) | instskip(NEXT) | instid1(VALU_DEP_1)
	v_dual_add_f32 v12, v12, v99 :: v_dual_sub_f32 v13, v13, v98
	v_add_f32_e32 v12, v12, v13
	s_delay_alu instid0(VALU_DEP_1) | instskip(NEXT) | instid1(VALU_DEP_1)
	v_add_f32_e32 v12, v102, v12
	v_cndmask_b32_e32 v98, v12, v17, vcc_lo
.LBB60_84:                              ;   in Loop: Header=BB60_12 Depth=1
	s_or_b32 exec_lo, exec_lo, s30
	v_and_b32_e32 v12, 0xffff0000, v14
	s_delay_alu instid0(VALU_DEP_1) | instskip(NEXT) | instid1(VALU_DEP_1)
	v_add_f32_e32 v99, s67, v12
	v_cmp_ge_f32_e32 vcc_lo, 0x41a00000, v99
	s_and_b32 s29, s80, vcc_lo
	s_delay_alu instid0(SALU_CYCLE_1)
	s_and_saveexec_b32 s30, s29
	s_cbranch_execz .LBB60_86
; %bb.85:                               ;   in Loop: Header=BB60_12 Depth=1
	v_mul_f32_e32 v12, 0x3fb8aa3b, v99
	v_cmp_ngt_f32_e32 vcc_lo, 0xc2ce8ed0, v99
	s_delay_alu instid0(VALU_DEP_2) | instskip(SKIP_1) | instid1(VALU_DEP_2)
	v_rndne_f32_e32 v13, v12
	v_fma_f32 v14, 0x3fb8aa3b, v99, -v12
	v_sub_f32_e32 v12, v12, v13
	s_delay_alu instid0(VALU_DEP_2) | instskip(SKIP_1) | instid1(VALU_DEP_2)
	v_fmac_f32_e32 v14, 0x32a5705f, v99
	v_cvt_i32_f32_e32 v13, v13
	v_add_f32_e32 v12, v12, v14
	s_delay_alu instid0(VALU_DEP_1) | instskip(SKIP_2) | instid1(VALU_DEP_1)
	v_exp_f32_e32 v12, v12
	s_waitcnt_depctr 0xfff
	v_ldexp_f32 v12, v12, v13
	v_cndmask_b32_e32 v12, 0, v12, vcc_lo
	v_cmp_nlt_f32_e32 vcc_lo, 0x42b17218, v99
	s_delay_alu instid0(VALU_DEP_2) | instskip(NEXT) | instid1(VALU_DEP_1)
	v_cndmask_b32_e32 v14, 0x7f800000, v12, vcc_lo
	v_add_f32_e32 v17, 1.0, v14
	s_delay_alu instid0(VALU_DEP_1) | instskip(NEXT) | instid1(VALU_DEP_1)
	v_cvt_f64_f32_e32 v[12:13], v17
	v_frexp_exp_i32_f64_e32 v12, v[12:13]
	v_frexp_mant_f32_e32 v13, v17
	s_delay_alu instid0(VALU_DEP_1) | instskip(SKIP_1) | instid1(VALU_DEP_1)
	v_cmp_gt_f32_e32 vcc_lo, 0x3f2aaaab, v13
	v_add_f32_e32 v13, -1.0, v17
	v_sub_f32_e32 v100, v13, v17
	v_sub_f32_e32 v13, v14, v13
	v_subrev_co_ci_u32_e32 v12, vcc_lo, 0, v12, vcc_lo
	s_delay_alu instid0(VALU_DEP_1) | instskip(SKIP_1) | instid1(VALU_DEP_2)
	v_sub_nc_u32_e32 v99, 0, v12
	v_cvt_f32_i32_e32 v12, v12
	v_ldexp_f32 v17, v17, v99
	s_delay_alu instid0(VALU_DEP_1) | instskip(NEXT) | instid1(VALU_DEP_1)
	v_dual_add_f32 v100, 1.0, v100 :: v_dual_add_f32 v101, 1.0, v17
	v_dual_add_f32 v13, v13, v100 :: v_dual_add_f32 v100, -1.0, v101
	s_delay_alu instid0(VALU_DEP_1) | instskip(SKIP_4) | instid1(VALU_DEP_4)
	v_ldexp_f32 v13, v13, v99
	v_add_f32_e32 v99, -1.0, v17
	v_cmp_eq_f32_e32 vcc_lo, 0x7f800000, v14
	v_cmp_gt_f32_e64 s29, 0x33800000, v14
	v_sub_f32_e32 v100, v17, v100
	v_add_f32_e32 v102, 1.0, v99
	s_delay_alu instid0(VALU_DEP_3) | instskip(NEXT) | instid1(VALU_DEP_2)
	s_or_b32 vcc_lo, s29, vcc_lo
	v_add_f32_e32 v100, v13, v100
	s_delay_alu instid0(VALU_DEP_2) | instskip(NEXT) | instid1(VALU_DEP_1)
	v_sub_f32_e32 v17, v17, v102
	v_add_f32_e32 v13, v13, v17
	s_delay_alu instid0(VALU_DEP_1) | instskip(NEXT) | instid1(VALU_DEP_1)
	v_dual_add_f32 v103, v99, v13 :: v_dual_add_f32 v102, v101, v100
	v_sub_f32_e32 v99, v99, v103
	s_delay_alu instid0(VALU_DEP_2) | instskip(SKIP_1) | instid1(VALU_DEP_1)
	v_rcp_f32_e32 v17, v102
	v_sub_f32_e32 v101, v101, v102
	v_dual_add_f32 v13, v13, v99 :: v_dual_add_f32 v100, v100, v101
	s_waitcnt_depctr 0xfff
	v_mul_f32_e32 v104, v103, v17
	s_delay_alu instid0(VALU_DEP_1) | instskip(NEXT) | instid1(VALU_DEP_1)
	v_mul_f32_e32 v105, v102, v104
	v_fma_f32 v101, v104, v102, -v105
	s_delay_alu instid0(VALU_DEP_1) | instskip(NEXT) | instid1(VALU_DEP_1)
	v_fmac_f32_e32 v101, v104, v100
	v_add_f32_e32 v106, v105, v101
	s_delay_alu instid0(VALU_DEP_1) | instskip(NEXT) | instid1(VALU_DEP_1)
	v_sub_f32_e32 v107, v103, v106
	v_sub_f32_e32 v103, v103, v107
	;; [unrolled: 1-line block ×3, first 2 shown]
	s_delay_alu instid0(VALU_DEP_2) | instskip(NEXT) | instid1(VALU_DEP_2)
	v_sub_f32_e32 v103, v103, v106
	v_sub_f32_e32 v99, v99, v101
	s_delay_alu instid0(VALU_DEP_2) | instskip(NEXT) | instid1(VALU_DEP_1)
	v_add_f32_e32 v13, v13, v103
	v_add_f32_e32 v13, v99, v13
	s_delay_alu instid0(VALU_DEP_1) | instskip(NEXT) | instid1(VALU_DEP_1)
	v_add_f32_e32 v99, v107, v13
	v_mul_f32_e32 v101, v17, v99
	s_delay_alu instid0(VALU_DEP_1) | instskip(NEXT) | instid1(VALU_DEP_1)
	v_dual_sub_f32 v106, v107, v99 :: v_dual_mul_f32 v103, v102, v101
	v_add_f32_e32 v13, v13, v106
	s_delay_alu instid0(VALU_DEP_2) | instskip(NEXT) | instid1(VALU_DEP_1)
	v_fma_f32 v102, v101, v102, -v103
	v_fmac_f32_e32 v102, v101, v100
	s_delay_alu instid0(VALU_DEP_1) | instskip(NEXT) | instid1(VALU_DEP_1)
	v_add_f32_e32 v100, v103, v102
	v_sub_f32_e32 v105, v99, v100
	v_sub_f32_e32 v103, v100, v103
	s_delay_alu instid0(VALU_DEP_2) | instskip(NEXT) | instid1(VALU_DEP_1)
	v_sub_f32_e32 v99, v99, v105
	v_sub_f32_e32 v99, v99, v100
	s_delay_alu instid0(VALU_DEP_1) | instskip(SKIP_1) | instid1(VALU_DEP_1)
	v_dual_sub_f32 v100, v103, v102 :: v_dual_add_f32 v13, v13, v99
	v_add_f32_e32 v99, v104, v101
	v_dual_add_f32 v13, v100, v13 :: v_dual_sub_f32 v100, v99, v104
	s_delay_alu instid0(VALU_DEP_1) | instskip(NEXT) | instid1(VALU_DEP_2)
	v_add_f32_e32 v13, v105, v13
	v_sub_f32_e32 v100, v101, v100
	s_delay_alu instid0(VALU_DEP_2) | instskip(NEXT) | instid1(VALU_DEP_1)
	v_mul_f32_e32 v13, v17, v13
	v_add_f32_e32 v13, v100, v13
	s_delay_alu instid0(VALU_DEP_1) | instskip(NEXT) | instid1(VALU_DEP_1)
	v_add_f32_e32 v17, v99, v13
	v_mul_f32_e32 v100, v17, v17
	s_delay_alu instid0(VALU_DEP_1) | instskip(SKIP_1) | instid1(VALU_DEP_2)
	v_fmaak_f32 v101, s84, v100, 0x3ecc95a3
	v_mul_f32_e32 v102, v17, v100
	v_fmaak_f32 v100, v100, v101, 0x3f2aaada
	v_ldexp_f32 v101, v17, 1
	s_delay_alu instid0(VALU_DEP_2) | instskip(NEXT) | instid1(VALU_DEP_1)
	v_dual_sub_f32 v17, v17, v99 :: v_dual_mul_f32 v100, v102, v100
	v_dual_mul_f32 v102, 0x3f317218, v12 :: v_dual_sub_f32 v13, v13, v17
	s_delay_alu instid0(VALU_DEP_2) | instskip(NEXT) | instid1(VALU_DEP_2)
	v_add_f32_e32 v99, v101, v100
	v_ldexp_f32 v13, v13, 1
	s_delay_alu instid0(VALU_DEP_2) | instskip(NEXT) | instid1(VALU_DEP_4)
	v_sub_f32_e32 v17, v99, v101
	v_fma_f32 v101, 0x3f317218, v12, -v102
	s_delay_alu instid0(VALU_DEP_2) | instskip(NEXT) | instid1(VALU_DEP_1)
	v_sub_f32_e32 v17, v100, v17
	v_dual_fmac_f32 v101, 0xb102e308, v12 :: v_dual_add_f32 v12, v13, v17
	s_delay_alu instid0(VALU_DEP_1) | instskip(NEXT) | instid1(VALU_DEP_1)
	v_add_f32_e32 v13, v102, v101
	v_dual_add_f32 v17, v99, v12 :: v_dual_sub_f32 v102, v13, v102
	s_delay_alu instid0(VALU_DEP_1) | instskip(SKIP_1) | instid1(VALU_DEP_3)
	v_add_f32_e32 v100, v13, v17
	v_sub_f32_e32 v99, v17, v99
	v_sub_f32_e32 v101, v101, v102
	s_delay_alu instid0(VALU_DEP_3) | instskip(NEXT) | instid1(VALU_DEP_3)
	v_sub_f32_e32 v103, v100, v13
	v_sub_f32_e32 v12, v12, v99
	s_delay_alu instid0(VALU_DEP_2) | instskip(SKIP_1) | instid1(VALU_DEP_3)
	v_sub_f32_e32 v104, v100, v103
	v_sub_f32_e32 v17, v17, v103
	v_add_f32_e32 v99, v101, v12
	s_delay_alu instid0(VALU_DEP_3) | instskip(NEXT) | instid1(VALU_DEP_1)
	v_sub_f32_e32 v13, v13, v104
	v_add_f32_e32 v13, v17, v13
	s_delay_alu instid0(VALU_DEP_3) | instskip(NEXT) | instid1(VALU_DEP_2)
	v_sub_f32_e32 v17, v99, v101
	v_add_f32_e32 v13, v99, v13
	s_delay_alu instid0(VALU_DEP_2) | instskip(SKIP_1) | instid1(VALU_DEP_2)
	v_sub_f32_e32 v99, v99, v17
	v_sub_f32_e32 v12, v12, v17
	v_dual_add_f32 v102, v100, v13 :: v_dual_sub_f32 v99, v101, v99
	s_delay_alu instid0(VALU_DEP_1) | instskip(NEXT) | instid1(VALU_DEP_1)
	v_dual_sub_f32 v17, v102, v100 :: v_dual_add_f32 v12, v12, v99
	v_sub_f32_e32 v13, v13, v17
	s_delay_alu instid0(VALU_DEP_1) | instskip(NEXT) | instid1(VALU_DEP_1)
	v_add_f32_e32 v12, v12, v13
	v_add_f32_e32 v12, v102, v12
	s_delay_alu instid0(VALU_DEP_1)
	v_cndmask_b32_e32 v99, v12, v14, vcc_lo
.LBB60_86:                              ;   in Loop: Header=BB60_12 Depth=1
	s_or_b32 exec_lo, exec_lo, s30
	v_lshlrev_b32_e32 v12, 16, v15
	s_delay_alu instid0(VALU_DEP_1) | instskip(NEXT) | instid1(VALU_DEP_1)
	v_add_f32_e32 v100, s67, v12
	v_cmp_ge_f32_e32 vcc_lo, 0x41a00000, v100
	s_and_b32 s29, s80, vcc_lo
	s_delay_alu instid0(SALU_CYCLE_1)
	s_and_saveexec_b32 s30, s29
	s_cbranch_execz .LBB60_88
; %bb.87:                               ;   in Loop: Header=BB60_12 Depth=1
	v_mul_f32_e32 v12, 0x3fb8aa3b, v100
	v_cmp_ngt_f32_e32 vcc_lo, 0xc2ce8ed0, v100
	s_delay_alu instid0(VALU_DEP_2) | instskip(SKIP_1) | instid1(VALU_DEP_2)
	v_rndne_f32_e32 v13, v12
	v_fma_f32 v14, 0x3fb8aa3b, v100, -v12
	v_sub_f32_e32 v12, v12, v13
	s_delay_alu instid0(VALU_DEP_2) | instskip(SKIP_1) | instid1(VALU_DEP_2)
	v_fmac_f32_e32 v14, 0x32a5705f, v100
	v_cvt_i32_f32_e32 v13, v13
	v_add_f32_e32 v12, v12, v14
	s_delay_alu instid0(VALU_DEP_1) | instskip(SKIP_2) | instid1(VALU_DEP_1)
	v_exp_f32_e32 v12, v12
	s_waitcnt_depctr 0xfff
	v_ldexp_f32 v12, v12, v13
	v_cndmask_b32_e32 v12, 0, v12, vcc_lo
	v_cmp_nlt_f32_e32 vcc_lo, 0x42b17218, v100
	s_delay_alu instid0(VALU_DEP_2) | instskip(NEXT) | instid1(VALU_DEP_1)
	v_cndmask_b32_e32 v14, 0x7f800000, v12, vcc_lo
	v_add_f32_e32 v17, 1.0, v14
	s_delay_alu instid0(VALU_DEP_1) | instskip(NEXT) | instid1(VALU_DEP_1)
	v_cvt_f64_f32_e32 v[12:13], v17
	v_frexp_exp_i32_f64_e32 v12, v[12:13]
	v_frexp_mant_f32_e32 v13, v17
	s_delay_alu instid0(VALU_DEP_1) | instskip(SKIP_1) | instid1(VALU_DEP_1)
	v_cmp_gt_f32_e32 vcc_lo, 0x3f2aaaab, v13
	v_add_f32_e32 v13, -1.0, v17
	v_sub_f32_e32 v101, v13, v17
	s_delay_alu instid0(VALU_DEP_1) | instskip(SKIP_2) | instid1(VALU_DEP_2)
	v_add_f32_e32 v101, 1.0, v101
	v_sub_f32_e32 v13, v14, v13
	v_cmp_gt_f32_e64 s29, 0x33800000, v14
	v_add_f32_e32 v13, v13, v101
	v_subrev_co_ci_u32_e32 v12, vcc_lo, 0, v12, vcc_lo
	v_cmp_eq_f32_e32 vcc_lo, 0x7f800000, v14
	s_delay_alu instid0(VALU_DEP_2) | instskip(SKIP_2) | instid1(VALU_DEP_2)
	v_sub_nc_u32_e32 v100, 0, v12
	v_cvt_f32_i32_e32 v12, v12
	s_or_b32 vcc_lo, s29, vcc_lo
	v_ldexp_f32 v17, v17, v100
	v_ldexp_f32 v13, v13, v100
	s_delay_alu instid0(VALU_DEP_2) | instskip(NEXT) | instid1(VALU_DEP_1)
	v_add_f32_e32 v100, -1.0, v17
	v_dual_add_f32 v102, 1.0, v17 :: v_dual_add_f32 v103, 1.0, v100
	s_delay_alu instid0(VALU_DEP_1) | instskip(NEXT) | instid1(VALU_DEP_1)
	v_add_f32_e32 v101, -1.0, v102
	v_sub_f32_e32 v101, v17, v101
	s_delay_alu instid0(VALU_DEP_3) | instskip(NEXT) | instid1(VALU_DEP_2)
	v_sub_f32_e32 v17, v17, v103
	v_add_f32_e32 v101, v13, v101
	s_delay_alu instid0(VALU_DEP_2) | instskip(NEXT) | instid1(VALU_DEP_1)
	v_add_f32_e32 v13, v13, v17
	v_add_f32_e32 v104, v100, v13
	s_delay_alu instid0(VALU_DEP_1) | instskip(NEXT) | instid1(VALU_DEP_1)
	v_dual_sub_f32 v100, v100, v104 :: v_dual_add_f32 v103, v102, v101
	v_add_f32_e32 v13, v13, v100
	s_delay_alu instid0(VALU_DEP_2) | instskip(SKIP_1) | instid1(VALU_DEP_1)
	v_rcp_f32_e32 v17, v103
	v_sub_f32_e32 v102, v102, v103
	v_add_f32_e32 v101, v101, v102
	s_waitcnt_depctr 0xfff
	v_mul_f32_e32 v105, v104, v17
	s_delay_alu instid0(VALU_DEP_1) | instskip(NEXT) | instid1(VALU_DEP_1)
	v_mul_f32_e32 v106, v103, v105
	v_fma_f32 v102, v105, v103, -v106
	s_delay_alu instid0(VALU_DEP_1) | instskip(NEXT) | instid1(VALU_DEP_1)
	v_fmac_f32_e32 v102, v105, v101
	v_add_f32_e32 v107, v106, v102
	s_delay_alu instid0(VALU_DEP_1) | instskip(SKIP_1) | instid1(VALU_DEP_2)
	v_sub_f32_e32 v108, v104, v107
	v_sub_f32_e32 v100, v107, v106
	v_sub_f32_e32 v104, v104, v108
	s_delay_alu instid0(VALU_DEP_1) | instskip(NEXT) | instid1(VALU_DEP_1)
	v_sub_f32_e32 v104, v104, v107
	v_dual_sub_f32 v100, v100, v102 :: v_dual_add_f32 v13, v13, v104
	s_delay_alu instid0(VALU_DEP_1) | instskip(NEXT) | instid1(VALU_DEP_1)
	v_add_f32_e32 v13, v100, v13
	v_add_f32_e32 v100, v108, v13
	s_delay_alu instid0(VALU_DEP_1) | instskip(NEXT) | instid1(VALU_DEP_1)
	v_mul_f32_e32 v102, v17, v100
	v_dual_sub_f32 v107, v108, v100 :: v_dual_mul_f32 v104, v103, v102
	s_delay_alu instid0(VALU_DEP_1) | instskip(NEXT) | instid1(VALU_DEP_2)
	v_add_f32_e32 v13, v13, v107
	v_fma_f32 v103, v102, v103, -v104
	s_delay_alu instid0(VALU_DEP_1) | instskip(NEXT) | instid1(VALU_DEP_1)
	v_fmac_f32_e32 v103, v102, v101
	v_add_f32_e32 v101, v104, v103
	s_delay_alu instid0(VALU_DEP_1) | instskip(NEXT) | instid1(VALU_DEP_1)
	v_sub_f32_e32 v106, v100, v101
	v_sub_f32_e32 v100, v100, v106
	s_delay_alu instid0(VALU_DEP_1) | instskip(NEXT) | instid1(VALU_DEP_1)
	v_sub_f32_e32 v100, v100, v101
	v_add_f32_e32 v13, v13, v100
	v_add_f32_e32 v100, v105, v102
	v_sub_f32_e32 v104, v101, v104
	s_delay_alu instid0(VALU_DEP_1) | instskip(NEXT) | instid1(VALU_DEP_1)
	v_sub_f32_e32 v101, v104, v103
	v_add_f32_e32 v13, v101, v13
	s_delay_alu instid0(VALU_DEP_4) | instskip(NEXT) | instid1(VALU_DEP_2)
	v_sub_f32_e32 v101, v100, v105
	v_add_f32_e32 v13, v106, v13
	s_delay_alu instid0(VALU_DEP_2) | instskip(NEXT) | instid1(VALU_DEP_2)
	v_sub_f32_e32 v101, v102, v101
	v_mul_f32_e32 v13, v17, v13
	s_delay_alu instid0(VALU_DEP_1) | instskip(NEXT) | instid1(VALU_DEP_1)
	v_add_f32_e32 v13, v101, v13
	v_add_f32_e32 v17, v100, v13
	s_delay_alu instid0(VALU_DEP_1) | instskip(NEXT) | instid1(VALU_DEP_1)
	v_mul_f32_e32 v101, v17, v17
	v_fmaak_f32 v102, s84, v101, 0x3ecc95a3
	v_mul_f32_e32 v103, v17, v101
	s_delay_alu instid0(VALU_DEP_2) | instskip(SKIP_1) | instid1(VALU_DEP_2)
	v_fmaak_f32 v101, v101, v102, 0x3f2aaada
	v_ldexp_f32 v102, v17, 1
	v_mul_f32_e32 v101, v103, v101
	s_delay_alu instid0(VALU_DEP_1) | instskip(NEXT) | instid1(VALU_DEP_1)
	v_dual_sub_f32 v17, v17, v100 :: v_dual_add_f32 v100, v102, v101
	v_sub_f32_e32 v13, v13, v17
	s_delay_alu instid0(VALU_DEP_2) | instskip(NEXT) | instid1(VALU_DEP_2)
	v_sub_f32_e32 v17, v100, v102
	v_ldexp_f32 v13, v13, 1
	s_delay_alu instid0(VALU_DEP_2) | instskip(SKIP_1) | instid1(VALU_DEP_1)
	v_sub_f32_e32 v17, v101, v17
	v_mul_f32_e32 v103, 0x3f317218, v12
	v_fma_f32 v102, 0x3f317218, v12, -v103
	s_delay_alu instid0(VALU_DEP_1) | instskip(NEXT) | instid1(VALU_DEP_1)
	v_fmac_f32_e32 v102, 0xb102e308, v12
	v_dual_add_f32 v12, v13, v17 :: v_dual_add_f32 v13, v103, v102
	s_delay_alu instid0(VALU_DEP_1) | instskip(NEXT) | instid1(VALU_DEP_1)
	v_add_f32_e32 v17, v100, v12
	v_add_f32_e32 v101, v13, v17
	v_sub_f32_e32 v100, v17, v100
	s_delay_alu instid0(VALU_DEP_2) | instskip(NEXT) | instid1(VALU_DEP_2)
	v_sub_f32_e32 v104, v101, v13
	v_dual_sub_f32 v12, v12, v100 :: v_dual_sub_f32 v103, v13, v103
	s_delay_alu instid0(VALU_DEP_2) | instskip(NEXT) | instid1(VALU_DEP_2)
	v_sub_f32_e32 v105, v101, v104
	v_dual_sub_f32 v17, v17, v104 :: v_dual_sub_f32 v102, v102, v103
	s_delay_alu instid0(VALU_DEP_1) | instskip(NEXT) | instid1(VALU_DEP_1)
	v_dual_sub_f32 v13, v13, v105 :: v_dual_add_f32 v100, v102, v12
	v_add_f32_e32 v13, v17, v13
	s_delay_alu instid0(VALU_DEP_2) | instskip(NEXT) | instid1(VALU_DEP_2)
	v_sub_f32_e32 v17, v100, v102
	v_add_f32_e32 v13, v100, v13
	s_delay_alu instid0(VALU_DEP_2) | instskip(SKIP_1) | instid1(VALU_DEP_2)
	v_sub_f32_e32 v100, v100, v17
	v_sub_f32_e32 v12, v12, v17
	v_dual_add_f32 v103, v101, v13 :: v_dual_sub_f32 v100, v102, v100
	s_delay_alu instid0(VALU_DEP_1) | instskip(NEXT) | instid1(VALU_DEP_1)
	v_dual_sub_f32 v17, v103, v101 :: v_dual_add_f32 v12, v12, v100
	v_sub_f32_e32 v13, v13, v17
	s_delay_alu instid0(VALU_DEP_1) | instskip(NEXT) | instid1(VALU_DEP_1)
	v_add_f32_e32 v12, v12, v13
	v_add_f32_e32 v12, v103, v12
	s_delay_alu instid0(VALU_DEP_1)
	v_cndmask_b32_e32 v100, v12, v14, vcc_lo
.LBB60_88:                              ;   in Loop: Header=BB60_12 Depth=1
	s_or_b32 exec_lo, exec_lo, s30
	v_and_b32_e32 v12, 0xffff0000, v15
	s_delay_alu instid0(VALU_DEP_1) | instskip(NEXT) | instid1(VALU_DEP_1)
	v_add_f32_e32 v105, s67, v12
	v_cmp_ge_f32_e32 vcc_lo, 0x41a00000, v105
	s_and_b32 s29, s80, vcc_lo
	s_delay_alu instid0(SALU_CYCLE_1)
	s_and_saveexec_b32 s30, s29
	s_cbranch_execz .LBB60_90
; %bb.89:                               ;   in Loop: Header=BB60_12 Depth=1
	v_mul_f32_e32 v12, 0x3fb8aa3b, v105
	v_cmp_ngt_f32_e32 vcc_lo, 0xc2ce8ed0, v105
	s_delay_alu instid0(VALU_DEP_2) | instskip(SKIP_1) | instid1(VALU_DEP_2)
	v_rndne_f32_e32 v13, v12
	v_fma_f32 v14, 0x3fb8aa3b, v105, -v12
	v_sub_f32_e32 v12, v12, v13
	s_delay_alu instid0(VALU_DEP_2) | instskip(SKIP_1) | instid1(VALU_DEP_2)
	v_fmac_f32_e32 v14, 0x32a5705f, v105
	v_cvt_i32_f32_e32 v13, v13
	v_add_f32_e32 v12, v12, v14
	s_delay_alu instid0(VALU_DEP_1) | instskip(SKIP_2) | instid1(VALU_DEP_1)
	v_exp_f32_e32 v12, v12
	s_waitcnt_depctr 0xfff
	v_ldexp_f32 v12, v12, v13
	v_cndmask_b32_e32 v12, 0, v12, vcc_lo
	v_cmp_nlt_f32_e32 vcc_lo, 0x42b17218, v105
	s_delay_alu instid0(VALU_DEP_2) | instskip(NEXT) | instid1(VALU_DEP_1)
	v_cndmask_b32_e32 v14, 0x7f800000, v12, vcc_lo
	v_add_f32_e32 v15, 1.0, v14
	s_delay_alu instid0(VALU_DEP_1) | instskip(NEXT) | instid1(VALU_DEP_1)
	v_cvt_f64_f32_e32 v[12:13], v15
	v_frexp_exp_i32_f64_e32 v12, v[12:13]
	v_frexp_mant_f32_e32 v13, v15
	s_delay_alu instid0(VALU_DEP_1) | instskip(SKIP_1) | instid1(VALU_DEP_1)
	v_cmp_gt_f32_e32 vcc_lo, 0x3f2aaaab, v13
	v_add_f32_e32 v13, -1.0, v15
	v_sub_f32_e32 v101, v13, v15
	v_sub_f32_e32 v13, v14, v13
	s_delay_alu instid0(VALU_DEP_2) | instskip(NEXT) | instid1(VALU_DEP_1)
	v_add_f32_e32 v101, 1.0, v101
	v_add_f32_e32 v13, v13, v101
	v_cmp_gt_f32_e64 s29, 0x33800000, v14
	v_subrev_co_ci_u32_e32 v12, vcc_lo, 0, v12, vcc_lo
	v_cmp_eq_f32_e32 vcc_lo, 0x7f800000, v14
	s_delay_alu instid0(VALU_DEP_2) | instskip(SKIP_2) | instid1(VALU_DEP_2)
	v_sub_nc_u32_e32 v17, 0, v12
	v_cvt_f32_i32_e32 v12, v12
	s_or_b32 vcc_lo, s29, vcc_lo
	v_ldexp_f32 v15, v15, v17
	v_ldexp_f32 v13, v13, v17
	s_delay_alu instid0(VALU_DEP_2) | instskip(SKIP_1) | instid1(VALU_DEP_2)
	v_add_f32_e32 v102, 1.0, v15
	v_add_f32_e32 v17, -1.0, v15
	v_add_f32_e32 v101, -1.0, v102
	s_delay_alu instid0(VALU_DEP_2) | instskip(NEXT) | instid1(VALU_DEP_2)
	v_add_f32_e32 v103, 1.0, v17
	v_sub_f32_e32 v101, v15, v101
	s_delay_alu instid0(VALU_DEP_2) | instskip(NEXT) | instid1(VALU_DEP_2)
	v_sub_f32_e32 v15, v15, v103
	v_add_f32_e32 v101, v13, v101
	s_delay_alu instid0(VALU_DEP_2) | instskip(NEXT) | instid1(VALU_DEP_1)
	v_add_f32_e32 v13, v13, v15
	v_add_f32_e32 v104, v17, v13
	s_delay_alu instid0(VALU_DEP_3) | instskip(NEXT) | instid1(VALU_DEP_1)
	v_add_f32_e32 v103, v102, v101
	v_rcp_f32_e32 v15, v103
	v_sub_f32_e32 v102, v102, v103
	s_delay_alu instid0(VALU_DEP_1) | instskip(SKIP_2) | instid1(VALU_DEP_1)
	v_add_f32_e32 v101, v101, v102
	s_waitcnt_depctr 0xfff
	v_mul_f32_e32 v105, v104, v15
	v_dual_mul_f32 v106, v103, v105 :: v_dual_sub_f32 v17, v17, v104
	s_delay_alu instid0(VALU_DEP_1) | instskip(NEXT) | instid1(VALU_DEP_2)
	v_fma_f32 v102, v105, v103, -v106
	v_add_f32_e32 v13, v13, v17
	s_delay_alu instid0(VALU_DEP_2) | instskip(NEXT) | instid1(VALU_DEP_1)
	v_fmac_f32_e32 v102, v105, v101
	v_add_f32_e32 v107, v106, v102
	s_delay_alu instid0(VALU_DEP_1) | instskip(NEXT) | instid1(VALU_DEP_1)
	v_dual_sub_f32 v108, v104, v107 :: v_dual_sub_f32 v17, v107, v106
	v_dual_sub_f32 v104, v104, v108 :: v_dual_sub_f32 v17, v17, v102
	s_delay_alu instid0(VALU_DEP_1) | instskip(NEXT) | instid1(VALU_DEP_1)
	v_sub_f32_e32 v104, v104, v107
	v_add_f32_e32 v13, v13, v104
	s_delay_alu instid0(VALU_DEP_1) | instskip(NEXT) | instid1(VALU_DEP_1)
	v_add_f32_e32 v13, v17, v13
	v_add_f32_e32 v17, v108, v13
	s_delay_alu instid0(VALU_DEP_1) | instskip(NEXT) | instid1(VALU_DEP_1)
	v_mul_f32_e32 v102, v15, v17
	v_dual_sub_f32 v107, v108, v17 :: v_dual_mul_f32 v104, v103, v102
	s_delay_alu instid0(VALU_DEP_1) | instskip(NEXT) | instid1(VALU_DEP_2)
	v_add_f32_e32 v13, v13, v107
	v_fma_f32 v103, v102, v103, -v104
	s_delay_alu instid0(VALU_DEP_1) | instskip(NEXT) | instid1(VALU_DEP_1)
	v_fmac_f32_e32 v103, v102, v101
	v_add_f32_e32 v101, v104, v103
	s_delay_alu instid0(VALU_DEP_1) | instskip(SKIP_1) | instid1(VALU_DEP_2)
	v_sub_f32_e32 v106, v17, v101
	v_sub_f32_e32 v104, v101, v104
	;; [unrolled: 1-line block ×3, first 2 shown]
	s_delay_alu instid0(VALU_DEP_1) | instskip(NEXT) | instid1(VALU_DEP_3)
	v_sub_f32_e32 v17, v17, v101
	v_sub_f32_e32 v101, v104, v103
	s_delay_alu instid0(VALU_DEP_2) | instskip(SKIP_1) | instid1(VALU_DEP_2)
	v_add_f32_e32 v13, v13, v17
	v_add_f32_e32 v17, v105, v102
	;; [unrolled: 1-line block ×3, first 2 shown]
	s_delay_alu instid0(VALU_DEP_2) | instskip(NEXT) | instid1(VALU_DEP_2)
	v_sub_f32_e32 v101, v17, v105
	v_add_f32_e32 v13, v106, v13
	s_delay_alu instid0(VALU_DEP_2) | instskip(NEXT) | instid1(VALU_DEP_2)
	v_sub_f32_e32 v101, v102, v101
	v_mul_f32_e32 v13, v15, v13
	s_delay_alu instid0(VALU_DEP_1) | instskip(NEXT) | instid1(VALU_DEP_1)
	v_add_f32_e32 v13, v101, v13
	v_add_f32_e32 v15, v17, v13
	s_delay_alu instid0(VALU_DEP_1) | instskip(NEXT) | instid1(VALU_DEP_1)
	v_mul_f32_e32 v101, v15, v15
	v_fmaak_f32 v102, s84, v101, 0x3ecc95a3
	v_mul_f32_e32 v103, v15, v101
	s_delay_alu instid0(VALU_DEP_2) | instskip(SKIP_2) | instid1(VALU_DEP_3)
	v_fmaak_f32 v101, v101, v102, 0x3f2aaada
	v_ldexp_f32 v102, v15, 1
	v_sub_f32_e32 v15, v15, v17
	v_mul_f32_e32 v101, v103, v101
	v_mul_f32_e32 v103, 0x3f317218, v12
	s_delay_alu instid0(VALU_DEP_3) | instskip(NEXT) | instid1(VALU_DEP_3)
	v_sub_f32_e32 v13, v13, v15
	v_add_f32_e32 v17, v102, v101
	s_delay_alu instid0(VALU_DEP_2) | instskip(NEXT) | instid1(VALU_DEP_2)
	v_ldexp_f32 v13, v13, 1
	v_sub_f32_e32 v15, v17, v102
	v_fma_f32 v102, 0x3f317218, v12, -v103
	s_delay_alu instid0(VALU_DEP_1) | instskip(NEXT) | instid1(VALU_DEP_1)
	v_dual_sub_f32 v15, v101, v15 :: v_dual_fmac_f32 v102, 0xb102e308, v12
	v_dual_add_f32 v12, v13, v15 :: v_dual_add_f32 v13, v103, v102
	s_delay_alu instid0(VALU_DEP_1) | instskip(NEXT) | instid1(VALU_DEP_1)
	v_add_f32_e32 v15, v17, v12
	v_add_f32_e32 v101, v13, v15
	v_sub_f32_e32 v17, v15, v17
	s_delay_alu instid0(VALU_DEP_2) | instskip(NEXT) | instid1(VALU_DEP_2)
	v_sub_f32_e32 v104, v101, v13
	v_dual_sub_f32 v103, v13, v103 :: v_dual_sub_f32 v12, v12, v17
	s_delay_alu instid0(VALU_DEP_1) | instskip(SKIP_1) | instid1(VALU_DEP_2)
	v_dual_sub_f32 v105, v101, v104 :: v_dual_sub_f32 v102, v102, v103
	v_sub_f32_e32 v15, v15, v104
	v_sub_f32_e32 v13, v13, v105
	s_delay_alu instid0(VALU_DEP_3) | instskip(NEXT) | instid1(VALU_DEP_2)
	v_add_f32_e32 v17, v102, v12
	v_add_f32_e32 v13, v15, v13
	s_delay_alu instid0(VALU_DEP_2) | instskip(NEXT) | instid1(VALU_DEP_2)
	v_sub_f32_e32 v15, v17, v102
	v_add_f32_e32 v13, v17, v13
	s_delay_alu instid0(VALU_DEP_2) | instskip(NEXT) | instid1(VALU_DEP_2)
	v_sub_f32_e32 v17, v17, v15
	v_dual_sub_f32 v12, v12, v15 :: v_dual_add_f32 v103, v101, v13
	s_delay_alu instid0(VALU_DEP_2) | instskip(NEXT) | instid1(VALU_DEP_2)
	v_sub_f32_e32 v17, v102, v17
	v_sub_f32_e32 v15, v103, v101
	s_delay_alu instid0(VALU_DEP_1) | instskip(NEXT) | instid1(VALU_DEP_1)
	v_dual_add_f32 v12, v12, v17 :: v_dual_sub_f32 v13, v13, v15
	v_add_f32_e32 v12, v12, v13
	s_delay_alu instid0(VALU_DEP_1) | instskip(NEXT) | instid1(VALU_DEP_1)
	v_add_f32_e32 v12, v103, v12
	v_cndmask_b32_e32 v105, v12, v14, vcc_lo
.LBB60_90:                              ;   in Loop: Header=BB60_12 Depth=1
	s_or_b32 exec_lo, exec_lo, s30
	s_waitcnt lgkmcnt(0)
	v_lshlrev_b32_e32 v12, 16, v8
	s_delay_alu instid0(VALU_DEP_1) | instskip(NEXT) | instid1(VALU_DEP_1)
	v_add_f32_e32 v108, s67, v12
	v_cmp_ge_f32_e32 vcc_lo, 0x41a00000, v108
	s_and_b32 s29, s80, vcc_lo
	s_delay_alu instid0(SALU_CYCLE_1)
	s_and_saveexec_b32 s30, s29
	s_cbranch_execz .LBB60_92
; %bb.91:                               ;   in Loop: Header=BB60_12 Depth=1
	v_mul_f32_e32 v12, 0x3fb8aa3b, v108
	v_cmp_ngt_f32_e32 vcc_lo, 0xc2ce8ed0, v108
	s_delay_alu instid0(VALU_DEP_2) | instskip(SKIP_1) | instid1(VALU_DEP_2)
	v_rndne_f32_e32 v13, v12
	v_fma_f32 v14, 0x3fb8aa3b, v108, -v12
	v_sub_f32_e32 v12, v12, v13
	s_delay_alu instid0(VALU_DEP_2) | instskip(SKIP_1) | instid1(VALU_DEP_2)
	v_fmac_f32_e32 v14, 0x32a5705f, v108
	v_cvt_i32_f32_e32 v13, v13
	v_add_f32_e32 v12, v12, v14
	s_delay_alu instid0(VALU_DEP_1) | instskip(SKIP_2) | instid1(VALU_DEP_1)
	v_exp_f32_e32 v12, v12
	s_waitcnt_depctr 0xfff
	v_ldexp_f32 v12, v12, v13
	v_cndmask_b32_e32 v12, 0, v12, vcc_lo
	v_cmp_nlt_f32_e32 vcc_lo, 0x42b17218, v108
	s_delay_alu instid0(VALU_DEP_2) | instskip(NEXT) | instid1(VALU_DEP_1)
	v_cndmask_b32_e32 v14, 0x7f800000, v12, vcc_lo
	v_add_f32_e32 v15, 1.0, v14
	s_delay_alu instid0(VALU_DEP_1) | instskip(NEXT) | instid1(VALU_DEP_1)
	v_cvt_f64_f32_e32 v[12:13], v15
	v_frexp_exp_i32_f64_e32 v12, v[12:13]
	v_frexp_mant_f32_e32 v13, v15
	s_delay_alu instid0(VALU_DEP_1) | instskip(SKIP_1) | instid1(VALU_DEP_1)
	v_cmp_gt_f32_e32 vcc_lo, 0x3f2aaaab, v13
	v_add_f32_e32 v13, -1.0, v15
	v_sub_f32_e32 v101, v13, v15
	v_sub_f32_e32 v13, v14, v13
	s_delay_alu instid0(VALU_DEP_2) | instskip(NEXT) | instid1(VALU_DEP_1)
	v_add_f32_e32 v101, 1.0, v101
	v_add_f32_e32 v13, v13, v101
	v_cmp_gt_f32_e64 s29, 0x33800000, v14
	v_subrev_co_ci_u32_e32 v12, vcc_lo, 0, v12, vcc_lo
	v_cmp_eq_f32_e32 vcc_lo, 0x7f800000, v14
	s_delay_alu instid0(VALU_DEP_2) | instskip(SKIP_2) | instid1(VALU_DEP_2)
	v_sub_nc_u32_e32 v17, 0, v12
	v_cvt_f32_i32_e32 v12, v12
	s_or_b32 vcc_lo, s29, vcc_lo
	v_ldexp_f32 v15, v15, v17
	v_ldexp_f32 v13, v13, v17
	s_delay_alu instid0(VALU_DEP_2) | instskip(SKIP_1) | instid1(VALU_DEP_2)
	v_add_f32_e32 v102, 1.0, v15
	v_add_f32_e32 v17, -1.0, v15
	v_add_f32_e32 v101, -1.0, v102
	s_delay_alu instid0(VALU_DEP_2) | instskip(NEXT) | instid1(VALU_DEP_2)
	v_add_f32_e32 v103, 1.0, v17
	v_sub_f32_e32 v101, v15, v101
	s_delay_alu instid0(VALU_DEP_2) | instskip(NEXT) | instid1(VALU_DEP_2)
	v_sub_f32_e32 v15, v15, v103
	v_add_f32_e32 v101, v13, v101
	s_delay_alu instid0(VALU_DEP_2) | instskip(NEXT) | instid1(VALU_DEP_2)
	v_add_f32_e32 v13, v13, v15
	v_add_f32_e32 v103, v102, v101
	s_delay_alu instid0(VALU_DEP_2) | instskip(NEXT) | instid1(VALU_DEP_2)
	v_add_f32_e32 v104, v17, v13
	v_rcp_f32_e32 v15, v103
	v_sub_f32_e32 v102, v102, v103
	s_waitcnt_depctr 0xfff
	v_dual_add_f32 v101, v101, v102 :: v_dual_mul_f32 v106, v104, v15
	s_delay_alu instid0(VALU_DEP_1) | instskip(NEXT) | instid1(VALU_DEP_1)
	v_mul_f32_e32 v107, v103, v106
	v_fma_f32 v102, v106, v103, -v107
	s_delay_alu instid0(VALU_DEP_1) | instskip(NEXT) | instid1(VALU_DEP_1)
	v_dual_fmac_f32 v102, v106, v101 :: v_dual_sub_f32 v17, v17, v104
	v_add_f32_e32 v108, v107, v102
	s_delay_alu instid0(VALU_DEP_1) | instskip(NEXT) | instid1(VALU_DEP_1)
	v_sub_f32_e32 v109, v104, v108
	v_sub_f32_e32 v104, v104, v109
	s_delay_alu instid0(VALU_DEP_1) | instskip(SKIP_1) | instid1(VALU_DEP_2)
	v_dual_sub_f32 v104, v104, v108 :: v_dual_add_f32 v13, v13, v17
	v_sub_f32_e32 v17, v108, v107
	v_add_f32_e32 v13, v13, v104
	s_delay_alu instid0(VALU_DEP_2) | instskip(NEXT) | instid1(VALU_DEP_1)
	v_sub_f32_e32 v17, v17, v102
	v_add_f32_e32 v13, v17, v13
	s_delay_alu instid0(VALU_DEP_1) | instskip(NEXT) | instid1(VALU_DEP_1)
	v_add_f32_e32 v17, v109, v13
	v_mul_f32_e32 v102, v15, v17
	s_delay_alu instid0(VALU_DEP_1) | instskip(SKIP_1) | instid1(VALU_DEP_2)
	v_mul_f32_e32 v104, v103, v102
	v_sub_f32_e32 v108, v109, v17
	v_fma_f32 v103, v102, v103, -v104
	s_delay_alu instid0(VALU_DEP_2) | instskip(NEXT) | instid1(VALU_DEP_2)
	v_add_f32_e32 v13, v13, v108
	v_fmac_f32_e32 v103, v102, v101
	s_delay_alu instid0(VALU_DEP_1) | instskip(NEXT) | instid1(VALU_DEP_1)
	v_add_f32_e32 v101, v104, v103
	v_sub_f32_e32 v107, v17, v101
	v_sub_f32_e32 v104, v101, v104
	s_delay_alu instid0(VALU_DEP_2) | instskip(NEXT) | instid1(VALU_DEP_1)
	v_sub_f32_e32 v17, v17, v107
	v_sub_f32_e32 v17, v17, v101
	s_delay_alu instid0(VALU_DEP_3) | instskip(NEXT) | instid1(VALU_DEP_2)
	v_sub_f32_e32 v101, v104, v103
	v_add_f32_e32 v13, v13, v17
	v_add_f32_e32 v17, v106, v102
	s_delay_alu instid0(VALU_DEP_2) | instskip(NEXT) | instid1(VALU_DEP_2)
	v_add_f32_e32 v13, v101, v13
	v_sub_f32_e32 v101, v17, v106
	s_delay_alu instid0(VALU_DEP_2) | instskip(NEXT) | instid1(VALU_DEP_2)
	v_add_f32_e32 v13, v107, v13
	v_sub_f32_e32 v101, v102, v101
	s_delay_alu instid0(VALU_DEP_2) | instskip(NEXT) | instid1(VALU_DEP_1)
	v_mul_f32_e32 v13, v15, v13
	v_add_f32_e32 v13, v101, v13
	s_delay_alu instid0(VALU_DEP_1) | instskip(NEXT) | instid1(VALU_DEP_1)
	v_add_f32_e32 v15, v17, v13
	v_mul_f32_e32 v101, v15, v15
	s_delay_alu instid0(VALU_DEP_1) | instskip(SKIP_1) | instid1(VALU_DEP_2)
	v_fmaak_f32 v102, s84, v101, 0x3ecc95a3
	v_mul_f32_e32 v103, v15, v101
	v_fmaak_f32 v101, v101, v102, 0x3f2aaada
	v_ldexp_f32 v102, v15, 1
	v_sub_f32_e32 v15, v15, v17
	s_delay_alu instid0(VALU_DEP_3) | instskip(SKIP_1) | instid1(VALU_DEP_3)
	v_mul_f32_e32 v101, v103, v101
	v_mul_f32_e32 v103, 0x3f317218, v12
	v_sub_f32_e32 v13, v13, v15
	s_delay_alu instid0(VALU_DEP_3) | instskip(NEXT) | instid1(VALU_DEP_2)
	v_add_f32_e32 v17, v102, v101
	v_ldexp_f32 v13, v13, 1
	s_delay_alu instid0(VALU_DEP_2) | instskip(SKIP_1) | instid1(VALU_DEP_1)
	v_sub_f32_e32 v15, v17, v102
	v_fma_f32 v102, 0x3f317218, v12, -v103
	v_dual_sub_f32 v15, v101, v15 :: v_dual_fmac_f32 v102, 0xb102e308, v12
	s_delay_alu instid0(VALU_DEP_1) | instskip(NEXT) | instid1(VALU_DEP_1)
	v_dual_add_f32 v12, v13, v15 :: v_dual_add_f32 v13, v103, v102
	v_add_f32_e32 v15, v17, v12
	s_delay_alu instid0(VALU_DEP_2) | instskip(NEXT) | instid1(VALU_DEP_2)
	v_sub_f32_e32 v103, v13, v103
	v_add_f32_e32 v101, v13, v15
	s_delay_alu instid0(VALU_DEP_2) | instskip(NEXT) | instid1(VALU_DEP_2)
	v_dual_sub_f32 v17, v15, v17 :: v_dual_sub_f32 v102, v102, v103
	v_sub_f32_e32 v104, v101, v13
	s_delay_alu instid0(VALU_DEP_2) | instskip(NEXT) | instid1(VALU_DEP_2)
	v_sub_f32_e32 v12, v12, v17
	v_sub_f32_e32 v106, v101, v104
	;; [unrolled: 1-line block ×3, first 2 shown]
	s_delay_alu instid0(VALU_DEP_3) | instskip(NEXT) | instid1(VALU_DEP_3)
	v_add_f32_e32 v17, v102, v12
	v_sub_f32_e32 v13, v13, v106
	s_delay_alu instid0(VALU_DEP_1) | instskip(NEXT) | instid1(VALU_DEP_3)
	v_add_f32_e32 v13, v15, v13
	v_sub_f32_e32 v15, v17, v102
	s_delay_alu instid0(VALU_DEP_2) | instskip(NEXT) | instid1(VALU_DEP_2)
	v_add_f32_e32 v13, v17, v13
	v_sub_f32_e32 v17, v17, v15
	s_delay_alu instid0(VALU_DEP_2) | instskip(NEXT) | instid1(VALU_DEP_2)
	v_dual_sub_f32 v12, v12, v15 :: v_dual_add_f32 v103, v101, v13
	v_sub_f32_e32 v17, v102, v17
	s_delay_alu instid0(VALU_DEP_2) | instskip(NEXT) | instid1(VALU_DEP_1)
	v_sub_f32_e32 v15, v103, v101
	v_dual_add_f32 v12, v12, v17 :: v_dual_sub_f32 v13, v13, v15
	s_delay_alu instid0(VALU_DEP_1) | instskip(NEXT) | instid1(VALU_DEP_1)
	v_add_f32_e32 v12, v12, v13
	v_add_f32_e32 v12, v103, v12
	s_delay_alu instid0(VALU_DEP_1)
	v_cndmask_b32_e32 v108, v12, v14, vcc_lo
.LBB60_92:                              ;   in Loop: Header=BB60_12 Depth=1
	s_or_b32 exec_lo, exec_lo, s30
	v_and_b32_e32 v8, 0xffff0000, v8
	s_delay_alu instid0(VALU_DEP_1) | instskip(NEXT) | instid1(VALU_DEP_1)
	v_add_f32_e32 v113, s67, v8
	v_cmp_ge_f32_e32 vcc_lo, 0x41a00000, v113
	s_and_b32 s29, s80, vcc_lo
	s_delay_alu instid0(SALU_CYCLE_1)
	s_and_saveexec_b32 s30, s29
	s_cbranch_execz .LBB60_94
; %bb.93:                               ;   in Loop: Header=BB60_12 Depth=1
	v_mul_f32_e32 v8, 0x3fb8aa3b, v113
	v_cmp_ngt_f32_e32 vcc_lo, 0xc2ce8ed0, v113
	s_delay_alu instid0(VALU_DEP_2) | instskip(SKIP_1) | instid1(VALU_DEP_1)
	v_rndne_f32_e32 v12, v8
	v_fma_f32 v13, 0x3fb8aa3b, v113, -v8
	v_dual_sub_f32 v8, v8, v12 :: v_dual_fmac_f32 v13, 0x32a5705f, v113
	v_cvt_i32_f32_e32 v12, v12
	s_delay_alu instid0(VALU_DEP_2) | instskip(NEXT) | instid1(VALU_DEP_1)
	v_add_f32_e32 v8, v8, v13
	v_exp_f32_e32 v8, v8
	s_waitcnt_depctr 0xfff
	v_ldexp_f32 v8, v8, v12
	s_delay_alu instid0(VALU_DEP_1) | instskip(SKIP_1) | instid1(VALU_DEP_2)
	v_cndmask_b32_e32 v8, 0, v8, vcc_lo
	v_cmp_nlt_f32_e32 vcc_lo, 0x42b17218, v113
	v_cndmask_b32_e32 v8, 0x7f800000, v8, vcc_lo
	s_delay_alu instid0(VALU_DEP_1) | instskip(NEXT) | instid1(VALU_DEP_1)
	v_add_f32_e32 v14, 1.0, v8
	v_cvt_f64_f32_e32 v[12:13], v14
	s_delay_alu instid0(VALU_DEP_1) | instskip(SKIP_1) | instid1(VALU_DEP_1)
	v_frexp_exp_i32_f64_e32 v12, v[12:13]
	v_frexp_mant_f32_e32 v13, v14
	v_cmp_gt_f32_e32 vcc_lo, 0x3f2aaaab, v13
	v_add_f32_e32 v13, -1.0, v14
	s_delay_alu instid0(VALU_DEP_1) | instskip(NEXT) | instid1(VALU_DEP_1)
	v_sub_f32_e32 v17, v13, v14
	v_add_f32_e32 v17, 1.0, v17
	v_subrev_co_ci_u32_e32 v12, vcc_lo, 0, v12, vcc_lo
	s_delay_alu instid0(VALU_DEP_1) | instskip(SKIP_1) | instid1(VALU_DEP_2)
	v_sub_nc_u32_e32 v15, 0, v12
	v_cvt_f32_i32_e32 v12, v12
	v_ldexp_f32 v14, v14, v15
	s_delay_alu instid0(VALU_DEP_1) | instskip(SKIP_3) | instid1(VALU_DEP_3)
	v_add_f32_e32 v101, 1.0, v14
	v_sub_f32_e32 v13, v8, v13
	v_cmp_eq_f32_e32 vcc_lo, 0x7f800000, v8
	v_cmp_gt_f32_e64 s29, 0x33800000, v8
	v_add_f32_e32 v13, v13, v17
	s_delay_alu instid0(VALU_DEP_2) | instskip(NEXT) | instid1(VALU_DEP_1)
	s_or_b32 vcc_lo, s29, vcc_lo
	v_ldexp_f32 v13, v13, v15
	v_add_f32_e32 v15, -1.0, v14
	s_delay_alu instid0(VALU_DEP_1) | instskip(NEXT) | instid1(VALU_DEP_1)
	v_dual_add_f32 v102, 1.0, v15 :: v_dual_add_f32 v17, -1.0, v101
	v_sub_f32_e32 v17, v14, v17
	s_delay_alu instid0(VALU_DEP_1) | instskip(NEXT) | instid1(VALU_DEP_1)
	v_dual_sub_f32 v14, v14, v102 :: v_dual_add_f32 v17, v13, v17
	v_add_f32_e32 v13, v13, v14
	s_delay_alu instid0(VALU_DEP_2) | instskip(NEXT) | instid1(VALU_DEP_2)
	v_add_f32_e32 v102, v101, v17
	v_add_f32_e32 v103, v15, v13
	s_delay_alu instid0(VALU_DEP_2) | instskip(SKIP_1) | instid1(VALU_DEP_2)
	v_rcp_f32_e32 v14, v102
	v_sub_f32_e32 v101, v101, v102
	v_sub_f32_e32 v15, v15, v103
	s_waitcnt_depctr 0xfff
	v_dual_add_f32 v13, v13, v15 :: v_dual_mul_f32 v104, v103, v14
	s_delay_alu instid0(VALU_DEP_1) | instskip(NEXT) | instid1(VALU_DEP_1)
	v_dual_mul_f32 v106, v102, v104 :: v_dual_add_f32 v17, v17, v101
	v_fma_f32 v101, v104, v102, -v106
	s_delay_alu instid0(VALU_DEP_1) | instskip(NEXT) | instid1(VALU_DEP_1)
	v_fmac_f32_e32 v101, v104, v17
	v_add_f32_e32 v107, v106, v101
	s_delay_alu instid0(VALU_DEP_1) | instskip(SKIP_1) | instid1(VALU_DEP_2)
	v_sub_f32_e32 v109, v103, v107
	v_sub_f32_e32 v15, v107, v106
	;; [unrolled: 1-line block ×3, first 2 shown]
	s_delay_alu instid0(VALU_DEP_2) | instskip(NEXT) | instid1(VALU_DEP_2)
	v_sub_f32_e32 v15, v15, v101
	v_sub_f32_e32 v103, v103, v107
	s_delay_alu instid0(VALU_DEP_1) | instskip(NEXT) | instid1(VALU_DEP_1)
	v_add_f32_e32 v13, v13, v103
	v_add_f32_e32 v13, v15, v13
	s_delay_alu instid0(VALU_DEP_1) | instskip(NEXT) | instid1(VALU_DEP_1)
	v_add_f32_e32 v15, v109, v13
	v_mul_f32_e32 v101, v14, v15
	s_delay_alu instid0(VALU_DEP_1) | instskip(NEXT) | instid1(VALU_DEP_1)
	v_mul_f32_e32 v103, v102, v101
	v_fma_f32 v102, v101, v102, -v103
	s_delay_alu instid0(VALU_DEP_1) | instskip(SKIP_1) | instid1(VALU_DEP_2)
	v_fmac_f32_e32 v102, v101, v17
	v_sub_f32_e32 v107, v109, v15
	v_add_f32_e32 v17, v103, v102
	s_delay_alu instid0(VALU_DEP_1) | instskip(SKIP_1) | instid1(VALU_DEP_2)
	v_dual_add_f32 v13, v13, v107 :: v_dual_sub_f32 v106, v15, v17
	v_sub_f32_e32 v103, v17, v103
	v_sub_f32_e32 v15, v15, v106
	s_delay_alu instid0(VALU_DEP_1) | instskip(NEXT) | instid1(VALU_DEP_3)
	v_sub_f32_e32 v15, v15, v17
	v_sub_f32_e32 v17, v103, v102
	s_delay_alu instid0(VALU_DEP_2) | instskip(SKIP_1) | instid1(VALU_DEP_2)
	v_add_f32_e32 v13, v13, v15
	v_add_f32_e32 v15, v104, v101
	;; [unrolled: 1-line block ×3, first 2 shown]
	s_delay_alu instid0(VALU_DEP_2) | instskip(NEXT) | instid1(VALU_DEP_2)
	v_sub_f32_e32 v17, v15, v104
	v_add_f32_e32 v13, v106, v13
	s_delay_alu instid0(VALU_DEP_2) | instskip(NEXT) | instid1(VALU_DEP_2)
	v_sub_f32_e32 v17, v101, v17
	v_mul_f32_e32 v13, v14, v13
	s_delay_alu instid0(VALU_DEP_1) | instskip(NEXT) | instid1(VALU_DEP_1)
	v_add_f32_e32 v13, v17, v13
	v_add_f32_e32 v14, v15, v13
	s_delay_alu instid0(VALU_DEP_1) | instskip(NEXT) | instid1(VALU_DEP_1)
	v_mul_f32_e32 v17, v14, v14
	v_fmaak_f32 v101, s84, v17, 0x3ecc95a3
	v_mul_f32_e32 v102, v14, v17
	s_delay_alu instid0(VALU_DEP_2) | instskip(SKIP_2) | instid1(VALU_DEP_3)
	v_fmaak_f32 v17, v17, v101, 0x3f2aaada
	v_ldexp_f32 v101, v14, 1
	v_sub_f32_e32 v14, v14, v15
	v_dual_mul_f32 v17, v102, v17 :: v_dual_mul_f32 v102, 0x3f317218, v12
	s_delay_alu instid0(VALU_DEP_2) | instskip(NEXT) | instid1(VALU_DEP_2)
	v_sub_f32_e32 v13, v13, v14
	v_add_f32_e32 v15, v101, v17
	s_delay_alu instid0(VALU_DEP_2) | instskip(NEXT) | instid1(VALU_DEP_2)
	v_ldexp_f32 v13, v13, 1
	v_sub_f32_e32 v14, v15, v101
	v_fma_f32 v101, 0x3f317218, v12, -v102
	s_delay_alu instid0(VALU_DEP_1) | instskip(NEXT) | instid1(VALU_DEP_1)
	v_dual_sub_f32 v14, v17, v14 :: v_dual_fmac_f32 v101, 0xb102e308, v12
	v_dual_add_f32 v12, v13, v14 :: v_dual_add_f32 v13, v102, v101
	s_delay_alu instid0(VALU_DEP_1) | instskip(NEXT) | instid1(VALU_DEP_2)
	v_add_f32_e32 v14, v15, v12
	v_sub_f32_e32 v102, v13, v102
	s_delay_alu instid0(VALU_DEP_2) | instskip(SKIP_1) | instid1(VALU_DEP_3)
	v_add_f32_e32 v17, v13, v14
	v_sub_f32_e32 v15, v14, v15
	v_sub_f32_e32 v101, v101, v102
	s_delay_alu instid0(VALU_DEP_2) | instskip(NEXT) | instid1(VALU_DEP_1)
	v_dual_sub_f32 v103, v17, v13 :: v_dual_sub_f32 v12, v12, v15
	v_sub_f32_e32 v104, v17, v103
	s_delay_alu instid0(VALU_DEP_2) | instskip(NEXT) | instid1(VALU_DEP_2)
	v_dual_sub_f32 v14, v14, v103 :: v_dual_add_f32 v15, v101, v12
	v_sub_f32_e32 v13, v13, v104
	s_delay_alu instid0(VALU_DEP_1) | instskip(NEXT) | instid1(VALU_DEP_3)
	v_add_f32_e32 v13, v14, v13
	v_sub_f32_e32 v14, v15, v101
	s_delay_alu instid0(VALU_DEP_2) | instskip(NEXT) | instid1(VALU_DEP_2)
	v_add_f32_e32 v13, v15, v13
	v_sub_f32_e32 v15, v15, v14
	v_sub_f32_e32 v12, v12, v14
	s_delay_alu instid0(VALU_DEP_3) | instskip(NEXT) | instid1(VALU_DEP_1)
	v_add_f32_e32 v102, v17, v13
	v_dual_sub_f32 v15, v101, v15 :: v_dual_sub_f32 v14, v102, v17
	s_delay_alu instid0(VALU_DEP_1) | instskip(NEXT) | instid1(VALU_DEP_1)
	v_dual_add_f32 v12, v12, v15 :: v_dual_sub_f32 v13, v13, v14
	v_add_f32_e32 v12, v12, v13
	s_delay_alu instid0(VALU_DEP_1) | instskip(NEXT) | instid1(VALU_DEP_1)
	v_add_f32_e32 v12, v102, v12
	v_cndmask_b32_e32 v113, v12, v8, vcc_lo
.LBB60_94:                              ;   in Loop: Header=BB60_12 Depth=1
	s_or_b32 exec_lo, exec_lo, s30
	v_lshlrev_b32_e32 v8, 16, v9
	s_delay_alu instid0(VALU_DEP_1) | instskip(NEXT) | instid1(VALU_DEP_1)
	v_add_f32_e32 v116, s67, v8
	v_cmp_ge_f32_e32 vcc_lo, 0x41a00000, v116
	s_and_b32 s29, s80, vcc_lo
	s_delay_alu instid0(SALU_CYCLE_1)
	s_and_saveexec_b32 s30, s29
	s_cbranch_execz .LBB60_96
; %bb.95:                               ;   in Loop: Header=BB60_12 Depth=1
	v_mul_f32_e32 v8, 0x3fb8aa3b, v116
	v_cmp_ngt_f32_e32 vcc_lo, 0xc2ce8ed0, v116
	s_delay_alu instid0(VALU_DEP_2) | instskip(SKIP_1) | instid1(VALU_DEP_2)
	v_rndne_f32_e32 v12, v8
	v_fma_f32 v13, 0x3fb8aa3b, v116, -v8
	v_sub_f32_e32 v8, v8, v12
	s_delay_alu instid0(VALU_DEP_2) | instskip(SKIP_1) | instid1(VALU_DEP_2)
	v_fmac_f32_e32 v13, 0x32a5705f, v116
	v_cvt_i32_f32_e32 v12, v12
	v_add_f32_e32 v8, v8, v13
	s_delay_alu instid0(VALU_DEP_1) | instskip(SKIP_2) | instid1(VALU_DEP_1)
	v_exp_f32_e32 v8, v8
	s_waitcnt_depctr 0xfff
	v_ldexp_f32 v8, v8, v12
	v_cndmask_b32_e32 v8, 0, v8, vcc_lo
	v_cmp_nlt_f32_e32 vcc_lo, 0x42b17218, v116
	s_delay_alu instid0(VALU_DEP_2) | instskip(NEXT) | instid1(VALU_DEP_1)
	v_cndmask_b32_e32 v8, 0x7f800000, v8, vcc_lo
	v_add_f32_e32 v14, 1.0, v8
	s_delay_alu instid0(VALU_DEP_1) | instskip(NEXT) | instid1(VALU_DEP_1)
	v_cvt_f64_f32_e32 v[12:13], v14
	v_frexp_exp_i32_f64_e32 v12, v[12:13]
	v_frexp_mant_f32_e32 v13, v14
	s_delay_alu instid0(VALU_DEP_1) | instskip(SKIP_1) | instid1(VALU_DEP_1)
	v_cmp_gt_f32_e32 vcc_lo, 0x3f2aaaab, v13
	v_add_f32_e32 v13, -1.0, v14
	v_sub_f32_e32 v17, v13, v14
	v_sub_f32_e32 v13, v8, v13
	s_delay_alu instid0(VALU_DEP_2) | instskip(NEXT) | instid1(VALU_DEP_1)
	v_add_f32_e32 v17, 1.0, v17
	v_add_f32_e32 v13, v13, v17
	v_cmp_gt_f32_e64 s29, 0x33800000, v8
	v_subrev_co_ci_u32_e32 v12, vcc_lo, 0, v12, vcc_lo
	v_cmp_eq_f32_e32 vcc_lo, 0x7f800000, v8
	s_delay_alu instid0(VALU_DEP_2) | instskip(SKIP_2) | instid1(VALU_DEP_2)
	v_sub_nc_u32_e32 v15, 0, v12
	v_cvt_f32_i32_e32 v12, v12
	s_or_b32 vcc_lo, s29, vcc_lo
	v_ldexp_f32 v14, v14, v15
	v_ldexp_f32 v13, v13, v15
	s_delay_alu instid0(VALU_DEP_2) | instskip(SKIP_1) | instid1(VALU_DEP_1)
	v_add_f32_e32 v101, 1.0, v14
	v_add_f32_e32 v15, -1.0, v14
	v_dual_add_f32 v102, 1.0, v15 :: v_dual_add_f32 v17, -1.0, v101
	s_delay_alu instid0(VALU_DEP_1) | instskip(NEXT) | instid1(VALU_DEP_1)
	v_sub_f32_e32 v17, v14, v17
	v_dual_sub_f32 v14, v14, v102 :: v_dual_add_f32 v17, v13, v17
	s_delay_alu instid0(VALU_DEP_1) | instskip(NEXT) | instid1(VALU_DEP_2)
	v_add_f32_e32 v13, v13, v14
	v_add_f32_e32 v102, v101, v17
	s_delay_alu instid0(VALU_DEP_2) | instskip(NEXT) | instid1(VALU_DEP_2)
	v_add_f32_e32 v103, v15, v13
	v_rcp_f32_e32 v14, v102
	v_sub_f32_e32 v101, v101, v102
	s_delay_alu instid0(VALU_DEP_2) | instskip(SKIP_2) | instid1(VALU_DEP_1)
	v_sub_f32_e32 v15, v15, v103
	s_waitcnt_depctr 0xfff
	v_dual_add_f32 v13, v13, v15 :: v_dual_mul_f32 v104, v103, v14
	v_dual_mul_f32 v106, v102, v104 :: v_dual_add_f32 v17, v17, v101
	s_delay_alu instid0(VALU_DEP_1) | instskip(NEXT) | instid1(VALU_DEP_1)
	v_fma_f32 v101, v104, v102, -v106
	v_fmac_f32_e32 v101, v104, v17
	s_delay_alu instid0(VALU_DEP_1) | instskip(NEXT) | instid1(VALU_DEP_1)
	v_add_f32_e32 v107, v106, v101
	v_sub_f32_e32 v109, v103, v107
	v_sub_f32_e32 v15, v107, v106
	s_delay_alu instid0(VALU_DEP_2) | instskip(NEXT) | instid1(VALU_DEP_2)
	v_sub_f32_e32 v103, v103, v109
	v_sub_f32_e32 v15, v15, v101
	s_delay_alu instid0(VALU_DEP_2) | instskip(NEXT) | instid1(VALU_DEP_1)
	v_sub_f32_e32 v103, v103, v107
	v_add_f32_e32 v13, v13, v103
	s_delay_alu instid0(VALU_DEP_1) | instskip(NEXT) | instid1(VALU_DEP_1)
	v_add_f32_e32 v13, v15, v13
	v_add_f32_e32 v15, v109, v13
	s_delay_alu instid0(VALU_DEP_1) | instskip(NEXT) | instid1(VALU_DEP_1)
	v_mul_f32_e32 v101, v14, v15
	v_mul_f32_e32 v103, v102, v101
	s_delay_alu instid0(VALU_DEP_1) | instskip(NEXT) | instid1(VALU_DEP_1)
	v_fma_f32 v102, v101, v102, -v103
	v_fmac_f32_e32 v102, v101, v17
	v_sub_f32_e32 v107, v109, v15
	s_delay_alu instid0(VALU_DEP_2) | instskip(NEXT) | instid1(VALU_DEP_1)
	v_add_f32_e32 v17, v103, v102
	v_dual_add_f32 v13, v13, v107 :: v_dual_sub_f32 v106, v15, v17
	v_sub_f32_e32 v103, v17, v103
	s_delay_alu instid0(VALU_DEP_2) | instskip(NEXT) | instid1(VALU_DEP_1)
	v_sub_f32_e32 v15, v15, v106
	v_sub_f32_e32 v15, v15, v17
	s_delay_alu instid0(VALU_DEP_3) | instskip(NEXT) | instid1(VALU_DEP_2)
	v_sub_f32_e32 v17, v103, v102
	v_add_f32_e32 v13, v13, v15
	v_add_f32_e32 v15, v104, v101
	s_delay_alu instid0(VALU_DEP_2) | instskip(NEXT) | instid1(VALU_DEP_2)
	v_add_f32_e32 v13, v17, v13
	v_sub_f32_e32 v17, v15, v104
	s_delay_alu instid0(VALU_DEP_2) | instskip(NEXT) | instid1(VALU_DEP_2)
	v_add_f32_e32 v13, v106, v13
	v_sub_f32_e32 v17, v101, v17
	s_delay_alu instid0(VALU_DEP_2) | instskip(NEXT) | instid1(VALU_DEP_1)
	v_mul_f32_e32 v13, v14, v13
	v_add_f32_e32 v13, v17, v13
	s_delay_alu instid0(VALU_DEP_1) | instskip(NEXT) | instid1(VALU_DEP_1)
	v_add_f32_e32 v14, v15, v13
	v_mul_f32_e32 v17, v14, v14
	s_delay_alu instid0(VALU_DEP_1) | instskip(SKIP_1) | instid1(VALU_DEP_2)
	v_fmaak_f32 v101, s84, v17, 0x3ecc95a3
	v_mul_f32_e32 v102, v14, v17
	v_fmaak_f32 v17, v17, v101, 0x3f2aaada
	v_ldexp_f32 v101, v14, 1
	v_sub_f32_e32 v14, v14, v15
	s_delay_alu instid0(VALU_DEP_3) | instskip(NEXT) | instid1(VALU_DEP_2)
	v_dual_mul_f32 v17, v102, v17 :: v_dual_mul_f32 v102, 0x3f317218, v12
	v_sub_f32_e32 v13, v13, v14
	s_delay_alu instid0(VALU_DEP_2) | instskip(NEXT) | instid1(VALU_DEP_2)
	v_add_f32_e32 v15, v101, v17
	v_ldexp_f32 v13, v13, 1
	s_delay_alu instid0(VALU_DEP_2) | instskip(SKIP_1) | instid1(VALU_DEP_1)
	v_sub_f32_e32 v14, v15, v101
	v_fma_f32 v101, 0x3f317218, v12, -v102
	v_dual_sub_f32 v14, v17, v14 :: v_dual_fmac_f32 v101, 0xb102e308, v12
	s_delay_alu instid0(VALU_DEP_1) | instskip(NEXT) | instid1(VALU_DEP_1)
	v_dual_add_f32 v12, v13, v14 :: v_dual_add_f32 v13, v102, v101
	v_add_f32_e32 v14, v15, v12
	s_delay_alu instid0(VALU_DEP_2) | instskip(NEXT) | instid1(VALU_DEP_2)
	v_sub_f32_e32 v102, v13, v102
	v_add_f32_e32 v17, v13, v14
	v_sub_f32_e32 v15, v14, v15
	s_delay_alu instid0(VALU_DEP_3) | instskip(NEXT) | instid1(VALU_DEP_2)
	v_sub_f32_e32 v101, v101, v102
	v_dual_sub_f32 v103, v17, v13 :: v_dual_sub_f32 v12, v12, v15
	s_delay_alu instid0(VALU_DEP_1) | instskip(NEXT) | instid1(VALU_DEP_2)
	v_sub_f32_e32 v104, v17, v103
	v_dual_sub_f32 v14, v14, v103 :: v_dual_add_f32 v15, v101, v12
	s_delay_alu instid0(VALU_DEP_2) | instskip(NEXT) | instid1(VALU_DEP_1)
	v_sub_f32_e32 v13, v13, v104
	v_add_f32_e32 v13, v14, v13
	s_delay_alu instid0(VALU_DEP_3) | instskip(NEXT) | instid1(VALU_DEP_2)
	v_sub_f32_e32 v14, v15, v101
	v_add_f32_e32 v13, v15, v13
	s_delay_alu instid0(VALU_DEP_2) | instskip(SKIP_1) | instid1(VALU_DEP_3)
	v_sub_f32_e32 v15, v15, v14
	v_sub_f32_e32 v12, v12, v14
	v_add_f32_e32 v102, v17, v13
	s_delay_alu instid0(VALU_DEP_1) | instskip(NEXT) | instid1(VALU_DEP_1)
	v_dual_sub_f32 v15, v101, v15 :: v_dual_sub_f32 v14, v102, v17
	v_dual_add_f32 v12, v12, v15 :: v_dual_sub_f32 v13, v13, v14
	s_delay_alu instid0(VALU_DEP_1) | instskip(NEXT) | instid1(VALU_DEP_1)
	v_add_f32_e32 v12, v12, v13
	v_add_f32_e32 v12, v102, v12
	s_delay_alu instid0(VALU_DEP_1)
	v_cndmask_b32_e32 v116, v12, v8, vcc_lo
.LBB60_96:                              ;   in Loop: Header=BB60_12 Depth=1
	s_or_b32 exec_lo, exec_lo, s30
	v_and_b32_e32 v8, 0xffff0000, v9
	s_delay_alu instid0(VALU_DEP_1) | instskip(NEXT) | instid1(VALU_DEP_1)
	v_add_f32_e32 v121, s67, v8
	v_cmp_ge_f32_e32 vcc_lo, 0x41a00000, v121
	s_and_b32 s29, s80, vcc_lo
	s_delay_alu instid0(SALU_CYCLE_1)
	s_and_saveexec_b32 s30, s29
	s_cbranch_execz .LBB60_98
; %bb.97:                               ;   in Loop: Header=BB60_12 Depth=1
	v_mul_f32_e32 v8, 0x3fb8aa3b, v121
	v_cmp_ngt_f32_e32 vcc_lo, 0xc2ce8ed0, v121
	s_delay_alu instid0(VALU_DEP_2) | instskip(SKIP_1) | instid1(VALU_DEP_2)
	v_rndne_f32_e32 v9, v8
	v_fma_f32 v12, 0x3fb8aa3b, v121, -v8
	v_sub_f32_e32 v8, v8, v9
	s_delay_alu instid0(VALU_DEP_2) | instskip(SKIP_1) | instid1(VALU_DEP_2)
	v_fmac_f32_e32 v12, 0x32a5705f, v121
	v_cvt_i32_f32_e32 v9, v9
	v_add_f32_e32 v8, v8, v12
	s_delay_alu instid0(VALU_DEP_1) | instskip(SKIP_2) | instid1(VALU_DEP_1)
	v_exp_f32_e32 v8, v8
	s_waitcnt_depctr 0xfff
	v_ldexp_f32 v8, v8, v9
	v_cndmask_b32_e32 v8, 0, v8, vcc_lo
	v_cmp_nlt_f32_e32 vcc_lo, 0x42b17218, v121
	s_delay_alu instid0(VALU_DEP_2) | instskip(NEXT) | instid1(VALU_DEP_1)
	v_cndmask_b32_e32 v12, 0x7f800000, v8, vcc_lo
	v_add_f32_e32 v13, 1.0, v12
	s_delay_alu instid0(VALU_DEP_1) | instskip(NEXT) | instid1(VALU_DEP_1)
	v_cvt_f64_f32_e32 v[8:9], v13
	v_frexp_exp_i32_f64_e32 v8, v[8:9]
	v_frexp_mant_f32_e32 v9, v13
	s_delay_alu instid0(VALU_DEP_1) | instskip(SKIP_1) | instid1(VALU_DEP_1)
	v_cmp_gt_f32_e32 vcc_lo, 0x3f2aaaab, v9
	v_add_f32_e32 v9, -1.0, v13
	v_sub_f32_e32 v15, v9, v13
	s_delay_alu instid0(VALU_DEP_1) | instskip(SKIP_1) | instid1(VALU_DEP_1)
	v_add_f32_e32 v15, 1.0, v15
	v_subrev_co_ci_u32_e32 v8, vcc_lo, 0, v8, vcc_lo
	v_sub_nc_u32_e32 v14, 0, v8
	v_cvt_f32_i32_e32 v8, v8
	s_delay_alu instid0(VALU_DEP_2) | instskip(NEXT) | instid1(VALU_DEP_1)
	v_ldexp_f32 v13, v13, v14
	v_add_f32_e32 v17, 1.0, v13
	v_sub_f32_e32 v9, v12, v9
	v_cmp_eq_f32_e32 vcc_lo, 0x7f800000, v12
	v_cmp_gt_f32_e64 s29, 0x33800000, v12
	s_delay_alu instid0(VALU_DEP_3) | instskip(NEXT) | instid1(VALU_DEP_2)
	v_add_f32_e32 v9, v9, v15
	s_or_b32 vcc_lo, s29, vcc_lo
	s_delay_alu instid0(VALU_DEP_1) | instskip(SKIP_2) | instid1(VALU_DEP_1)
	v_ldexp_f32 v9, v9, v14
	v_add_f32_e32 v14, -1.0, v13
	v_add_f32_e32 v15, -1.0, v17
	v_sub_f32_e32 v15, v13, v15
	s_delay_alu instid0(VALU_DEP_3) | instskip(NEXT) | instid1(VALU_DEP_2)
	v_add_f32_e32 v101, 1.0, v14
	v_add_f32_e32 v15, v9, v15
	s_delay_alu instid0(VALU_DEP_2) | instskip(NEXT) | instid1(VALU_DEP_2)
	v_sub_f32_e32 v13, v13, v101
	v_add_f32_e32 v101, v17, v15
	s_delay_alu instid0(VALU_DEP_2) | instskip(NEXT) | instid1(VALU_DEP_2)
	v_add_f32_e32 v9, v9, v13
	v_rcp_f32_e32 v13, v101
	s_delay_alu instid0(VALU_DEP_1) | instskip(NEXT) | instid1(VALU_DEP_1)
	v_add_f32_e32 v102, v14, v9
	v_dual_sub_f32 v17, v17, v101 :: v_dual_sub_f32 v14, v14, v102
	s_delay_alu instid0(VALU_DEP_1) | instskip(SKIP_2) | instid1(VALU_DEP_1)
	v_add_f32_e32 v15, v15, v17
	s_waitcnt_depctr 0xfff
	v_mul_f32_e32 v103, v102, v13
	v_mul_f32_e32 v104, v101, v103
	s_delay_alu instid0(VALU_DEP_1) | instskip(NEXT) | instid1(VALU_DEP_1)
	v_fma_f32 v17, v103, v101, -v104
	v_fmac_f32_e32 v17, v103, v15
	s_delay_alu instid0(VALU_DEP_1) | instskip(NEXT) | instid1(VALU_DEP_1)
	v_add_f32_e32 v106, v104, v17
	v_sub_f32_e32 v107, v102, v106
	s_delay_alu instid0(VALU_DEP_1) | instskip(NEXT) | instid1(VALU_DEP_1)
	v_sub_f32_e32 v102, v102, v107
	v_sub_f32_e32 v102, v102, v106
	v_dual_add_f32 v9, v9, v14 :: v_dual_sub_f32 v14, v106, v104
	s_delay_alu instid0(VALU_DEP_1) | instskip(NEXT) | instid1(VALU_DEP_1)
	v_dual_sub_f32 v14, v14, v17 :: v_dual_add_f32 v9, v9, v102
	v_add_f32_e32 v9, v14, v9
	s_delay_alu instid0(VALU_DEP_1) | instskip(NEXT) | instid1(VALU_DEP_1)
	v_add_f32_e32 v14, v107, v9
	v_mul_f32_e32 v17, v13, v14
	s_delay_alu instid0(VALU_DEP_1) | instskip(NEXT) | instid1(VALU_DEP_1)
	v_mul_f32_e32 v102, v101, v17
	v_fma_f32 v101, v17, v101, -v102
	s_delay_alu instid0(VALU_DEP_1) | instskip(NEXT) | instid1(VALU_DEP_1)
	v_dual_fmac_f32 v101, v17, v15 :: v_dual_sub_f32 v106, v107, v14
	v_add_f32_e32 v15, v102, v101
	s_delay_alu instid0(VALU_DEP_1) | instskip(SKIP_1) | instid1(VALU_DEP_2)
	v_sub_f32_e32 v104, v14, v15
	v_sub_f32_e32 v102, v15, v102
	v_dual_add_f32 v9, v9, v106 :: v_dual_sub_f32 v14, v14, v104
	s_delay_alu instid0(VALU_DEP_1) | instskip(NEXT) | instid1(VALU_DEP_3)
	v_sub_f32_e32 v14, v14, v15
	v_sub_f32_e32 v15, v102, v101
	s_delay_alu instid0(VALU_DEP_2) | instskip(NEXT) | instid1(VALU_DEP_1)
	v_dual_add_f32 v9, v9, v14 :: v_dual_add_f32 v14, v103, v17
	v_add_f32_e32 v9, v15, v9
	s_delay_alu instid0(VALU_DEP_2) | instskip(NEXT) | instid1(VALU_DEP_2)
	v_sub_f32_e32 v15, v14, v103
	v_add_f32_e32 v9, v104, v9
	s_delay_alu instid0(VALU_DEP_2) | instskip(NEXT) | instid1(VALU_DEP_2)
	v_sub_f32_e32 v15, v17, v15
	v_mul_f32_e32 v9, v13, v9
	s_delay_alu instid0(VALU_DEP_1) | instskip(NEXT) | instid1(VALU_DEP_1)
	v_add_f32_e32 v9, v15, v9
	v_add_f32_e32 v13, v14, v9
	s_delay_alu instid0(VALU_DEP_1) | instskip(NEXT) | instid1(VALU_DEP_1)
	v_mul_f32_e32 v15, v13, v13
	v_fmaak_f32 v17, s84, v15, 0x3ecc95a3
	v_mul_f32_e32 v101, v13, v15
	s_delay_alu instid0(VALU_DEP_2) | instskip(SKIP_2) | instid1(VALU_DEP_3)
	v_fmaak_f32 v15, v15, v17, 0x3f2aaada
	v_ldexp_f32 v17, v13, 1
	v_sub_f32_e32 v13, v13, v14
	v_mul_f32_e32 v15, v101, v15
	v_mul_f32_e32 v101, 0x3f317218, v8
	s_delay_alu instid0(VALU_DEP_3) | instskip(NEXT) | instid1(VALU_DEP_3)
	v_sub_f32_e32 v9, v9, v13
	v_add_f32_e32 v14, v17, v15
	s_delay_alu instid0(VALU_DEP_2) | instskip(NEXT) | instid1(VALU_DEP_2)
	v_ldexp_f32 v9, v9, 1
	v_sub_f32_e32 v13, v14, v17
	v_fma_f32 v17, 0x3f317218, v8, -v101
	s_delay_alu instid0(VALU_DEP_2) | instskip(NEXT) | instid1(VALU_DEP_1)
	v_sub_f32_e32 v13, v15, v13
	v_dual_fmac_f32 v17, 0xb102e308, v8 :: v_dual_add_f32 v8, v9, v13
	s_delay_alu instid0(VALU_DEP_1) | instskip(NEXT) | instid1(VALU_DEP_2)
	v_add_f32_e32 v9, v101, v17
	v_add_f32_e32 v13, v14, v8
	s_delay_alu instid0(VALU_DEP_2) | instskip(NEXT) | instid1(VALU_DEP_2)
	v_sub_f32_e32 v101, v9, v101
	v_add_f32_e32 v15, v9, v13
	v_sub_f32_e32 v14, v13, v14
	s_delay_alu instid0(VALU_DEP_3) | instskip(NEXT) | instid1(VALU_DEP_3)
	v_sub_f32_e32 v17, v17, v101
	v_sub_f32_e32 v102, v15, v9
	s_delay_alu instid0(VALU_DEP_3) | instskip(NEXT) | instid1(VALU_DEP_2)
	v_sub_f32_e32 v8, v8, v14
	v_sub_f32_e32 v103, v15, v102
	;; [unrolled: 1-line block ×3, first 2 shown]
	s_delay_alu instid0(VALU_DEP_3) | instskip(NEXT) | instid1(VALU_DEP_3)
	v_add_f32_e32 v14, v17, v8
	v_sub_f32_e32 v9, v9, v103
	s_delay_alu instid0(VALU_DEP_1) | instskip(NEXT) | instid1(VALU_DEP_3)
	v_add_f32_e32 v9, v13, v9
	v_sub_f32_e32 v13, v14, v17
	s_delay_alu instid0(VALU_DEP_2) | instskip(NEXT) | instid1(VALU_DEP_2)
	v_add_f32_e32 v9, v14, v9
	v_sub_f32_e32 v14, v14, v13
	v_sub_f32_e32 v8, v8, v13
	s_delay_alu instid0(VALU_DEP_2) | instskip(NEXT) | instid1(VALU_DEP_1)
	v_dual_add_f32 v101, v15, v9 :: v_dual_sub_f32 v14, v17, v14
	v_dual_sub_f32 v13, v101, v15 :: v_dual_add_f32 v8, v8, v14
	s_delay_alu instid0(VALU_DEP_1) | instskip(NEXT) | instid1(VALU_DEP_1)
	v_sub_f32_e32 v9, v9, v13
	v_add_f32_e32 v8, v8, v9
	s_delay_alu instid0(VALU_DEP_1) | instskip(NEXT) | instid1(VALU_DEP_1)
	v_add_f32_e32 v8, v101, v8
	v_cndmask_b32_e32 v121, v8, v12, vcc_lo
.LBB60_98:                              ;   in Loop: Header=BB60_12 Depth=1
	s_or_b32 exec_lo, exec_lo, s30
	v_lshlrev_b32_e32 v8, 16, v10
	s_delay_alu instid0(VALU_DEP_1) | instskip(NEXT) | instid1(VALU_DEP_1)
	v_add_f32_e32 v122, s67, v8
	v_cmp_ge_f32_e32 vcc_lo, 0x41a00000, v122
	s_and_b32 s29, s80, vcc_lo
	s_delay_alu instid0(SALU_CYCLE_1)
	s_and_saveexec_b32 s30, s29
	s_cbranch_execz .LBB60_100
; %bb.99:                               ;   in Loop: Header=BB60_12 Depth=1
	v_mul_f32_e32 v8, 0x3fb8aa3b, v122
	v_cmp_ngt_f32_e32 vcc_lo, 0xc2ce8ed0, v122
	s_delay_alu instid0(VALU_DEP_2) | instskip(SKIP_1) | instid1(VALU_DEP_2)
	v_rndne_f32_e32 v9, v8
	v_fma_f32 v12, 0x3fb8aa3b, v122, -v8
	v_sub_f32_e32 v8, v8, v9
	s_delay_alu instid0(VALU_DEP_2) | instskip(SKIP_1) | instid1(VALU_DEP_2)
	v_fmac_f32_e32 v12, 0x32a5705f, v122
	v_cvt_i32_f32_e32 v9, v9
	v_add_f32_e32 v8, v8, v12
	s_delay_alu instid0(VALU_DEP_1) | instskip(SKIP_2) | instid1(VALU_DEP_1)
	v_exp_f32_e32 v8, v8
	s_waitcnt_depctr 0xfff
	v_ldexp_f32 v8, v8, v9
	v_cndmask_b32_e32 v8, 0, v8, vcc_lo
	v_cmp_nlt_f32_e32 vcc_lo, 0x42b17218, v122
	s_delay_alu instid0(VALU_DEP_2) | instskip(NEXT) | instid1(VALU_DEP_1)
	v_cndmask_b32_e32 v12, 0x7f800000, v8, vcc_lo
	v_add_f32_e32 v13, 1.0, v12
	s_delay_alu instid0(VALU_DEP_1) | instskip(NEXT) | instid1(VALU_DEP_1)
	v_cvt_f64_f32_e32 v[8:9], v13
	v_frexp_exp_i32_f64_e32 v8, v[8:9]
	v_frexp_mant_f32_e32 v9, v13
	s_delay_alu instid0(VALU_DEP_1) | instskip(SKIP_1) | instid1(VALU_DEP_1)
	v_cmp_gt_f32_e32 vcc_lo, 0x3f2aaaab, v9
	v_add_f32_e32 v9, -1.0, v13
	v_sub_f32_e32 v15, v9, v13
	s_delay_alu instid0(VALU_DEP_1) | instskip(SKIP_1) | instid1(VALU_DEP_1)
	v_add_f32_e32 v15, 1.0, v15
	v_subrev_co_ci_u32_e32 v8, vcc_lo, 0, v8, vcc_lo
	v_sub_nc_u32_e32 v14, 0, v8
	v_cvt_f32_i32_e32 v8, v8
	s_delay_alu instid0(VALU_DEP_2) | instskip(NEXT) | instid1(VALU_DEP_1)
	v_ldexp_f32 v13, v13, v14
	v_add_f32_e32 v17, 1.0, v13
	v_sub_f32_e32 v9, v12, v9
	v_cmp_eq_f32_e32 vcc_lo, 0x7f800000, v12
	v_cmp_gt_f32_e64 s29, 0x33800000, v12
	s_delay_alu instid0(VALU_DEP_3) | instskip(SKIP_1) | instid1(VALU_DEP_3)
	v_add_f32_e32 v9, v9, v15
	v_add_f32_e32 v15, -1.0, v17
	s_or_b32 vcc_lo, s29, vcc_lo
	s_delay_alu instid0(VALU_DEP_2) | instskip(NEXT) | instid1(VALU_DEP_2)
	v_ldexp_f32 v9, v9, v14
	v_dual_add_f32 v14, -1.0, v13 :: v_dual_sub_f32 v15, v13, v15
	s_delay_alu instid0(VALU_DEP_1) | instskip(NEXT) | instid1(VALU_DEP_2)
	v_add_f32_e32 v101, 1.0, v14
	v_add_f32_e32 v15, v9, v15
	s_delay_alu instid0(VALU_DEP_2) | instskip(NEXT) | instid1(VALU_DEP_1)
	v_sub_f32_e32 v13, v13, v101
	v_add_f32_e32 v9, v9, v13
	s_delay_alu instid0(VALU_DEP_1) | instskip(NEXT) | instid1(VALU_DEP_1)
	v_add_f32_e32 v102, v14, v9
	v_dual_sub_f32 v14, v14, v102 :: v_dual_add_f32 v101, v17, v15
	s_delay_alu instid0(VALU_DEP_1) | instskip(SKIP_1) | instid1(VALU_DEP_1)
	v_rcp_f32_e32 v13, v101
	v_sub_f32_e32 v17, v17, v101
	v_add_f32_e32 v15, v15, v17
	s_waitcnt_depctr 0xfff
	v_mul_f32_e32 v103, v102, v13
	s_delay_alu instid0(VALU_DEP_1) | instskip(NEXT) | instid1(VALU_DEP_1)
	v_mul_f32_e32 v104, v101, v103
	v_fma_f32 v17, v103, v101, -v104
	s_delay_alu instid0(VALU_DEP_1) | instskip(NEXT) | instid1(VALU_DEP_1)
	v_fmac_f32_e32 v17, v103, v15
	v_add_f32_e32 v106, v104, v17
	s_delay_alu instid0(VALU_DEP_1) | instskip(NEXT) | instid1(VALU_DEP_1)
	v_sub_f32_e32 v107, v102, v106
	v_sub_f32_e32 v102, v102, v107
	s_delay_alu instid0(VALU_DEP_1) | instskip(SKIP_1) | instid1(VALU_DEP_1)
	v_sub_f32_e32 v102, v102, v106
	v_dual_add_f32 v9, v9, v14 :: v_dual_sub_f32 v14, v106, v104
	v_dual_sub_f32 v14, v14, v17 :: v_dual_add_f32 v9, v9, v102
	s_delay_alu instid0(VALU_DEP_1) | instskip(NEXT) | instid1(VALU_DEP_1)
	v_add_f32_e32 v9, v14, v9
	v_add_f32_e32 v14, v107, v9
	s_delay_alu instid0(VALU_DEP_1) | instskip(NEXT) | instid1(VALU_DEP_1)
	v_mul_f32_e32 v17, v13, v14
	v_mul_f32_e32 v102, v101, v17
	s_delay_alu instid0(VALU_DEP_1) | instskip(NEXT) | instid1(VALU_DEP_1)
	v_fma_f32 v101, v17, v101, -v102
	v_dual_fmac_f32 v101, v17, v15 :: v_dual_sub_f32 v106, v107, v14
	s_delay_alu instid0(VALU_DEP_1) | instskip(NEXT) | instid1(VALU_DEP_1)
	v_add_f32_e32 v15, v102, v101
	v_sub_f32_e32 v104, v14, v15
	v_sub_f32_e32 v102, v15, v102
	s_delay_alu instid0(VALU_DEP_2) | instskip(NEXT) | instid1(VALU_DEP_1)
	v_dual_add_f32 v9, v9, v106 :: v_dual_sub_f32 v14, v14, v104
	v_sub_f32_e32 v14, v14, v15
	s_delay_alu instid0(VALU_DEP_3) | instskip(NEXT) | instid1(VALU_DEP_2)
	v_sub_f32_e32 v15, v102, v101
	v_dual_add_f32 v9, v9, v14 :: v_dual_add_f32 v14, v103, v17
	s_delay_alu instid0(VALU_DEP_1) | instskip(NEXT) | instid1(VALU_DEP_2)
	v_add_f32_e32 v9, v15, v9
	v_sub_f32_e32 v15, v14, v103
	s_delay_alu instid0(VALU_DEP_2) | instskip(NEXT) | instid1(VALU_DEP_2)
	v_add_f32_e32 v9, v104, v9
	v_sub_f32_e32 v15, v17, v15
	s_delay_alu instid0(VALU_DEP_2) | instskip(NEXT) | instid1(VALU_DEP_1)
	v_mul_f32_e32 v9, v13, v9
	v_add_f32_e32 v9, v15, v9
	s_delay_alu instid0(VALU_DEP_1) | instskip(NEXT) | instid1(VALU_DEP_1)
	v_add_f32_e32 v13, v14, v9
	v_mul_f32_e32 v15, v13, v13
	s_delay_alu instid0(VALU_DEP_1) | instskip(SKIP_1) | instid1(VALU_DEP_2)
	v_fmaak_f32 v17, s84, v15, 0x3ecc95a3
	v_mul_f32_e32 v101, v13, v15
	v_fmaak_f32 v15, v15, v17, 0x3f2aaada
	v_ldexp_f32 v17, v13, 1
	v_sub_f32_e32 v13, v13, v14
	s_delay_alu instid0(VALU_DEP_3) | instskip(SKIP_1) | instid1(VALU_DEP_3)
	v_mul_f32_e32 v15, v101, v15
	v_mul_f32_e32 v101, 0x3f317218, v8
	v_sub_f32_e32 v9, v9, v13
	s_delay_alu instid0(VALU_DEP_3) | instskip(NEXT) | instid1(VALU_DEP_2)
	v_add_f32_e32 v14, v17, v15
	v_ldexp_f32 v9, v9, 1
	s_delay_alu instid0(VALU_DEP_2) | instskip(SKIP_1) | instid1(VALU_DEP_2)
	v_sub_f32_e32 v13, v14, v17
	v_fma_f32 v17, 0x3f317218, v8, -v101
	v_sub_f32_e32 v13, v15, v13
	s_delay_alu instid0(VALU_DEP_1) | instskip(NEXT) | instid1(VALU_DEP_1)
	v_dual_fmac_f32 v17, 0xb102e308, v8 :: v_dual_add_f32 v8, v9, v13
	v_add_f32_e32 v9, v101, v17
	s_delay_alu instid0(VALU_DEP_2) | instskip(NEXT) | instid1(VALU_DEP_2)
	v_add_f32_e32 v13, v14, v8
	v_sub_f32_e32 v101, v9, v101
	s_delay_alu instid0(VALU_DEP_2) | instskip(SKIP_1) | instid1(VALU_DEP_3)
	v_add_f32_e32 v15, v9, v13
	v_sub_f32_e32 v14, v13, v14
	v_sub_f32_e32 v17, v17, v101
	s_delay_alu instid0(VALU_DEP_3) | instskip(NEXT) | instid1(VALU_DEP_3)
	v_sub_f32_e32 v102, v15, v9
	v_sub_f32_e32 v8, v8, v14
	s_delay_alu instid0(VALU_DEP_2) | instskip(SKIP_1) | instid1(VALU_DEP_3)
	v_sub_f32_e32 v103, v15, v102
	v_sub_f32_e32 v13, v13, v102
	v_add_f32_e32 v14, v17, v8
	s_delay_alu instid0(VALU_DEP_3) | instskip(NEXT) | instid1(VALU_DEP_1)
	v_sub_f32_e32 v9, v9, v103
	v_add_f32_e32 v9, v13, v9
	s_delay_alu instid0(VALU_DEP_3) | instskip(NEXT) | instid1(VALU_DEP_2)
	v_sub_f32_e32 v13, v14, v17
	v_add_f32_e32 v9, v14, v9
	s_delay_alu instid0(VALU_DEP_2) | instskip(SKIP_1) | instid1(VALU_DEP_2)
	v_sub_f32_e32 v14, v14, v13
	v_sub_f32_e32 v8, v8, v13
	v_dual_add_f32 v101, v15, v9 :: v_dual_sub_f32 v14, v17, v14
	s_delay_alu instid0(VALU_DEP_1) | instskip(NEXT) | instid1(VALU_DEP_1)
	v_dual_sub_f32 v13, v101, v15 :: v_dual_add_f32 v8, v8, v14
	v_sub_f32_e32 v9, v9, v13
	s_delay_alu instid0(VALU_DEP_1) | instskip(NEXT) | instid1(VALU_DEP_1)
	v_add_f32_e32 v8, v8, v9
	v_add_f32_e32 v8, v101, v8
	s_delay_alu instid0(VALU_DEP_1)
	v_cndmask_b32_e32 v122, v8, v12, vcc_lo
.LBB60_100:                             ;   in Loop: Header=BB60_12 Depth=1
	s_or_b32 exec_lo, exec_lo, s30
	v_and_b32_e32 v8, 0xffff0000, v10
	s_delay_alu instid0(VALU_DEP_1) | instskip(NEXT) | instid1(VALU_DEP_1)
	v_add_f32_e32 v123, s67, v8
	v_cmp_ge_f32_e32 vcc_lo, 0x41a00000, v123
	s_and_b32 s29, s80, vcc_lo
	s_delay_alu instid0(SALU_CYCLE_1)
	s_and_saveexec_b32 s30, s29
	s_cbranch_execz .LBB60_102
; %bb.101:                              ;   in Loop: Header=BB60_12 Depth=1
	v_mul_f32_e32 v8, 0x3fb8aa3b, v123
	v_cmp_ngt_f32_e32 vcc_lo, 0xc2ce8ed0, v123
	s_delay_alu instid0(VALU_DEP_2) | instskip(SKIP_1) | instid1(VALU_DEP_2)
	v_rndne_f32_e32 v9, v8
	v_fma_f32 v10, 0x3fb8aa3b, v123, -v8
	v_sub_f32_e32 v8, v8, v9
	s_delay_alu instid0(VALU_DEP_2) | instskip(SKIP_1) | instid1(VALU_DEP_2)
	v_fmac_f32_e32 v10, 0x32a5705f, v123
	v_cvt_i32_f32_e32 v9, v9
	v_add_f32_e32 v8, v8, v10
	s_delay_alu instid0(VALU_DEP_1) | instskip(SKIP_2) | instid1(VALU_DEP_1)
	v_exp_f32_e32 v8, v8
	s_waitcnt_depctr 0xfff
	v_ldexp_f32 v8, v8, v9
	v_cndmask_b32_e32 v8, 0, v8, vcc_lo
	v_cmp_nlt_f32_e32 vcc_lo, 0x42b17218, v123
	s_delay_alu instid0(VALU_DEP_2) | instskip(NEXT) | instid1(VALU_DEP_1)
	v_cndmask_b32_e32 v10, 0x7f800000, v8, vcc_lo
	v_add_f32_e32 v12, 1.0, v10
	s_delay_alu instid0(VALU_DEP_1) | instskip(NEXT) | instid1(VALU_DEP_1)
	v_cvt_f64_f32_e32 v[8:9], v12
	v_frexp_exp_i32_f64_e32 v8, v[8:9]
	v_frexp_mant_f32_e32 v9, v12
	s_delay_alu instid0(VALU_DEP_1) | instskip(SKIP_1) | instid1(VALU_DEP_1)
	v_cmp_gt_f32_e32 vcc_lo, 0x3f2aaaab, v9
	v_add_f32_e32 v9, -1.0, v12
	v_dual_sub_f32 v14, v9, v12 :: v_dual_sub_f32 v9, v10, v9
	v_subrev_co_ci_u32_e32 v8, vcc_lo, 0, v8, vcc_lo
	s_delay_alu instid0(VALU_DEP_1) | instskip(SKIP_1) | instid1(VALU_DEP_2)
	v_sub_nc_u32_e32 v13, 0, v8
	v_cvt_f32_i32_e32 v8, v8
	v_ldexp_f32 v12, v12, v13
	s_delay_alu instid0(VALU_DEP_1) | instskip(NEXT) | instid1(VALU_DEP_1)
	v_dual_add_f32 v14, 1.0, v14 :: v_dual_add_f32 v15, 1.0, v12
	v_add_f32_e32 v9, v9, v14
	s_delay_alu instid0(VALU_DEP_1) | instskip(NEXT) | instid1(VALU_DEP_3)
	v_ldexp_f32 v9, v9, v13
	v_dual_add_f32 v13, -1.0, v12 :: v_dual_add_f32 v14, -1.0, v15
	s_delay_alu instid0(VALU_DEP_1) | instskip(NEXT) | instid1(VALU_DEP_1)
	v_dual_add_f32 v17, 1.0, v13 :: v_dual_sub_f32 v14, v12, v14
	v_sub_f32_e32 v12, v12, v17
	s_delay_alu instid0(VALU_DEP_2) | instskip(NEXT) | instid1(VALU_DEP_2)
	v_add_f32_e32 v14, v9, v14
	v_add_f32_e32 v9, v9, v12
	s_delay_alu instid0(VALU_DEP_2) | instskip(SKIP_2) | instid1(VALU_DEP_4)
	v_add_f32_e32 v17, v15, v14
	v_cmp_eq_f32_e32 vcc_lo, 0x7f800000, v10
	v_cmp_gt_f32_e64 s29, 0x33800000, v10
	v_add_f32_e32 v101, v13, v9
	s_delay_alu instid0(VALU_DEP_4) | instskip(SKIP_1) | instid1(VALU_DEP_3)
	v_rcp_f32_e32 v12, v17
	v_sub_f32_e32 v15, v15, v17
	s_or_b32 vcc_lo, s29, vcc_lo
	s_delay_alu instid0(VALU_DEP_1) | instskip(NEXT) | instid1(VALU_DEP_1)
	v_dual_sub_f32 v13, v13, v101 :: v_dual_add_f32 v14, v14, v15
	v_add_f32_e32 v9, v9, v13
	s_waitcnt_depctr 0xfff
	v_mul_f32_e32 v102, v101, v12
	s_delay_alu instid0(VALU_DEP_1) | instskip(NEXT) | instid1(VALU_DEP_1)
	v_mul_f32_e32 v103, v17, v102
	v_fma_f32 v15, v102, v17, -v103
	s_delay_alu instid0(VALU_DEP_1) | instskip(NEXT) | instid1(VALU_DEP_1)
	v_fmac_f32_e32 v15, v102, v14
	v_add_f32_e32 v104, v103, v15
	s_delay_alu instid0(VALU_DEP_1) | instskip(NEXT) | instid1(VALU_DEP_1)
	v_dual_sub_f32 v106, v101, v104 :: v_dual_sub_f32 v13, v104, v103
	v_sub_f32_e32 v101, v101, v106
	s_delay_alu instid0(VALU_DEP_2) | instskip(NEXT) | instid1(VALU_DEP_2)
	v_sub_f32_e32 v13, v13, v15
	v_sub_f32_e32 v101, v101, v104
	s_delay_alu instid0(VALU_DEP_1) | instskip(NEXT) | instid1(VALU_DEP_1)
	v_add_f32_e32 v9, v9, v101
	v_add_f32_e32 v9, v13, v9
	s_delay_alu instid0(VALU_DEP_1) | instskip(NEXT) | instid1(VALU_DEP_1)
	v_add_f32_e32 v13, v106, v9
	v_mul_f32_e32 v15, v12, v13
	s_delay_alu instid0(VALU_DEP_1) | instskip(NEXT) | instid1(VALU_DEP_1)
	v_dual_sub_f32 v104, v106, v13 :: v_dual_mul_f32 v101, v17, v15
	v_add_f32_e32 v9, v9, v104
	s_delay_alu instid0(VALU_DEP_2) | instskip(NEXT) | instid1(VALU_DEP_1)
	v_fma_f32 v17, v15, v17, -v101
	v_fmac_f32_e32 v17, v15, v14
	s_delay_alu instid0(VALU_DEP_1) | instskip(NEXT) | instid1(VALU_DEP_1)
	v_add_f32_e32 v14, v101, v17
	v_sub_f32_e32 v103, v13, v14
	s_delay_alu instid0(VALU_DEP_1) | instskip(NEXT) | instid1(VALU_DEP_1)
	v_sub_f32_e32 v13, v13, v103
	v_sub_f32_e32 v13, v13, v14
	s_delay_alu instid0(VALU_DEP_1) | instskip(SKIP_2) | instid1(VALU_DEP_1)
	v_add_f32_e32 v9, v9, v13
	v_add_f32_e32 v13, v102, v15
	v_sub_f32_e32 v101, v14, v101
	v_sub_f32_e32 v14, v101, v17
	s_delay_alu instid0(VALU_DEP_1) | instskip(NEXT) | instid1(VALU_DEP_1)
	v_dual_add_f32 v9, v14, v9 :: v_dual_sub_f32 v14, v13, v102
	v_add_f32_e32 v9, v103, v9
	s_delay_alu instid0(VALU_DEP_1) | instskip(NEXT) | instid1(VALU_DEP_1)
	v_dual_sub_f32 v14, v15, v14 :: v_dual_mul_f32 v9, v12, v9
	v_add_f32_e32 v9, v14, v9
	s_delay_alu instid0(VALU_DEP_1) | instskip(NEXT) | instid1(VALU_DEP_1)
	v_add_f32_e32 v12, v13, v9
	v_mul_f32_e32 v14, v12, v12
	s_delay_alu instid0(VALU_DEP_1) | instskip(NEXT) | instid1(VALU_DEP_1)
	v_fmaak_f32 v15, s84, v14, 0x3ecc95a3
	v_dual_mul_f32 v17, v12, v14 :: v_dual_fmaak_f32 v14, v14, v15, 0x3f2aaada
	v_ldexp_f32 v15, v12, 1
	v_sub_f32_e32 v12, v12, v13
	s_delay_alu instid0(VALU_DEP_3) | instskip(NEXT) | instid1(VALU_DEP_2)
	v_dual_mul_f32 v14, v17, v14 :: v_dual_mul_f32 v17, 0x3f317218, v8
	v_sub_f32_e32 v9, v9, v12
	s_delay_alu instid0(VALU_DEP_2) | instskip(NEXT) | instid1(VALU_DEP_2)
	v_add_f32_e32 v13, v15, v14
	v_ldexp_f32 v9, v9, 1
	s_delay_alu instid0(VALU_DEP_2) | instskip(SKIP_1) | instid1(VALU_DEP_2)
	v_sub_f32_e32 v12, v13, v15
	v_fma_f32 v15, 0x3f317218, v8, -v17
	v_sub_f32_e32 v12, v14, v12
	s_delay_alu instid0(VALU_DEP_2) | instskip(NEXT) | instid1(VALU_DEP_2)
	v_fmac_f32_e32 v15, 0xb102e308, v8
	v_add_f32_e32 v8, v9, v12
	s_delay_alu instid0(VALU_DEP_2) | instskip(NEXT) | instid1(VALU_DEP_2)
	v_add_f32_e32 v9, v17, v15
	v_add_f32_e32 v12, v13, v8
	s_delay_alu instid0(VALU_DEP_2) | instskip(NEXT) | instid1(VALU_DEP_2)
	v_sub_f32_e32 v17, v9, v17
	v_dual_add_f32 v14, v9, v12 :: v_dual_sub_f32 v13, v12, v13
	s_delay_alu instid0(VALU_DEP_2) | instskip(NEXT) | instid1(VALU_DEP_2)
	v_sub_f32_e32 v15, v15, v17
	v_sub_f32_e32 v101, v14, v9
	s_delay_alu instid0(VALU_DEP_3) | instskip(NEXT) | instid1(VALU_DEP_2)
	v_sub_f32_e32 v8, v8, v13
	v_sub_f32_e32 v102, v14, v101
	s_delay_alu instid0(VALU_DEP_2) | instskip(NEXT) | instid1(VALU_DEP_2)
	v_dual_sub_f32 v12, v12, v101 :: v_dual_add_f32 v13, v15, v8
	v_sub_f32_e32 v9, v9, v102
	s_delay_alu instid0(VALU_DEP_1) | instskip(NEXT) | instid1(VALU_DEP_1)
	v_dual_add_f32 v9, v12, v9 :: v_dual_sub_f32 v12, v13, v15
	v_add_f32_e32 v9, v13, v9
	s_delay_alu instid0(VALU_DEP_2) | instskip(NEXT) | instid1(VALU_DEP_2)
	v_sub_f32_e32 v13, v13, v12
	v_dual_sub_f32 v8, v8, v12 :: v_dual_add_f32 v17, v14, v9
	s_delay_alu instid0(VALU_DEP_1) | instskip(NEXT) | instid1(VALU_DEP_1)
	v_dual_sub_f32 v13, v15, v13 :: v_dual_sub_f32 v12, v17, v14
	v_dual_add_f32 v8, v8, v13 :: v_dual_sub_f32 v9, v9, v12
	s_delay_alu instid0(VALU_DEP_1) | instskip(NEXT) | instid1(VALU_DEP_1)
	v_add_f32_e32 v8, v8, v9
	v_add_f32_e32 v8, v17, v8
	s_delay_alu instid0(VALU_DEP_1)
	v_cndmask_b32_e32 v123, v8, v10, vcc_lo
.LBB60_102:                             ;   in Loop: Header=BB60_12 Depth=1
	s_or_b32 exec_lo, exec_lo, s30
	v_lshlrev_b32_e32 v8, 16, v11
	s_delay_alu instid0(VALU_DEP_1) | instskip(NEXT) | instid1(VALU_DEP_1)
	v_add_f32_e32 v124, s67, v8
	v_cmp_ge_f32_e32 vcc_lo, 0x41a00000, v124
	s_and_b32 s29, s80, vcc_lo
	s_delay_alu instid0(SALU_CYCLE_1)
	s_and_saveexec_b32 s30, s29
	s_cbranch_execz .LBB60_104
; %bb.103:                              ;   in Loop: Header=BB60_12 Depth=1
	v_mul_f32_e32 v8, 0x3fb8aa3b, v124
	v_cmp_ngt_f32_e32 vcc_lo, 0xc2ce8ed0, v124
	s_delay_alu instid0(VALU_DEP_2) | instskip(SKIP_1) | instid1(VALU_DEP_2)
	v_rndne_f32_e32 v9, v8
	v_fma_f32 v10, 0x3fb8aa3b, v124, -v8
	v_sub_f32_e32 v8, v8, v9
	s_delay_alu instid0(VALU_DEP_2) | instskip(SKIP_1) | instid1(VALU_DEP_2)
	v_fmac_f32_e32 v10, 0x32a5705f, v124
	v_cvt_i32_f32_e32 v9, v9
	v_add_f32_e32 v8, v8, v10
	s_delay_alu instid0(VALU_DEP_1) | instskip(SKIP_2) | instid1(VALU_DEP_1)
	v_exp_f32_e32 v8, v8
	s_waitcnt_depctr 0xfff
	v_ldexp_f32 v8, v8, v9
	v_cndmask_b32_e32 v8, 0, v8, vcc_lo
	v_cmp_nlt_f32_e32 vcc_lo, 0x42b17218, v124
	s_delay_alu instid0(VALU_DEP_2) | instskip(NEXT) | instid1(VALU_DEP_1)
	v_cndmask_b32_e32 v10, 0x7f800000, v8, vcc_lo
	v_add_f32_e32 v12, 1.0, v10
	s_delay_alu instid0(VALU_DEP_1) | instskip(NEXT) | instid1(VALU_DEP_1)
	v_cvt_f64_f32_e32 v[8:9], v12
	v_frexp_exp_i32_f64_e32 v8, v[8:9]
	v_frexp_mant_f32_e32 v9, v12
	s_delay_alu instid0(VALU_DEP_1) | instskip(SKIP_1) | instid1(VALU_DEP_1)
	v_cmp_gt_f32_e32 vcc_lo, 0x3f2aaaab, v9
	v_add_f32_e32 v9, -1.0, v12
	v_dual_sub_f32 v14, v9, v12 :: v_dual_sub_f32 v9, v10, v9
	v_subrev_co_ci_u32_e32 v8, vcc_lo, 0, v8, vcc_lo
	s_delay_alu instid0(VALU_DEP_1) | instskip(SKIP_1) | instid1(VALU_DEP_2)
	v_sub_nc_u32_e32 v13, 0, v8
	v_cvt_f32_i32_e32 v8, v8
	v_ldexp_f32 v12, v12, v13
	s_delay_alu instid0(VALU_DEP_1) | instskip(NEXT) | instid1(VALU_DEP_1)
	v_dual_add_f32 v14, 1.0, v14 :: v_dual_add_f32 v15, 1.0, v12
	v_add_f32_e32 v9, v9, v14
	s_delay_alu instid0(VALU_DEP_1) | instskip(NEXT) | instid1(VALU_DEP_3)
	v_ldexp_f32 v9, v9, v13
	v_dual_add_f32 v13, -1.0, v12 :: v_dual_add_f32 v14, -1.0, v15
	s_delay_alu instid0(VALU_DEP_1) | instskip(NEXT) | instid1(VALU_DEP_1)
	v_dual_add_f32 v17, 1.0, v13 :: v_dual_sub_f32 v14, v12, v14
	v_sub_f32_e32 v12, v12, v17
	s_delay_alu instid0(VALU_DEP_2) | instskip(NEXT) | instid1(VALU_DEP_2)
	v_add_f32_e32 v14, v9, v14
	v_add_f32_e32 v9, v9, v12
	s_delay_alu instid0(VALU_DEP_2) | instskip(SKIP_2) | instid1(VALU_DEP_4)
	v_add_f32_e32 v17, v15, v14
	v_cmp_eq_f32_e32 vcc_lo, 0x7f800000, v10
	v_cmp_gt_f32_e64 s29, 0x33800000, v10
	v_add_f32_e32 v101, v13, v9
	s_delay_alu instid0(VALU_DEP_4) | instskip(SKIP_1) | instid1(VALU_DEP_3)
	v_rcp_f32_e32 v12, v17
	v_sub_f32_e32 v15, v15, v17
	s_or_b32 vcc_lo, s29, vcc_lo
	s_delay_alu instid0(VALU_DEP_1) | instskip(NEXT) | instid1(VALU_DEP_1)
	v_dual_sub_f32 v13, v13, v101 :: v_dual_add_f32 v14, v14, v15
	v_add_f32_e32 v9, v9, v13
	s_waitcnt_depctr 0xfff
	v_mul_f32_e32 v102, v101, v12
	s_delay_alu instid0(VALU_DEP_1) | instskip(NEXT) | instid1(VALU_DEP_1)
	v_mul_f32_e32 v103, v17, v102
	v_fma_f32 v15, v102, v17, -v103
	s_delay_alu instid0(VALU_DEP_1) | instskip(NEXT) | instid1(VALU_DEP_1)
	v_fmac_f32_e32 v15, v102, v14
	v_add_f32_e32 v104, v103, v15
	s_delay_alu instid0(VALU_DEP_1) | instskip(NEXT) | instid1(VALU_DEP_1)
	v_dual_sub_f32 v106, v101, v104 :: v_dual_sub_f32 v13, v104, v103
	v_sub_f32_e32 v101, v101, v106
	s_delay_alu instid0(VALU_DEP_2) | instskip(NEXT) | instid1(VALU_DEP_2)
	v_sub_f32_e32 v13, v13, v15
	v_sub_f32_e32 v101, v101, v104
	s_delay_alu instid0(VALU_DEP_1) | instskip(NEXT) | instid1(VALU_DEP_1)
	v_add_f32_e32 v9, v9, v101
	v_add_f32_e32 v9, v13, v9
	s_delay_alu instid0(VALU_DEP_1) | instskip(NEXT) | instid1(VALU_DEP_1)
	v_add_f32_e32 v13, v106, v9
	v_mul_f32_e32 v15, v12, v13
	s_delay_alu instid0(VALU_DEP_1) | instskip(NEXT) | instid1(VALU_DEP_1)
	v_dual_sub_f32 v104, v106, v13 :: v_dual_mul_f32 v101, v17, v15
	v_add_f32_e32 v9, v9, v104
	s_delay_alu instid0(VALU_DEP_2) | instskip(NEXT) | instid1(VALU_DEP_1)
	v_fma_f32 v17, v15, v17, -v101
	v_fmac_f32_e32 v17, v15, v14
	s_delay_alu instid0(VALU_DEP_1) | instskip(NEXT) | instid1(VALU_DEP_1)
	v_add_f32_e32 v14, v101, v17
	v_sub_f32_e32 v103, v13, v14
	s_delay_alu instid0(VALU_DEP_1) | instskip(NEXT) | instid1(VALU_DEP_1)
	v_sub_f32_e32 v13, v13, v103
	v_sub_f32_e32 v13, v13, v14
	s_delay_alu instid0(VALU_DEP_1) | instskip(SKIP_2) | instid1(VALU_DEP_1)
	v_add_f32_e32 v9, v9, v13
	v_add_f32_e32 v13, v102, v15
	v_sub_f32_e32 v101, v14, v101
	v_sub_f32_e32 v14, v101, v17
	s_delay_alu instid0(VALU_DEP_1) | instskip(NEXT) | instid1(VALU_DEP_1)
	v_dual_add_f32 v9, v14, v9 :: v_dual_sub_f32 v14, v13, v102
	v_add_f32_e32 v9, v103, v9
	s_delay_alu instid0(VALU_DEP_1) | instskip(NEXT) | instid1(VALU_DEP_1)
	v_dual_sub_f32 v14, v15, v14 :: v_dual_mul_f32 v9, v12, v9
	v_add_f32_e32 v9, v14, v9
	s_delay_alu instid0(VALU_DEP_1) | instskip(NEXT) | instid1(VALU_DEP_1)
	v_add_f32_e32 v12, v13, v9
	v_mul_f32_e32 v14, v12, v12
	s_delay_alu instid0(VALU_DEP_1) | instskip(NEXT) | instid1(VALU_DEP_1)
	v_fmaak_f32 v15, s84, v14, 0x3ecc95a3
	v_dual_mul_f32 v17, v12, v14 :: v_dual_fmaak_f32 v14, v14, v15, 0x3f2aaada
	v_ldexp_f32 v15, v12, 1
	v_sub_f32_e32 v12, v12, v13
	s_delay_alu instid0(VALU_DEP_3) | instskip(NEXT) | instid1(VALU_DEP_2)
	v_dual_mul_f32 v14, v17, v14 :: v_dual_mul_f32 v17, 0x3f317218, v8
	v_sub_f32_e32 v9, v9, v12
	s_delay_alu instid0(VALU_DEP_2) | instskip(NEXT) | instid1(VALU_DEP_2)
	v_add_f32_e32 v13, v15, v14
	v_ldexp_f32 v9, v9, 1
	s_delay_alu instid0(VALU_DEP_2) | instskip(SKIP_1) | instid1(VALU_DEP_2)
	v_sub_f32_e32 v12, v13, v15
	v_fma_f32 v15, 0x3f317218, v8, -v17
	v_sub_f32_e32 v12, v14, v12
	s_delay_alu instid0(VALU_DEP_2) | instskip(NEXT) | instid1(VALU_DEP_2)
	v_fmac_f32_e32 v15, 0xb102e308, v8
	v_add_f32_e32 v8, v9, v12
	s_delay_alu instid0(VALU_DEP_2) | instskip(NEXT) | instid1(VALU_DEP_2)
	v_add_f32_e32 v9, v17, v15
	v_add_f32_e32 v12, v13, v8
	s_delay_alu instid0(VALU_DEP_2) | instskip(NEXT) | instid1(VALU_DEP_2)
	v_sub_f32_e32 v17, v9, v17
	v_dual_add_f32 v14, v9, v12 :: v_dual_sub_f32 v13, v12, v13
	s_delay_alu instid0(VALU_DEP_2) | instskip(NEXT) | instid1(VALU_DEP_2)
	v_sub_f32_e32 v15, v15, v17
	v_sub_f32_e32 v101, v14, v9
	s_delay_alu instid0(VALU_DEP_3) | instskip(NEXT) | instid1(VALU_DEP_2)
	v_sub_f32_e32 v8, v8, v13
	v_sub_f32_e32 v102, v14, v101
	s_delay_alu instid0(VALU_DEP_2) | instskip(NEXT) | instid1(VALU_DEP_2)
	v_dual_sub_f32 v12, v12, v101 :: v_dual_add_f32 v13, v15, v8
	v_sub_f32_e32 v9, v9, v102
	s_delay_alu instid0(VALU_DEP_1) | instskip(NEXT) | instid1(VALU_DEP_1)
	v_dual_add_f32 v9, v12, v9 :: v_dual_sub_f32 v12, v13, v15
	v_add_f32_e32 v9, v13, v9
	s_delay_alu instid0(VALU_DEP_2) | instskip(NEXT) | instid1(VALU_DEP_2)
	v_sub_f32_e32 v13, v13, v12
	v_dual_sub_f32 v8, v8, v12 :: v_dual_add_f32 v17, v14, v9
	s_delay_alu instid0(VALU_DEP_1) | instskip(NEXT) | instid1(VALU_DEP_1)
	v_dual_sub_f32 v13, v15, v13 :: v_dual_sub_f32 v12, v17, v14
	v_dual_add_f32 v8, v8, v13 :: v_dual_sub_f32 v9, v9, v12
	s_delay_alu instid0(VALU_DEP_1) | instskip(NEXT) | instid1(VALU_DEP_1)
	v_add_f32_e32 v8, v8, v9
	v_add_f32_e32 v8, v17, v8
	s_delay_alu instid0(VALU_DEP_1)
	v_cndmask_b32_e32 v124, v8, v10, vcc_lo
.LBB60_104:                             ;   in Loop: Header=BB60_12 Depth=1
	s_or_b32 exec_lo, exec_lo, s30
	v_and_b32_e32 v8, 0xffff0000, v11
	s_delay_alu instid0(VALU_DEP_1) | instskip(NEXT) | instid1(VALU_DEP_1)
	v_add_f32_e32 v125, s67, v8
	v_cmp_ge_f32_e32 vcc_lo, 0x41a00000, v125
	s_and_b32 s29, s80, vcc_lo
	s_delay_alu instid0(SALU_CYCLE_1)
	s_and_saveexec_b32 s30, s29
	s_cbranch_execz .LBB60_106
; %bb.105:                              ;   in Loop: Header=BB60_12 Depth=1
	v_mul_f32_e32 v8, 0x3fb8aa3b, v125
	v_cmp_ngt_f32_e32 vcc_lo, 0xc2ce8ed0, v125
	s_delay_alu instid0(VALU_DEP_2) | instskip(SKIP_1) | instid1(VALU_DEP_2)
	v_rndne_f32_e32 v9, v8
	v_fma_f32 v10, 0x3fb8aa3b, v125, -v8
	v_sub_f32_e32 v8, v8, v9
	s_delay_alu instid0(VALU_DEP_2) | instskip(SKIP_1) | instid1(VALU_DEP_2)
	v_fmac_f32_e32 v10, 0x32a5705f, v125
	v_cvt_i32_f32_e32 v9, v9
	v_add_f32_e32 v8, v8, v10
	s_delay_alu instid0(VALU_DEP_1) | instskip(SKIP_2) | instid1(VALU_DEP_1)
	v_exp_f32_e32 v8, v8
	s_waitcnt_depctr 0xfff
	v_ldexp_f32 v8, v8, v9
	v_cndmask_b32_e32 v8, 0, v8, vcc_lo
	v_cmp_nlt_f32_e32 vcc_lo, 0x42b17218, v125
	s_delay_alu instid0(VALU_DEP_2) | instskip(NEXT) | instid1(VALU_DEP_1)
	v_cndmask_b32_e32 v10, 0x7f800000, v8, vcc_lo
	v_add_f32_e32 v11, 1.0, v10
	s_delay_alu instid0(VALU_DEP_1) | instskip(NEXT) | instid1(VALU_DEP_1)
	v_cvt_f64_f32_e32 v[8:9], v11
	v_frexp_exp_i32_f64_e32 v8, v[8:9]
	v_frexp_mant_f32_e32 v9, v11
	s_delay_alu instid0(VALU_DEP_1) | instskip(SKIP_1) | instid1(VALU_DEP_1)
	v_cmp_gt_f32_e32 vcc_lo, 0x3f2aaaab, v9
	v_add_f32_e32 v9, -1.0, v11
	v_sub_f32_e32 v13, v9, v11
	v_sub_f32_e32 v9, v10, v9
	s_delay_alu instid0(VALU_DEP_2) | instskip(NEXT) | instid1(VALU_DEP_1)
	v_add_f32_e32 v13, 1.0, v13
	v_add_f32_e32 v9, v9, v13
	v_cmp_gt_f32_e64 s29, 0x33800000, v10
	v_subrev_co_ci_u32_e32 v8, vcc_lo, 0, v8, vcc_lo
	v_cmp_eq_f32_e32 vcc_lo, 0x7f800000, v10
	s_delay_alu instid0(VALU_DEP_2) | instskip(SKIP_2) | instid1(VALU_DEP_2)
	v_sub_nc_u32_e32 v12, 0, v8
	v_cvt_f32_i32_e32 v8, v8
	s_or_b32 vcc_lo, s29, vcc_lo
	v_ldexp_f32 v11, v11, v12
	v_ldexp_f32 v9, v9, v12
	s_delay_alu instid0(VALU_DEP_2) | instskip(NEXT) | instid1(VALU_DEP_1)
	v_add_f32_e32 v14, 1.0, v11
	v_dual_add_f32 v12, -1.0, v11 :: v_dual_add_f32 v13, -1.0, v14
	s_delay_alu instid0(VALU_DEP_1) | instskip(NEXT) | instid1(VALU_DEP_2)
	v_add_f32_e32 v15, 1.0, v12
	v_sub_f32_e32 v13, v11, v13
	s_delay_alu instid0(VALU_DEP_2) | instskip(NEXT) | instid1(VALU_DEP_2)
	v_sub_f32_e32 v11, v11, v15
	v_add_f32_e32 v13, v9, v13
	s_delay_alu instid0(VALU_DEP_2) | instskip(NEXT) | instid1(VALU_DEP_1)
	v_add_f32_e32 v9, v9, v11
	v_add_f32_e32 v17, v12, v9
	s_delay_alu instid0(VALU_DEP_3) | instskip(NEXT) | instid1(VALU_DEP_2)
	v_add_f32_e32 v15, v14, v13
	v_sub_f32_e32 v12, v12, v17
	s_delay_alu instid0(VALU_DEP_2) | instskip(SKIP_1) | instid1(VALU_DEP_1)
	v_rcp_f32_e32 v11, v15
	v_sub_f32_e32 v14, v14, v15
	v_add_f32_e32 v13, v13, v14
	s_waitcnt_depctr 0xfff
	v_mul_f32_e32 v101, v17, v11
	s_delay_alu instid0(VALU_DEP_1) | instskip(NEXT) | instid1(VALU_DEP_1)
	v_dual_mul_f32 v102, v15, v101 :: v_dual_add_f32 v9, v9, v12
	v_fma_f32 v14, v101, v15, -v102
	s_delay_alu instid0(VALU_DEP_1) | instskip(NEXT) | instid1(VALU_DEP_1)
	v_fmac_f32_e32 v14, v101, v13
	v_add_f32_e32 v103, v102, v14
	s_delay_alu instid0(VALU_DEP_1) | instskip(SKIP_1) | instid1(VALU_DEP_1)
	v_sub_f32_e32 v12, v103, v102
	v_sub_f32_e32 v104, v17, v103
	v_dual_sub_f32 v12, v12, v14 :: v_dual_sub_f32 v17, v17, v104
	s_delay_alu instid0(VALU_DEP_1) | instskip(NEXT) | instid1(VALU_DEP_1)
	v_sub_f32_e32 v17, v17, v103
	v_add_f32_e32 v9, v9, v17
	s_delay_alu instid0(VALU_DEP_1) | instskip(NEXT) | instid1(VALU_DEP_1)
	v_add_f32_e32 v9, v12, v9
	v_add_f32_e32 v12, v104, v9
	s_delay_alu instid0(VALU_DEP_1) | instskip(SKIP_1) | instid1(VALU_DEP_2)
	v_mul_f32_e32 v14, v11, v12
	v_sub_f32_e32 v103, v104, v12
	v_mul_f32_e32 v17, v15, v14
	s_delay_alu instid0(VALU_DEP_2) | instskip(NEXT) | instid1(VALU_DEP_2)
	v_add_f32_e32 v9, v9, v103
	v_fma_f32 v15, v14, v15, -v17
	s_delay_alu instid0(VALU_DEP_1) | instskip(NEXT) | instid1(VALU_DEP_1)
	v_fmac_f32_e32 v15, v14, v13
	v_add_f32_e32 v13, v17, v15
	s_delay_alu instid0(VALU_DEP_1) | instskip(NEXT) | instid1(VALU_DEP_1)
	v_sub_f32_e32 v102, v12, v13
	v_dual_sub_f32 v17, v13, v17 :: v_dual_sub_f32 v12, v12, v102
	s_delay_alu instid0(VALU_DEP_1) | instskip(NEXT) | instid1(VALU_DEP_1)
	v_dual_sub_f32 v12, v12, v13 :: v_dual_sub_f32 v13, v17, v15
	v_add_f32_e32 v9, v9, v12
	v_add_f32_e32 v12, v101, v14
	s_delay_alu instid0(VALU_DEP_2) | instskip(NEXT) | instid1(VALU_DEP_2)
	v_add_f32_e32 v9, v13, v9
	v_sub_f32_e32 v13, v12, v101
	s_delay_alu instid0(VALU_DEP_2) | instskip(NEXT) | instid1(VALU_DEP_2)
	v_add_f32_e32 v9, v102, v9
	v_sub_f32_e32 v13, v14, v13
	s_delay_alu instid0(VALU_DEP_2) | instskip(NEXT) | instid1(VALU_DEP_1)
	v_mul_f32_e32 v9, v11, v9
	v_add_f32_e32 v9, v13, v9
	s_delay_alu instid0(VALU_DEP_1) | instskip(NEXT) | instid1(VALU_DEP_1)
	v_add_f32_e32 v11, v12, v9
	v_mul_f32_e32 v13, v11, v11
	s_delay_alu instid0(VALU_DEP_1) | instskip(SKIP_1) | instid1(VALU_DEP_2)
	v_fmaak_f32 v14, s84, v13, 0x3ecc95a3
	v_mul_f32_e32 v15, v11, v13
	v_fmaak_f32 v13, v13, v14, 0x3f2aaada
	v_ldexp_f32 v14, v11, 1
	v_sub_f32_e32 v11, v11, v12
	s_delay_alu instid0(VALU_DEP_3) | instskip(SKIP_1) | instid1(VALU_DEP_2)
	v_mul_f32_e32 v13, v15, v13
	v_mul_f32_e32 v15, 0x3f317218, v8
	v_dual_sub_f32 v9, v9, v11 :: v_dual_add_f32 v12, v14, v13
	s_delay_alu instid0(VALU_DEP_1) | instskip(NEXT) | instid1(VALU_DEP_2)
	v_ldexp_f32 v9, v9, 1
	v_sub_f32_e32 v11, v12, v14
	s_delay_alu instid0(VALU_DEP_4) | instskip(NEXT) | instid1(VALU_DEP_1)
	v_fma_f32 v14, 0x3f317218, v8, -v15
	v_dual_sub_f32 v11, v13, v11 :: v_dual_fmac_f32 v14, 0xb102e308, v8
	s_delay_alu instid0(VALU_DEP_1) | instskip(NEXT) | instid1(VALU_DEP_1)
	v_dual_add_f32 v8, v9, v11 :: v_dual_add_f32 v9, v15, v14
	v_add_f32_e32 v11, v12, v8
	s_delay_alu instid0(VALU_DEP_2) | instskip(NEXT) | instid1(VALU_DEP_2)
	v_sub_f32_e32 v15, v9, v15
	v_dual_add_f32 v13, v9, v11 :: v_dual_sub_f32 v12, v11, v12
	s_delay_alu instid0(VALU_DEP_1) | instskip(NEXT) | instid1(VALU_DEP_1)
	v_dual_sub_f32 v14, v14, v15 :: v_dual_sub_f32 v17, v13, v9
	v_dual_sub_f32 v8, v8, v12 :: v_dual_sub_f32 v101, v13, v17
	s_delay_alu instid0(VALU_DEP_1) | instskip(NEXT) | instid1(VALU_DEP_2)
	v_dual_sub_f32 v11, v11, v17 :: v_dual_add_f32 v12, v14, v8
	v_sub_f32_e32 v9, v9, v101
	s_delay_alu instid0(VALU_DEP_1) | instskip(NEXT) | instid1(VALU_DEP_3)
	v_add_f32_e32 v9, v11, v9
	v_sub_f32_e32 v11, v12, v14
	s_delay_alu instid0(VALU_DEP_2) | instskip(NEXT) | instid1(VALU_DEP_2)
	v_add_f32_e32 v9, v12, v9
	v_sub_f32_e32 v12, v12, v11
	s_delay_alu instid0(VALU_DEP_2) | instskip(NEXT) | instid1(VALU_DEP_1)
	v_dual_sub_f32 v8, v8, v11 :: v_dual_add_f32 v15, v13, v9
	v_dual_sub_f32 v12, v14, v12 :: v_dual_sub_f32 v11, v15, v13
	s_delay_alu instid0(VALU_DEP_1) | instskip(NEXT) | instid1(VALU_DEP_1)
	v_dual_add_f32 v8, v8, v12 :: v_dual_sub_f32 v9, v9, v11
	v_add_f32_e32 v8, v8, v9
	s_delay_alu instid0(VALU_DEP_1) | instskip(NEXT) | instid1(VALU_DEP_1)
	v_add_f32_e32 v8, v15, v8
	v_cndmask_b32_e32 v125, v8, v10, vcc_lo
.LBB60_106:                             ;   in Loop: Header=BB60_12 Depth=1
	s_or_b32 exec_lo, exec_lo, s30
	v_and_b32_e32 v10, 0xffff0000, v5
	v_lshlrev_b32_e32 v5, 16, v5
	v_and_b32_e32 v9, 0xffff0000, v6
	v_and_b32_e32 v14, 0xffff0000, v7
	;; [unrolled: 1-line block ×4, first 2 shown]
	v_lshlrev_b32_e32 v1, 16, v1
	v_and_b32_e32 v12, 0xffff0000, v2
	v_lshlrev_b32_e32 v0, 16, v0
	v_lshlrev_b32_e32 v2, 16, v2
	v_mul_f32_e32 v106, s68, v5
	v_dual_mul_f32 v103, s68, v9 :: v_dual_lshlrev_b32 v8, 16, v7
	v_lshlrev_b32_e32 v6, 16, v6
	v_mul_f32_e32 v120, s68, v15
	s_delay_alu instid0(VALU_DEP_3)
	v_dual_mul_f32 v118, s68, v13 :: v_dual_mul_f32 v101, s68, v8
	v_mul_f32_e32 v119, s68, v0
	v_dual_mul_f32 v114, s68, v2 :: v_dual_and_b32 v11, 0xffff0000, v3
	v_and_b32_e32 v7, 0xffff0000, v4
	v_lshlrev_b32_e32 v3, 16, v3
	v_lshlrev_b32_e32 v4, 16, v4
	v_mul_f32_e32 v102, s68, v6
	v_mul_f32_e32 v112, s68, v11
	s_and_b32 vcc_lo, exec_lo, s81
	v_mul_f32_e32 v111, s68, v3
	v_mul_f32_e32 v109, s68, v4
	v_mul_f32_e32 v107, s68, v10
	v_dual_mul_f32 v104, s68, v14 :: v_dual_mul_f32 v117, s68, v1
	v_dual_mul_f32 v110, s68, v7 :: v_dual_mul_f32 v115, s68, v12
	s_barrier
	buffer_gl0_inv
	s_cbranch_vccz .LBB60_204
; %bb.107:                              ;   in Loop: Header=BB60_12 Depth=1
	v_dual_mul_f32 v126, v125, v14 :: v_dual_mul_f32 v131, v124, v8
	v_add_co_u32 v14, s29, s61, v16
	s_delay_alu instid0(VALU_DEP_1) | instskip(SKIP_1) | instid1(VALU_DEP_1)
	v_add_co_ci_u32_e64 v17, null, s62, 0, s29
	v_add_co_u32 v16, s29, s49, v16
	v_add_co_ci_u32_e64 v130, null, s74, 0, s29
	s_delay_alu instid0(VALU_DEP_4) | instskip(NEXT) | instid1(VALU_DEP_4)
	v_add_co_u32 v127, vcc_lo, v14, v93
	v_add_co_ci_u32_e32 v128, vcc_lo, 0, v17, vcc_lo
	s_delay_alu instid0(VALU_DEP_4) | instskip(NEXT) | instid1(VALU_DEP_4)
	v_add_co_u32 v129, vcc_lo, v16, v93
	v_add_co_ci_u32_e32 v130, vcc_lo, 0, v130, vcc_lo
	v_cmp_gt_u32_e32 vcc_lo, s41, v18
	s_cmp_lg_u32 s86, 0
	v_cmp_gt_u32_e64 s31, s41, v79
	s_cselect_b32 s51, -1, 0
	s_cmp_eq_u32 s86, s83
	v_cmp_gt_u32_e64 s33, s41, v80
	s_cselect_b32 s87, -1, 0
	s_or_b32 s29, s82, vcc_lo
	v_cmp_gt_u32_e32 vcc_lo, s41, v78
	v_cmp_gt_u32_e64 s34, s41, v81
	v_cmp_gt_u32_e64 s35, s41, v82
	;; [unrolled: 1-line block ×4, first 2 shown]
	s_or_b32 s30, s82, vcc_lo
	v_cmp_gt_u32_e32 vcc_lo, s41, v83
	v_cmp_gt_u32_e64 s39, s41, v86
	v_cmp_gt_u32_e64 s40, s41, v87
	;; [unrolled: 1-line block ×4, first 2 shown]
	s_or_b32 s36, s82, vcc_lo
	v_cmp_gt_u32_e32 vcc_lo, s41, v88
	v_cmp_gt_u32_e64 s44, s41, v91
	v_cmp_gt_u32_e64 s45, s41, v92
	v_dual_mul_f32 v132, v123, v9 :: v_dual_mul_f32 v133, v122, v6
	v_dual_mul_f32 v134, v121, v10 :: v_dual_mul_f32 v135, v116, v5
	;; [unrolled: 1-line block ×7, first 2 shown]
	s_mov_b32 s64, 0
	s_or_b32 s31, s82, s31
	s_or_b32 s33, s82, s33
	;; [unrolled: 1-line block ×8, first 2 shown]
	s_or_b32 s41, s82, vcc_lo
	s_or_b32 s42, s82, s42
	s_or_b32 s43, s82, s43
	;; [unrolled: 1-line block ×4, first 2 shown]
	s_mov_b32 s52, s64
	s_mov_b32 s54, s64
	;; [unrolled: 1-line block ×5, first 2 shown]
	s_branch .LBB60_109
.LBB60_108:                             ;   in Loop: Header=BB60_109 Depth=2
	s_or_b32 exec_lo, exec_lo, s46
	v_cndmask_b32_e64 v9, v175, v11, s12
	v_cndmask_b32_e64 v10, v174, v10, s12
	s_add_i32 s88, s88, -1
	s_add_i32 s89, s89, 8
	s_add_i32 s58, s58, s75
	v_fma_f32 v9, v9, v149, v148
	v_mul_f32_e32 v10, v10, v149
	s_add_i32 s54, s54, s48
	s_add_i32 s52, s52, s60
	;; [unrolled: 1-line block ×3, first 2 shown]
	v_cndmask_b32_e64 v9, v9, v148, s11
	v_cndmask_b32_e64 v10, v10, v149, s11
	s_cmp_eq_u32 s88, 0
	s_waitcnt lgkmcnt(0)
	s_delay_alu instid0(VALU_DEP_1) | instskip(NEXT) | instid1(VALU_DEP_1)
	v_dual_fmac_f32 v9, v8, v10 :: v_dual_and_b32 v10, 0xffff0000, v5
	v_dual_fmac_f32 v12, v9, v151 :: v_dual_lshlrev_b32 v5, 16, v5
	s_delay_alu instid0(VALU_DEP_1) | instskip(NEXT) | instid1(VALU_DEP_1)
	v_fmac_f32_e32 v13, v12, v152
	v_fmac_f32_e32 v14, v13, v154
	s_delay_alu instid0(VALU_DEP_3) | instskip(NEXT) | instid1(VALU_DEP_2)
	v_fmac_f32_e32 v117, v13, v5
	v_fmac_f32_e32 v15, v14, v157
	s_delay_alu instid0(VALU_DEP_1) | instskip(NEXT) | instid1(VALU_DEP_1)
	v_fmac_f32_e32 v146, v15, v158
	v_fmac_f32_e32 v147, v146, v159
	s_delay_alu instid0(VALU_DEP_1) | instskip(NEXT) | instid1(VALU_DEP_1)
	v_fmac_f32_e32 v150, v147, v160
	v_dual_fmac_f32 v153, v150, v162 :: v_dual_and_b32 v8, 0xffff0000, v4
	v_lshlrev_b32_e32 v4, 16, v4
	s_delay_alu instid0(VALU_DEP_2) | instskip(SKIP_1) | instid1(VALU_DEP_3)
	v_dual_fmac_f32 v120, v12, v8 :: v_dual_fmac_f32 v155, v153, v163
	v_and_b32_e32 v11, 0xffff0000, v6
	v_dual_fmac_f32 v119, v9, v4 :: v_dual_and_b32 v16, 0xffff0000, v7
	s_delay_alu instid0(VALU_DEP_3) | instskip(NEXT) | instid1(VALU_DEP_3)
	v_dual_fmac_f32 v156, v155, v164 :: v_dual_lshlrev_b32 v7, 16, v7
	v_dual_fmac_f32 v115, v146, v11 :: v_dual_and_b32 v148, 0xffff0000, v1
	s_delay_alu instid0(VALU_DEP_2) | instskip(NEXT) | instid1(VALU_DEP_3)
	v_dual_fmac_f32 v112, v150, v16 :: v_dual_fmac_f32 v111, v147, v7
	v_dual_fmac_f32 v161, v156, v172 :: v_dual_lshlrev_b32 v6, 16, v6
	v_dual_fmac_f32 v118, v14, v10 :: v_dual_lshlrev_b32 v1, 16, v1
	s_delay_alu instid0(VALU_DEP_2) | instskip(SKIP_3) | instid1(VALU_DEP_4)
	v_fmac_f32_e32 v165, v161, v167
	v_and_b32_e32 v17, 0xffff0000, v0
	v_lshlrev_b32_e32 v0, 16, v0
	v_dual_fmac_f32 v114, v15, v6 :: v_dual_and_b32 v151, 0xffff0000, v3
	v_dual_fmac_f32 v166, v165, v169 :: v_dual_and_b32 v149, 0xffff0000, v2
	v_lshlrev_b32_e32 v2, 16, v2
	v_lshlrev_b32_e32 v3, 16, v3
	v_dual_fmac_f32 v109, v153, v0 :: v_dual_fmac_f32 v110, v155, v17
	s_delay_alu instid0(VALU_DEP_4) | instskip(SKIP_2) | instid1(VALU_DEP_3)
	v_fmac_f32_e32 v168, v166, v171
	v_dual_fmac_f32 v106, v156, v1 :: v_dual_fmac_f32 v107, v161, v148
	v_dual_fmac_f32 v102, v165, v2 :: v_dual_fmac_f32 v103, v166, v149
	v_fmac_f32_e32 v170, v168, v173
	v_fmac_f32_e32 v101, v168, v3
	s_delay_alu instid0(VALU_DEP_2)
	v_fmac_f32_e32 v104, v170, v151
	s_cbranch_scc1 .LBB60_204
.LBB60_109:                             ;   Parent Loop BB60_12 Depth=1
                                        ; =>  This Inner Loop Header: Depth=2
	s_lshl_b64 s[46:47], s[64:65], 2
	s_mov_b32 s53, s65
	s_add_u32 s46, s72, s46
	s_addc_u32 s47, s73, s47
	v_dual_mov_b32 v2, 0 :: v_dual_mov_b32 v3, 0
	global_load_b32 v146, v21, s[46:47]
	s_lshl_b64 s[46:47], s[52:53], 1
	s_delay_alu instid0(SALU_CYCLE_1)
	v_add_co_u32 v0, vcc_lo, v127, s46
	v_add_co_ci_u32_e32 v1, vcc_lo, s47, v128, vcc_lo
	s_and_saveexec_b32 s46, s13
	s_cbranch_execz .LBB60_111
; %bb.110:                              ;   in Loop: Header=BB60_109 Depth=2
	global_load_u16 v3, v[0:1], off
.LBB60_111:                             ;   in Loop: Header=BB60_109 Depth=2
	s_or_b32 exec_lo, exec_lo, s46
	s_and_saveexec_b32 s46, s14
	s_cbranch_execz .LBB60_113
; %bb.112:                              ;   in Loop: Header=BB60_109 Depth=2
	global_load_u16 v2, v[0:1], off offset:64
.LBB60_113:                             ;   in Loop: Header=BB60_109 Depth=2
	s_or_b32 exec_lo, exec_lo, s46
	v_dual_mov_b32 v4, 0 :: v_dual_mov_b32 v5, 0
	s_and_saveexec_b32 s46, s15
	s_cbranch_execz .LBB60_115
; %bb.114:                              ;   in Loop: Header=BB60_109 Depth=2
	global_load_u16 v5, v[0:1], off offset:128
.LBB60_115:                             ;   in Loop: Header=BB60_109 Depth=2
	s_or_b32 exec_lo, exec_lo, s46
	s_and_saveexec_b32 s46, s16
	s_cbranch_execz .LBB60_117
; %bb.116:                              ;   in Loop: Header=BB60_109 Depth=2
	global_load_u16 v4, v[0:1], off offset:192
.LBB60_117:                             ;   in Loop: Header=BB60_109 Depth=2
	s_or_b32 exec_lo, exec_lo, s46
	v_dual_mov_b32 v6, 0 :: v_dual_mov_b32 v7, 0
	s_and_saveexec_b32 s46, s17
	s_cbranch_execz .LBB60_119
; %bb.118:                              ;   in Loop: Header=BB60_109 Depth=2
	global_load_u16 v7, v[0:1], off offset:256
.LBB60_119:                             ;   in Loop: Header=BB60_109 Depth=2
	s_or_b32 exec_lo, exec_lo, s46
	s_and_saveexec_b32 s46, s18
	s_cbranch_execz .LBB60_121
; %bb.120:                              ;   in Loop: Header=BB60_109 Depth=2
	global_load_u16 v6, v[0:1], off offset:320
.LBB60_121:                             ;   in Loop: Header=BB60_109 Depth=2
	s_or_b32 exec_lo, exec_lo, s46
	v_dual_mov_b32 v8, 0 :: v_dual_mov_b32 v9, 0
	s_and_saveexec_b32 s46, s19
	s_cbranch_execz .LBB60_123
; %bb.122:                              ;   in Loop: Header=BB60_109 Depth=2
	global_load_u16 v9, v[0:1], off offset:384
.LBB60_123:                             ;   in Loop: Header=BB60_109 Depth=2
	s_or_b32 exec_lo, exec_lo, s46
	s_and_saveexec_b32 s46, s20
	s_cbranch_execz .LBB60_125
; %bb.124:                              ;   in Loop: Header=BB60_109 Depth=2
	global_load_u16 v8, v[0:1], off offset:448
.LBB60_125:                             ;   in Loop: Header=BB60_109 Depth=2
	s_or_b32 exec_lo, exec_lo, s46
	v_dual_mov_b32 v10, 0 :: v_dual_mov_b32 v11, 0
	s_and_saveexec_b32 s46, s21
	s_cbranch_execz .LBB60_127
; %bb.126:                              ;   in Loop: Header=BB60_109 Depth=2
	global_load_u16 v11, v[0:1], off offset:512
.LBB60_127:                             ;   in Loop: Header=BB60_109 Depth=2
	s_or_b32 exec_lo, exec_lo, s46
	s_and_saveexec_b32 s46, s22
	s_cbranch_execz .LBB60_129
; %bb.128:                              ;   in Loop: Header=BB60_109 Depth=2
	global_load_u16 v10, v[0:1], off offset:576
.LBB60_129:                             ;   in Loop: Header=BB60_109 Depth=2
	s_or_b32 exec_lo, exec_lo, s46
	v_dual_mov_b32 v12, 0 :: v_dual_mov_b32 v13, 0
	s_and_saveexec_b32 s46, s23
	s_cbranch_execz .LBB60_131
; %bb.130:                              ;   in Loop: Header=BB60_109 Depth=2
	global_load_u16 v13, v[0:1], off offset:640
.LBB60_131:                             ;   in Loop: Header=BB60_109 Depth=2
	s_or_b32 exec_lo, exec_lo, s46
	s_and_saveexec_b32 s46, s24
	s_cbranch_execz .LBB60_133
; %bb.132:                              ;   in Loop: Header=BB60_109 Depth=2
	global_load_u16 v12, v[0:1], off offset:704
.LBB60_133:                             ;   in Loop: Header=BB60_109 Depth=2
	s_or_b32 exec_lo, exec_lo, s46
	v_dual_mov_b32 v14, 0 :: v_dual_mov_b32 v15, 0
	s_and_saveexec_b32 s46, s25
	s_cbranch_execz .LBB60_135
; %bb.134:                              ;   in Loop: Header=BB60_109 Depth=2
	global_load_u16 v15, v[0:1], off offset:768
.LBB60_135:                             ;   in Loop: Header=BB60_109 Depth=2
	s_or_b32 exec_lo, exec_lo, s46
	s_and_saveexec_b32 s46, s26
	s_cbranch_execz .LBB60_137
; %bb.136:                              ;   in Loop: Header=BB60_109 Depth=2
	global_load_u16 v14, v[0:1], off offset:832
.LBB60_137:                             ;   in Loop: Header=BB60_109 Depth=2
	s_or_b32 exec_lo, exec_lo, s46
	v_dual_mov_b32 v16, 0 :: v_dual_mov_b32 v17, 0
	s_and_saveexec_b32 s46, s27
	s_cbranch_execz .LBB60_139
; %bb.138:                              ;   in Loop: Header=BB60_109 Depth=2
	global_load_u16 v17, v[0:1], off offset:896
.LBB60_139:                             ;   in Loop: Header=BB60_109 Depth=2
	s_or_b32 exec_lo, exec_lo, s46
	s_and_saveexec_b32 s46, s28
	s_cbranch_execz .LBB60_141
; %bb.140:                              ;   in Loop: Header=BB60_109 Depth=2
	global_load_u16 v16, v[0:1], off offset:960
.LBB60_141:                             ;   in Loop: Header=BB60_109 Depth=2
	s_or_b32 exec_lo, exec_lo, s46
	s_waitcnt vmcnt(0)
	ds_store_b16 v37, v3
	ds_store_b16 v37, v2 offset:64
	ds_store_b16 v38, v5 offset:128
	;; [unrolled: 1-line block ×15, first 2 shown]
	; wave barrier
	ds_load_b128 v[12:15], v52
	ds_load_b128 v[8:11], v52 offset:16
	s_mov_b32 s55, s65
	v_dual_mov_b32 v2, 0 :: v_dual_mov_b32 v3, 0
	s_lshl_b64 s[46:47], s[54:55], 1
	s_delay_alu instid0(SALU_CYCLE_1)
	v_add_co_u32 v0, vcc_lo, v129, s46
	v_add_co_ci_u32_e32 v1, vcc_lo, s47, v130, vcc_lo
	s_and_saveexec_b32 s46, s13
	s_cbranch_execz .LBB60_143
; %bb.142:                              ;   in Loop: Header=BB60_109 Depth=2
	global_load_u16 v3, v[0:1], off
.LBB60_143:                             ;   in Loop: Header=BB60_109 Depth=2
	s_or_b32 exec_lo, exec_lo, s46
	s_and_saveexec_b32 s46, s14
	s_cbranch_execz .LBB60_145
; %bb.144:                              ;   in Loop: Header=BB60_109 Depth=2
	global_load_u16 v2, v[0:1], off offset:64
.LBB60_145:                             ;   in Loop: Header=BB60_109 Depth=2
	s_or_b32 exec_lo, exec_lo, s46
	v_dual_mov_b32 v4, 0 :: v_dual_mov_b32 v5, 0
	s_and_saveexec_b32 s46, s15
	s_cbranch_execz .LBB60_147
; %bb.146:                              ;   in Loop: Header=BB60_109 Depth=2
	global_load_u16 v5, v[0:1], off offset:128
.LBB60_147:                             ;   in Loop: Header=BB60_109 Depth=2
	s_or_b32 exec_lo, exec_lo, s46
	s_and_saveexec_b32 s46, s16
	s_cbranch_execz .LBB60_149
; %bb.148:                              ;   in Loop: Header=BB60_109 Depth=2
	global_load_u16 v4, v[0:1], off offset:192
.LBB60_149:                             ;   in Loop: Header=BB60_109 Depth=2
	s_or_b32 exec_lo, exec_lo, s46
	v_dual_mov_b32 v6, 0 :: v_dual_mov_b32 v7, 0
	s_and_saveexec_b32 s46, s17
	s_cbranch_execz .LBB60_151
; %bb.150:                              ;   in Loop: Header=BB60_109 Depth=2
	global_load_u16 v7, v[0:1], off offset:256
.LBB60_151:                             ;   in Loop: Header=BB60_109 Depth=2
	;; [unrolled: 13-line block ×7, first 2 shown]
	s_or_b32 exec_lo, exec_lo, s46
	s_and_saveexec_b32 s46, s28
	s_cbranch_execz .LBB60_173
; %bb.172:                              ;   in Loop: Header=BB60_109 Depth=2
	global_load_u16 v153, v[0:1], off offset:960
.LBB60_173:                             ;   in Loop: Header=BB60_109 Depth=2
	s_or_b32 exec_lo, exec_lo, s46
	s_waitcnt vmcnt(0)
	ds_store_b16 v37, v3 offset:4224
	ds_store_b16 v53, v2 offset:64
	;; [unrolled: 1-line block ×16, first 2 shown]
	; wave barrier
	ds_load_b128 v[4:7], v52 offset:4224
	ds_load_b128 v[0:3], v68 offset:16
	s_and_not1_b32 vcc_lo, exec_lo, s51
	s_cbranch_vccnz .LBB60_175
; %bb.174:                              ;   in Loop: Header=BB60_109 Depth=2
	v_mov_b32_e32 v16, s89
	ds_load_b64 v[16:17], v16
	s_cbranch_execz .LBB60_176
	s_branch .LBB60_179
.LBB60_175:                             ;   in Loop: Header=BB60_109 Depth=2
                                        ; implicit-def: $vgpr16
.LBB60_176:                             ;   in Loop: Header=BB60_109 Depth=2
	s_waitcnt lgkmcnt(0)
	v_mov_b32_e32 v17, 0
	s_and_not1_b32 vcc_lo, exec_lo, s66
	s_cbranch_vccnz .LBB60_178
; %bb.177:                              ;   in Loop: Header=BB60_109 Depth=2
	s_mov_b32 s59, s65
	s_delay_alu instid0(SALU_CYCLE_1) | instskip(NEXT) | instid1(SALU_CYCLE_1)
	s_lshl_b64 s[46:47], s[58:59], 2
	s_add_u32 s46, s76, s46
	s_addc_u32 s47, s77, s47
	global_load_b32 v17, v21, s[46:47]
.LBB60_178:                             ;   in Loop: Header=BB60_109 Depth=2
	v_mov_b32_e32 v16, 1.0
.LBB60_179:                             ;   in Loop: Header=BB60_109 Depth=2
	s_waitcnt lgkmcnt(19)
	v_dual_mul_f32 v168, 0x3fb8aa3b, v146 :: v_dual_lshlrev_b32 v147, 16, v12
	v_and_b32_e32 v12, 0xffff0000, v12
	v_lshlrev_b32_e32 v146, 16, v13
	v_and_b32_e32 v150, 0xffff0000, v13
	v_lshlrev_b32_e32 v153, 16, v14
	v_mul_f32_e32 v13, v168, v94
	v_dual_mul_f32 v14, v168, v95 :: v_dual_and_b32 v155, 0xffff0000, v14
	v_dual_mul_f32 v149, v168, v97 :: v_dual_lshlrev_b32 v156, 16, v15
	s_delay_alu instid0(VALU_DEP_3) | instskip(SKIP_1) | instid1(VALU_DEP_4)
	v_cmp_gt_f32_e32 vcc_lo, 0xc2fc0000, v13
	v_dual_mul_f32 v12, v144, v12 :: v_dual_and_b32 v159, 0xffff0000, v15
	v_cmp_gt_f32_e64 s46, 0xc2fc0000, v14
	v_mul_f32_e32 v15, v168, v96
	v_cndmask_b32_e64 v13, 0, 0x42800000, vcc_lo
	v_cndmask_b32_e64 v148, 1.0, 0x1f800000, vcc_lo
	s_waitcnt lgkmcnt(18)
	v_lshlrev_b32_e32 v165, 16, v10
	v_cndmask_b32_e64 v14, 0, 0x42800000, s46
	v_mul_f32_e32 v147, v145, v147
	v_fmac_f32_e32 v13, v168, v94
	v_dual_mul_f32 v146, v143, v146 :: v_dual_lshlrev_b32 v161, 16, v8
	v_and_b32_e32 v8, 0xffff0000, v8
	v_fmac_f32_e32 v14, v168, v95
	s_delay_alu instid0(VALU_DEP_4) | instskip(SKIP_2) | instid1(VALU_DEP_3)
	v_exp_f32_e32 v13, v13
	v_cmp_gt_f32_e32 vcc_lo, 0xc2fc0000, v15
	v_dual_mul_f32 v155, v140, v155 :: v_dual_and_b32 v10, 0xffff0000, v10
	v_exp_f32_e32 v14, v14
	v_dual_mul_f32 v161, v137, v161 :: v_dual_mul_f32 v8, v136, v8
	v_cndmask_b32_e64 v15, 0, 0x42800000, vcc_lo
	v_lshlrev_b32_e32 v170, 16, v11
	v_and_b32_e32 v11, 0xffff0000, v11
	s_delay_alu instid0(TRANS32_DEP_2)
	v_mul_f32_e32 v13, v13, v148
	v_cndmask_b32_e64 v148, 0, v147, s29
	v_cndmask_b32_e64 v147, 1.0, 0x1f800000, s46
	v_cmp_gt_f32_e64 s46, 0xc2fc0000, v149
	v_fmac_f32_e32 v15, v168, v96
	v_cndmask_b32_e64 v149, 1.0, v13, s29
	v_cndmask_b32_e64 v12, 0, v12, s30
	v_mul_f32_e32 v13, v14, v147
	v_cndmask_b32_e64 v151, 0, 0x42800000, s46
	v_exp_f32_e32 v14, v15
	v_cndmask_b32_e64 v147, 1.0, 0x1f800000, vcc_lo
	v_lshlrev_b32_e32 v163, 16, v9
	v_mul_f32_e32 v15, v168, v98
	v_fmac_f32_e32 v151, v168, v97
	v_and_b32_e32 v9, 0xffff0000, v9
	v_mul_f32_e32 v171, v168, v123
	v_mul_f32_e32 v173, v168, v125
	v_cmp_gt_f32_e32 vcc_lo, 0xc2fc0000, v15
	v_exp_f32_e32 v154, v151
	v_mul_f32_e32 v14, v14, v147
	v_cndmask_b32_e64 v147, 1.0, 0x1f800000, s46
	v_mul_f32_e32 v157, v168, v105
	v_cndmask_b32_e64 v15, 0, 0x42800000, vcc_lo
	v_mul_f32_e32 v160, v168, v108
	v_cndmask_b32_e64 v152, 1.0, v14, s31
	v_mul_f32_e32 v14, v142, v150
	v_mul_f32_e32 v150, v168, v100
	v_fmac_f32_e32 v15, v168, v98
	v_mul_f32_e32 v147, v154, v147
	v_cmp_gt_f32_e64 s47, 0xc2fc0000, v157
	v_cndmask_b32_e64 v14, 0, v14, s33
	v_mul_f32_e32 v162, v168, v116
	v_exp_f32_e32 v15, v15
	v_cndmask_b32_e64 v154, 1.0, v147, s33
	v_cndmask_b32_e64 v147, 1.0, 0x1f800000, vcc_lo
	v_cmp_gt_f32_e32 vcc_lo, 0xc2fc0000, v150
	v_mul_f32_e32 v170, v131, v170
	v_dual_mul_f32 v10, v132, v10 :: v_dual_mul_f32 v11, v126, v11
	v_cndmask_b32_e64 v150, 0, 0x42800000, vcc_lo
	s_delay_alu instid0(TRANS32_DEP_1) | instskip(SKIP_2) | instid1(VALU_DEP_4)
	v_mul_f32_e32 v147, v15, v147
	v_mul_f32_e32 v15, v141, v153
	v_cndmask_b32_e64 v153, 0, 0x42800000, s47
	v_fmac_f32_e32 v150, v168, v100
	v_cndmask_b32_e64 v151, 1.0, v13, s30
	v_cndmask_b32_e64 v13, 0, v146, s31
	v_mul_f32_e32 v146, v168, v99
	v_cndmask_b32_e64 v157, 1.0, v147, s34
	v_exp_f32_e32 v150, v150
	v_fma_f32 v169, v151, v148, v12
	v_cndmask_b32_e64 v15, 0, v15, s34
	v_cmp_gt_f32_e64 s46, 0xc2fc0000, v146
	s_delay_alu instid0(VALU_DEP_1) | instskip(SKIP_1) | instid1(VALU_DEP_2)
	v_cndmask_b32_e64 v146, 0, 0x42800000, s46
	v_cndmask_b32_e64 v158, 1.0, 0x1f800000, s46
	v_fmac_f32_e32 v146, v168, v99
	s_delay_alu instid0(VALU_DEP_1)
	v_exp_f32_e32 v146, v146
	s_waitcnt_depctr 0xfff
	v_mul_f32_e32 v147, v146, v158
	v_cndmask_b32_e64 v146, 0, v155, s35
	v_cndmask_b32_e64 v155, 1.0, 0x1f800000, vcc_lo
	v_cmp_gt_f32_e32 vcc_lo, 0xc2fc0000, v160
	v_mul_f32_e32 v160, v138, v159
	v_cndmask_b32_e64 v158, 1.0, v147, s35
	s_delay_alu instid0(VALU_DEP_4)
	v_dual_mul_f32 v147, v139, v156 :: v_dual_mul_f32 v150, v150, v155
	v_cndmask_b32_e64 v155, 1.0, 0x1f800000, s47
	v_cmp_gt_f32_e64 s47, 0xc2fc0000, v162
	v_mul_f32_e32 v162, v168, v121
	v_cndmask_b32_e64 v156, 0, 0x42800000, vcc_lo
	v_cndmask_b32_e64 v164, 1.0, 0x1f800000, vcc_lo
	v_cndmask_b32_e64 v159, 1.0, v150, s36
	v_cndmask_b32_e64 v150, 0, v160, s37
	v_cmp_gt_f32_e32 vcc_lo, 0xc2fc0000, v162
	v_fmac_f32_e32 v156, v168, v108
	v_cndmask_b32_e64 v147, 0, v147, s36
	v_cndmask_b32_e64 v166, 0, 0x42800000, vcc_lo
	v_cndmask_b32_e64 v167, 1.0, 0x1f800000, vcc_lo
	s_delay_alu instid0(VALU_DEP_2) | instskip(NEXT) | instid1(VALU_DEP_1)
	v_fmac_f32_e32 v166, v168, v121
	v_exp_f32_e32 v166, v166
	v_fmac_f32_e32 v153, v168, v105
	s_delay_alu instid0(VALU_DEP_1) | instskip(SKIP_3) | instid1(VALU_DEP_2)
	v_exp_f32_e32 v153, v153
	s_waitcnt_depctr 0xfff
	v_mul_f32_e32 v153, v153, v155
	v_mul_f32_e32 v155, v168, v113
	v_cndmask_b32_e64 v160, 1.0, v153, s37
	s_delay_alu instid0(VALU_DEP_2) | instskip(SKIP_2) | instid1(VALU_DEP_2)
	v_cmp_gt_f32_e64 s46, 0xc2fc0000, v155
	v_exp_f32_e32 v153, v156
	v_cndmask_b32_e64 v156, 0, 0x42800000, s47
	v_cndmask_b32_e64 v155, 0, 0x42800000, s46
	s_delay_alu instid0(VALU_DEP_2)
	v_fmac_f32_e32 v156, v168, v116
	s_waitcnt_depctr 0xfff
	v_dual_fmac_f32 v155, v168, v113 :: v_dual_mul_f32 v162, v153, v164
	v_cndmask_b32_e64 v153, 0, v161, s38
	v_exp_f32_e32 v156, v156
	v_cndmask_b32_e64 v161, 1.0, 0x1f800000, s46
	s_delay_alu instid0(VALU_DEP_3) | instskip(SKIP_3) | instid1(VALU_DEP_2)
	v_exp_f32_e32 v155, v155
	v_cndmask_b32_e64 v164, 1.0, 0x1f800000, s47
	v_cmp_gt_f32_e64 s46, 0xc2fc0000, v171
	v_cndmask_b32_e64 v162, 1.0, v162, s38
	v_cndmask_b32_e64 v171, 1.0, 0x1f800000, s46
	s_waitcnt_depctr 0xfff
	v_dual_mul_f32 v164, v156, v164 :: v_dual_mul_f32 v161, v155, v161
	v_cndmask_b32_e64 v155, 0, v8, s39
	v_mul_f32_e32 v8, v135, v163
	s_delay_alu instid0(VALU_DEP_3) | instskip(NEXT) | instid1(VALU_DEP_4)
	v_cndmask_b32_e64 v164, 1.0, v164, s40
	v_cndmask_b32_e64 v163, 1.0, v161, s39
	v_mul_f32_e32 v161, v168, v122
	s_delay_alu instid0(VALU_DEP_4) | instskip(SKIP_1) | instid1(VALU_DEP_3)
	v_cndmask_b32_e64 v156, 0, v8, s40
	v_dual_mul_f32 v8, v166, v167 :: v_dual_mul_f32 v167, v151, v149
	v_cmp_gt_f32_e32 vcc_lo, 0xc2fc0000, v161
	s_delay_alu instid0(VALU_DEP_2) | instskip(SKIP_3) | instid1(VALU_DEP_3)
	v_cndmask_b32_e64 v172, 1.0, v8, s41
	v_cndmask_b32_e64 v166, 0, 0x42800000, vcc_lo
	v_mul_f32_e32 v9, v134, v9
	v_cndmask_b32_e64 v8, 1.0, 0x1f800000, vcc_lo
	v_fmac_f32_e32 v166, v168, v122
	s_delay_alu instid0(VALU_DEP_3)
	v_cndmask_b32_e64 v161, 0, v9, s41
	v_mul_f32_e32 v9, v167, v152
	v_fma_f32 v167, v169, v152, v13
	v_cndmask_b32_e64 v169, 0, 0x42800000, s46
	v_exp_f32_e32 v166, v166
	v_cmp_gt_f32_e64 s46, 0xc2fc0000, v173
	v_mul_f32_e32 v9, v9, v154
	v_fma_f32 v167, v167, v154, v14
	v_fmac_f32_e32 v169, v168, v123
	s_delay_alu instid0(VALU_DEP_3) | instskip(NEXT) | instid1(VALU_DEP_3)
	v_mul_f32_e32 v9, v9, v157
	v_fma_f32 v167, v167, v157, v15
	s_delay_alu instid0(VALU_DEP_3)
	v_exp_f32_e32 v169, v169
	s_delay_alu instid0(TRANS32_DEP_2) | instid1(VALU_DEP_2)
	v_dual_mul_f32 v8, v166, v8 :: v_dual_mul_f32 v9, v9, v158
	s_delay_alu instid0(VALU_DEP_2) | instskip(NEXT) | instid1(VALU_DEP_2)
	v_fma_f32 v166, v167, v158, v146
	v_cndmask_b32_e64 v167, 1.0, v8, s42
	s_delay_alu instid0(VALU_DEP_3) | instskip(NEXT) | instid1(VALU_DEP_3)
	v_mul_f32_e32 v8, v9, v159
	v_fma_f32 v9, v166, v159, v147
	v_mul_f32_e32 v166, v168, v124
	s_delay_alu instid0(VALU_DEP_3) | instskip(NEXT) | instid1(VALU_DEP_3)
	v_mul_f32_e32 v8, v8, v160
	v_fma_f32 v9, v9, v160, v150
	s_delay_alu instid0(VALU_DEP_3)
	v_cmp_gt_f32_e32 vcc_lo, 0xc2fc0000, v166
	v_mul_f32_e32 v165, v133, v165
	v_cndmask_b32_e64 v166, 0, v10, s43
	v_mul_f32_e32 v8, v8, v162
	v_fma_f32 v9, v9, v162, v153
	v_cndmask_b32_e64 v10, 0, 0x42800000, s46
	v_mul_f32_e32 v169, v169, v171
	v_cndmask_b32_e64 v171, 0, 0x42800000, vcc_lo
	v_mul_f32_e32 v8, v8, v163
	v_fma_f32 v9, v9, v163, v155
	v_fmac_f32_e32 v10, v168, v125
	v_cndmask_b32_e64 v165, 0, v165, s42
	v_fmac_f32_e32 v171, v168, v124
	v_mul_f32_e32 v8, v8, v164
	v_fma_f32 v9, v9, v164, v156
	v_cndmask_b32_e64 v168, 1.0, 0x1f800000, vcc_lo
	v_exp_f32_e32 v10, v10
	v_exp_f32_e32 v171, v171
	v_mul_f32_e32 v8, v8, v172
	v_fma_f32 v9, v9, v172, v161
	v_cndmask_b32_e64 v169, 1.0, v169, s43
	s_delay_alu instid0(VALU_DEP_3) | instskip(NEXT) | instid1(VALU_DEP_3)
	v_mul_f32_e32 v8, v8, v167
	v_fma_f32 v9, v9, v167, v165
	s_waitcnt_depctr 0xfff
	v_mul_f32_e32 v171, v171, v168
	v_cndmask_b32_e64 v168, 0, v170, s44
	v_cndmask_b32_e64 v170, 1.0, 0x1f800000, s46
	v_mul_f32_e32 v8, v8, v169
	v_fma_f32 v9, v9, v169, v166
	v_cndmask_b32_e64 v171, 1.0, v171, s44
	s_delay_alu instid0(VALU_DEP_4) | instskip(SKIP_1) | instid1(VALU_DEP_3)
	v_mul_f32_e32 v10, v10, v170
	v_cndmask_b32_e64 v170, 0, v11, s45
	v_mul_f32_e32 v8, v8, v171
	v_fma_f32 v9, v9, v171, v168
	s_delay_alu instid0(VALU_DEP_4) | instskip(NEXT) | instid1(VALU_DEP_1)
	v_cndmask_b32_e64 v173, 1.0, v10, s45
	v_mul_f32_e32 v8, v8, v173
	s_delay_alu instid0(VALU_DEP_3) | instskip(NEXT) | instid1(VALU_DEP_2)
	v_fma_f32 v9, v9, v173, v170
	v_mov_b32_dpp v11, v8 row_shr:1 row_mask:0xf bank_mask:0xf
	s_delay_alu instid0(VALU_DEP_2)
	v_mov_b32_dpp v10, v9 row_shr:1 row_mask:0xf bank_mask:0xf
	s_and_saveexec_b32 s46, s0
; %bb.180:                              ;   in Loop: Header=BB60_109 Depth=2
	s_delay_alu instid0(VALU_DEP_2) | instskip(NEXT) | instid1(VALU_DEP_1)
	v_mul_f32_e32 v11, v8, v11
	v_dual_fmac_f32 v9, v8, v10 :: v_dual_mov_b32 v8, v11
; %bb.181:                              ;   in Loop: Header=BB60_109 Depth=2
	s_or_b32 exec_lo, exec_lo, s46
	s_delay_alu instid0(VALU_DEP_1) | instskip(NEXT) | instid1(VALU_DEP_2)
	v_mov_b32_dpp v10, v8 row_shr:2 row_mask:0xf bank_mask:0xf
	v_mov_b32_dpp v11, v9 row_shr:2 row_mask:0xf bank_mask:0xf
	s_and_saveexec_b32 s46, s1
; %bb.182:                              ;   in Loop: Header=BB60_109 Depth=2
	s_delay_alu instid0(VALU_DEP_1) | instskip(NEXT) | instid1(VALU_DEP_3)
	v_fmac_f32_e32 v9, v8, v11
	v_mul_f32_e32 v8, v8, v10
; %bb.183:                              ;   in Loop: Header=BB60_109 Depth=2
	s_or_b32 exec_lo, exec_lo, s46
	s_delay_alu instid0(VALU_DEP_1) | instskip(NEXT) | instid1(VALU_DEP_3)
	v_mov_b32_dpp v10, v8 row_shr:4 row_mask:0xf bank_mask:0xf
	v_mov_b32_dpp v11, v9 row_shr:4 row_mask:0xf bank_mask:0xf
	s_and_saveexec_b32 s46, s2
; %bb.184:                              ;   in Loop: Header=BB60_109 Depth=2
	s_delay_alu instid0(VALU_DEP_1) | instskip(NEXT) | instid1(VALU_DEP_3)
	v_fmac_f32_e32 v9, v8, v11
	v_mul_f32_e32 v8, v8, v10
; %bb.185:                              ;   in Loop: Header=BB60_109 Depth=2
	s_or_b32 exec_lo, exec_lo, s46
	s_delay_alu instid0(VALU_DEP_1) | instskip(NEXT) | instid1(VALU_DEP_3)
	v_mov_b32_dpp v10, v8 row_shr:8 row_mask:0xf bank_mask:0xf
	v_mov_b32_dpp v11, v9 row_shr:8 row_mask:0xf bank_mask:0xf
	s_and_saveexec_b32 s46, s3
; %bb.186:                              ;   in Loop: Header=BB60_109 Depth=2
	s_delay_alu instid0(VALU_DEP_1) | instskip(NEXT) | instid1(VALU_DEP_3)
	v_fmac_f32_e32 v9, v8, v11
	v_mul_f32_e32 v8, v8, v10
; %bb.187:                              ;   in Loop: Header=BB60_109 Depth=2
	s_or_b32 exec_lo, exec_lo, s46
	ds_swizzle_b32 v11, v8 offset:swizzle(BROADCAST,32,15)
	ds_swizzle_b32 v10, v9 offset:swizzle(BROADCAST,32,15)
	s_and_saveexec_b32 s46, s4
	s_cbranch_execz .LBB60_189
; %bb.188:                              ;   in Loop: Header=BB60_109 Depth=2
	s_waitcnt lgkmcnt(1)
	v_mul_f32_e32 v11, v8, v11
	s_waitcnt lgkmcnt(0)
	s_delay_alu instid0(VALU_DEP_1)
	v_dual_fmac_f32 v9, v8, v10 :: v_dual_mov_b32 v8, v11
.LBB60_189:                             ;   in Loop: Header=BB60_109 Depth=2
	s_or_b32 exec_lo, exec_lo, s46
	s_and_saveexec_b32 s46, s5
	s_cbranch_execz .LBB60_191
; %bb.190:                              ;   in Loop: Header=BB60_109 Depth=2
	ds_store_b64 v69, v[8:9] offset:8448
.LBB60_191:                             ;   in Loop: Header=BB60_109 Depth=2
	s_or_b32 exec_lo, exec_lo, s46
	s_waitcnt vmcnt(0) lgkmcnt(0)
	s_waitcnt_vscnt null, 0x0
	s_barrier
	buffer_gl0_inv
	s_and_saveexec_b32 s46, s6
	s_cbranch_execz .LBB60_195
; %bb.192:                              ;   in Loop: Header=BB60_109 Depth=2
	ds_load_b64 v[10:11], v70 offset:8448
	s_waitcnt lgkmcnt(0)
	v_mov_b32_dpp v176, v10 row_shr:1 row_mask:0xf bank_mask:0xf
	v_mov_b32_dpp v175, v11 row_shr:1 row_mask:0xf bank_mask:0xf
	v_mov_b32_e32 v174, v10
	s_and_saveexec_b32 s47, s7
; %bb.193:                              ;   in Loop: Header=BB60_109 Depth=2
	s_delay_alu instid0(VALU_DEP_3) | instskip(NEXT) | instid1(VALU_DEP_3)
	v_mul_f32_e32 v174, v10, v176
	v_fmac_f32_e32 v11, v10, v175
	s_delay_alu instid0(VALU_DEP_2)
	v_mov_b32_e32 v10, v174
; %bb.194:                              ;   in Loop: Header=BB60_109 Depth=2
	s_or_b32 exec_lo, exec_lo, s47
	v_mov_b32_dpp v174, v174 row_shr:2 row_mask:0xf bank_mask:0xf
	s_delay_alu instid0(VALU_DEP_3) | instskip(NEXT) | instid1(VALU_DEP_2)
	v_mov_b32_dpp v175, v11 row_shr:2 row_mask:0xf bank_mask:0xf
	v_mul_f32_e32 v174, v10, v174
	s_delay_alu instid0(VALU_DEP_2) | instskip(NEXT) | instid1(VALU_DEP_2)
	v_fma_f32 v175, v10, v175, v11
	v_cndmask_b32_e64 v10, v10, v174, s8
	s_delay_alu instid0(VALU_DEP_2)
	v_cndmask_b32_e64 v11, v11, v175, s8
	ds_store_b64 v70, v[10:11] offset:8448
.LBB60_195:                             ;   in Loop: Header=BB60_109 Depth=2
	s_or_b32 exec_lo, exec_lo, s46
	s_waitcnt lgkmcnt(0)
	s_barrier
	buffer_gl0_inv
                                        ; implicit-def: $vgpr11
	s_and_saveexec_b32 s46, s10
	s_cbranch_execz .LBB60_197
; %bb.196:                              ;   in Loop: Header=BB60_109 Depth=2
	ds_load_b64 v[10:11], v69 offset:8440
	s_waitcnt lgkmcnt(0)
	v_mul_f32_e32 v174, v8, v10
	s_delay_alu instid0(VALU_DEP_1)
	v_dual_fmac_f32 v9, v8, v11 :: v_dual_mov_b32 v8, v174
.LBB60_197:                             ;   in Loop: Header=BB60_109 Depth=2
	s_or_b32 exec_lo, exec_lo, s46
	ds_bpermute_b32 v174, v71, v8
	ds_bpermute_b32 v175, v71, v9
	s_and_saveexec_b32 s46, s9
	s_cbranch_execz .LBB60_201
; %bb.198:                              ;   in Loop: Header=BB60_109 Depth=2
	ds_load_b64 v[8:9], v21 offset:8472
	s_and_saveexec_b32 s47, s11
	s_cbranch_execz .LBB60_200
; %bb.199:                              ;   in Loop: Header=BB60_109 Depth=2
	ds_store_b64 v21, v[16:17] offset:8472
.LBB60_200:                             ;   in Loop: Header=BB60_109 Depth=2
	s_or_b32 exec_lo, exec_lo, s47
	s_waitcnt lgkmcnt(0)
	v_fmac_f32_e32 v9, v17, v8
	s_delay_alu instid0(VALU_DEP_1)
	v_dual_mul_f32 v16, v16, v8 :: v_dual_mov_b32 v17, v9
.LBB60_201:                             ;   in Loop: Header=BB60_109 Depth=2
	s_or_b32 exec_lo, exec_lo, s46
	s_waitcnt lgkmcnt(0)
	s_barrier
	buffer_gl0_inv
	ds_load_b32 v8, v21 offset:8476
	s_and_saveexec_b32 s46, s11
	s_cbranch_execz .LBB60_108
; %bb.202:                              ;   in Loop: Header=BB60_109 Depth=2
	v_mov_b32_e32 v9, s89
	s_and_not1_b32 vcc_lo, exec_lo, s87
	ds_store_b64 v9, v[16:17]
	s_cbranch_vccnz .LBB60_108
; %bb.203:                              ;   in Loop: Header=BB60_109 Depth=2
	s_mov_b32 s59, s65
	s_delay_alu instid0(SALU_CYCLE_1) | instskip(NEXT) | instid1(SALU_CYCLE_1)
	s_lshl_b64 s[90:91], s[58:59], 2
	s_add_u32 s90, s76, s90
	s_addc_u32 s91, s77, s91
	global_store_b32 v21, v17, s[90:91]
	s_branch .LBB60_108
.LBB60_204:                             ;   in Loop: Header=BB60_12 Depth=1
	v_bfe_u32 v0, v119, 16, 1
	v_bfe_u32 v1, v120, 16, 1
	v_cmp_o_f32_e32 vcc_lo, v119, v119
	v_bfe_u32 v2, v117, 16, 1
	v_bfe_u32 v4, v115, 16, 1
	v_add3_u32 v0, v119, v0, 0x7fff
	v_add3_u32 v1, v120, v1, 0x7fff
	v_bfe_u32 v7, v111, 16, 1
	v_add3_u32 v2, v117, v2, 0x7fff
	v_bfe_u32 v6, v112, 16, 1
	v_lshrrev_b32_e32 v0, 16, v0
	v_lshrrev_b32_e32 v1, 16, v1
	v_add3_u32 v4, v115, v4, 0x7fff
	v_lshrrev_b32_e32 v2, 16, v2
	v_add3_u32 v7, v111, v7, 0x7fff
	v_cndmask_b32_e32 v0, 0x7fc0, v0, vcc_lo
	v_cmp_o_f32_e32 vcc_lo, v120, v120
	v_add3_u32 v6, v112, v6, 0x7fff
	v_bfe_u32 v3, v118, 16, 1
	v_bfe_u32 v10, v107, 16, 1
	;; [unrolled: 1-line block ×3, first 2 shown]
	v_cndmask_b32_e32 v5, 0x7fc0, v1, vcc_lo
	v_bfe_u32 v1, v114, 16, 1
	v_cmp_o_f32_e32 vcc_lo, v117, v117
	v_lshrrev_b32_e32 v6, 16, v6
	v_add3_u32 v3, v118, v3, 0x7fff
	v_bfe_u32 v12, v104, 16, 1
	v_add3_u32 v1, v114, v1, 0x7fff
	v_cndmask_b32_e32 v8, 0x7fc0, v2, vcc_lo
	v_cmp_o_f32_e32 vcc_lo, v114, v114
	v_lshrrev_b32_e32 v2, 16, v4
	v_lshrrev_b32_e32 v4, 16, v7
	;; [unrolled: 1-line block ×4, first 2 shown]
	v_bfe_u32 v7, v109, 16, 1
	v_add3_u32 v11, v101, v11, 0x7fff
	v_perm_b32 v0, v5, v0, 0x5040100
	v_cndmask_b32_e32 v1, 0x7fc0, v1, vcc_lo
	v_cmp_o_f32_e32 vcc_lo, v111, v111
	s_waitcnt_vscnt null, 0x0
	s_barrier
	buffer_gl0_inv
	s_mov_b32 s51, s65
	v_cndmask_b32_e32 v4, 0x7fc0, v4, vcc_lo
	v_cmp_o_f32_e32 vcc_lo, v112, v112
	s_lshl_b64 s[34:35], s[50:51], 1
	v_cndmask_b32_e32 v6, 0x7fc0, v6, vcc_lo
	v_cmp_o_f32_e32 vcc_lo, v115, v115
	v_cndmask_b32_e32 v2, 0x7fc0, v2, vcc_lo
	v_cmp_o_f32_e32 vcc_lo, v118, v118
	s_delay_alu instid0(VALU_DEP_2)
	v_perm_b32 v2, v2, v1, 0x5040100
	v_cndmask_b32_e32 v9, 0x7fc0, v3, vcc_lo
	v_perm_b32 v3, v6, v4, 0x5040100
	v_add3_u32 v6, v109, v7, 0x7fff
	v_bfe_u32 v7, v106, 16, 1
	v_cmp_o_f32_e32 vcc_lo, v109, v109
	v_perm_b32 v1, v9, v8, 0x5040100
	v_add3_u32 v8, v107, v10, 0x7fff
	v_lshrrev_b32_e32 v6, 16, v6
	v_add3_u32 v7, v106, v7, 0x7fff
	v_bfe_u32 v10, v103, 16, 1
	v_bfe_u32 v4, v110, 16, 1
	s_delay_alu instid0(VALU_DEP_4) | instskip(NEXT) | instid1(VALU_DEP_4)
	v_cndmask_b32_e32 v9, 0x7fc0, v6, vcc_lo
	v_lshrrev_b32_e32 v6, 16, v7
	v_lshrrev_b32_e32 v7, 16, v8
	v_bfe_u32 v8, v102, 16, 1
	v_cmp_o_f32_e32 vcc_lo, v106, v106
	v_add3_u32 v4, v110, v4, 0x7fff
	s_delay_alu instid0(VALU_DEP_3)
	v_add3_u32 v8, v102, v8, 0x7fff
	v_cndmask_b32_e32 v13, 0x7fc0, v6, vcc_lo
	v_cmp_o_f32_e32 vcc_lo, v107, v107
	v_add3_u32 v6, v103, v10, 0x7fff
	v_add3_u32 v10, v104, v12, 0x7fff
	v_lshrrev_b32_e32 v4, 16, v4
	v_cndmask_b32_e32 v12, 0x7fc0, v7, vcc_lo
	v_lshrrev_b32_e32 v7, 16, v8
	v_cmp_o_f32_e32 vcc_lo, v102, v102
	v_lshrrev_b32_e32 v8, 16, v11
	v_lshrrev_b32_e32 v10, 16, v10
	;; [unrolled: 1-line block ×3, first 2 shown]
	v_perm_b32 v5, v12, v13, 0x5040100
	v_cndmask_b32_e32 v11, 0x7fc0, v7, vcc_lo
	v_cmp_o_f32_e32 vcc_lo, v101, v101
	v_cndmask_b32_e32 v7, 0x7fc0, v8, vcc_lo
	v_cmp_o_f32_e32 vcc_lo, v104, v104
	v_cndmask_b32_e32 v8, 0x7fc0, v10, vcc_lo
	v_cmp_o_f32_e32 vcc_lo, v103, v103
	s_delay_alu instid0(VALU_DEP_2) | instskip(SKIP_2) | instid1(VALU_DEP_2)
	v_perm_b32 v7, v8, v7, 0x5040100
	v_cndmask_b32_e32 v6, 0x7fc0, v6, vcc_lo
	v_cmp_o_f32_e32 vcc_lo, v110, v110
	v_perm_b32 v6, v6, v11, 0x5040100
	v_cndmask_b32_e32 v4, 0x7fc0, v4, vcc_lo
	s_delay_alu instid0(VALU_DEP_1)
	v_perm_b32 v4, v4, v9, 0x5040100
	ds_store_b128 v52, v[0:3]
	ds_store_b128 v52, v[4:7] offset:16
	; wave barrier
	ds_load_u16 v16, v37 offset:64
	ds_load_u16 v15, v38 offset:128
	;; [unrolled: 1-line block ×15, first 2 shown]
	v_add_co_u32 v0, vcc_lo, v72, s34
	v_add_co_ci_u32_e32 v1, vcc_lo, s35, v73, vcc_lo
	s_and_saveexec_b32 s29, s13
	s_cbranch_execnz .LBB60_271
; %bb.205:                              ;   in Loop: Header=BB60_12 Depth=1
	s_or_b32 exec_lo, exec_lo, s29
	s_and_saveexec_b32 s29, s14
	s_cbranch_execnz .LBB60_272
.LBB60_206:                             ;   in Loop: Header=BB60_12 Depth=1
	s_or_b32 exec_lo, exec_lo, s29
	s_and_saveexec_b32 s29, s15
	s_cbranch_execnz .LBB60_273
.LBB60_207:                             ;   in Loop: Header=BB60_12 Depth=1
	s_or_b32 exec_lo, exec_lo, s29
	s_and_saveexec_b32 s29, s16
	s_cbranch_execnz .LBB60_274
.LBB60_208:                             ;   in Loop: Header=BB60_12 Depth=1
	s_or_b32 exec_lo, exec_lo, s29
	s_and_saveexec_b32 s29, s17
	s_cbranch_execnz .LBB60_275
.LBB60_209:                             ;   in Loop: Header=BB60_12 Depth=1
	s_or_b32 exec_lo, exec_lo, s29
	s_and_saveexec_b32 s29, s18
	s_cbranch_execnz .LBB60_276
.LBB60_210:                             ;   in Loop: Header=BB60_12 Depth=1
	s_or_b32 exec_lo, exec_lo, s29
	s_and_saveexec_b32 s29, s19
	s_cbranch_execnz .LBB60_277
.LBB60_211:                             ;   in Loop: Header=BB60_12 Depth=1
	s_or_b32 exec_lo, exec_lo, s29
	s_and_saveexec_b32 s29, s20
	s_cbranch_execnz .LBB60_278
.LBB60_212:                             ;   in Loop: Header=BB60_12 Depth=1
	s_or_b32 exec_lo, exec_lo, s29
	s_and_saveexec_b32 s29, s21
	s_cbranch_execnz .LBB60_279
.LBB60_213:                             ;   in Loop: Header=BB60_12 Depth=1
	s_or_b32 exec_lo, exec_lo, s29
	s_and_saveexec_b32 s29, s22
	s_cbranch_execnz .LBB60_280
.LBB60_214:                             ;   in Loop: Header=BB60_12 Depth=1
	s_or_b32 exec_lo, exec_lo, s29
	s_and_saveexec_b32 s29, s23
	s_cbranch_execnz .LBB60_281
.LBB60_215:                             ;   in Loop: Header=BB60_12 Depth=1
	s_or_b32 exec_lo, exec_lo, s29
	s_and_saveexec_b32 s29, s24
	s_cbranch_execnz .LBB60_282
.LBB60_216:                             ;   in Loop: Header=BB60_12 Depth=1
	s_or_b32 exec_lo, exec_lo, s29
	s_and_saveexec_b32 s29, s25
	s_cbranch_execnz .LBB60_283
.LBB60_217:                             ;   in Loop: Header=BB60_12 Depth=1
	s_or_b32 exec_lo, exec_lo, s29
	s_and_saveexec_b32 s29, s26
	s_cbranch_execnz .LBB60_284
.LBB60_218:                             ;   in Loop: Header=BB60_12 Depth=1
	s_or_b32 exec_lo, exec_lo, s29
	s_and_saveexec_b32 s29, s27
	s_cbranch_execnz .LBB60_285
.LBB60_219:                             ;   in Loop: Header=BB60_12 Depth=1
	s_or_b32 exec_lo, exec_lo, s29
	s_and_saveexec_b32 s29, s28
	s_cbranch_execz .LBB60_221
.LBB60_220:                             ;   in Loop: Header=BB60_12 Depth=1
	s_waitcnt lgkmcnt(0)
	global_store_b16 v[0:1], v2, off offset:960
.LBB60_221:                             ;   in Loop: Header=BB60_12 Depth=1
	s_or_b32 exec_lo, exec_lo, s29
	v_add_co_u32 v0, vcc_lo, v74, s34
	v_add_co_ci_u32_e32 v1, vcc_lo, s35, v75, vcc_lo
	s_waitcnt lgkmcnt(0)
	v_dual_mov_b32 v2, 0 :: v_dual_mov_b32 v3, 0
	s_waitcnt_vscnt null, 0x0
	s_barrier
	buffer_gl0_inv
	s_and_saveexec_b32 s29, s13
	s_cbranch_execz .LBB60_223
; %bb.222:                              ;   in Loop: Header=BB60_12 Depth=1
	global_load_u16 v3, v[0:1], off
.LBB60_223:                             ;   in Loop: Header=BB60_12 Depth=1
	s_or_b32 exec_lo, exec_lo, s29
	s_and_saveexec_b32 s29, s14
	s_cbranch_execz .LBB60_225
; %bb.224:                              ;   in Loop: Header=BB60_12 Depth=1
	global_load_u16 v2, v[0:1], off offset:64
.LBB60_225:                             ;   in Loop: Header=BB60_12 Depth=1
	s_or_b32 exec_lo, exec_lo, s29
	v_dual_mov_b32 v4, 0 :: v_dual_mov_b32 v5, 0
	s_and_saveexec_b32 s29, s15
	s_cbranch_execz .LBB60_227
; %bb.226:                              ;   in Loop: Header=BB60_12 Depth=1
	global_load_u16 v5, v[0:1], off offset:128
.LBB60_227:                             ;   in Loop: Header=BB60_12 Depth=1
	s_or_b32 exec_lo, exec_lo, s29
	s_and_saveexec_b32 s29, s16
	s_cbranch_execz .LBB60_229
; %bb.228:                              ;   in Loop: Header=BB60_12 Depth=1
	global_load_u16 v4, v[0:1], off offset:192
.LBB60_229:                             ;   in Loop: Header=BB60_12 Depth=1
	s_or_b32 exec_lo, exec_lo, s29
	v_dual_mov_b32 v6, 0 :: v_dual_mov_b32 v7, 0
	s_and_saveexec_b32 s29, s17
	s_cbranch_execz .LBB60_231
; %bb.230:                              ;   in Loop: Header=BB60_12 Depth=1
	global_load_u16 v7, v[0:1], off offset:256
.LBB60_231:                             ;   in Loop: Header=BB60_12 Depth=1
	s_or_b32 exec_lo, exec_lo, s29
	s_and_saveexec_b32 s29, s18
	s_cbranch_execz .LBB60_233
; %bb.232:                              ;   in Loop: Header=BB60_12 Depth=1
	global_load_u16 v6, v[0:1], off offset:320
.LBB60_233:                             ;   in Loop: Header=BB60_12 Depth=1
	s_or_b32 exec_lo, exec_lo, s29
	v_dual_mov_b32 v8, 0 :: v_dual_mov_b32 v9, 0
	s_and_saveexec_b32 s29, s19
	s_cbranch_execz .LBB60_235
; %bb.234:                              ;   in Loop: Header=BB60_12 Depth=1
	global_load_u16 v9, v[0:1], off offset:384
.LBB60_235:                             ;   in Loop: Header=BB60_12 Depth=1
	s_or_b32 exec_lo, exec_lo, s29
	s_and_saveexec_b32 s29, s20
	s_cbranch_execz .LBB60_237
; %bb.236:                              ;   in Loop: Header=BB60_12 Depth=1
	global_load_u16 v8, v[0:1], off offset:448
.LBB60_237:                             ;   in Loop: Header=BB60_12 Depth=1
	s_or_b32 exec_lo, exec_lo, s29
	v_dual_mov_b32 v10, 0 :: v_dual_mov_b32 v11, 0
	s_and_saveexec_b32 s29, s21
	s_cbranch_execz .LBB60_239
; %bb.238:                              ;   in Loop: Header=BB60_12 Depth=1
	global_load_u16 v11, v[0:1], off offset:512
.LBB60_239:                             ;   in Loop: Header=BB60_12 Depth=1
	s_or_b32 exec_lo, exec_lo, s29
	s_and_saveexec_b32 s29, s22
	s_cbranch_execz .LBB60_241
; %bb.240:                              ;   in Loop: Header=BB60_12 Depth=1
	global_load_u16 v10, v[0:1], off offset:576
.LBB60_241:                             ;   in Loop: Header=BB60_12 Depth=1
	s_or_b32 exec_lo, exec_lo, s29
	v_dual_mov_b32 v12, 0 :: v_dual_mov_b32 v13, 0
	s_and_saveexec_b32 s29, s23
	s_cbranch_execz .LBB60_243
; %bb.242:                              ;   in Loop: Header=BB60_12 Depth=1
	global_load_u16 v13, v[0:1], off offset:640
.LBB60_243:                             ;   in Loop: Header=BB60_12 Depth=1
	s_or_b32 exec_lo, exec_lo, s29
	s_and_saveexec_b32 s29, s24
	s_cbranch_execz .LBB60_245
; %bb.244:                              ;   in Loop: Header=BB60_12 Depth=1
	global_load_u16 v12, v[0:1], off offset:704
.LBB60_245:                             ;   in Loop: Header=BB60_12 Depth=1
	s_or_b32 exec_lo, exec_lo, s29
	v_dual_mov_b32 v14, 0 :: v_dual_mov_b32 v15, 0
	s_and_saveexec_b32 s29, s25
	s_cbranch_execz .LBB60_247
; %bb.246:                              ;   in Loop: Header=BB60_12 Depth=1
	global_load_u16 v15, v[0:1], off offset:768
.LBB60_247:                             ;   in Loop: Header=BB60_12 Depth=1
	s_or_b32 exec_lo, exec_lo, s29
	s_and_saveexec_b32 s29, s26
	s_cbranch_execz .LBB60_249
; %bb.248:                              ;   in Loop: Header=BB60_12 Depth=1
	global_load_u16 v14, v[0:1], off offset:832
.LBB60_249:                             ;   in Loop: Header=BB60_12 Depth=1
	s_or_b32 exec_lo, exec_lo, s29
	v_dual_mov_b32 v16, 0 :: v_dual_mov_b32 v17, 0
	s_and_saveexec_b32 s29, s27
	s_cbranch_execz .LBB60_251
; %bb.250:                              ;   in Loop: Header=BB60_12 Depth=1
	global_load_u16 v17, v[0:1], off offset:896
.LBB60_251:                             ;   in Loop: Header=BB60_12 Depth=1
	s_or_b32 exec_lo, exec_lo, s29
	s_and_saveexec_b32 s29, s28
	s_cbranch_execz .LBB60_253
; %bb.252:                              ;   in Loop: Header=BB60_12 Depth=1
	global_load_u16 v16, v[0:1], off offset:960
.LBB60_253:                             ;   in Loop: Header=BB60_12 Depth=1
	s_or_b32 exec_lo, exec_lo, s29
	s_waitcnt vmcnt(0)
	ds_store_b16 v37, v3
	ds_store_b16 v37, v2 offset:64
	ds_store_b16 v38, v5 offset:128
	ds_store_b16 v39, v4 offset:192
	ds_store_b16 v40, v7 offset:256
	ds_store_b16 v41, v6 offset:320
	ds_store_b16 v42, v9 offset:384
	ds_store_b16 v43, v8 offset:448
	ds_store_b16 v44, v11 offset:512
	ds_store_b16 v45, v10 offset:576
	ds_store_b16 v46, v13 offset:640
	ds_store_b16 v47, v12 offset:704
	ds_store_b16 v48, v15 offset:768
	ds_store_b16 v49, v14 offset:832
	ds_store_b16 v50, v17 offset:896
	ds_store_b16 v51, v16 offset:960
	; wave barrier
	ds_load_b128 v[4:7], v52
	ds_load_b128 v[0:3], v52 offset:16
	s_waitcnt lgkmcnt(0)
	s_barrier
	buffer_gl0_inv
	v_and_b32_e32 v8, 0xffff0000, v4
	v_and_b32_e32 v15, 0xffff0000, v5
	;; [unrolled: 1-line block ×3, first 2 shown]
	v_lshlrev_b32_e32 v5, 16, v5
	s_delay_alu instid0(VALU_DEP_4) | instskip(NEXT) | instid1(VALU_DEP_3)
	v_mul_f32_e32 v9, 0xbfb8aa3b, v8
	v_mul_f32_e32 v17, 0xbfb8aa3b, v16
	s_delay_alu instid0(VALU_DEP_3) | instskip(NEXT) | instid1(VALU_DEP_3)
	v_cmp_nlt_f32_e64 s30, 0x42ce8ed0, v5
	v_fma_f32 v11, 0xbfb8aa3b, v8, -v9
	v_rndne_f32_e32 v12, v9
	s_delay_alu instid0(VALU_DEP_4) | instskip(NEXT) | instid1(VALU_DEP_3)
	v_rndne_f32_e32 v100, v17
	v_fmac_f32_e32 v11, 0xb2a5705f, v8
	s_delay_alu instid0(VALU_DEP_3) | instskip(SKIP_1) | instid1(VALU_DEP_2)
	v_sub_f32_e32 v9, v9, v12
	v_cvt_i32_f32_e32 v12, v12
	v_add_f32_e32 v9, v9, v11
	v_cmp_nlt_f32_e32 vcc_lo, 0x42ce8ed0, v8
	v_lshlrev_b32_e32 v11, 16, v6
	s_delay_alu instid0(VALU_DEP_3) | instskip(SKIP_2) | instid1(VALU_DEP_1)
	v_exp_f32_e32 v9, v9
	s_waitcnt_depctr 0xfff
	v_ldexp_f32 v9, v9, v12
	v_dual_cndmask_b32 v9, 0, v9 :: v_dual_lshlrev_b32 v4, 16, v4
	s_delay_alu instid0(VALU_DEP_1) | instskip(SKIP_1) | instid1(VALU_DEP_2)
	v_mul_f32_e32 v10, 0xbfb8aa3b, v4
	v_cmp_nlt_f32_e32 vcc_lo, 0x42ce8ed0, v4
	v_rndne_f32_e32 v13, v10
	v_fma_f32 v14, 0xbfb8aa3b, v4, -v10
	s_delay_alu instid0(VALU_DEP_2) | instskip(NEXT) | instid1(VALU_DEP_2)
	v_sub_f32_e32 v10, v10, v13
	v_fmac_f32_e32 v14, 0xb2a5705f, v4
	v_cvt_i32_f32_e32 v13, v13
	s_delay_alu instid0(VALU_DEP_2) | instskip(SKIP_2) | instid1(VALU_DEP_3)
	v_add_f32_e32 v6, v10, v14
	v_mul_f32_e32 v14, 0xbfb8aa3b, v5
	v_mul_f32_e32 v10, 0xbfb8aa3b, v15
	v_exp_f32_e32 v6, v6
	s_delay_alu instid0(VALU_DEP_1) | instskip(SKIP_1) | instid1(VALU_DEP_2)
	v_fma_f32 v94, 0xbfb8aa3b, v15, -v10
	v_rndne_f32_e32 v95, v10
	v_fmac_f32_e32 v94, 0xb2a5705f, v15
	s_waitcnt_depctr 0xfff
	v_ldexp_f32 v6, v6, v13
	v_mul_f32_e32 v13, 0xbfb8aa3b, v11
	v_rndne_f32_e32 v96, v14
	v_fma_f32 v97, 0xbfb8aa3b, v5, -v14
	v_sub_f32_e32 v10, v10, v95
	v_cndmask_b32_e32 v6, 0, v6, vcc_lo
	v_cmp_ngt_f32_e32 vcc_lo, 0xc2b17218, v8
	s_delay_alu instid0(VALU_DEP_4) | instskip(SKIP_4) | instid1(VALU_DEP_2)
	v_dual_sub_f32 v12, v14, v96 :: v_dual_fmac_f32 v97, 0xb2a5705f, v5
	v_cvt_i32_f32_e32 v95, v95
	v_cvt_i32_f32_e32 v96, v96
	v_cndmask_b32_e32 v9, 0x7f800000, v9, vcc_lo
	v_cmp_ngt_f32_e32 vcc_lo, 0xc2b17218, v4
	v_dual_add_f32 v9, 1.0, v9 :: v_dual_cndmask_b32 v6, 0x7f800000, v6
	v_cmp_nlt_f32_e32 vcc_lo, 0x42ce8ed0, v15
	s_delay_alu instid0(VALU_DEP_2) | instskip(NEXT) | instid1(VALU_DEP_3)
	v_div_scale_f32 v14, null, v9, v9, v8
	v_add_f32_e32 v6, 1.0, v6
	s_delay_alu instid0(VALU_DEP_2) | instskip(NEXT) | instid1(VALU_DEP_1)
	v_rcp_f32_e32 v98, v14
	v_div_scale_f32 v113, s29, v4, v6, v4
	v_add_f32_e32 v12, v12, v97
	v_fma_f32 v97, 0xbfb8aa3b, v16, -v17
	v_dual_add_f32 v10, v10, v94 :: v_dual_sub_f32 v17, v17, v100
	v_div_scale_f32 v94, null, v6, v6, v4
	s_delay_alu instid0(VALU_DEP_3) | instskip(NEXT) | instid1(VALU_DEP_3)
	v_fmac_f32_e32 v97, 0xb2a5705f, v16
	v_exp_f32_e32 v10, v10
	v_cvt_i32_f32_e32 v100, v100
	s_delay_alu instid0(VALU_DEP_3) | instskip(NEXT) | instid1(VALU_DEP_2)
	v_rcp_f32_e32 v99, v94
	v_add_f32_e32 v17, v17, v97
	s_waitcnt_depctr 0xfff
	v_ldexp_f32 v10, v10, v95
	v_rndne_f32_e32 v95, v13
	v_fma_f32 v105, -v94, v99, 1.0
	s_delay_alu instid0(VALU_DEP_1) | instskip(NEXT) | instid1(VALU_DEP_1)
	v_fmac_f32_e32 v99, v105, v99
	v_mul_f32_e32 v105, v113, v99
	v_exp_f32_e32 v12, v12
	s_delay_alu instid0(VALU_DEP_1) | instskip(SKIP_2) | instid1(VALU_DEP_3)
	v_fma_f32 v121, -v94, v105, v113
	v_cndmask_b32_e32 v10, 0, v10, vcc_lo
	v_div_scale_f32 v108, vcc_lo, v8, v9, v8
	v_fmac_f32_e32 v105, v121, v99
	s_waitcnt_depctr 0xfff
	v_ldexp_f32 v12, v12, v96
	v_fma_f32 v96, -v14, v98, 1.0
	v_fma_f32 v94, -v94, v105, v113
	s_delay_alu instid0(VALU_DEP_3) | instskip(SKIP_1) | instid1(VALU_DEP_4)
	v_cndmask_b32_e64 v12, 0, v12, s30
	v_cmp_ngt_f32_e64 s30, 0xc2b17218, v15
	v_fmac_f32_e32 v98, v96, v98
	s_delay_alu instid0(VALU_DEP_2) | instskip(SKIP_1) | instid1(VALU_DEP_2)
	v_cndmask_b32_e64 v10, 0x7f800000, v10, s30
	v_cmp_ngt_f32_e64 s30, 0xc2b17218, v5
	v_add_f32_e32 v10, 1.0, v10
	s_delay_alu instid0(VALU_DEP_2) | instskip(SKIP_1) | instid1(VALU_DEP_3)
	v_cndmask_b32_e64 v12, 0x7f800000, v12, s30
	v_cmp_nlt_f32_e64 s30, 0x42ce8ed0, v16
	v_div_scale_f32 v122, null, v10, v10, v15
	s_delay_alu instid0(VALU_DEP_1) | instskip(SKIP_1) | instid1(VALU_DEP_1)
	v_rcp_f32_e32 v121, v122
	v_mul_f32_e32 v96, v108, v98
	v_fma_f32 v116, -v14, v96, v108
	s_delay_alu instid0(VALU_DEP_1) | instskip(NEXT) | instid1(VALU_DEP_1)
	v_fmac_f32_e32 v96, v116, v98
	v_fma_f32 v14, -v14, v96, v108
	v_sub_f32_e32 v108, v13, v95
	v_fma_f32 v13, 0xbfb8aa3b, v11, -v13
	v_add_f32_e32 v12, 1.0, v12
	v_cvt_i32_f32_e32 v95, v95
	v_div_fmas_f32 v14, v14, v98, v96
	s_mov_b32 vcc_lo, s29
	v_fmac_f32_e32 v13, 0xb2a5705f, v11
	v_div_scale_f32 v116, null, v12, v12, v5
	v_div_fmas_f32 v94, v94, v99, v105
	v_div_fixup_f32 v8, v14, v9, v8
	v_fma_f32 v9, -v122, v121, 1.0
	s_delay_alu instid0(VALU_DEP_4) | instskip(SKIP_2) | instid1(VALU_DEP_3)
	v_rcp_f32_e32 v96, v116
	v_div_scale_f32 v98, s29, v5, v12, v5
	v_div_fixup_f32 v4, v94, v6, v4
	v_fmac_f32_e32 v121, v9, v121
	s_delay_alu instid0(VALU_DEP_2)
	v_mul_f32_e32 v9, v119, v4
	v_div_scale_f32 v6, vcc_lo, v15, v10, v15
	s_waitcnt_depctr 0xfff
	v_fma_f32 v14, -v116, v96, 1.0
	v_exp_f32_e32 v4, v17
	v_bfe_u32 v97, v9, 16, 1
	s_delay_alu instid0(VALU_DEP_2) | instskip(NEXT) | instid1(VALU_DEP_2)
	v_fmac_f32_e32 v96, v14, v96
	v_add3_u32 v14, v9, v97, 0x7fff
	s_delay_alu instid0(VALU_DEP_2) | instskip(SKIP_2) | instid1(VALU_DEP_4)
	v_mul_f32_e32 v97, v98, v96
	v_add_f32_e32 v13, v108, v13
	v_mul_f32_e32 v94, v6, v121
	v_lshrrev_b32_e32 v14, 16, v14
	s_delay_alu instid0(TRANS32_DEP_1) | instskip(NEXT) | instid1(VALU_DEP_4)
	v_ldexp_f32 v4, v4, v100
	v_exp_f32_e32 v13, v13
	s_delay_alu instid0(VALU_DEP_3) | instskip(NEXT) | instid1(VALU_DEP_2)
	v_fma_f32 v99, -v122, v94, v6
	v_cndmask_b32_e64 v4, 0, v4, s30
	s_delay_alu instid0(VALU_DEP_2) | instskip(SKIP_1) | instid1(VALU_DEP_2)
	v_fmac_f32_e32 v94, v99, v121
	v_fma_f32 v99, -v116, v97, v98
	v_fma_f32 v6, -v122, v94, v6
	s_delay_alu instid0(VALU_DEP_2) | instskip(SKIP_1) | instid1(VALU_DEP_3)
	v_fmac_f32_e32 v97, v99, v96
	v_lshlrev_b32_e32 v99, 16, v7
	v_div_fmas_f32 v6, v6, v121, v94
	v_cmp_ngt_f32_e32 vcc_lo, 0xc2b17218, v16
	s_delay_alu instid0(VALU_DEP_3) | instskip(NEXT) | instid1(VALU_DEP_3)
	v_mul_f32_e32 v100, 0xbfb8aa3b, v99
	v_div_fixup_f32 v6, v6, v10, v15
	v_cndmask_b32_e32 v94, 0x7f800000, v4, vcc_lo
	v_mul_f32_e32 v8, v120, v8
	v_ldexp_f32 v10, v13, v95
	v_fma_f32 v113, 0xbfb8aa3b, v99, -v100
	s_delay_alu instid0(VALU_DEP_4) | instskip(NEXT) | instid1(VALU_DEP_4)
	v_add_f32_e32 v13, 1.0, v94
	v_bfe_u32 v17, v8, 16, 1
	v_cmp_o_f32_e32 vcc_lo, v8, v8
	s_delay_alu instid0(VALU_DEP_4) | instskip(NEXT) | instid1(VALU_DEP_4)
	v_fmac_f32_e32 v113, 0xb2a5705f, v99
	v_div_scale_f32 v15, null, v13, v13, v16
	s_delay_alu instid0(VALU_DEP_4) | instskip(SKIP_1) | instid1(VALU_DEP_2)
	v_add3_u32 v17, v8, v17, 0x7fff
	v_fma_f32 v8, -v116, v97, v98
	v_lshrrev_b32_e32 v17, 16, v17
	s_delay_alu instid0(VALU_DEP_1) | instskip(SKIP_1) | instid1(VALU_DEP_3)
	v_cndmask_b32_e32 v4, 0x7fc0, v17, vcc_lo
	s_mov_b32 vcc_lo, s29
	v_div_fmas_f32 v8, v8, v96, v97
	v_cmp_nlt_f32_e32 vcc_lo, 0x42ce8ed0, v11
	s_delay_alu instid0(VALU_DEP_2) | instskip(SKIP_3) | instid1(VALU_DEP_3)
	v_div_fixup_f32 v5, v8, v12, v5
	v_cndmask_b32_e32 v10, 0, v10, vcc_lo
	v_cmp_ngt_f32_e32 vcc_lo, 0xc2b17218, v11
	v_rcp_f32_e32 v8, v15
	v_mul_f32_e32 v12, v117, v5
	s_delay_alu instid0(VALU_DEP_3)
	v_cndmask_b32_e32 v10, 0x7f800000, v10, vcc_lo
	v_cmp_o_f32_e32 vcc_lo, v9, v9
	v_cndmask_b32_e32 v5, 0x7fc0, v14, vcc_lo
	v_and_b32_e32 v14, 0xffff0000, v7
	s_waitcnt_depctr 0xfff
	v_fma_f32 v94, -v15, v8, 1.0
	v_div_scale_f32 v7, vcc_lo, v16, v13, v16
	v_mul_f32_e32 v96, 0xbfb8aa3b, v14
	s_delay_alu instid0(VALU_DEP_3) | instskip(NEXT) | instid1(VALU_DEP_2)
	v_fmac_f32_e32 v8, v94, v8
	v_fma_f32 v97, 0xbfb8aa3b, v14, -v96
	v_rndne_f32_e32 v98, v96
	s_delay_alu instid0(VALU_DEP_3) | instskip(NEXT) | instid1(VALU_DEP_3)
	v_mul_f32_e32 v105, v7, v8
	v_fmac_f32_e32 v97, 0xb2a5705f, v14
	v_bfe_u32 v17, v12, 16, 1
	s_delay_alu instid0(VALU_DEP_3) | instskip(SKIP_1) | instid1(VALU_DEP_3)
	v_fma_f32 v116, -v15, v105, v7
	v_mul_f32_e32 v6, v118, v6
	v_add3_u32 v17, v12, v17, 0x7fff
	s_delay_alu instid0(VALU_DEP_3) | instskip(NEXT) | instid1(VALU_DEP_3)
	v_fmac_f32_e32 v105, v116, v8
	v_bfe_u32 v9, v6, 16, 1
	v_cmp_o_f32_e64 s30, v6, v6
	s_delay_alu instid0(VALU_DEP_4) | instskip(SKIP_1) | instid1(VALU_DEP_4)
	v_lshrrev_b32_e32 v17, 16, v17
	v_sub_f32_e32 v96, v96, v98
	v_add3_u32 v9, v6, v9, 0x7fff
	v_cvt_i32_f32_e32 v98, v98
	v_fma_f32 v7, -v15, v105, v7
	s_delay_alu instid0(VALU_DEP_4) | instskip(NEXT) | instid1(VALU_DEP_4)
	v_add_f32_e32 v96, v96, v97
	v_lshrrev_b32_e32 v9, 16, v9
	v_rndne_f32_e32 v97, v100
	s_delay_alu instid0(VALU_DEP_4)
	v_div_fmas_f32 v7, v7, v8, v105
	v_cmp_ngt_f32_e32 vcc_lo, 0xc2b17218, v14
	v_exp_f32_e32 v96, v96
	v_cndmask_b32_e64 v6, 0x7fc0, v9, s30
	v_cmp_nlt_f32_e64 s30, 0x42ce8ed0, v14
	v_sub_f32_e32 v100, v100, v97
	v_cvt_i32_f32_e32 v97, v97
	v_div_fixup_f32 v13, v7, v13, v16
	s_delay_alu instid0(VALU_DEP_3) | instskip(NEXT) | instid1(TRANS32_DEP_1)
	v_add_f32_e32 v100, v100, v113
	v_ldexp_f32 v9, v96, v98
	s_delay_alu instid0(VALU_DEP_2) | instskip(NEXT) | instid1(VALU_DEP_1)
	v_exp_f32_e32 v96, v100
	v_cndmask_b32_e64 v9, 0, v9, s30
	s_delay_alu instid0(VALU_DEP_1) | instskip(NEXT) | instid1(VALU_DEP_1)
	v_dual_add_f32 v10, 1.0, v10 :: v_dual_cndmask_b32 v9, 0x7f800000, v9
	v_div_scale_f32 v95, null, v10, v10, v11
	s_waitcnt_depctr 0xfff
	v_ldexp_f32 v8, v96, v97
	v_cmp_nlt_f32_e32 vcc_lo, 0x42ce8ed0, v99
	v_add_f32_e32 v9, 1.0, v9
	v_rcp_f32_e32 v94, v95
	s_delay_alu instid0(VALU_DEP_3) | instskip(SKIP_2) | instid1(VALU_DEP_1)
	v_cndmask_b32_e32 v8, 0, v8, vcc_lo
	s_waitcnt_depctr 0xfff
	v_fma_f32 v108, -v95, v94, 1.0
	v_fmac_f32_e32 v94, v108, v94
	v_div_scale_f32 v108, s29, v11, v10, v11
	s_delay_alu instid0(VALU_DEP_1) | instskip(NEXT) | instid1(VALU_DEP_1)
	s_mov_b32 vcc_lo, s29
	v_mul_f32_e32 v113, v108, v94
	v_div_scale_f32 v16, null, v9, v9, v14
	s_delay_alu instid0(VALU_DEP_2) | instskip(NEXT) | instid1(VALU_DEP_1)
	v_fma_f32 v15, -v95, v113, v108
	v_fmac_f32_e32 v113, v15, v94
	s_delay_alu instid0(VALU_DEP_1) | instskip(NEXT) | instid1(VALU_DEP_1)
	v_fma_f32 v7, -v95, v113, v108
	v_div_fmas_f32 v15, v7, v94, v113
	v_cmp_ngt_f32_e32 vcc_lo, 0xc2b17218, v99
	s_delay_alu instid0(VALU_DEP_2)
	v_div_fixup_f32 v10, v15, v10, v11
	v_cndmask_b32_e32 v8, 0x7f800000, v8, vcc_lo
	v_cmp_o_f32_e32 vcc_lo, v12, v12
	v_mul_f32_e32 v11, v115, v13
	v_rcp_f32_e32 v12, v16
	v_and_b32_e32 v13, 0xffff0000, v0
	v_dual_cndmask_b32 v7, 0x7fc0, v17 :: v_dual_lshlrev_b32 v0, 16, v0
	v_div_scale_f32 v105, vcc_lo, v14, v9, v14
	s_delay_alu instid0(VALU_DEP_3) | instskip(SKIP_3) | instid1(TRANS32_DEP_1)
	v_mul_f32_e32 v94, 0xbfb8aa3b, v13
	v_mul_f32_e32 v10, v114, v10
	v_cmp_nlt_f32_e64 s30, 0x42ce8ed0, v13
	v_bfe_u32 v15, v11, 16, 1
	v_fma_f32 v96, -v16, v12, 1.0
	v_fma_f32 v98, 0xbfb8aa3b, v13, -v94
	v_rndne_f32_e32 v100, v94
	s_delay_alu instid0(VALU_DEP_4) | instskip(NEXT) | instid1(VALU_DEP_4)
	v_add3_u32 v15, v11, v15, 0x7fff
	v_fmac_f32_e32 v12, v96, v12
	s_delay_alu instid0(VALU_DEP_4) | instskip(NEXT) | instid1(VALU_DEP_4)
	v_fmac_f32_e32 v98, 0xb2a5705f, v13
	v_sub_f32_e32 v94, v94, v100
	v_mul_f32_e32 v96, 0xbfb8aa3b, v0
	v_cvt_i32_f32_e32 v100, v100
	v_lshrrev_b32_e32 v15, 16, v15
	s_delay_alu instid0(VALU_DEP_4) | instskip(NEXT) | instid1(VALU_DEP_4)
	v_add_f32_e32 v94, v94, v98
	v_rndne_f32_e32 v98, v96
	v_fma_f32 v113, 0xbfb8aa3b, v0, -v96
	s_delay_alu instid0(VALU_DEP_1) | instskip(SKIP_1) | instid1(VALU_DEP_2)
	v_dual_sub_f32 v96, v96, v98 :: v_dual_fmac_f32 v113, 0xb2a5705f, v0
	v_cvt_i32_f32_e32 v98, v98
	v_add_f32_e32 v96, v96, v113
	s_delay_alu instid0(VALU_DEP_1) | instskip(SKIP_4) | instid1(VALU_DEP_1)
	v_exp_f32_e32 v96, v96
	s_waitcnt_depctr 0xfff
	v_ldexp_f32 v96, v96, v98
	v_and_b32_e32 v98, 0xffff0000, v1
	v_dual_mul_f32 v114, v105, v12 :: v_dual_lshlrev_b32 v1, 16, v1
	v_fma_f32 v113, -v16, v114, v105
	s_delay_alu instid0(VALU_DEP_1) | instskip(NEXT) | instid1(VALU_DEP_1)
	v_fmac_f32_e32 v114, v113, v12
	v_fma_f32 v16, -v16, v114, v105
	s_delay_alu instid0(VALU_DEP_1) | instskip(SKIP_1) | instid1(VALU_DEP_2)
	v_div_fmas_f32 v12, v16, v12, v114
	v_cmp_nlt_f32_e32 vcc_lo, 0x42ce8ed0, v0
	v_div_fixup_f32 v9, v12, v9, v14
	s_delay_alu instid0(VALU_DEP_1) | instskip(NEXT) | instid1(VALU_DEP_1)
	v_dual_add_f32 v8, 1.0, v8 :: v_dual_mul_f32 v9, v112, v9
	v_div_scale_f32 v17, null, v8, v8, v99
	v_mul_f32_e32 v112, 0xbfb8aa3b, v1
	s_delay_alu instid0(VALU_DEP_2) | instskip(NEXT) | instid1(VALU_DEP_1)
	v_rcp_f32_e32 v97, v17
	v_fma_f32 v113, 0xbfb8aa3b, v1, -v112
	s_delay_alu instid0(VALU_DEP_1) | instskip(SKIP_3) | instid1(VALU_DEP_1)
	v_fmac_f32_e32 v113, 0xb2a5705f, v1
	v_exp_f32_e32 v94, v94
	s_waitcnt_depctr 0xfff
	v_fma_f32 v108, -v17, v97, 1.0
	v_fmac_f32_e32 v97, v108, v97
	v_div_scale_f32 v108, s29, v99, v8, v99
	v_ldexp_f32 v94, v94, v100
	s_delay_alu instid0(VALU_DEP_2) | instskip(NEXT) | instid1(VALU_DEP_2)
	v_mul_f32_e32 v115, v108, v97
	v_cndmask_b32_e64 v94, 0, v94, s30
	v_cmp_ngt_f32_e64 s30, 0xc2b17218, v13
	s_delay_alu instid0(VALU_DEP_3) | instskip(NEXT) | instid1(VALU_DEP_2)
	v_fma_f32 v100, -v17, v115, v108
	v_cndmask_b32_e64 v94, 0x7f800000, v94, s30
	v_cmp_nlt_f32_e64 s30, 0x42ce8ed0, v98
	s_delay_alu instid0(VALU_DEP_3) | instskip(NEXT) | instid1(VALU_DEP_3)
	v_dual_fmac_f32 v115, v100, v97 :: v_dual_mul_f32 v100, 0xbfb8aa3b, v98
	v_add_f32_e32 v16, 1.0, v94
	v_cndmask_b32_e32 v94, 0, v96, vcc_lo
	s_delay_alu instid0(VALU_DEP_3) | instskip(SKIP_3) | instid1(VALU_DEP_3)
	v_fma_f32 v17, -v17, v115, v108
	s_mov_b32 vcc_lo, s29
	v_fma_f32 v14, 0xbfb8aa3b, v98, -v100
	v_div_scale_f32 v96, null, v16, v16, v13
	v_div_fmas_f32 v17, v17, v97, v115
	v_cmp_ngt_f32_e32 vcc_lo, 0xc2b17218, v0
	s_delay_alu instid0(VALU_DEP_4) | instskip(NEXT) | instid1(VALU_DEP_4)
	v_fmac_f32_e32 v14, 0xb2a5705f, v98
	v_rcp_f32_e32 v97, v96
	s_delay_alu instid0(VALU_DEP_3) | instskip(SKIP_2) | instid1(VALU_DEP_3)
	v_div_fixup_f32 v8, v17, v8, v99
	v_cndmask_b32_e32 v94, 0x7f800000, v94, vcc_lo
	v_cmp_o_f32_e32 vcc_lo, v11, v11
	v_mul_f32_e32 v8, v111, v8
	s_delay_alu instid0(VALU_DEP_3) | instskip(SKIP_1) | instid1(TRANS32_DEP_1)
	v_dual_add_f32 v12, 1.0, v94 :: v_dual_cndmask_b32 v11, 0x7fc0, v15
	v_rndne_f32_e32 v15, v100
	v_fma_f32 v17, -v96, v97, 1.0
	s_delay_alu instid0(VALU_DEP_2) | instskip(NEXT) | instid1(VALU_DEP_2)
	v_sub_f32_e32 v99, v100, v15
	v_fmac_f32_e32 v97, v17, v97
	v_bfe_u32 v95, v10, 16, 1
	v_cmp_o_f32_e64 s29, v10, v10
	v_cvt_i32_f32_e32 v15, v15
	v_add_f32_e32 v14, v99, v14
	v_div_scale_f32 v99, vcc_lo, v13, v16, v13
	v_add3_u32 v95, v10, v95, 0x7fff
	v_bfe_u32 v100, v8, 16, 1
	s_delay_alu instid0(VALU_DEP_4) | instskip(NEXT) | instid1(VALU_DEP_3)
	v_exp_f32_e32 v14, v14
	v_mul_f32_e32 v105, v99, v97
	v_div_scale_f32 v94, null, v12, v12, v0
	v_lshrrev_b32_e32 v95, 16, v95
	v_add3_u32 v100, v8, v100, 0x7fff
	s_delay_alu instid0(VALU_DEP_4) | instskip(NEXT) | instid1(VALU_DEP_4)
	v_fma_f32 v111, -v96, v105, v99
	v_rcp_f32_e32 v17, v94
	s_delay_alu instid0(VALU_DEP_3) | instskip(NEXT) | instid1(TRANS32_DEP_2)
	v_cndmask_b32_e64 v10, 0x7fc0, v95, s29
	v_ldexp_f32 v14, v14, v15
	v_div_scale_f32 v15, s29, v0, v12, v0
	v_fmac_f32_e32 v105, v111, v97
	v_bfe_u32 v95, v9, 16, 1
	s_delay_alu instid0(VALU_DEP_4) | instskip(SKIP_1) | instid1(TRANS32_DEP_1)
	v_cndmask_b32_e64 v14, 0, v14, s30
	v_cmp_ngt_f32_e64 s30, 0xc2b17218, v98
	v_fma_f32 v108, -v94, v17, 1.0
	v_fma_f32 v96, -v96, v105, v99
	v_add3_u32 v95, v9, v95, 0x7fff
	s_delay_alu instid0(VALU_DEP_4) | instskip(NEXT) | instid1(VALU_DEP_4)
	v_cndmask_b32_e64 v14, 0x7f800000, v14, s30
	v_fmac_f32_e32 v17, v108, v17
	v_rndne_f32_e32 v108, v112
	v_div_fmas_f32 v96, v96, v97, v105
	s_mov_b32 vcc_lo, s29
	v_add_f32_e32 v14, 1.0, v14
	v_mul_f32_e32 v114, v15, v17
	v_sub_f32_e32 v112, v112, v108
	v_div_fixup_f32 v13, v96, v16, v13
	v_lshrrev_b32_e32 v16, 16, v95
	v_cmp_o_f32_e64 s29, v9, v9
	v_fma_f32 v111, -v94, v114, v15
	v_add_f32_e32 v112, v112, v113
	s_delay_alu instid0(VALU_DEP_3) | instskip(NEXT) | instid1(VALU_DEP_3)
	v_cndmask_b32_e64 v9, 0x7fc0, v16, s29
	v_fmac_f32_e32 v114, v111, v17
	s_delay_alu instid0(VALU_DEP_3) | instskip(SKIP_2) | instid1(VALU_DEP_3)
	v_exp_f32_e32 v99, v112
	v_div_scale_f32 v111, null, v14, v14, v98
	v_cmp_o_f32_e64 s29, v8, v8
	v_fma_f32 v15, -v94, v114, v15
	v_cvt_i32_f32_e32 v94, v108
	s_delay_alu instid0(VALU_DEP_4) | instskip(NEXT) | instid1(VALU_DEP_2)
	v_rcp_f32_e32 v97, v111
	v_div_fmas_f32 v15, v15, v17, v114
	s_delay_alu instid0(TRANS32_DEP_2) | instid1(VALU_DEP_2)
	v_ldexp_f32 v17, v99, v94
	v_cmp_nlt_f32_e32 vcc_lo, 0x42ce8ed0, v1
	v_lshrrev_b32_e32 v94, 16, v100
	v_and_b32_e32 v100, 0xffff0000, v2
	v_div_fixup_f32 v0, v15, v12, v0
	v_mul_f32_e32 v12, v110, v13
	v_cndmask_b32_e32 v13, 0, v17, vcc_lo
	v_cmp_ngt_f32_e32 vcc_lo, 0xc2b17218, v1
	v_fma_f32 v15, -v111, v97, 1.0
	v_mul_f32_e32 v0, v109, v0
	v_bfe_u32 v17, v12, 16, 1
	v_cndmask_b32_e64 v8, 0x7fc0, v94, s29
	v_cndmask_b32_e32 v13, 0x7f800000, v13, vcc_lo
	v_fmac_f32_e32 v97, v15, v97
	v_div_scale_f32 v15, vcc_lo, v98, v14, v98
	v_add3_u32 v17, v12, v17, 0x7fff
	s_delay_alu instid0(VALU_DEP_4) | instskip(SKIP_1) | instid1(VALU_DEP_4)
	v_add_f32_e32 v13, 1.0, v13
	v_bfe_u32 v16, v0, 16, 1
	v_mul_f32_e32 v95, v15, v97
	v_cmp_o_f32_e64 s29, v12, v12
	v_lshrrev_b32_e32 v17, 16, v17
	v_div_scale_f32 v96, null, v13, v13, v1
	s_delay_alu instid0(VALU_DEP_4) | instskip(SKIP_1) | instid1(VALU_DEP_4)
	v_fma_f32 v94, -v111, v95, v15
	v_add3_u32 v16, v0, v16, 0x7fff
	v_cndmask_b32_e64 v12, 0x7fc0, v17, s29
	s_delay_alu instid0(VALU_DEP_4) | instskip(SKIP_4) | instid1(VALU_DEP_3)
	v_rcp_f32_e32 v99, v96
	v_cmp_o_f32_e64 s29, v0, v0
	v_fmac_f32_e32 v95, v94, v97
	v_mul_f32_e32 v17, 0xbfb8aa3b, v100
	v_lshrrev_b32_e32 v16, 16, v16
	v_fma_f32 v0, -v111, v95, v15
	s_delay_alu instid0(VALU_DEP_3) | instskip(SKIP_1) | instid1(TRANS32_DEP_1)
	v_fma_f32 v94, 0xbfb8aa3b, v100, -v17
	v_rndne_f32_e32 v105, v17
	v_fma_f32 v15, -v96, v99, 1.0
	v_cndmask_b32_e64 v16, 0x7fc0, v16, s29
	v_div_fmas_f32 v0, v0, v97, v95
	v_div_scale_f32 v95, vcc_lo, v1, v13, v1
	s_delay_alu instid0(VALU_DEP_4) | instskip(SKIP_3) | instid1(VALU_DEP_4)
	v_dual_fmac_f32 v99, v15, v99 :: v_dual_fmac_f32 v94, 0xb2a5705f, v100
	v_sub_f32_e32 v17, v17, v105
	v_cvt_i32_f32_e32 v105, v105
	v_cmp_nlt_f32_e64 s29, 0x42ce8ed0, v100
	v_mul_f32_e32 v97, v95, v99
	v_div_fixup_f32 v0, v0, v14, v98
	v_dual_add_f32 v17, v17, v94 :: v_dual_and_b32 v98, 0xffff0000, v3
	v_lshlrev_b32_e32 v3, 16, v3
	s_delay_alu instid0(VALU_DEP_4) | instskip(NEXT) | instid1(VALU_DEP_4)
	v_fma_f32 v108, -v96, v97, v95
	v_mul_f32_e32 v0, v107, v0
	s_delay_alu instid0(VALU_DEP_4) | instskip(SKIP_1) | instid1(VALU_DEP_3)
	v_exp_f32_e32 v17, v17
	v_mul_f32_e32 v109, 0xbfb8aa3b, v98
	v_fmac_f32_e32 v97, v108, v99
	s_delay_alu instid0(VALU_DEP_2) | instskip(NEXT) | instid1(VALU_DEP_2)
	v_rndne_f32_e32 v108, v109
	v_fma_f32 v95, -v96, v97, v95
	s_waitcnt_depctr 0xfff
	v_ldexp_f32 v17, v17, v105
	v_mul_f32_e32 v105, 0xbfb8aa3b, v3
	v_div_fmas_f32 v95, v95, v99, v97
	s_delay_alu instid0(VALU_DEP_3) | instskip(SKIP_1) | instid1(VALU_DEP_4)
	v_cndmask_b32_e64 v17, 0, v17, s29
	v_cmp_ngt_f32_e64 s29, 0xc2b17218, v100
	v_rndne_f32_e32 v110, v105
	s_delay_alu instid0(VALU_DEP_4)
	v_div_fixup_f32 v1, v95, v13, v1
	v_lshlrev_b32_e32 v2, 16, v2
	v_fma_f32 v111, 0xbfb8aa3b, v3, -v105
	v_cndmask_b32_e64 v17, 0x7f800000, v17, s29
	v_sub_f32_e32 v105, v105, v110
	v_mul_f32_e32 v1, v106, v1
	v_mul_f32_e32 v15, 0xbfb8aa3b, v2
	v_fmac_f32_e32 v111, 0xb2a5705f, v3
	v_add_f32_e32 v17, 1.0, v17
	v_cmp_nlt_f32_e64 s29, 0x42ce8ed0, v2
	v_bfe_u32 v116, v1, 16, 1
	v_rndne_f32_e32 v14, v15
	v_fma_f32 v94, 0xbfb8aa3b, v2, -v15
	v_div_scale_f32 v99, vcc_lo, v100, v17, v100
	s_delay_alu instid0(VALU_DEP_3) | instskip(NEXT) | instid1(VALU_DEP_3)
	v_sub_f32_e32 v15, v15, v14
	v_fmac_f32_e32 v94, 0xb2a5705f, v2
	v_cvt_i32_f32_e32 v14, v14
	s_delay_alu instid0(VALU_DEP_2) | instskip(SKIP_2) | instid1(VALU_DEP_3)
	v_add_f32_e32 v15, v15, v94
	v_fma_f32 v94, 0xbfb8aa3b, v98, -v109
	v_sub_f32_e32 v109, v109, v108
	v_exp_f32_e32 v15, v15
	s_delay_alu instid0(VALU_DEP_2)
	v_fmac_f32_e32 v94, 0xb2a5705f, v98
	s_waitcnt_depctr 0xfff
	v_ldexp_f32 v14, v15, v14
	v_add_f32_e32 v15, v109, v94
	v_add_f32_e32 v94, v105, v111
	v_cvt_i32_f32_e32 v105, v108
	v_div_scale_f32 v108, null, v17, v17, v100
	v_cvt_i32_f32_e32 v109, v110
	s_delay_alu instid0(VALU_DEP_4) | instskip(SKIP_1) | instid1(VALU_DEP_2)
	v_exp_f32_e32 v94, v94
	v_exp_f32_e32 v15, v15
	v_rcp_f32_e32 v96, v108
	v_cndmask_b32_e64 v14, 0, v14, s29
	v_cmp_ngt_f32_e64 s29, 0xc2b17218, v2
	s_delay_alu instid0(VALU_DEP_1) | instskip(NEXT) | instid1(TRANS32_DEP_3)
	v_cndmask_b32_e64 v14, 0x7f800000, v14, s29
	v_ldexp_f32 v94, v94, v109
	s_waitcnt_depctr 0xfff
	v_ldexp_f32 v15, v15, v105
	v_fma_f32 v109, -v108, v96, 1.0
	s_delay_alu instid0(VALU_DEP_1) | instskip(NEXT) | instid1(VALU_DEP_1)
	v_fmac_f32_e32 v96, v109, v96
	v_mul_f32_e32 v13, v99, v96
	s_delay_alu instid0(VALU_DEP_1) | instskip(NEXT) | instid1(VALU_DEP_1)
	v_fma_f32 v113, -v108, v13, v99
	v_fmac_f32_e32 v13, v113, v96
	v_cmp_nlt_f32_e64 s29, 0x42ce8ed0, v98
	s_delay_alu instid0(VALU_DEP_2) | instskip(NEXT) | instid1(VALU_DEP_2)
	v_fma_f32 v99, -v108, v13, v99
	v_cndmask_b32_e64 v15, 0, v15, s29
	v_cmp_nlt_f32_e64 s29, 0x42ce8ed0, v3
	s_delay_alu instid0(VALU_DEP_1) | instskip(SKIP_1) | instid1(VALU_DEP_1)
	v_cndmask_b32_e64 v94, 0, v94, s29
	v_cmp_ngt_f32_e64 s29, 0xc2b17218, v98
	v_cndmask_b32_e64 v15, 0x7f800000, v15, s29
	v_cmp_ngt_f32_e64 s29, 0xc2b17218, v3
	s_delay_alu instid0(VALU_DEP_2) | instskip(NEXT) | instid1(VALU_DEP_2)
	v_add_f32_e32 v15, 1.0, v15
	v_cndmask_b32_e64 v94, 0x7f800000, v94, s29
	s_delay_alu instid0(VALU_DEP_2) | instskip(NEXT) | instid1(VALU_DEP_2)
	v_div_scale_f32 v97, null, v15, v15, v98
	v_add_f32_e32 v94, 1.0, v94
	s_delay_alu instid0(VALU_DEP_2) | instskip(NEXT) | instid1(VALU_DEP_1)
	v_rcp_f32_e32 v111, v97
	v_div_scale_f32 v112, null, v94, v94, v3
	s_delay_alu instid0(VALU_DEP_1) | instskip(SKIP_2) | instid1(VALU_DEP_1)
	v_rcp_f32_e32 v95, v112
	s_waitcnt_depctr 0xfff
	v_fma_f32 v115, -v112, v95, 1.0
	v_fmac_f32_e32 v95, v115, v95
	v_div_scale_f32 v115, s31, v3, v94, v3
	v_add_f32_e32 v14, 1.0, v14
	s_delay_alu instid0(VALU_DEP_1) | instskip(SKIP_1) | instid1(VALU_DEP_2)
	v_div_scale_f32 v105, null, v14, v14, v2
	v_div_scale_f32 v107, s29, v2, v14, v2
	v_rcp_f32_e32 v110, v105
	s_waitcnt_depctr 0xfff
	v_fma_f32 v109, -v105, v110, 1.0
	s_delay_alu instid0(VALU_DEP_1) | instskip(SKIP_1) | instid1(VALU_DEP_1)
	v_fmac_f32_e32 v110, v109, v110
	v_fma_f32 v109, -v97, v111, 1.0
	v_dual_mul_f32 v114, v107, v110 :: v_dual_fmac_f32 v111, v109, v111
	v_div_scale_f32 v109, s30, v98, v15, v98
	s_delay_alu instid0(VALU_DEP_2) | instskip(NEXT) | instid1(VALU_DEP_2)
	v_fma_f32 v113, -v105, v114, v107
	v_mul_f32_e32 v117, v109, v111
	s_delay_alu instid0(VALU_DEP_2) | instskip(NEXT) | instid1(VALU_DEP_2)
	v_dual_fmac_f32 v114, v113, v110 :: v_dual_mul_f32 v113, v115, v95
	v_fma_f32 v108, -v97, v117, v109
	s_delay_alu instid0(VALU_DEP_1) | instskip(SKIP_1) | instid1(VALU_DEP_4)
	v_fmac_f32_e32 v117, v108, v111
	v_div_fmas_f32 v13, v99, v96, v13
	v_fma_f32 v96, -v105, v114, v107
	s_mov_b32 vcc_lo, s29
	v_fma_f32 v99, -v112, v113, v115
	s_delay_alu instid0(VALU_DEP_3)
	v_div_fixup_f32 v13, v13, v17, v100
	v_fma_f32 v17, -v97, v117, v109
	v_div_fmas_f32 v96, v96, v110, v114
	s_mov_b32 vcc_lo, s30
	v_fmac_f32_e32 v113, v99, v95
	v_mul_f32_e32 v13, v103, v13
	v_div_fmas_f32 v17, v17, v111, v117
	v_div_fixup_f32 v2, v96, v14, v2
	s_mov_b32 vcc_lo, s31
	v_fma_f32 v14, -v112, v113, v115
	v_add3_u32 v99, v1, v116, 0x7fff
	v_div_fixup_f32 v15, v17, v15, v98
	v_mul_f32_e32 v2, v102, v2
	v_bfe_u32 v17, v13, 16, 1
	v_div_fmas_f32 v14, v14, v95, v113
	s_delay_alu instid0(VALU_DEP_4) | instskip(SKIP_2) | instid1(VALU_DEP_4)
	v_mul_f32_e32 v15, v104, v15
	v_bfe_u32 v106, v0, 16, 1
	v_cmp_o_f32_e32 vcc_lo, v0, v0
	v_div_fixup_f32 v3, v14, v94, v3
	v_lshrrev_b32_e32 v14, 16, v99
	v_bfe_u32 v94, v2, 16, 1
	v_add3_u32 v106, v0, v106, 0x7fff
	v_add3_u32 v0, v13, v17, 0x7fff
	v_mul_f32_e32 v3, v101, v3
	s_delay_alu instid0(VALU_DEP_4) | instskip(NEXT) | instid1(VALU_DEP_4)
	v_add3_u32 v17, v2, v94, 0x7fff
	v_lshrrev_b32_e32 v95, 16, v106
	v_bfe_u32 v94, v15, 16, 1
	v_lshrrev_b32_e32 v0, 16, v0
	v_bfe_u32 v96, v3, 16, 1
	v_lshrrev_b32_e32 v17, 16, v17
	v_cndmask_b32_e32 v95, 0x7fc0, v95, vcc_lo
	v_cmp_o_f32_e32 vcc_lo, v1, v1
	v_add3_u32 v1, v15, v94, 0x7fff
	v_add3_u32 v94, v3, v96, 0x7fff
	v_cndmask_b32_e32 v14, 0x7fc0, v14, vcc_lo
	v_cmp_o_f32_e32 vcc_lo, v13, v13
	v_cndmask_b32_e32 v13, 0x7fc0, v0, vcc_lo
	v_cmp_o_f32_e32 vcc_lo, v2, v2
	v_lshrrev_b32_e32 v0, 16, v1
	v_lshrrev_b32_e32 v1, 16, v94
	v_perm_b32 v2, v11, v10, 0x5040100
	v_cndmask_b32_e32 v17, 0x7fc0, v17, vcc_lo
	v_cmp_o_f32_e32 vcc_lo, v15, v15
	v_cndmask_b32_e32 v15, 0x7fc0, v0, vcc_lo
	v_cmp_o_f32_e32 vcc_lo, v3, v3
	v_perm_b32 v3, v9, v8, 0x5040100
	v_perm_b32 v0, v4, v5, 0x5040100
	;; [unrolled: 1-line block ×4, first 2 shown]
	v_cndmask_b32_e32 v94, 0x7fc0, v1, vcc_lo
	v_perm_b32 v1, v6, v7, 0x5040100
	v_perm_b32 v6, v13, v17, 0x5040100
	s_delay_alu instid0(VALU_DEP_3)
	v_perm_b32 v7, v15, v94, 0x5040100
	ds_store_b128 v52, v[0:3]
	ds_store_b128 v52, v[4:7] offset:16
	; wave barrier
	ds_load_u16 v16, v37 offset:64
	ds_load_u16 v15, v38 offset:128
	ds_load_u16 v14, v39 offset:192
	ds_load_u16 v13, v40 offset:256
	ds_load_u16 v12, v41 offset:320
	ds_load_u16 v11, v42 offset:384
	ds_load_u16 v10, v43 offset:448
	ds_load_u16 v9, v44 offset:512
	ds_load_u16 v8, v45 offset:576
	ds_load_u16 v7, v46 offset:640
	ds_load_u16 v6, v47 offset:704
	ds_load_u16 v5, v48 offset:768
	ds_load_u16 v4, v49 offset:832
	ds_load_u16 v3, v50 offset:896
	ds_load_u16 v2, v51 offset:960
	v_add_co_u32 v0, vcc_lo, v76, s34
	v_add_co_ci_u32_e32 v1, vcc_lo, s35, v77, vcc_lo
	s_and_saveexec_b32 s29, s13
	s_cbranch_execnz .LBB60_286
; %bb.254:                              ;   in Loop: Header=BB60_12 Depth=1
	s_or_b32 exec_lo, exec_lo, s29
	s_and_saveexec_b32 s13, s14
	s_cbranch_execnz .LBB60_287
.LBB60_255:                             ;   in Loop: Header=BB60_12 Depth=1
	s_or_b32 exec_lo, exec_lo, s13
	s_and_saveexec_b32 s13, s15
	s_cbranch_execnz .LBB60_288
.LBB60_256:                             ;   in Loop: Header=BB60_12 Depth=1
	s_or_b32 exec_lo, exec_lo, s13
	s_and_saveexec_b32 s13, s16
	s_cbranch_execnz .LBB60_289
.LBB60_257:                             ;   in Loop: Header=BB60_12 Depth=1
	s_or_b32 exec_lo, exec_lo, s13
	s_and_saveexec_b32 s13, s17
	s_cbranch_execnz .LBB60_290
.LBB60_258:                             ;   in Loop: Header=BB60_12 Depth=1
	s_or_b32 exec_lo, exec_lo, s13
	s_and_saveexec_b32 s13, s18
	s_cbranch_execnz .LBB60_291
.LBB60_259:                             ;   in Loop: Header=BB60_12 Depth=1
	s_or_b32 exec_lo, exec_lo, s13
	s_and_saveexec_b32 s13, s19
	s_cbranch_execnz .LBB60_292
.LBB60_260:                             ;   in Loop: Header=BB60_12 Depth=1
	s_or_b32 exec_lo, exec_lo, s13
	s_and_saveexec_b32 s13, s20
	s_cbranch_execnz .LBB60_293
.LBB60_261:                             ;   in Loop: Header=BB60_12 Depth=1
	s_or_b32 exec_lo, exec_lo, s13
	s_and_saveexec_b32 s13, s21
	s_cbranch_execnz .LBB60_294
.LBB60_262:                             ;   in Loop: Header=BB60_12 Depth=1
	s_or_b32 exec_lo, exec_lo, s13
	s_and_saveexec_b32 s13, s22
	s_cbranch_execnz .LBB60_295
.LBB60_263:                             ;   in Loop: Header=BB60_12 Depth=1
	s_or_b32 exec_lo, exec_lo, s13
	s_and_saveexec_b32 s13, s23
	s_cbranch_execnz .LBB60_296
.LBB60_264:                             ;   in Loop: Header=BB60_12 Depth=1
	s_or_b32 exec_lo, exec_lo, s13
	s_and_saveexec_b32 s13, s24
	s_cbranch_execnz .LBB60_297
.LBB60_265:                             ;   in Loop: Header=BB60_12 Depth=1
	s_or_b32 exec_lo, exec_lo, s13
	s_and_saveexec_b32 s13, s25
	s_cbranch_execnz .LBB60_298
.LBB60_266:                             ;   in Loop: Header=BB60_12 Depth=1
	s_or_b32 exec_lo, exec_lo, s13
	s_and_saveexec_b32 s13, s26
	s_cbranch_execnz .LBB60_299
.LBB60_267:                             ;   in Loop: Header=BB60_12 Depth=1
	s_or_b32 exec_lo, exec_lo, s13
	s_and_saveexec_b32 s13, s27
	s_cbranch_execnz .LBB60_300
.LBB60_268:                             ;   in Loop: Header=BB60_12 Depth=1
	s_or_b32 exec_lo, exec_lo, s13
	s_and_saveexec_b32 s13, s28
	s_cbranch_execz .LBB60_11
	s_branch .LBB60_301
.LBB60_269:                             ;   in Loop: Header=BB60_12 Depth=1
	global_load_u16 v101, v[8:9], off offset:832
	s_or_b32 exec_lo, exec_lo, s29
	s_and_saveexec_b32 s29, s27
	s_cbranch_execz .LBB60_72
.LBB60_270:                             ;   in Loop: Header=BB60_12 Depth=1
	global_load_u16 v100, v[8:9], off offset:896
	s_or_b32 exec_lo, exec_lo, s29
	v_mov_b32_e32 v102, 0
	s_and_saveexec_b32 s29, s28
	s_cbranch_execnz .LBB60_73
	s_branch .LBB60_74
.LBB60_271:                             ;   in Loop: Header=BB60_12 Depth=1
	ds_load_u16 v17, v37
	s_waitcnt lgkmcnt(0)
	global_store_b16 v[0:1], v17, off
	s_or_b32 exec_lo, exec_lo, s29
	s_and_saveexec_b32 s29, s14
	s_cbranch_execz .LBB60_206
.LBB60_272:                             ;   in Loop: Header=BB60_12 Depth=1
	s_waitcnt lgkmcnt(14)
	global_store_b16 v[0:1], v16, off offset:64
	s_or_b32 exec_lo, exec_lo, s29
	s_and_saveexec_b32 s29, s15
	s_cbranch_execz .LBB60_207
.LBB60_273:                             ;   in Loop: Header=BB60_12 Depth=1
	s_waitcnt lgkmcnt(13)
	global_store_b16 v[0:1], v15, off offset:128
	s_or_b32 exec_lo, exec_lo, s29
	s_and_saveexec_b32 s29, s16
	s_cbranch_execz .LBB60_208
.LBB60_274:                             ;   in Loop: Header=BB60_12 Depth=1
	s_waitcnt lgkmcnt(12)
	global_store_b16 v[0:1], v14, off offset:192
	s_or_b32 exec_lo, exec_lo, s29
	s_and_saveexec_b32 s29, s17
	s_cbranch_execz .LBB60_209
.LBB60_275:                             ;   in Loop: Header=BB60_12 Depth=1
	s_waitcnt lgkmcnt(11)
	global_store_b16 v[0:1], v13, off offset:256
	s_or_b32 exec_lo, exec_lo, s29
	s_and_saveexec_b32 s29, s18
	s_cbranch_execz .LBB60_210
.LBB60_276:                             ;   in Loop: Header=BB60_12 Depth=1
	s_waitcnt lgkmcnt(10)
	global_store_b16 v[0:1], v12, off offset:320
	s_or_b32 exec_lo, exec_lo, s29
	s_and_saveexec_b32 s29, s19
	s_cbranch_execz .LBB60_211
.LBB60_277:                             ;   in Loop: Header=BB60_12 Depth=1
	s_waitcnt lgkmcnt(9)
	global_store_b16 v[0:1], v11, off offset:384
	s_or_b32 exec_lo, exec_lo, s29
	s_and_saveexec_b32 s29, s20
	s_cbranch_execz .LBB60_212
.LBB60_278:                             ;   in Loop: Header=BB60_12 Depth=1
	s_waitcnt lgkmcnt(8)
	global_store_b16 v[0:1], v10, off offset:448
	s_or_b32 exec_lo, exec_lo, s29
	s_and_saveexec_b32 s29, s21
	s_cbranch_execz .LBB60_213
.LBB60_279:                             ;   in Loop: Header=BB60_12 Depth=1
	s_waitcnt lgkmcnt(7)
	global_store_b16 v[0:1], v9, off offset:512
	s_or_b32 exec_lo, exec_lo, s29
	s_and_saveexec_b32 s29, s22
	s_cbranch_execz .LBB60_214
.LBB60_280:                             ;   in Loop: Header=BB60_12 Depth=1
	s_waitcnt lgkmcnt(6)
	global_store_b16 v[0:1], v8, off offset:576
	s_or_b32 exec_lo, exec_lo, s29
	s_and_saveexec_b32 s29, s23
	s_cbranch_execz .LBB60_215
.LBB60_281:                             ;   in Loop: Header=BB60_12 Depth=1
	s_waitcnt lgkmcnt(5)
	global_store_b16 v[0:1], v7, off offset:640
	s_or_b32 exec_lo, exec_lo, s29
	s_and_saveexec_b32 s29, s24
	s_cbranch_execz .LBB60_216
.LBB60_282:                             ;   in Loop: Header=BB60_12 Depth=1
	s_waitcnt lgkmcnt(4)
	global_store_b16 v[0:1], v6, off offset:704
	s_or_b32 exec_lo, exec_lo, s29
	s_and_saveexec_b32 s29, s25
	s_cbranch_execz .LBB60_217
.LBB60_283:                             ;   in Loop: Header=BB60_12 Depth=1
	s_waitcnt lgkmcnt(3)
	global_store_b16 v[0:1], v5, off offset:768
	s_or_b32 exec_lo, exec_lo, s29
	s_and_saveexec_b32 s29, s26
	s_cbranch_execz .LBB60_218
.LBB60_284:                             ;   in Loop: Header=BB60_12 Depth=1
	s_waitcnt lgkmcnt(2)
	global_store_b16 v[0:1], v4, off offset:832
	s_or_b32 exec_lo, exec_lo, s29
	s_and_saveexec_b32 s29, s27
	s_cbranch_execz .LBB60_219
.LBB60_285:                             ;   in Loop: Header=BB60_12 Depth=1
	s_waitcnt lgkmcnt(1)
	global_store_b16 v[0:1], v3, off offset:896
	s_or_b32 exec_lo, exec_lo, s29
	s_and_saveexec_b32 s29, s28
	s_cbranch_execnz .LBB60_220
	s_branch .LBB60_221
.LBB60_286:                             ;   in Loop: Header=BB60_12 Depth=1
	ds_load_u16 v17, v37
	s_waitcnt lgkmcnt(0)
	global_store_b16 v[0:1], v17, off
	s_or_b32 exec_lo, exec_lo, s29
	s_and_saveexec_b32 s13, s14
	s_cbranch_execz .LBB60_255
.LBB60_287:                             ;   in Loop: Header=BB60_12 Depth=1
	s_waitcnt lgkmcnt(14)
	global_store_b16 v[0:1], v16, off offset:64
	s_or_b32 exec_lo, exec_lo, s13
	s_and_saveexec_b32 s13, s15
	s_cbranch_execz .LBB60_256
.LBB60_288:                             ;   in Loop: Header=BB60_12 Depth=1
	s_waitcnt lgkmcnt(13)
	global_store_b16 v[0:1], v15, off offset:128
	s_or_b32 exec_lo, exec_lo, s13
	s_and_saveexec_b32 s13, s16
	s_cbranch_execz .LBB60_257
.LBB60_289:                             ;   in Loop: Header=BB60_12 Depth=1
	s_waitcnt lgkmcnt(12)
	global_store_b16 v[0:1], v14, off offset:192
	s_or_b32 exec_lo, exec_lo, s13
	s_and_saveexec_b32 s13, s17
	s_cbranch_execz .LBB60_258
.LBB60_290:                             ;   in Loop: Header=BB60_12 Depth=1
	s_waitcnt lgkmcnt(11)
	global_store_b16 v[0:1], v13, off offset:256
	s_or_b32 exec_lo, exec_lo, s13
	s_and_saveexec_b32 s13, s18
	s_cbranch_execz .LBB60_259
.LBB60_291:                             ;   in Loop: Header=BB60_12 Depth=1
	s_waitcnt lgkmcnt(10)
	global_store_b16 v[0:1], v12, off offset:320
	s_or_b32 exec_lo, exec_lo, s13
	s_and_saveexec_b32 s13, s19
	s_cbranch_execz .LBB60_260
.LBB60_292:                             ;   in Loop: Header=BB60_12 Depth=1
	s_waitcnt lgkmcnt(9)
	global_store_b16 v[0:1], v11, off offset:384
	s_or_b32 exec_lo, exec_lo, s13
	s_and_saveexec_b32 s13, s20
	s_cbranch_execz .LBB60_261
.LBB60_293:                             ;   in Loop: Header=BB60_12 Depth=1
	s_waitcnt lgkmcnt(8)
	global_store_b16 v[0:1], v10, off offset:448
	s_or_b32 exec_lo, exec_lo, s13
	s_and_saveexec_b32 s13, s21
	s_cbranch_execz .LBB60_262
.LBB60_294:                             ;   in Loop: Header=BB60_12 Depth=1
	s_waitcnt lgkmcnt(7)
	global_store_b16 v[0:1], v9, off offset:512
	s_or_b32 exec_lo, exec_lo, s13
	s_and_saveexec_b32 s13, s22
	s_cbranch_execz .LBB60_263
.LBB60_295:                             ;   in Loop: Header=BB60_12 Depth=1
	s_waitcnt lgkmcnt(6)
	global_store_b16 v[0:1], v8, off offset:576
	s_or_b32 exec_lo, exec_lo, s13
	s_and_saveexec_b32 s13, s23
	s_cbranch_execz .LBB60_264
.LBB60_296:                             ;   in Loop: Header=BB60_12 Depth=1
	s_waitcnt lgkmcnt(5)
	global_store_b16 v[0:1], v7, off offset:640
	s_or_b32 exec_lo, exec_lo, s13
	s_and_saveexec_b32 s13, s24
	s_cbranch_execz .LBB60_265
.LBB60_297:                             ;   in Loop: Header=BB60_12 Depth=1
	s_waitcnt lgkmcnt(4)
	global_store_b16 v[0:1], v6, off offset:704
	s_or_b32 exec_lo, exec_lo, s13
	s_and_saveexec_b32 s13, s25
	s_cbranch_execz .LBB60_266
.LBB60_298:                             ;   in Loop: Header=BB60_12 Depth=1
	s_waitcnt lgkmcnt(3)
	global_store_b16 v[0:1], v5, off offset:768
	s_or_b32 exec_lo, exec_lo, s13
	s_and_saveexec_b32 s13, s26
	s_cbranch_execz .LBB60_267
.LBB60_299:                             ;   in Loop: Header=BB60_12 Depth=1
	s_waitcnt lgkmcnt(2)
	global_store_b16 v[0:1], v4, off offset:832
	s_or_b32 exec_lo, exec_lo, s13
	s_and_saveexec_b32 s13, s27
	s_cbranch_execz .LBB60_268
.LBB60_300:                             ;   in Loop: Header=BB60_12 Depth=1
	s_waitcnt lgkmcnt(1)
	global_store_b16 v[0:1], v3, off offset:896
	s_or_b32 exec_lo, exec_lo, s13
	s_and_saveexec_b32 s13, s28
	s_cbranch_execz .LBB60_11
.LBB60_301:                             ;   in Loop: Header=BB60_12 Depth=1
	s_waitcnt lgkmcnt(0)
	global_store_b16 v[0:1], v2, off offset:960
	s_branch .LBB60_11
.LBB60_302:
	s_nop 0
	s_sendmsg sendmsg(MSG_DEALLOC_VGPRS)
	s_endpgm
	.section	.rodata,"a",@progbits
	.p2align	6, 0x0
	.amdhsa_kernel _Z25selective_scan_fwd_kernelI32Selective_Scan_fwd_kernel_traitsILi128ELi16ELi1ELb0ELb1ELb1ELb1ELb1EN3c108BFloat16EffEEv13SSMParamsBase
		.amdhsa_group_segment_fixed_size 0
		.amdhsa_private_segment_fixed_size 0
		.amdhsa_kernarg_size 248
		.amdhsa_user_sgpr_count 14
		.amdhsa_user_sgpr_dispatch_ptr 0
		.amdhsa_user_sgpr_queue_ptr 0
		.amdhsa_user_sgpr_kernarg_segment_ptr 1
		.amdhsa_user_sgpr_dispatch_id 0
		.amdhsa_user_sgpr_private_segment_size 0
		.amdhsa_wavefront_size32 1
		.amdhsa_uses_dynamic_stack 0
		.amdhsa_enable_private_segment 0
		.amdhsa_system_sgpr_workgroup_id_x 1
		.amdhsa_system_sgpr_workgroup_id_y 1
		.amdhsa_system_sgpr_workgroup_id_z 0
		.amdhsa_system_sgpr_workgroup_info 0
		.amdhsa_system_vgpr_workitem_id 0
		.amdhsa_next_free_vgpr 177
		.amdhsa_next_free_sgpr 92
		.amdhsa_reserve_vcc 1
		.amdhsa_float_round_mode_32 0
		.amdhsa_float_round_mode_16_64 0
		.amdhsa_float_denorm_mode_32 3
		.amdhsa_float_denorm_mode_16_64 3
		.amdhsa_dx10_clamp 1
		.amdhsa_ieee_mode 1
		.amdhsa_fp16_overflow 0
		.amdhsa_workgroup_processor_mode 1
		.amdhsa_memory_ordered 1
		.amdhsa_forward_progress 0
		.amdhsa_shared_vgpr_count 0
		.amdhsa_exception_fp_ieee_invalid_op 0
		.amdhsa_exception_fp_denorm_src 0
		.amdhsa_exception_fp_ieee_div_zero 0
		.amdhsa_exception_fp_ieee_overflow 0
		.amdhsa_exception_fp_ieee_underflow 0
		.amdhsa_exception_fp_ieee_inexact 0
		.amdhsa_exception_int_div_zero 0
	.end_amdhsa_kernel
	.section	.text._Z25selective_scan_fwd_kernelI32Selective_Scan_fwd_kernel_traitsILi128ELi16ELi1ELb0ELb1ELb1ELb1ELb1EN3c108BFloat16EffEEv13SSMParamsBase,"axG",@progbits,_Z25selective_scan_fwd_kernelI32Selective_Scan_fwd_kernel_traitsILi128ELi16ELi1ELb0ELb1ELb1ELb1ELb1EN3c108BFloat16EffEEv13SSMParamsBase,comdat
.Lfunc_end60:
	.size	_Z25selective_scan_fwd_kernelI32Selective_Scan_fwd_kernel_traitsILi128ELi16ELi1ELb0ELb1ELb1ELb1ELb1EN3c108BFloat16EffEEv13SSMParamsBase, .Lfunc_end60-_Z25selective_scan_fwd_kernelI32Selective_Scan_fwd_kernel_traitsILi128ELi16ELi1ELb0ELb1ELb1ELb1ELb1EN3c108BFloat16EffEEv13SSMParamsBase
                                        ; -- End function
	.section	.AMDGPU.csdata,"",@progbits
; Kernel info:
; codeLenInByte = 27028
; NumSgprs: 94
; NumVgprs: 177
; ScratchSize: 0
; MemoryBound: 0
; FloatMode: 240
; IeeeMode: 1
; LDSByteSize: 0 bytes/workgroup (compile time only)
; SGPRBlocks: 11
; VGPRBlocks: 22
; NumSGPRsForWavesPerEU: 94
; NumVGPRsForWavesPerEU: 177
; Occupancy: 8
; WaveLimiterHint : 1
; COMPUTE_PGM_RSRC2:SCRATCH_EN: 0
; COMPUTE_PGM_RSRC2:USER_SGPR: 14
; COMPUTE_PGM_RSRC2:TRAP_HANDLER: 0
; COMPUTE_PGM_RSRC2:TGID_X_EN: 1
; COMPUTE_PGM_RSRC2:TGID_Y_EN: 1
; COMPUTE_PGM_RSRC2:TGID_Z_EN: 0
; COMPUTE_PGM_RSRC2:TIDIG_COMP_CNT: 0
	.section	.text._Z25selective_scan_fwd_kernelI32Selective_Scan_fwd_kernel_traitsILi128ELi16ELi1ELb0ELb1ELb1ELb1ELb0EN3c108BFloat16EffEEv13SSMParamsBase,"axG",@progbits,_Z25selective_scan_fwd_kernelI32Selective_Scan_fwd_kernel_traitsILi128ELi16ELi1ELb0ELb1ELb1ELb1ELb0EN3c108BFloat16EffEEv13SSMParamsBase,comdat
	.protected	_Z25selective_scan_fwd_kernelI32Selective_Scan_fwd_kernel_traitsILi128ELi16ELi1ELb0ELb1ELb1ELb1ELb0EN3c108BFloat16EffEEv13SSMParamsBase ; -- Begin function _Z25selective_scan_fwd_kernelI32Selective_Scan_fwd_kernel_traitsILi128ELi16ELi1ELb0ELb1ELb1ELb1ELb0EN3c108BFloat16EffEEv13SSMParamsBase
	.globl	_Z25selective_scan_fwd_kernelI32Selective_Scan_fwd_kernel_traitsILi128ELi16ELi1ELb0ELb1ELb1ELb1ELb0EN3c108BFloat16EffEEv13SSMParamsBase
	.p2align	8
	.type	_Z25selective_scan_fwd_kernelI32Selective_Scan_fwd_kernel_traitsILi128ELi16ELi1ELb0ELb1ELb1ELb1ELb0EN3c108BFloat16EffEEv13SSMParamsBase,@function
_Z25selective_scan_fwd_kernelI32Selective_Scan_fwd_kernel_traitsILi128ELi16ELi1ELb0ELb1ELb1ELb1ELb0EN3c108BFloat16EffEEv13SSMParamsBase: ; @_Z25selective_scan_fwd_kernelI32Selective_Scan_fwd_kernel_traitsILi128ELi16ELi1ELb0ELb1ELb1ELb1ELb0EN3c108BFloat16EffEEv13SSMParamsBase
; %bb.0:
	s_clause 0x1
	s_load_b32 s9, s[0:1], 0x18
	s_load_b128 s[4:7], s[0:1], 0xe8
	s_mov_b32 s34, s15
	s_mov_b32 s68, 0
	s_waitcnt lgkmcnt(0)
	s_abs_i32 s8, s9
	s_cmp_eq_u64 s[6:7], 0
	v_cvt_f32_u32_e32 v1, s8
	s_delay_alu instid0(VALU_DEP_1) | instskip(SKIP_2) | instid1(VALU_DEP_1)
	v_rcp_iflag_f32_e32 v1, v1
	s_waitcnt_depctr 0xfff
	v_mul_f32_e32 v1, 0x4f7ffffe, v1
	v_cvt_u32_f32_e32 v1, v1
	s_delay_alu instid0(VALU_DEP_1)
	v_readfirstlane_b32 s10, v1
	s_cbranch_scc1 .LBB61_2
; %bb.1:
	v_mov_b32_e32 v1, 0
	s_ashr_i32 s3, s14, 31
	s_add_u32 s2, s6, s14
	s_addc_u32 s3, s7, s3
	global_load_u8 v1, v1, s[2:3]
	s_waitcnt vmcnt(0)
	v_and_b32_e32 v1, 1, v1
	s_delay_alu instid0(VALU_DEP_1)
	v_cmp_eq_u32_e64 s68, 1, v1
.LBB61_2:
	s_load_b64 s[6:7], s[0:1], 0x20
	s_cmp_eq_u64 s[4:5], 0
	s_cbranch_scc1 .LBB61_4
; %bb.3:
	s_ashr_i32 s15, s14, 31
	s_delay_alu instid0(SALU_CYCLE_1) | instskip(NEXT) | instid1(SALU_CYCLE_1)
	s_lshl_b64 s[2:3], s[14:15], 2
	s_add_u32 s2, s4, s2
	s_addc_u32 s3, s5, s3
	s_load_b32 s2, s[2:3], 0x0
	s_waitcnt lgkmcnt(0)
	s_ashr_i32 s3, s2, 31
	s_delay_alu instid0(SALU_CYCLE_1)
	s_cmp_eq_u64 s[6:7], s[2:3]
	s_cbranch_scc0 .LBB61_5
	s_branch .LBB61_302
.LBB61_4:
	s_mov_b32 s2, s14
	s_delay_alu instid0(SALU_CYCLE_1)
	s_ashr_i32 s3, s2, 31
	s_waitcnt lgkmcnt(0)
	s_cmp_eq_u64 s[6:7], s[2:3]
	s_cbranch_scc1 .LBB61_302
.LBB61_5:
	s_clause 0x1
	s_load_b512 s[16:31], s[0:1], 0x88
	s_load_b64 s[64:65], s[0:1], 0x8
	s_mov_b32 s69, 0
	s_mov_b32 s70, 0
	s_waitcnt lgkmcnt(0)
	s_cmp_eq_u64 s[22:23], 0
	s_cbranch_scc1 .LBB61_7
; %bb.6:
	s_ashr_i32 s35, s34, 31
	s_delay_alu instid0(SALU_CYCLE_1) | instskip(NEXT) | instid1(SALU_CYCLE_1)
	s_lshl_b64 s[4:5], s[34:35], 2
	s_add_u32 s4, s22, s4
	s_addc_u32 s5, s23, s5
	s_load_b32 s70, s[4:5], 0x0
.LBB61_7:
	s_cmp_eq_u64 s[28:29], 0
	s_cbranch_scc1 .LBB61_9
; %bb.8:
	s_ashr_i32 s35, s34, 31
	s_delay_alu instid0(SALU_CYCLE_1) | instskip(NEXT) | instid1(SALU_CYCLE_1)
	s_lshl_b64 s[4:5], s[34:35], 2
	s_add_u32 s4, s28, s4
	s_addc_u32 s5, s29, s5
	s_load_b32 s69, s[4:5], 0x0
.LBB61_9:
	s_cmp_lt_i32 s64, 1
	s_cbranch_scc1 .LBB61_302
; %bb.10:
	s_sub_i32 s3, 0, s8
	s_load_b256 s[48:55], s[0:1], 0x4c
	s_mul_i32 s3, s3, s10
	s_abs_i32 s4, s34
	s_mul_hi_u32 s3, s10, s3
	s_ashr_i32 s6, s9, 31
	s_add_i32 s10, s10, s3
	s_ashr_i32 s3, s34, 31
	s_mul_hi_u32 s5, s4, s10
	s_xor_b32 s3, s3, s6
	s_mul_i32 s7, s5, s8
	s_add_i32 s6, s5, 1
	s_sub_i32 s4, s4, s7
	s_load_b256 s[56:63], s[0:1], 0x2c
	s_sub_i32 s7, s4, s8
	s_cmp_ge_u32 s4, s8
	s_mov_b32 s67, 0
	s_cselect_b32 s5, s6, s5
	s_cselect_b32 s4, s7, s4
	s_add_i32 s6, s5, 1
	s_cmp_ge_u32 s4, s8
	s_waitcnt lgkmcnt(0)
	s_mul_i32 s66, s50, s14
	s_cselect_b32 s6, s6, s5
	s_lshl_b64 s[4:5], s[66:67], 1
	s_xor_b32 s6, s6, s3
	s_mul_i32 s66, s51, s34
	s_sub_i32 s3, s6, s3
	s_add_u32 s6, s24, s4
	s_addc_u32 s7, s25, s5
	s_lshl_b64 s[4:5], s[66:67], 1
	s_mul_i32 s66, s52, s14
	s_add_u32 s63, s6, s4
	s_addc_u32 s71, s7, s5
	s_lshl_b64 s[4:5], s[66:67], 1
	s_mul_i32 s66, s53, s34
	;; [unrolled: 4-line block ×4, first 2 shown]
	s_load_b64 s[6:7], s[0:1], 0x7c
	s_add_u32 s73, s16, s4
	s_addc_u32 s74, s17, s5
	s_lshl_b64 s[4:5], s[66:67], 1
	v_dual_mov_b32 v21, 0 :: v_dual_lshlrev_b32 v18, 4, v0
	s_mul_i32 s66, s3, s61
	s_load_b128 s[24:27], s[0:1], 0xc8
	s_add_u32 s8, s18, s4
	s_addc_u32 s9, s19, s5
	s_lshl_b64 s[4:5], s[66:67], 1
	s_mul_i32 s66, s62, s14
	s_add_u32 s61, s8, s4
	v_mbcnt_lo_u32_b32 v19, -1, 0
	v_and_b32_e32 v1, 0x600, v18
	s_addc_u32 s62, s9, s5
	s_lshl_b64 s[4:5], s[66:67], 1
	s_load_b128 s[16:19], s[0:1], 0x6c
	s_add_u32 s8, s20, s4
	s_mul_i32 s66, s3, s49
	s_addc_u32 s3, s21, s5
	s_clause 0x2
	s_load_b32 s49, s[0:1], 0x84
	s_load_b64 s[20:21], s[0:1], 0xd8
	s_load_b32 s0, s[0:1], 0x28
	v_or_b32_e32 v20, v19, v1
	v_and_b32_e32 v14, 0x60, v0
	s_lshl_b64 s[4:5], s[66:67], 1
	s_waitcnt lgkmcnt(0)
	s_mul_i32 s66, s2, s6
	s_add_u32 s75, s8, s4
	v_or_b32_e32 v24, 0x60, v20
	s_addc_u32 s76, s3, s5
	s_lshl_b64 s[2:3], s[66:67], 2
	v_or_b32_e32 v26, 0xa0, v20
	v_or_b32_e32 v28, 0xe0, v20
	;; [unrolled: 1-line block ×5, first 2 shown]
	v_lshrrev_b32_e32 v2, 5, v24
	v_or_b32_e32 v36, 0x1e0, v20
	v_or_b32_e32 v16, v19, v14
	s_mul_i32 s66, s7, s34
	s_add_u32 s4, s24, s2
	s_addc_u32 s5, s25, s3
	s_lshl_b64 s[2:3], s[66:67], 2
	v_or_b32_e32 v23, 64, v20
	s_add_u32 s77, s4, s2
	v_or_b32_e32 v25, 0x80, v20
	v_or_b32_e32 v27, 0xc0, v20
	;; [unrolled: 1-line block ×6, first 2 shown]
	v_and_b32_e32 v2, 50, v2
	v_lshrrev_b32_e32 v5, 5, v26
	v_lshrrev_b32_e32 v8, 5, v28
	;; [unrolled: 1-line block ×6, first 2 shown]
	v_lshrrev_b16 v50, 1, v16
	s_addc_u32 s78, s5, s3
	s_add_i32 s2, s64, 0x7ff
	v_lshrrev_b32_e32 v3, 5, v1
	s_lshr_b32 s79, s2, 11
	s_bitcmp1_b32 s0, 0
	v_lshrrev_b32_e32 v4, 5, v23
	v_lshrrev_b32_e32 v6, 5, v25
	v_add_lshl_u32 v2, v2, v20, 1
	v_and_b32_e32 v5, 52, v5
	v_lshrrev_b32_e32 v7, 5, v27
	v_and_b32_e32 v8, 54, v8
	v_lshrrev_b32_e32 v10, 5, v29
	;; [unrolled: 2-line block ×5, first 2 shown]
	v_and_b32_e32 v51, 62, v49
	v_lshlrev_b32_e32 v16, 4, v16
	v_and_b32_e32 v52, 62, v50
	s_cselect_b32 s80, -1, 0
	s_cmp_gt_i32 s65, 0
	v_add_lshl_u32 v3, v3, v20, 1
	s_cselect_b32 s81, -1, 0
	s_add_i32 s0, 0, 0x1080
	v_add_lshl_u32 v4, v4, v20, 1
	v_add_lshl_u32 v6, v6, v20, 1
	v_add_nc_u32_e32 v39, 0, v2
	v_add_lshl_u32 v5, v5, v20, 1
	v_add_lshl_u32 v7, v7, v20, 1
	;; [unrolled: 1-line block ×12, first 2 shown]
	v_add_nc_u32_e32 v55, s0, v2
	v_and_b32_e32 v2, 15, v19
	s_and_b32 s1, s64, 0x7ff
	v_add_nc_u32_e32 v51, 0, v67
	v_add_nc_u32_e32 v53, s0, v3
	;; [unrolled: 1-line block ×15, first 2 shown]
	s_cmp_eq_u32 s1, 0
	v_add_nc_u32_e32 v68, s0, v16
	v_cmp_ne_u32_e64 s0, 0, v2
	v_cmp_lt_u32_e64 s1, 1, v2
	v_cmp_lt_u32_e64 s2, 3, v2
	;; [unrolled: 1-line block ×3, first 2 shown]
	v_add_nc_u32_e32 v2, -1, v19
	v_add_nc_u32_e32 v37, 0, v3
	v_lshrrev_b32_e32 v3, 2, v0
	s_mul_i32 s66, s16, s14
	v_add_nc_u32_e32 v41, 0, v5
	v_or_b32_e32 v5, 31, v14
	v_cmp_gt_i32_e32 vcc_lo, 0, v2
	s_cselect_b32 s82, -1, 0
	s_lshl_b64 s[12:13], s[66:67], 1
	v_and_b32_e32 v3, 24, v3
	s_add_i32 s83, s79, -1
	v_cndmask_b32_e32 v2, v2, v19, vcc_lo
	s_mul_i32 s66, s17, s34
	s_add_u32 s15, s30, s12
	s_addc_u32 s13, s31, s13
	s_lshl_b64 s[16:17], s[66:67], 1
	v_cmp_eq_u32_e64 s5, v5, v0
	v_cmp_gt_u32_e64 s6, 4, v0
	v_lshl_add_u32 v70, v0, 3, 0
	v_cmp_gt_u32_e64 s9, 32, v0
	v_cmp_lt_u32_e64 s10, 31, v0
	v_cmp_eq_u32_e64 s11, 0, v0
	s_mul_i32 s66, s54, s14
	v_lshlrev_b32_e32 v0, 1, v19
	s_add_u32 s15, s15, s16
	v_add_nc_u32_e32 v38, 0, v4
	v_and_b32_e32 v4, 16, v19
	v_add_nc_u32_e32 v69, 0, v3
	v_and_b32_e32 v3, 3, v19
	s_addc_u32 s13, s13, s17
	s_lshl_b64 s[16:17], s[66:67], 1
	s_mul_i32 s66, s55, s34
	s_add_u32 s22, s26, s16
	v_lshlrev_b32_e32 v71, 2, v2
	s_addc_u32 s23, s27, s17
	s_lshl_b64 s[16:17], s[66:67], 1
	v_add_co_u32 v2, s15, s15, v0
	s_mul_i32 s66, s18, s14
	v_cmp_ne_u32_e64 s4, 0, v4
	v_cmp_ne_u32_e64 s7, 0, v3
	v_cmp_lt_u32_e64 s8, 1, v3
	v_add_co_ci_u32_e64 v3, null, s13, 0, s15
	s_add_u32 s13, s22, s16
	v_lshlrev_b32_e32 v4, 1, v1
	s_addc_u32 s16, s23, s17
	s_lshl_b64 s[14:15], s[66:67], 1
	s_mul_i32 s66, s19, s34
	s_add_u32 s17, s20, s14
	s_addc_u32 s18, s21, s15
	s_lshl_b64 s[14:15], s[66:67], 1
	v_add_co_u32 v72, vcc_lo, v2, v4
	v_add_co_u32 v2, s13, s13, v0
	s_add_u32 s14, s17, s14
	v_add_co_ci_u32_e32 v73, vcc_lo, 0, v3, vcc_lo
	v_add_co_ci_u32_e64 v3, null, s16, 0, s13
	s_addc_u32 s15, s18, s15
	v_add_co_u32 v0, s13, s14, v0
	s_delay_alu instid0(VALU_DEP_1) | instskip(SKIP_2) | instid1(VALU_DEP_4)
	v_add_co_ci_u32_e64 v5, null, s15, 0, s13
	v_add_co_u32 v74, vcc_lo, v2, v4
	v_add_co_ci_u32_e32 v75, vcc_lo, 0, v3, vcc_lo
	v_add_co_u32 v76, vcc_lo, v0, v4
	v_or_b32_e32 v22, 32, v20
	v_add_nc_u32_e32 v40, 0, v6
	v_add_nc_u32_e32 v42, 0, v7
	;; [unrolled: 1-line block ×11, first 2 shown]
	v_cmp_eq_u32_e64 s12, 0, v19
	v_add_co_ci_u32_e32 v77, vcc_lo, 0, v5, vcc_lo
	v_or_b32_e32 v78, 1, v18
	v_or_b32_e32 v79, 2, v18
	;; [unrolled: 1-line block ×15, first 2 shown]
	v_lshlrev_b32_e32 v93, 1, v1
	s_mov_b32 s84, 0x3e9b6dac
	s_add_i32 s85, 0, 0x2120
	s_mov_b32 s86, 0
	s_branch .LBB61_12
.LBB61_11:                              ;   in Loop: Header=BB61_12 Depth=1
	s_or_b32 exec_lo, exec_lo, s13
	s_add_u32 s72, s72, 0x1000
	s_addc_u32 s56, s56, 0
	s_add_u32 s63, s63, 0x1000
	s_addc_u32 s71, s71, 0
	;; [unrolled: 2-line block ×4, first 2 shown]
	s_add_i32 s86, s86, 1
	s_delay_alu instid0(SALU_CYCLE_1)
	s_cmp_lg_u32 s86, s79
	s_cbranch_scc0 .LBB61_302
.LBB61_12:                              ; =>This Loop Header: Depth=1
                                        ;     Child Loop BB61_109 Depth 2
	s_waitcnt lgkmcnt(14)
	v_lshlrev_b32_e32 v16, 1, v19
	s_lshl_b32 s50, s86, 11
	s_waitcnt lgkmcnt(0)
	v_mov_b32_e32 v2, 0
	s_sub_i32 s41, s64, s50
	v_add_co_u32 v0, s13, s63, v16
	s_delay_alu instid0(VALU_DEP_1) | instskip(SKIP_1) | instid1(VALU_DEP_3)
	v_add_co_ci_u32_e64 v1, null, s71, 0, s13
	v_cmp_gt_u32_e64 s13, s41, v20
	v_add_co_u32 v0, vcc_lo, v0, v93
	s_delay_alu instid0(VALU_DEP_3)
	v_add_co_ci_u32_e32 v1, vcc_lo, 0, v1, vcc_lo
	s_waitcnt_vscnt null, 0x0
	s_barrier
	buffer_gl0_inv
	s_and_saveexec_b32 s14, s13
	s_cbranch_execz .LBB61_14
; %bb.13:                               ;   in Loop: Header=BB61_12 Depth=1
	global_load_u16 v2, v[0:1], off
.LBB61_14:                              ;   in Loop: Header=BB61_12 Depth=1
	s_or_b32 exec_lo, exec_lo, s14
	v_cmp_gt_u32_e64 s14, s41, v22
	v_dual_mov_b32 v3, 0 :: v_dual_mov_b32 v4, 0
	s_delay_alu instid0(VALU_DEP_2)
	s_and_saveexec_b32 s15, s14
	s_cbranch_execz .LBB61_16
; %bb.15:                               ;   in Loop: Header=BB61_12 Depth=1
	global_load_u16 v4, v[0:1], off offset:64
.LBB61_16:                              ;   in Loop: Header=BB61_12 Depth=1
	s_or_b32 exec_lo, exec_lo, s15
	v_cmp_gt_u32_e64 s15, s41, v23
	s_delay_alu instid0(VALU_DEP_1)
	s_and_saveexec_b32 s16, s15
	s_cbranch_execz .LBB61_18
; %bb.17:                               ;   in Loop: Header=BB61_12 Depth=1
	global_load_u16 v3, v[0:1], off offset:128
.LBB61_18:                              ;   in Loop: Header=BB61_12 Depth=1
	s_or_b32 exec_lo, exec_lo, s16
	v_cmp_gt_u32_e64 s16, s41, v24
	v_dual_mov_b32 v5, 0 :: v_dual_mov_b32 v6, 0
	s_delay_alu instid0(VALU_DEP_2)
	s_and_saveexec_b32 s17, s16
	s_cbranch_execz .LBB61_20
; %bb.19:                               ;   in Loop: Header=BB61_12 Depth=1
	global_load_u16 v6, v[0:1], off offset:192
.LBB61_20:                              ;   in Loop: Header=BB61_12 Depth=1
	s_or_b32 exec_lo, exec_lo, s17
	v_cmp_gt_u32_e64 s17, s41, v25
	s_delay_alu instid0(VALU_DEP_1)
	s_and_saveexec_b32 s18, s17
	s_cbranch_execz .LBB61_22
; %bb.21:                               ;   in Loop: Header=BB61_12 Depth=1
	global_load_u16 v5, v[0:1], off offset:256
.LBB61_22:                              ;   in Loop: Header=BB61_12 Depth=1
	;; [unrolled: 17-line block ×3, first 2 shown]
	s_or_b32 exec_lo, exec_lo, s20
	v_cmp_gt_u32_e64 s20, s41, v28
	v_mov_b32_e32 v9, 0
	v_mov_b32_e32 v11, 0
	s_delay_alu instid0(VALU_DEP_3)
	s_and_saveexec_b32 s21, s20
	s_cbranch_execz .LBB61_28
; %bb.27:                               ;   in Loop: Header=BB61_12 Depth=1
	global_load_u16 v11, v[0:1], off offset:448
.LBB61_28:                              ;   in Loop: Header=BB61_12 Depth=1
	s_or_b32 exec_lo, exec_lo, s21
	v_cmp_gt_u32_e64 s21, s41, v29
	s_delay_alu instid0(VALU_DEP_1)
	s_and_saveexec_b32 s22, s21
	s_cbranch_execz .LBB61_30
; %bb.29:                               ;   in Loop: Header=BB61_12 Depth=1
	global_load_u16 v9, v[0:1], off offset:512
.LBB61_30:                              ;   in Loop: Header=BB61_12 Depth=1
	s_or_b32 exec_lo, exec_lo, s22
	v_cmp_gt_u32_e64 s22, s41, v30
	v_dual_mov_b32 v12, 0 :: v_dual_mov_b32 v13, 0
	s_delay_alu instid0(VALU_DEP_2)
	s_and_saveexec_b32 s23, s22
	s_cbranch_execz .LBB61_32
; %bb.31:                               ;   in Loop: Header=BB61_12 Depth=1
	global_load_u16 v13, v[0:1], off offset:576
.LBB61_32:                              ;   in Loop: Header=BB61_12 Depth=1
	s_or_b32 exec_lo, exec_lo, s23
	v_cmp_gt_u32_e64 s23, s41, v31
	s_delay_alu instid0(VALU_DEP_1)
	s_and_saveexec_b32 s24, s23
	s_cbranch_execz .LBB61_34
; %bb.33:                               ;   in Loop: Header=BB61_12 Depth=1
	global_load_u16 v12, v[0:1], off offset:640
.LBB61_34:                              ;   in Loop: Header=BB61_12 Depth=1
	s_or_b32 exec_lo, exec_lo, s24
	v_cmp_gt_u32_e64 s24, s41, v32
	v_dual_mov_b32 v14, 0 :: v_dual_mov_b32 v15, 0
	s_delay_alu instid0(VALU_DEP_2)
	;; [unrolled: 17-line block ×4, first 2 shown]
	s_and_saveexec_b32 s29, s28
	s_cbranch_execz .LBB61_44
; %bb.43:                               ;   in Loop: Header=BB61_12 Depth=1
	global_load_u16 v95, v[0:1], off offset:960
.LBB61_44:                              ;   in Loop: Header=BB61_12 Depth=1
	s_or_b32 exec_lo, exec_lo, s29
	s_waitcnt vmcnt(0)
	ds_store_b16 v37, v2
	ds_store_b16 v37, v4 offset:64
	ds_store_b16 v38, v3 offset:128
	;; [unrolled: 1-line block ×15, first 2 shown]
	; wave barrier
	ds_load_b128 v[0:3], v52
	ds_load_b128 v[4:7], v52 offset:16
	v_add_co_u32 v8, s29, s72, v16
	s_delay_alu instid0(VALU_DEP_1) | instskip(SKIP_1) | instid1(VALU_DEP_2)
	v_add_co_ci_u32_e64 v9, null, s56, 0, s29
	s_waitcnt lgkmcnt(0)
	v_add_co_u32 v8, vcc_lo, v8, v93
	s_delay_alu instid0(VALU_DEP_2)
	v_add_co_ci_u32_e32 v9, vcc_lo, 0, v9, vcc_lo
	s_barrier
	buffer_gl0_inv
	s_and_saveexec_b32 s29, s13
	s_cbranch_execz .LBB61_46
; %bb.45:                               ;   in Loop: Header=BB61_12 Depth=1
	global_load_u16 v10, v[8:9], off
.LBB61_46:                              ;   in Loop: Header=BB61_12 Depth=1
	s_or_b32 exec_lo, exec_lo, s29
	v_dual_mov_b32 v11, 0 :: v_dual_mov_b32 v12, 0
	s_and_saveexec_b32 s29, s14
	s_cbranch_execz .LBB61_48
; %bb.47:                               ;   in Loop: Header=BB61_12 Depth=1
	global_load_u16 v12, v[8:9], off offset:64
.LBB61_48:                              ;   in Loop: Header=BB61_12 Depth=1
	s_or_b32 exec_lo, exec_lo, s29
	s_and_saveexec_b32 s29, s15
	s_cbranch_execz .LBB61_50
; %bb.49:                               ;   in Loop: Header=BB61_12 Depth=1
	global_load_u16 v11, v[8:9], off offset:128
.LBB61_50:                              ;   in Loop: Header=BB61_12 Depth=1
	s_or_b32 exec_lo, exec_lo, s29
	v_dual_mov_b32 v13, 0 :: v_dual_mov_b32 v14, 0
	s_and_saveexec_b32 s29, s16
	s_cbranch_execz .LBB61_52
; %bb.51:                               ;   in Loop: Header=BB61_12 Depth=1
	global_load_u16 v14, v[8:9], off offset:192
.LBB61_52:                              ;   in Loop: Header=BB61_12 Depth=1
	s_or_b32 exec_lo, exec_lo, s29
	s_and_saveexec_b32 s29, s17
	s_cbranch_execz .LBB61_54
; %bb.53:                               ;   in Loop: Header=BB61_12 Depth=1
	global_load_u16 v13, v[8:9], off offset:256
.LBB61_54:                              ;   in Loop: Header=BB61_12 Depth=1
	s_or_b32 exec_lo, exec_lo, s29
	v_mov_b32_e32 v15, 0
	v_mov_b32_e32 v17, 0
	s_and_saveexec_b32 s29, s18
	s_cbranch_execz .LBB61_56
; %bb.55:                               ;   in Loop: Header=BB61_12 Depth=1
	global_load_u16 v17, v[8:9], off offset:320
.LBB61_56:                              ;   in Loop: Header=BB61_12 Depth=1
	s_or_b32 exec_lo, exec_lo, s29
	s_and_saveexec_b32 s29, s19
	s_cbranch_execz .LBB61_58
; %bb.57:                               ;   in Loop: Header=BB61_12 Depth=1
	global_load_u16 v15, v[8:9], off offset:384
.LBB61_58:                              ;   in Loop: Header=BB61_12 Depth=1
	s_or_b32 exec_lo, exec_lo, s29
	v_dual_mov_b32 v94, 0 :: v_dual_mov_b32 v95, 0
	s_and_saveexec_b32 s29, s20
	s_cbranch_execz .LBB61_60
; %bb.59:                               ;   in Loop: Header=BB61_12 Depth=1
	global_load_u16 v95, v[8:9], off offset:448
.LBB61_60:                              ;   in Loop: Header=BB61_12 Depth=1
	s_or_b32 exec_lo, exec_lo, s29
	s_and_saveexec_b32 s29, s21
	s_cbranch_execz .LBB61_62
; %bb.61:                               ;   in Loop: Header=BB61_12 Depth=1
	global_load_u16 v94, v[8:9], off offset:512
.LBB61_62:                              ;   in Loop: Header=BB61_12 Depth=1
	s_or_b32 exec_lo, exec_lo, s29
	v_dual_mov_b32 v96, 0 :: v_dual_mov_b32 v97, 0
	;; [unrolled: 13-line block ×4, first 2 shown]
	s_and_saveexec_b32 s29, s26
	s_cbranch_execnz .LBB61_269
; %bb.71:                               ;   in Loop: Header=BB61_12 Depth=1
	s_or_b32 exec_lo, exec_lo, s29
	s_and_saveexec_b32 s29, s27
	s_cbranch_execnz .LBB61_270
.LBB61_72:                              ;   in Loop: Header=BB61_12 Depth=1
	s_or_b32 exec_lo, exec_lo, s29
	v_mov_b32_e32 v102, 0
	s_and_saveexec_b32 s29, s28
	s_cbranch_execz .LBB61_74
.LBB61_73:                              ;   in Loop: Header=BB61_12 Depth=1
	global_load_u16 v102, v[8:9], off offset:960
.LBB61_74:                              ;   in Loop: Header=BB61_12 Depth=1
	s_or_b32 exec_lo, exec_lo, s29
	s_waitcnt vmcnt(0)
	ds_store_b16 v37, v10
	ds_store_b16 v37, v12 offset:64
	ds_store_b16 v38, v11 offset:128
	;; [unrolled: 1-line block ×15, first 2 shown]
	; wave barrier
	ds_load_b128 v[12:15], v52
	ds_load_b128 v[8:11], v52 offset:16
	s_waitcnt lgkmcnt(1)
	v_lshlrev_b32_e32 v17, 16, v12
	s_delay_alu instid0(VALU_DEP_1) | instskip(NEXT) | instid1(VALU_DEP_1)
	v_add_f32_e32 v94, s69, v17
	v_cmp_ge_f32_e32 vcc_lo, 0x41a00000, v94
	s_and_b32 s29, s80, vcc_lo
	s_delay_alu instid0(SALU_CYCLE_1)
	s_and_saveexec_b32 s30, s29
	s_cbranch_execz .LBB61_76
; %bb.75:                               ;   in Loop: Header=BB61_12 Depth=1
	v_mul_f32_e32 v17, 0x3fb8aa3b, v94
	v_cmp_ngt_f32_e32 vcc_lo, 0xc2ce8ed0, v94
	s_delay_alu instid0(VALU_DEP_2) | instskip(SKIP_1) | instid1(VALU_DEP_1)
	v_rndne_f32_e32 v95, v17
	v_fma_f32 v96, 0x3fb8aa3b, v94, -v17
	v_dual_sub_f32 v17, v17, v95 :: v_dual_fmac_f32 v96, 0x32a5705f, v94
	v_cvt_i32_f32_e32 v95, v95
	s_delay_alu instid0(VALU_DEP_2) | instskip(NEXT) | instid1(VALU_DEP_1)
	v_add_f32_e32 v17, v17, v96
	v_exp_f32_e32 v17, v17
	s_waitcnt_depctr 0xfff
	v_ldexp_f32 v17, v17, v95
	s_delay_alu instid0(VALU_DEP_1) | instskip(SKIP_1) | instid1(VALU_DEP_2)
	v_cndmask_b32_e32 v17, 0, v17, vcc_lo
	v_cmp_nlt_f32_e32 vcc_lo, 0x42b17218, v94
	v_cndmask_b32_e32 v17, 0x7f800000, v17, vcc_lo
	s_delay_alu instid0(VALU_DEP_1) | instskip(NEXT) | instid1(VALU_DEP_1)
	v_add_f32_e32 v96, 1.0, v17
	v_cvt_f64_f32_e32 v[94:95], v96
	s_delay_alu instid0(VALU_DEP_1) | instskip(SKIP_1) | instid1(VALU_DEP_1)
	v_frexp_exp_i32_f64_e32 v94, v[94:95]
	v_frexp_mant_f32_e32 v95, v96
	v_cmp_gt_f32_e32 vcc_lo, 0x3f2aaaab, v95
	v_add_f32_e32 v95, -1.0, v96
	s_delay_alu instid0(VALU_DEP_1) | instskip(NEXT) | instid1(VALU_DEP_1)
	v_dual_sub_f32 v98, v95, v96 :: v_dual_sub_f32 v95, v17, v95
	v_add_f32_e32 v98, 1.0, v98
	v_subrev_co_ci_u32_e32 v94, vcc_lo, 0, v94, vcc_lo
	s_delay_alu instid0(VALU_DEP_1) | instskip(SKIP_1) | instid1(VALU_DEP_2)
	v_sub_nc_u32_e32 v97, 0, v94
	v_cvt_f32_i32_e32 v94, v94
	v_ldexp_f32 v96, v96, v97
	v_add_f32_e32 v95, v95, v98
	s_delay_alu instid0(VALU_DEP_1) | instskip(NEXT) | instid1(VALU_DEP_3)
	v_ldexp_f32 v95, v95, v97
	v_add_f32_e32 v99, 1.0, v96
	s_delay_alu instid0(VALU_DEP_1) | instskip(NEXT) | instid1(VALU_DEP_1)
	v_add_f32_e32 v98, -1.0, v99
	v_sub_f32_e32 v98, v96, v98
	v_cmp_eq_f32_e32 vcc_lo, 0x7f800000, v17
	v_cmp_gt_f32_e64 s29, 0x33800000, v17
	s_delay_alu instid0(VALU_DEP_3) | instskip(NEXT) | instid1(VALU_DEP_2)
	v_dual_add_f32 v98, v95, v98 :: v_dual_add_f32 v97, -1.0, v96
	s_or_b32 vcc_lo, s29, vcc_lo
	s_delay_alu instid0(VALU_DEP_1) | instskip(NEXT) | instid1(VALU_DEP_1)
	v_add_f32_e32 v100, 1.0, v97
	v_sub_f32_e32 v96, v96, v100
	s_delay_alu instid0(VALU_DEP_3) | instskip(NEXT) | instid1(VALU_DEP_1)
	v_add_f32_e32 v100, v99, v98
	v_sub_f32_e32 v99, v99, v100
	s_delay_alu instid0(VALU_DEP_3) | instskip(SKIP_1) | instid1(VALU_DEP_2)
	v_add_f32_e32 v95, v95, v96
	v_rcp_f32_e32 v96, v100
	v_add_f32_e32 v98, v98, v99
	s_delay_alu instid0(VALU_DEP_2) | instskip(NEXT) | instid1(VALU_DEP_1)
	v_add_f32_e32 v101, v97, v95
	v_sub_f32_e32 v97, v97, v101
	s_waitcnt_depctr 0xfff
	v_dual_mul_f32 v102, v101, v96 :: v_dual_add_f32 v95, v95, v97
	s_delay_alu instid0(VALU_DEP_1) | instskip(NEXT) | instid1(VALU_DEP_1)
	v_mul_f32_e32 v103, v100, v102
	v_fma_f32 v99, v102, v100, -v103
	s_delay_alu instid0(VALU_DEP_1) | instskip(NEXT) | instid1(VALU_DEP_1)
	v_fmac_f32_e32 v99, v102, v98
	v_add_f32_e32 v104, v103, v99
	s_delay_alu instid0(VALU_DEP_1) | instskip(NEXT) | instid1(VALU_DEP_1)
	v_sub_f32_e32 v105, v101, v104
	v_sub_f32_e32 v101, v101, v105
	;; [unrolled: 1-line block ×3, first 2 shown]
	s_delay_alu instid0(VALU_DEP_2) | instskip(NEXT) | instid1(VALU_DEP_2)
	v_sub_f32_e32 v101, v101, v104
	v_sub_f32_e32 v97, v97, v99
	s_delay_alu instid0(VALU_DEP_2) | instskip(NEXT) | instid1(VALU_DEP_1)
	v_add_f32_e32 v95, v95, v101
	v_add_f32_e32 v95, v97, v95
	s_delay_alu instid0(VALU_DEP_1) | instskip(NEXT) | instid1(VALU_DEP_1)
	v_add_f32_e32 v97, v105, v95
	v_mul_f32_e32 v99, v96, v97
	s_delay_alu instid0(VALU_DEP_1) | instskip(NEXT) | instid1(VALU_DEP_1)
	v_dual_sub_f32 v104, v105, v97 :: v_dual_mul_f32 v101, v100, v99
	v_add_f32_e32 v95, v95, v104
	s_delay_alu instid0(VALU_DEP_2) | instskip(NEXT) | instid1(VALU_DEP_1)
	v_fma_f32 v100, v99, v100, -v101
	v_fmac_f32_e32 v100, v99, v98
	s_delay_alu instid0(VALU_DEP_1) | instskip(NEXT) | instid1(VALU_DEP_1)
	v_add_f32_e32 v98, v101, v100
	v_sub_f32_e32 v103, v97, v98
	v_sub_f32_e32 v101, v98, v101
	s_delay_alu instid0(VALU_DEP_2) | instskip(NEXT) | instid1(VALU_DEP_1)
	v_sub_f32_e32 v97, v97, v103
	v_sub_f32_e32 v97, v97, v98
	s_delay_alu instid0(VALU_DEP_1) | instskip(SKIP_1) | instid1(VALU_DEP_1)
	v_dual_sub_f32 v98, v101, v100 :: v_dual_add_f32 v95, v95, v97
	v_add_f32_e32 v97, v102, v99
	v_dual_add_f32 v95, v98, v95 :: v_dual_sub_f32 v98, v97, v102
	s_delay_alu instid0(VALU_DEP_1) | instskip(NEXT) | instid1(VALU_DEP_1)
	v_add_f32_e32 v95, v103, v95
	v_dual_sub_f32 v98, v99, v98 :: v_dual_mul_f32 v95, v96, v95
	s_delay_alu instid0(VALU_DEP_1) | instskip(NEXT) | instid1(VALU_DEP_1)
	v_add_f32_e32 v95, v98, v95
	v_add_f32_e32 v96, v97, v95
	s_delay_alu instid0(VALU_DEP_1) | instskip(NEXT) | instid1(VALU_DEP_1)
	v_mul_f32_e32 v98, v96, v96
	v_fmaak_f32 v99, s84, v98, 0x3ecc95a3
	v_mul_f32_e32 v100, v96, v98
	s_delay_alu instid0(VALU_DEP_2) | instskip(SKIP_2) | instid1(VALU_DEP_3)
	v_fmaak_f32 v98, v98, v99, 0x3f2aaada
	v_ldexp_f32 v99, v96, 1
	v_sub_f32_e32 v96, v96, v97
	v_mul_f32_e32 v98, v100, v98
	s_delay_alu instid0(VALU_DEP_2) | instskip(NEXT) | instid1(VALU_DEP_2)
	v_dual_mul_f32 v100, 0x3f317218, v94 :: v_dual_sub_f32 v95, v95, v96
	v_add_f32_e32 v97, v99, v98
	s_delay_alu instid0(VALU_DEP_2) | instskip(NEXT) | instid1(VALU_DEP_2)
	v_ldexp_f32 v95, v95, 1
	v_sub_f32_e32 v96, v97, v99
	s_delay_alu instid0(VALU_DEP_4) | instskip(NEXT) | instid1(VALU_DEP_1)
	v_fma_f32 v99, 0x3f317218, v94, -v100
	v_dual_sub_f32 v96, v98, v96 :: v_dual_fmac_f32 v99, 0xb102e308, v94
	s_delay_alu instid0(VALU_DEP_1) | instskip(NEXT) | instid1(VALU_DEP_1)
	v_dual_add_f32 v94, v95, v96 :: v_dual_add_f32 v95, v100, v99
	v_add_f32_e32 v96, v97, v94
	s_delay_alu instid0(VALU_DEP_2) | instskip(NEXT) | instid1(VALU_DEP_2)
	v_sub_f32_e32 v100, v95, v100
	v_dual_add_f32 v98, v95, v96 :: v_dual_sub_f32 v97, v96, v97
	s_delay_alu instid0(VALU_DEP_2) | instskip(NEXT) | instid1(VALU_DEP_2)
	v_sub_f32_e32 v99, v99, v100
	v_sub_f32_e32 v101, v98, v95
	s_delay_alu instid0(VALU_DEP_3) | instskip(NEXT) | instid1(VALU_DEP_2)
	v_sub_f32_e32 v94, v94, v97
	v_sub_f32_e32 v102, v98, v101
	s_delay_alu instid0(VALU_DEP_2) | instskip(NEXT) | instid1(VALU_DEP_2)
	v_dual_sub_f32 v96, v96, v101 :: v_dual_add_f32 v97, v99, v94
	v_sub_f32_e32 v95, v95, v102
	s_delay_alu instid0(VALU_DEP_1) | instskip(NEXT) | instid1(VALU_DEP_3)
	v_add_f32_e32 v95, v96, v95
	v_sub_f32_e32 v96, v97, v99
	s_delay_alu instid0(VALU_DEP_2) | instskip(NEXT) | instid1(VALU_DEP_2)
	v_add_f32_e32 v95, v97, v95
	v_sub_f32_e32 v97, v97, v96
	v_sub_f32_e32 v94, v94, v96
	s_delay_alu instid0(VALU_DEP_2) | instskip(NEXT) | instid1(VALU_DEP_1)
	v_dual_add_f32 v100, v98, v95 :: v_dual_sub_f32 v97, v99, v97
	v_sub_f32_e32 v96, v100, v98
	s_delay_alu instid0(VALU_DEP_1) | instskip(NEXT) | instid1(VALU_DEP_1)
	v_dual_add_f32 v94, v94, v97 :: v_dual_sub_f32 v95, v95, v96
	v_add_f32_e32 v94, v94, v95
	s_delay_alu instid0(VALU_DEP_1) | instskip(NEXT) | instid1(VALU_DEP_1)
	v_add_f32_e32 v94, v100, v94
	v_cndmask_b32_e32 v94, v94, v17, vcc_lo
.LBB61_76:                              ;   in Loop: Header=BB61_12 Depth=1
	s_or_b32 exec_lo, exec_lo, s30
	v_and_b32_e32 v12, 0xffff0000, v12
	s_delay_alu instid0(VALU_DEP_1) | instskip(NEXT) | instid1(VALU_DEP_1)
	v_add_f32_e32 v95, s69, v12
	v_cmp_ge_f32_e32 vcc_lo, 0x41a00000, v95
	s_and_b32 s29, s80, vcc_lo
	s_delay_alu instid0(SALU_CYCLE_1)
	s_and_saveexec_b32 s30, s29
	s_cbranch_execz .LBB61_78
; %bb.77:                               ;   in Loop: Header=BB61_12 Depth=1
	v_mul_f32_e32 v12, 0x3fb8aa3b, v95
	v_cmp_ngt_f32_e32 vcc_lo, 0xc2ce8ed0, v95
	s_delay_alu instid0(VALU_DEP_2) | instskip(SKIP_1) | instid1(VALU_DEP_2)
	v_rndne_f32_e32 v17, v12
	v_fma_f32 v96, 0x3fb8aa3b, v95, -v12
	v_sub_f32_e32 v12, v12, v17
	s_delay_alu instid0(VALU_DEP_2) | instskip(SKIP_1) | instid1(VALU_DEP_2)
	v_fmac_f32_e32 v96, 0x32a5705f, v95
	v_cvt_i32_f32_e32 v17, v17
	v_add_f32_e32 v12, v12, v96
	s_delay_alu instid0(VALU_DEP_1) | instskip(SKIP_2) | instid1(VALU_DEP_1)
	v_exp_f32_e32 v12, v12
	s_waitcnt_depctr 0xfff
	v_ldexp_f32 v12, v12, v17
	v_cndmask_b32_e32 v12, 0, v12, vcc_lo
	v_cmp_nlt_f32_e32 vcc_lo, 0x42b17218, v95
	s_delay_alu instid0(VALU_DEP_2) | instskip(NEXT) | instid1(VALU_DEP_1)
	v_cndmask_b32_e32 v12, 0x7f800000, v12, vcc_lo
	v_add_f32_e32 v17, 1.0, v12
	s_delay_alu instid0(VALU_DEP_1) | instskip(NEXT) | instid1(VALU_DEP_1)
	v_cvt_f64_f32_e32 v[95:96], v17
	v_frexp_exp_i32_f64_e32 v95, v[95:96]
	v_frexp_mant_f32_e32 v96, v17
	s_delay_alu instid0(VALU_DEP_1) | instskip(SKIP_1) | instid1(VALU_DEP_1)
	v_cmp_gt_f32_e32 vcc_lo, 0x3f2aaaab, v96
	v_add_f32_e32 v96, -1.0, v17
	v_sub_f32_e32 v98, v96, v17
	v_sub_f32_e32 v96, v12, v96
	s_delay_alu instid0(VALU_DEP_2) | instskip(NEXT) | instid1(VALU_DEP_1)
	v_add_f32_e32 v98, 1.0, v98
	v_add_f32_e32 v96, v96, v98
	v_subrev_co_ci_u32_e32 v95, vcc_lo, 0, v95, vcc_lo
	s_delay_alu instid0(VALU_DEP_1) | instskip(SKIP_1) | instid1(VALU_DEP_2)
	v_sub_nc_u32_e32 v97, 0, v95
	v_cvt_f32_i32_e32 v95, v95
	v_ldexp_f32 v17, v17, v97
	v_ldexp_f32 v96, v96, v97
	s_delay_alu instid0(VALU_DEP_2) | instskip(NEXT) | instid1(VALU_DEP_1)
	v_add_f32_e32 v99, 1.0, v17
	v_dual_add_f32 v97, -1.0, v17 :: v_dual_add_f32 v98, -1.0, v99
	s_delay_alu instid0(VALU_DEP_1) | instskip(NEXT) | instid1(VALU_DEP_2)
	v_add_f32_e32 v100, 1.0, v97
	v_sub_f32_e32 v98, v17, v98
	s_delay_alu instid0(VALU_DEP_2) | instskip(NEXT) | instid1(VALU_DEP_1)
	v_sub_f32_e32 v17, v17, v100
	v_add_f32_e32 v17, v96, v17
	s_delay_alu instid0(VALU_DEP_1) | instskip(SKIP_2) | instid1(VALU_DEP_3)
	v_add_f32_e32 v101, v97, v17
	v_cmp_eq_f32_e32 vcc_lo, 0x7f800000, v12
	v_cmp_gt_f32_e64 s29, 0x33800000, v12
	v_dual_sub_f32 v97, v97, v101 :: v_dual_add_f32 v98, v96, v98
	s_delay_alu instid0(VALU_DEP_2) | instskip(NEXT) | instid1(VALU_DEP_1)
	s_or_b32 vcc_lo, s29, vcc_lo
	v_dual_add_f32 v17, v17, v97 :: v_dual_add_f32 v100, v99, v98
	s_delay_alu instid0(VALU_DEP_1) | instskip(SKIP_1) | instid1(VALU_DEP_1)
	v_rcp_f32_e32 v96, v100
	v_sub_f32_e32 v99, v99, v100
	v_add_f32_e32 v98, v98, v99
	s_waitcnt_depctr 0xfff
	v_mul_f32_e32 v102, v101, v96
	s_delay_alu instid0(VALU_DEP_1) | instskip(NEXT) | instid1(VALU_DEP_1)
	v_mul_f32_e32 v103, v100, v102
	v_fma_f32 v99, v102, v100, -v103
	s_delay_alu instid0(VALU_DEP_1) | instskip(NEXT) | instid1(VALU_DEP_1)
	v_fmac_f32_e32 v99, v102, v98
	v_add_f32_e32 v104, v103, v99
	s_delay_alu instid0(VALU_DEP_1) | instskip(SKIP_1) | instid1(VALU_DEP_2)
	v_sub_f32_e32 v105, v101, v104
	v_sub_f32_e32 v97, v104, v103
	;; [unrolled: 1-line block ×3, first 2 shown]
	s_delay_alu instid0(VALU_DEP_2) | instskip(NEXT) | instid1(VALU_DEP_2)
	v_sub_f32_e32 v97, v97, v99
	v_sub_f32_e32 v101, v101, v104
	s_delay_alu instid0(VALU_DEP_1) | instskip(NEXT) | instid1(VALU_DEP_1)
	v_add_f32_e32 v17, v17, v101
	v_add_f32_e32 v17, v97, v17
	s_delay_alu instid0(VALU_DEP_1) | instskip(NEXT) | instid1(VALU_DEP_1)
	v_add_f32_e32 v97, v105, v17
	v_mul_f32_e32 v99, v96, v97
	s_delay_alu instid0(VALU_DEP_1) | instskip(NEXT) | instid1(VALU_DEP_1)
	v_mul_f32_e32 v101, v100, v99
	v_fma_f32 v100, v99, v100, -v101
	s_delay_alu instid0(VALU_DEP_1) | instskip(SKIP_1) | instid1(VALU_DEP_2)
	v_fmac_f32_e32 v100, v99, v98
	v_sub_f32_e32 v104, v105, v97
	v_add_f32_e32 v98, v101, v100
	s_delay_alu instid0(VALU_DEP_2) | instskip(NEXT) | instid1(VALU_DEP_2)
	v_add_f32_e32 v17, v17, v104
	v_sub_f32_e32 v103, v97, v98
	s_delay_alu instid0(VALU_DEP_1) | instskip(NEXT) | instid1(VALU_DEP_1)
	v_sub_f32_e32 v97, v97, v103
	v_sub_f32_e32 v97, v97, v98
	s_delay_alu instid0(VALU_DEP_1) | instskip(SKIP_2) | instid1(VALU_DEP_1)
	v_add_f32_e32 v17, v17, v97
	v_add_f32_e32 v97, v102, v99
	v_sub_f32_e32 v101, v98, v101
	v_sub_f32_e32 v98, v101, v100
	s_delay_alu instid0(VALU_DEP_1) | instskip(NEXT) | instid1(VALU_DEP_1)
	v_dual_add_f32 v17, v98, v17 :: v_dual_sub_f32 v98, v97, v102
	v_add_f32_e32 v17, v103, v17
	s_delay_alu instid0(VALU_DEP_1) | instskip(NEXT) | instid1(VALU_DEP_1)
	v_dual_sub_f32 v98, v99, v98 :: v_dual_mul_f32 v17, v96, v17
	v_add_f32_e32 v17, v98, v17
	s_delay_alu instid0(VALU_DEP_1) | instskip(NEXT) | instid1(VALU_DEP_1)
	v_add_f32_e32 v96, v97, v17
	v_mul_f32_e32 v98, v96, v96
	s_delay_alu instid0(VALU_DEP_1) | instskip(SKIP_1) | instid1(VALU_DEP_2)
	v_fmaak_f32 v99, s84, v98, 0x3ecc95a3
	v_mul_f32_e32 v100, v96, v98
	v_fmaak_f32 v98, v98, v99, 0x3f2aaada
	v_ldexp_f32 v99, v96, 1
	s_delay_alu instid0(VALU_DEP_2) | instskip(SKIP_1) | instid1(VALU_DEP_2)
	v_mul_f32_e32 v98, v100, v98
	v_sub_f32_e32 v96, v96, v97
	v_dual_mul_f32 v100, 0x3f317218, v95 :: v_dual_add_f32 v97, v99, v98
	s_delay_alu instid0(VALU_DEP_2) | instskip(NEXT) | instid1(VALU_DEP_2)
	v_sub_f32_e32 v17, v17, v96
	v_sub_f32_e32 v96, v97, v99
	s_delay_alu instid0(VALU_DEP_3) | instskip(NEXT) | instid1(VALU_DEP_3)
	v_fma_f32 v99, 0x3f317218, v95, -v100
	v_ldexp_f32 v17, v17, 1
	s_delay_alu instid0(VALU_DEP_2) | instskip(NEXT) | instid1(VALU_DEP_1)
	v_dual_sub_f32 v96, v98, v96 :: v_dual_fmac_f32 v99, 0xb102e308, v95
	v_add_f32_e32 v17, v17, v96
	s_delay_alu instid0(VALU_DEP_1) | instskip(NEXT) | instid1(VALU_DEP_1)
	v_dual_add_f32 v95, v100, v99 :: v_dual_add_f32 v96, v97, v17
	v_sub_f32_e32 v100, v95, v100
	s_delay_alu instid0(VALU_DEP_2) | instskip(NEXT) | instid1(VALU_DEP_2)
	v_dual_add_f32 v98, v95, v96 :: v_dual_sub_f32 v97, v96, v97
	v_sub_f32_e32 v99, v99, v100
	s_delay_alu instid0(VALU_DEP_2) | instskip(NEXT) | instid1(VALU_DEP_1)
	v_sub_f32_e32 v101, v98, v95
	v_sub_f32_e32 v102, v98, v101
	;; [unrolled: 1-line block ×4, first 2 shown]
	s_delay_alu instid0(VALU_DEP_1) | instskip(NEXT) | instid1(VALU_DEP_4)
	v_add_f32_e32 v97, v99, v17
	v_sub_f32_e32 v95, v95, v102
	s_delay_alu instid0(VALU_DEP_1) | instskip(NEXT) | instid1(VALU_DEP_3)
	v_add_f32_e32 v95, v96, v95
	v_sub_f32_e32 v96, v97, v99
	s_delay_alu instid0(VALU_DEP_2) | instskip(NEXT) | instid1(VALU_DEP_2)
	v_add_f32_e32 v95, v97, v95
	v_sub_f32_e32 v97, v97, v96
	s_delay_alu instid0(VALU_DEP_2) | instskip(NEXT) | instid1(VALU_DEP_1)
	v_dual_sub_f32 v17, v17, v96 :: v_dual_add_f32 v100, v98, v95
	v_dual_sub_f32 v96, v100, v98 :: v_dual_sub_f32 v97, v99, v97
	s_delay_alu instid0(VALU_DEP_1) | instskip(NEXT) | instid1(VALU_DEP_2)
	v_sub_f32_e32 v95, v95, v96
	v_add_f32_e32 v17, v17, v97
	s_delay_alu instid0(VALU_DEP_1) | instskip(NEXT) | instid1(VALU_DEP_1)
	v_add_f32_e32 v17, v17, v95
	v_add_f32_e32 v17, v100, v17
	s_delay_alu instid0(VALU_DEP_1)
	v_cndmask_b32_e32 v95, v17, v12, vcc_lo
.LBB61_78:                              ;   in Loop: Header=BB61_12 Depth=1
	s_or_b32 exec_lo, exec_lo, s30
	v_lshlrev_b32_e32 v12, 16, v13
	s_delay_alu instid0(VALU_DEP_1) | instskip(NEXT) | instid1(VALU_DEP_1)
	v_add_f32_e32 v96, s69, v12
	v_cmp_ge_f32_e32 vcc_lo, 0x41a00000, v96
	s_and_b32 s29, s80, vcc_lo
	s_delay_alu instid0(SALU_CYCLE_1)
	s_and_saveexec_b32 s30, s29
	s_cbranch_execz .LBB61_80
; %bb.79:                               ;   in Loop: Header=BB61_12 Depth=1
	v_mul_f32_e32 v12, 0x3fb8aa3b, v96
	v_cmp_ngt_f32_e32 vcc_lo, 0xc2ce8ed0, v96
	s_delay_alu instid0(VALU_DEP_2) | instskip(SKIP_1) | instid1(VALU_DEP_1)
	v_rndne_f32_e32 v17, v12
	v_fma_f32 v97, 0x3fb8aa3b, v96, -v12
	v_dual_sub_f32 v12, v12, v17 :: v_dual_fmac_f32 v97, 0x32a5705f, v96
	v_cvt_i32_f32_e32 v17, v17
	s_delay_alu instid0(VALU_DEP_2) | instskip(NEXT) | instid1(VALU_DEP_1)
	v_add_f32_e32 v12, v12, v97
	v_exp_f32_e32 v12, v12
	s_waitcnt_depctr 0xfff
	v_ldexp_f32 v12, v12, v17
	s_delay_alu instid0(VALU_DEP_1) | instskip(SKIP_1) | instid1(VALU_DEP_2)
	v_cndmask_b32_e32 v12, 0, v12, vcc_lo
	v_cmp_nlt_f32_e32 vcc_lo, 0x42b17218, v96
	v_cndmask_b32_e32 v12, 0x7f800000, v12, vcc_lo
	s_delay_alu instid0(VALU_DEP_1) | instskip(NEXT) | instid1(VALU_DEP_1)
	v_add_f32_e32 v17, 1.0, v12
	v_cvt_f64_f32_e32 v[96:97], v17
	s_delay_alu instid0(VALU_DEP_1) | instskip(SKIP_1) | instid1(VALU_DEP_1)
	v_frexp_exp_i32_f64_e32 v96, v[96:97]
	v_frexp_mant_f32_e32 v97, v17
	v_cmp_gt_f32_e32 vcc_lo, 0x3f2aaaab, v97
	v_add_f32_e32 v97, -1.0, v17
	s_delay_alu instid0(VALU_DEP_1) | instskip(SKIP_1) | instid1(VALU_DEP_2)
	v_sub_f32_e32 v99, v97, v17
	v_sub_f32_e32 v97, v12, v97
	v_add_f32_e32 v99, 1.0, v99
	s_delay_alu instid0(VALU_DEP_1) | instskip(SKIP_3) | instid1(VALU_DEP_2)
	v_add_f32_e32 v97, v97, v99
	v_cmp_gt_f32_e64 s29, 0x33800000, v12
	v_subrev_co_ci_u32_e32 v96, vcc_lo, 0, v96, vcc_lo
	v_cmp_eq_f32_e32 vcc_lo, 0x7f800000, v12
	v_sub_nc_u32_e32 v98, 0, v96
	v_cvt_f32_i32_e32 v96, v96
	s_or_b32 vcc_lo, s29, vcc_lo
	s_delay_alu instid0(VALU_DEP_2) | instskip(SKIP_1) | instid1(VALU_DEP_2)
	v_ldexp_f32 v17, v17, v98
	v_ldexp_f32 v97, v97, v98
	v_add_f32_e32 v100, 1.0, v17
	s_delay_alu instid0(VALU_DEP_1) | instskip(NEXT) | instid1(VALU_DEP_1)
	v_dual_add_f32 v98, -1.0, v17 :: v_dual_add_f32 v99, -1.0, v100
	v_add_f32_e32 v101, 1.0, v98
	s_delay_alu instid0(VALU_DEP_2) | instskip(NEXT) | instid1(VALU_DEP_2)
	v_sub_f32_e32 v99, v17, v99
	v_sub_f32_e32 v17, v17, v101
	s_delay_alu instid0(VALU_DEP_1) | instskip(NEXT) | instid1(VALU_DEP_1)
	v_add_f32_e32 v17, v97, v17
	v_dual_add_f32 v102, v98, v17 :: v_dual_add_f32 v99, v97, v99
	s_delay_alu instid0(VALU_DEP_1) | instskip(NEXT) | instid1(VALU_DEP_1)
	v_dual_sub_f32 v98, v98, v102 :: v_dual_add_f32 v101, v100, v99
	v_rcp_f32_e32 v97, v101
	v_sub_f32_e32 v100, v100, v101
	s_delay_alu instid0(VALU_DEP_1) | instskip(SKIP_2) | instid1(VALU_DEP_1)
	v_add_f32_e32 v99, v99, v100
	s_waitcnt_depctr 0xfff
	v_mul_f32_e32 v103, v102, v97
	v_mul_f32_e32 v104, v101, v103
	s_delay_alu instid0(VALU_DEP_1) | instskip(NEXT) | instid1(VALU_DEP_1)
	v_fma_f32 v100, v103, v101, -v104
	v_fmac_f32_e32 v100, v103, v99
	s_delay_alu instid0(VALU_DEP_1) | instskip(NEXT) | instid1(VALU_DEP_1)
	v_add_f32_e32 v105, v104, v100
	v_sub_f32_e32 v106, v102, v105
	s_delay_alu instid0(VALU_DEP_1) | instskip(SKIP_2) | instid1(VALU_DEP_3)
	v_sub_f32_e32 v102, v102, v106
	v_add_f32_e32 v17, v17, v98
	v_sub_f32_e32 v98, v105, v104
	v_sub_f32_e32 v102, v102, v105
	s_delay_alu instid0(VALU_DEP_1) | instskip(NEXT) | instid1(VALU_DEP_1)
	v_dual_sub_f32 v98, v98, v100 :: v_dual_add_f32 v17, v17, v102
	v_add_f32_e32 v17, v98, v17
	s_delay_alu instid0(VALU_DEP_1) | instskip(NEXT) | instid1(VALU_DEP_1)
	v_add_f32_e32 v98, v106, v17
	v_mul_f32_e32 v100, v97, v98
	s_delay_alu instid0(VALU_DEP_1) | instskip(NEXT) | instid1(VALU_DEP_1)
	v_dual_sub_f32 v105, v106, v98 :: v_dual_mul_f32 v102, v101, v100
	v_add_f32_e32 v17, v17, v105
	s_delay_alu instid0(VALU_DEP_2) | instskip(NEXT) | instid1(VALU_DEP_1)
	v_fma_f32 v101, v100, v101, -v102
	v_fmac_f32_e32 v101, v100, v99
	s_delay_alu instid0(VALU_DEP_1) | instskip(NEXT) | instid1(VALU_DEP_1)
	v_add_f32_e32 v99, v102, v101
	v_sub_f32_e32 v104, v98, v99
	s_delay_alu instid0(VALU_DEP_1) | instskip(NEXT) | instid1(VALU_DEP_1)
	v_sub_f32_e32 v98, v98, v104
	v_sub_f32_e32 v98, v98, v99
	s_delay_alu instid0(VALU_DEP_1) | instskip(SKIP_1) | instid1(VALU_DEP_1)
	v_dual_add_f32 v17, v17, v98 :: v_dual_add_f32 v98, v103, v100
	v_sub_f32_e32 v102, v99, v102
	v_sub_f32_e32 v99, v102, v101
	s_delay_alu instid0(VALU_DEP_1) | instskip(NEXT) | instid1(VALU_DEP_4)
	v_add_f32_e32 v17, v99, v17
	v_sub_f32_e32 v99, v98, v103
	s_delay_alu instid0(VALU_DEP_2) | instskip(NEXT) | instid1(VALU_DEP_2)
	v_add_f32_e32 v17, v104, v17
	v_sub_f32_e32 v99, v100, v99
	s_delay_alu instid0(VALU_DEP_2) | instskip(NEXT) | instid1(VALU_DEP_1)
	v_mul_f32_e32 v17, v97, v17
	v_add_f32_e32 v17, v99, v17
	s_delay_alu instid0(VALU_DEP_1) | instskip(NEXT) | instid1(VALU_DEP_1)
	v_add_f32_e32 v97, v98, v17
	v_mul_f32_e32 v99, v97, v97
	s_delay_alu instid0(VALU_DEP_1) | instskip(SKIP_1) | instid1(VALU_DEP_2)
	v_fmaak_f32 v100, s84, v99, 0x3ecc95a3
	v_mul_f32_e32 v101, v97, v99
	v_fmaak_f32 v99, v99, v100, 0x3f2aaada
	v_ldexp_f32 v100, v97, 1
	v_sub_f32_e32 v97, v97, v98
	s_delay_alu instid0(VALU_DEP_3) | instskip(SKIP_1) | instid1(VALU_DEP_2)
	v_mul_f32_e32 v99, v101, v99
	v_mul_f32_e32 v101, 0x3f317218, v96
	v_dual_sub_f32 v17, v17, v97 :: v_dual_add_f32 v98, v100, v99
	s_delay_alu instid0(VALU_DEP_1) | instskip(NEXT) | instid1(VALU_DEP_2)
	v_ldexp_f32 v17, v17, 1
	v_sub_f32_e32 v97, v98, v100
	s_delay_alu instid0(VALU_DEP_4) | instskip(NEXT) | instid1(VALU_DEP_1)
	v_fma_f32 v100, 0x3f317218, v96, -v101
	v_dual_sub_f32 v97, v99, v97 :: v_dual_fmac_f32 v100, 0xb102e308, v96
	s_delay_alu instid0(VALU_DEP_1) | instskip(NEXT) | instid1(VALU_DEP_1)
	v_add_f32_e32 v17, v17, v97
	v_dual_add_f32 v96, v101, v100 :: v_dual_add_f32 v97, v98, v17
	s_delay_alu instid0(VALU_DEP_1) | instskip(NEXT) | instid1(VALU_DEP_2)
	v_sub_f32_e32 v101, v96, v101
	v_dual_add_f32 v99, v96, v97 :: v_dual_sub_f32 v98, v97, v98
	s_delay_alu instid0(VALU_DEP_2) | instskip(NEXT) | instid1(VALU_DEP_2)
	v_sub_f32_e32 v100, v100, v101
	v_dual_sub_f32 v102, v99, v96 :: v_dual_sub_f32 v17, v17, v98
	s_delay_alu instid0(VALU_DEP_1) | instskip(NEXT) | instid1(VALU_DEP_2)
	v_sub_f32_e32 v103, v99, v102
	v_dual_sub_f32 v97, v97, v102 :: v_dual_add_f32 v98, v100, v17
	s_delay_alu instid0(VALU_DEP_2) | instskip(NEXT) | instid1(VALU_DEP_1)
	v_sub_f32_e32 v96, v96, v103
	v_add_f32_e32 v96, v97, v96
	s_delay_alu instid0(VALU_DEP_3) | instskip(NEXT) | instid1(VALU_DEP_2)
	v_sub_f32_e32 v97, v98, v100
	v_add_f32_e32 v96, v98, v96
	s_delay_alu instid0(VALU_DEP_2) | instskip(SKIP_1) | instid1(VALU_DEP_2)
	v_sub_f32_e32 v98, v98, v97
	v_sub_f32_e32 v17, v17, v97
	v_dual_add_f32 v101, v99, v96 :: v_dual_sub_f32 v98, v100, v98
	s_delay_alu instid0(VALU_DEP_1) | instskip(NEXT) | instid1(VALU_DEP_1)
	v_sub_f32_e32 v97, v101, v99
	v_dual_add_f32 v17, v17, v98 :: v_dual_sub_f32 v96, v96, v97
	s_delay_alu instid0(VALU_DEP_1) | instskip(NEXT) | instid1(VALU_DEP_1)
	v_add_f32_e32 v17, v17, v96
	v_add_f32_e32 v17, v101, v17
	s_delay_alu instid0(VALU_DEP_1)
	v_cndmask_b32_e32 v96, v17, v12, vcc_lo
.LBB61_80:                              ;   in Loop: Header=BB61_12 Depth=1
	s_or_b32 exec_lo, exec_lo, s30
	v_and_b32_e32 v12, 0xffff0000, v13
	s_delay_alu instid0(VALU_DEP_1) | instskip(NEXT) | instid1(VALU_DEP_1)
	v_add_f32_e32 v97, s69, v12
	v_cmp_ge_f32_e32 vcc_lo, 0x41a00000, v97
	s_and_b32 s29, s80, vcc_lo
	s_delay_alu instid0(SALU_CYCLE_1)
	s_and_saveexec_b32 s30, s29
	s_cbranch_execz .LBB61_82
; %bb.81:                               ;   in Loop: Header=BB61_12 Depth=1
	v_mul_f32_e32 v12, 0x3fb8aa3b, v97
	v_cmp_ngt_f32_e32 vcc_lo, 0xc2ce8ed0, v97
	s_delay_alu instid0(VALU_DEP_2) | instskip(SKIP_1) | instid1(VALU_DEP_2)
	v_rndne_f32_e32 v13, v12
	v_fma_f32 v17, 0x3fb8aa3b, v97, -v12
	v_sub_f32_e32 v12, v12, v13
	s_delay_alu instid0(VALU_DEP_2) | instskip(SKIP_1) | instid1(VALU_DEP_2)
	v_fmac_f32_e32 v17, 0x32a5705f, v97
	v_cvt_i32_f32_e32 v13, v13
	v_add_f32_e32 v12, v12, v17
	s_delay_alu instid0(VALU_DEP_1) | instskip(SKIP_2) | instid1(VALU_DEP_1)
	v_exp_f32_e32 v12, v12
	s_waitcnt_depctr 0xfff
	v_ldexp_f32 v12, v12, v13
	v_cndmask_b32_e32 v12, 0, v12, vcc_lo
	v_cmp_nlt_f32_e32 vcc_lo, 0x42b17218, v97
	s_delay_alu instid0(VALU_DEP_2) | instskip(NEXT) | instid1(VALU_DEP_1)
	v_cndmask_b32_e32 v17, 0x7f800000, v12, vcc_lo
	v_add_f32_e32 v97, 1.0, v17
	s_delay_alu instid0(VALU_DEP_1) | instskip(NEXT) | instid1(VALU_DEP_1)
	v_cvt_f64_f32_e32 v[12:13], v97
	v_frexp_exp_i32_f64_e32 v12, v[12:13]
	v_frexp_mant_f32_e32 v13, v97
	s_delay_alu instid0(VALU_DEP_1) | instskip(SKIP_1) | instid1(VALU_DEP_1)
	v_cmp_gt_f32_e32 vcc_lo, 0x3f2aaaab, v13
	v_add_f32_e32 v13, -1.0, v97
	v_sub_f32_e32 v99, v13, v97
	s_delay_alu instid0(VALU_DEP_1) | instskip(SKIP_1) | instid1(VALU_DEP_1)
	v_add_f32_e32 v99, 1.0, v99
	v_subrev_co_ci_u32_e32 v12, vcc_lo, 0, v12, vcc_lo
	v_sub_nc_u32_e32 v98, 0, v12
	v_cvt_f32_i32_e32 v12, v12
	s_delay_alu instid0(VALU_DEP_2) | instskip(NEXT) | instid1(VALU_DEP_1)
	v_ldexp_f32 v97, v97, v98
	v_add_f32_e32 v100, 1.0, v97
	v_sub_f32_e32 v13, v17, v13
	v_cmp_eq_f32_e32 vcc_lo, 0x7f800000, v17
	v_cmp_gt_f32_e64 s29, 0x33800000, v17
	s_delay_alu instid0(VALU_DEP_3) | instskip(SKIP_1) | instid1(VALU_DEP_3)
	v_add_f32_e32 v13, v13, v99
	v_add_f32_e32 v99, -1.0, v100
	s_or_b32 vcc_lo, s29, vcc_lo
	s_delay_alu instid0(VALU_DEP_2) | instskip(NEXT) | instid1(VALU_DEP_2)
	v_ldexp_f32 v13, v13, v98
	v_dual_add_f32 v98, -1.0, v97 :: v_dual_sub_f32 v99, v97, v99
	s_delay_alu instid0(VALU_DEP_1) | instskip(NEXT) | instid1(VALU_DEP_2)
	v_add_f32_e32 v101, 1.0, v98
	v_add_f32_e32 v99, v13, v99
	s_delay_alu instid0(VALU_DEP_2) | instskip(NEXT) | instid1(VALU_DEP_1)
	v_sub_f32_e32 v97, v97, v101
	v_add_f32_e32 v13, v13, v97
	s_delay_alu instid0(VALU_DEP_1) | instskip(NEXT) | instid1(VALU_DEP_1)
	v_dual_add_f32 v102, v98, v13 :: v_dual_add_f32 v101, v100, v99
	v_sub_f32_e32 v98, v98, v102
	s_delay_alu instid0(VALU_DEP_2) | instskip(NEXT) | instid1(VALU_DEP_1)
	v_rcp_f32_e32 v97, v101
	v_dual_sub_f32 v100, v100, v101 :: v_dual_add_f32 v13, v13, v98
	s_delay_alu instid0(VALU_DEP_1) | instskip(SKIP_2) | instid1(VALU_DEP_1)
	v_add_f32_e32 v99, v99, v100
	s_waitcnt_depctr 0xfff
	v_mul_f32_e32 v103, v102, v97
	v_mul_f32_e32 v104, v101, v103
	s_delay_alu instid0(VALU_DEP_1) | instskip(NEXT) | instid1(VALU_DEP_1)
	v_fma_f32 v100, v103, v101, -v104
	v_fmac_f32_e32 v100, v103, v99
	s_delay_alu instid0(VALU_DEP_1) | instskip(NEXT) | instid1(VALU_DEP_1)
	v_add_f32_e32 v105, v104, v100
	v_sub_f32_e32 v106, v102, v105
	v_sub_f32_e32 v98, v105, v104
	s_delay_alu instid0(VALU_DEP_2) | instskip(NEXT) | instid1(VALU_DEP_2)
	v_sub_f32_e32 v102, v102, v106
	v_sub_f32_e32 v98, v98, v100
	s_delay_alu instid0(VALU_DEP_2) | instskip(NEXT) | instid1(VALU_DEP_1)
	v_sub_f32_e32 v102, v102, v105
	v_add_f32_e32 v13, v13, v102
	s_delay_alu instid0(VALU_DEP_1) | instskip(NEXT) | instid1(VALU_DEP_1)
	v_add_f32_e32 v13, v98, v13
	v_add_f32_e32 v98, v106, v13
	s_delay_alu instid0(VALU_DEP_1) | instskip(NEXT) | instid1(VALU_DEP_1)
	v_mul_f32_e32 v100, v97, v98
	v_dual_sub_f32 v105, v106, v98 :: v_dual_mul_f32 v102, v101, v100
	s_delay_alu instid0(VALU_DEP_1) | instskip(NEXT) | instid1(VALU_DEP_1)
	v_fma_f32 v101, v100, v101, -v102
	v_fmac_f32_e32 v101, v100, v99
	s_delay_alu instid0(VALU_DEP_1) | instskip(NEXT) | instid1(VALU_DEP_1)
	v_add_f32_e32 v99, v102, v101
	v_dual_add_f32 v13, v13, v105 :: v_dual_sub_f32 v104, v98, v99
	s_delay_alu instid0(VALU_DEP_1) | instskip(NEXT) | instid1(VALU_DEP_1)
	v_sub_f32_e32 v98, v98, v104
	v_sub_f32_e32 v98, v98, v99
	s_delay_alu instid0(VALU_DEP_1) | instskip(SKIP_1) | instid1(VALU_DEP_1)
	v_dual_add_f32 v13, v13, v98 :: v_dual_add_f32 v98, v103, v100
	v_sub_f32_e32 v102, v99, v102
	v_sub_f32_e32 v99, v102, v101
	s_delay_alu instid0(VALU_DEP_1) | instskip(NEXT) | instid1(VALU_DEP_4)
	v_add_f32_e32 v13, v99, v13
	v_sub_f32_e32 v99, v98, v103
	s_delay_alu instid0(VALU_DEP_2) | instskip(NEXT) | instid1(VALU_DEP_2)
	v_add_f32_e32 v13, v104, v13
	v_sub_f32_e32 v99, v100, v99
	s_delay_alu instid0(VALU_DEP_2) | instskip(NEXT) | instid1(VALU_DEP_1)
	v_mul_f32_e32 v13, v97, v13
	v_add_f32_e32 v13, v99, v13
	s_delay_alu instid0(VALU_DEP_1) | instskip(NEXT) | instid1(VALU_DEP_1)
	v_add_f32_e32 v97, v98, v13
	v_mul_f32_e32 v99, v97, v97
	s_delay_alu instid0(VALU_DEP_1) | instskip(SKIP_1) | instid1(VALU_DEP_2)
	v_fmaak_f32 v100, s84, v99, 0x3ecc95a3
	v_mul_f32_e32 v101, v97, v99
	v_fmaak_f32 v99, v99, v100, 0x3f2aaada
	v_ldexp_f32 v100, v97, 1
	v_sub_f32_e32 v97, v97, v98
	s_delay_alu instid0(VALU_DEP_3) | instskip(SKIP_1) | instid1(VALU_DEP_2)
	v_mul_f32_e32 v99, v101, v99
	v_mul_f32_e32 v101, 0x3f317218, v12
	v_dual_sub_f32 v13, v13, v97 :: v_dual_add_f32 v98, v100, v99
	s_delay_alu instid0(VALU_DEP_1) | instskip(NEXT) | instid1(VALU_DEP_2)
	v_ldexp_f32 v13, v13, 1
	v_sub_f32_e32 v97, v98, v100
	s_delay_alu instid0(VALU_DEP_4) | instskip(NEXT) | instid1(VALU_DEP_1)
	v_fma_f32 v100, 0x3f317218, v12, -v101
	v_dual_sub_f32 v97, v99, v97 :: v_dual_fmac_f32 v100, 0xb102e308, v12
	s_delay_alu instid0(VALU_DEP_1) | instskip(NEXT) | instid1(VALU_DEP_2)
	v_add_f32_e32 v12, v13, v97
	v_add_f32_e32 v13, v101, v100
	s_delay_alu instid0(VALU_DEP_2) | instskip(NEXT) | instid1(VALU_DEP_2)
	v_add_f32_e32 v97, v98, v12
	v_sub_f32_e32 v101, v13, v101
	s_delay_alu instid0(VALU_DEP_2) | instskip(SKIP_1) | instid1(VALU_DEP_3)
	v_add_f32_e32 v99, v13, v97
	v_sub_f32_e32 v98, v97, v98
	v_sub_f32_e32 v100, v100, v101
	s_delay_alu instid0(VALU_DEP_3) | instskip(NEXT) | instid1(VALU_DEP_3)
	v_sub_f32_e32 v102, v99, v13
	v_sub_f32_e32 v12, v12, v98
	s_delay_alu instid0(VALU_DEP_2) | instskip(NEXT) | instid1(VALU_DEP_2)
	v_sub_f32_e32 v103, v99, v102
	v_dual_sub_f32 v97, v97, v102 :: v_dual_add_f32 v98, v100, v12
	s_delay_alu instid0(VALU_DEP_2) | instskip(NEXT) | instid1(VALU_DEP_1)
	v_sub_f32_e32 v13, v13, v103
	v_add_f32_e32 v13, v97, v13
	s_delay_alu instid0(VALU_DEP_3) | instskip(NEXT) | instid1(VALU_DEP_2)
	v_sub_f32_e32 v97, v98, v100
	v_add_f32_e32 v13, v98, v13
	s_delay_alu instid0(VALU_DEP_2) | instskip(SKIP_1) | instid1(VALU_DEP_1)
	v_sub_f32_e32 v12, v12, v97
	v_sub_f32_e32 v98, v98, v97
	v_dual_add_f32 v101, v99, v13 :: v_dual_sub_f32 v98, v100, v98
	s_delay_alu instid0(VALU_DEP_1) | instskip(NEXT) | instid1(VALU_DEP_1)
	v_dual_sub_f32 v97, v101, v99 :: v_dual_add_f32 v12, v12, v98
	v_sub_f32_e32 v13, v13, v97
	s_delay_alu instid0(VALU_DEP_1) | instskip(NEXT) | instid1(VALU_DEP_1)
	v_add_f32_e32 v12, v12, v13
	v_add_f32_e32 v12, v101, v12
	s_delay_alu instid0(VALU_DEP_1)
	v_cndmask_b32_e32 v97, v12, v17, vcc_lo
.LBB61_82:                              ;   in Loop: Header=BB61_12 Depth=1
	s_or_b32 exec_lo, exec_lo, s30
	v_lshlrev_b32_e32 v12, 16, v14
	s_delay_alu instid0(VALU_DEP_1) | instskip(NEXT) | instid1(VALU_DEP_1)
	v_add_f32_e32 v98, s69, v12
	v_cmp_ge_f32_e32 vcc_lo, 0x41a00000, v98
	s_and_b32 s29, s80, vcc_lo
	s_delay_alu instid0(SALU_CYCLE_1)
	s_and_saveexec_b32 s30, s29
	s_cbranch_execz .LBB61_84
; %bb.83:                               ;   in Loop: Header=BB61_12 Depth=1
	v_mul_f32_e32 v12, 0x3fb8aa3b, v98
	v_cmp_ngt_f32_e32 vcc_lo, 0xc2ce8ed0, v98
	s_delay_alu instid0(VALU_DEP_2) | instskip(SKIP_1) | instid1(VALU_DEP_1)
	v_rndne_f32_e32 v13, v12
	v_fma_f32 v17, 0x3fb8aa3b, v98, -v12
	v_dual_sub_f32 v12, v12, v13 :: v_dual_fmac_f32 v17, 0x32a5705f, v98
	v_cvt_i32_f32_e32 v13, v13
	s_delay_alu instid0(VALU_DEP_2) | instskip(NEXT) | instid1(VALU_DEP_1)
	v_add_f32_e32 v12, v12, v17
	v_exp_f32_e32 v12, v12
	s_waitcnt_depctr 0xfff
	v_ldexp_f32 v12, v12, v13
	s_delay_alu instid0(VALU_DEP_1) | instskip(SKIP_1) | instid1(VALU_DEP_2)
	v_cndmask_b32_e32 v12, 0, v12, vcc_lo
	v_cmp_nlt_f32_e32 vcc_lo, 0x42b17218, v98
	v_cndmask_b32_e32 v17, 0x7f800000, v12, vcc_lo
	s_delay_alu instid0(VALU_DEP_1) | instskip(NEXT) | instid1(VALU_DEP_1)
	v_add_f32_e32 v98, 1.0, v17
	v_cvt_f64_f32_e32 v[12:13], v98
	s_delay_alu instid0(VALU_DEP_1) | instskip(SKIP_1) | instid1(VALU_DEP_1)
	v_frexp_exp_i32_f64_e32 v12, v[12:13]
	v_frexp_mant_f32_e32 v13, v98
	v_cmp_gt_f32_e32 vcc_lo, 0x3f2aaaab, v13
	v_add_f32_e32 v13, -1.0, v98
	s_delay_alu instid0(VALU_DEP_1) | instskip(SKIP_2) | instid1(VALU_DEP_3)
	v_sub_f32_e32 v100, v13, v98
	v_sub_f32_e32 v13, v17, v13
	v_cmp_gt_f32_e64 s29, 0x33800000, v17
	v_add_f32_e32 v100, 1.0, v100
	s_delay_alu instid0(VALU_DEP_1) | instskip(SKIP_2) | instid1(VALU_DEP_2)
	v_add_f32_e32 v13, v13, v100
	v_subrev_co_ci_u32_e32 v12, vcc_lo, 0, v12, vcc_lo
	v_cmp_eq_f32_e32 vcc_lo, 0x7f800000, v17
	v_sub_nc_u32_e32 v99, 0, v12
	v_cvt_f32_i32_e32 v12, v12
	s_or_b32 vcc_lo, s29, vcc_lo
	s_delay_alu instid0(VALU_DEP_2) | instskip(SKIP_1) | instid1(VALU_DEP_2)
	v_ldexp_f32 v98, v98, v99
	v_ldexp_f32 v13, v13, v99
	v_add_f32_e32 v99, -1.0, v98
	s_delay_alu instid0(VALU_DEP_1) | instskip(NEXT) | instid1(VALU_DEP_1)
	v_dual_add_f32 v101, 1.0, v98 :: v_dual_add_f32 v102, 1.0, v99
	v_add_f32_e32 v100, -1.0, v101
	s_delay_alu instid0(VALU_DEP_1) | instskip(NEXT) | instid1(VALU_DEP_3)
	v_sub_f32_e32 v100, v98, v100
	v_sub_f32_e32 v98, v98, v102
	s_delay_alu instid0(VALU_DEP_2) | instskip(NEXT) | instid1(VALU_DEP_2)
	v_add_f32_e32 v100, v13, v100
	v_add_f32_e32 v13, v13, v98
	s_delay_alu instid0(VALU_DEP_1) | instskip(NEXT) | instid1(VALU_DEP_1)
	v_dual_add_f32 v103, v99, v13 :: v_dual_add_f32 v102, v101, v100
	v_sub_f32_e32 v99, v99, v103
	s_delay_alu instid0(VALU_DEP_2) | instskip(SKIP_1) | instid1(VALU_DEP_1)
	v_rcp_f32_e32 v98, v102
	v_sub_f32_e32 v101, v101, v102
	v_dual_add_f32 v13, v13, v99 :: v_dual_add_f32 v100, v100, v101
	s_waitcnt_depctr 0xfff
	v_mul_f32_e32 v104, v103, v98
	s_delay_alu instid0(VALU_DEP_1) | instskip(NEXT) | instid1(VALU_DEP_1)
	v_mul_f32_e32 v105, v102, v104
	v_fma_f32 v101, v104, v102, -v105
	s_delay_alu instid0(VALU_DEP_1) | instskip(NEXT) | instid1(VALU_DEP_1)
	v_fmac_f32_e32 v101, v104, v100
	v_add_f32_e32 v106, v105, v101
	s_delay_alu instid0(VALU_DEP_1) | instskip(SKIP_1) | instid1(VALU_DEP_2)
	v_sub_f32_e32 v107, v103, v106
	v_sub_f32_e32 v99, v106, v105
	;; [unrolled: 1-line block ×3, first 2 shown]
	s_delay_alu instid0(VALU_DEP_2) | instskip(NEXT) | instid1(VALU_DEP_2)
	v_sub_f32_e32 v99, v99, v101
	v_sub_f32_e32 v103, v103, v106
	s_delay_alu instid0(VALU_DEP_1) | instskip(NEXT) | instid1(VALU_DEP_1)
	v_add_f32_e32 v13, v13, v103
	v_add_f32_e32 v13, v99, v13
	s_delay_alu instid0(VALU_DEP_1) | instskip(NEXT) | instid1(VALU_DEP_1)
	v_add_f32_e32 v99, v107, v13
	v_mul_f32_e32 v101, v98, v99
	s_delay_alu instid0(VALU_DEP_1) | instskip(NEXT) | instid1(VALU_DEP_1)
	v_dual_sub_f32 v106, v107, v99 :: v_dual_mul_f32 v103, v102, v101
	v_add_f32_e32 v13, v13, v106
	s_delay_alu instid0(VALU_DEP_2) | instskip(NEXT) | instid1(VALU_DEP_1)
	v_fma_f32 v102, v101, v102, -v103
	v_fmac_f32_e32 v102, v101, v100
	s_delay_alu instid0(VALU_DEP_1) | instskip(NEXT) | instid1(VALU_DEP_1)
	v_add_f32_e32 v100, v103, v102
	v_sub_f32_e32 v105, v99, v100
	s_delay_alu instid0(VALU_DEP_1) | instskip(NEXT) | instid1(VALU_DEP_1)
	v_sub_f32_e32 v99, v99, v105
	v_sub_f32_e32 v99, v99, v100
	s_delay_alu instid0(VALU_DEP_1) | instskip(SKIP_2) | instid1(VALU_DEP_1)
	v_add_f32_e32 v13, v13, v99
	v_add_f32_e32 v99, v104, v101
	v_sub_f32_e32 v103, v100, v103
	v_sub_f32_e32 v100, v103, v102
	s_delay_alu instid0(VALU_DEP_1) | instskip(NEXT) | instid1(VALU_DEP_1)
	v_dual_add_f32 v13, v100, v13 :: v_dual_sub_f32 v100, v99, v104
	v_add_f32_e32 v13, v105, v13
	s_delay_alu instid0(VALU_DEP_1) | instskip(NEXT) | instid1(VALU_DEP_1)
	v_dual_sub_f32 v100, v101, v100 :: v_dual_mul_f32 v13, v98, v13
	v_add_f32_e32 v13, v100, v13
	s_delay_alu instid0(VALU_DEP_1) | instskip(NEXT) | instid1(VALU_DEP_1)
	v_add_f32_e32 v98, v99, v13
	v_mul_f32_e32 v100, v98, v98
	s_delay_alu instid0(VALU_DEP_1) | instskip(SKIP_1) | instid1(VALU_DEP_2)
	v_fmaak_f32 v101, s84, v100, 0x3ecc95a3
	v_mul_f32_e32 v102, v98, v100
	v_fmaak_f32 v100, v100, v101, 0x3f2aaada
	v_ldexp_f32 v101, v98, 1
	v_sub_f32_e32 v98, v98, v99
	s_delay_alu instid0(VALU_DEP_3) | instskip(NEXT) | instid1(VALU_DEP_2)
	v_mul_f32_e32 v100, v102, v100
	v_dual_mul_f32 v102, 0x3f317218, v12 :: v_dual_sub_f32 v13, v13, v98
	s_delay_alu instid0(VALU_DEP_2) | instskip(NEXT) | instid1(VALU_DEP_2)
	v_add_f32_e32 v99, v101, v100
	v_ldexp_f32 v13, v13, 1
	s_delay_alu instid0(VALU_DEP_2) | instskip(NEXT) | instid1(VALU_DEP_4)
	v_sub_f32_e32 v98, v99, v101
	v_fma_f32 v101, 0x3f317218, v12, -v102
	s_delay_alu instid0(VALU_DEP_1) | instskip(NEXT) | instid1(VALU_DEP_1)
	v_dual_sub_f32 v98, v100, v98 :: v_dual_fmac_f32 v101, 0xb102e308, v12
	v_add_f32_e32 v12, v13, v98
	s_delay_alu instid0(VALU_DEP_1) | instskip(NEXT) | instid1(VALU_DEP_1)
	v_add_f32_e32 v98, v99, v12
	v_sub_f32_e32 v99, v98, v99
	s_delay_alu instid0(VALU_DEP_1) | instskip(NEXT) | instid1(VALU_DEP_1)
	v_dual_sub_f32 v12, v12, v99 :: v_dual_add_f32 v13, v102, v101
	v_add_f32_e32 v100, v13, v98
	s_delay_alu instid0(VALU_DEP_1) | instskip(NEXT) | instid1(VALU_DEP_1)
	v_dual_sub_f32 v102, v13, v102 :: v_dual_sub_f32 v103, v100, v13
	v_dual_sub_f32 v101, v101, v102 :: v_dual_sub_f32 v104, v100, v103
	s_delay_alu instid0(VALU_DEP_1) | instskip(NEXT) | instid1(VALU_DEP_2)
	v_dual_sub_f32 v98, v98, v103 :: v_dual_add_f32 v99, v101, v12
	v_sub_f32_e32 v13, v13, v104
	s_delay_alu instid0(VALU_DEP_1) | instskip(NEXT) | instid1(VALU_DEP_3)
	v_add_f32_e32 v13, v98, v13
	v_sub_f32_e32 v98, v99, v101
	s_delay_alu instid0(VALU_DEP_2) | instskip(NEXT) | instid1(VALU_DEP_2)
	v_add_f32_e32 v13, v99, v13
	v_sub_f32_e32 v99, v99, v98
	v_sub_f32_e32 v12, v12, v98
	s_delay_alu instid0(VALU_DEP_2) | instskip(NEXT) | instid1(VALU_DEP_1)
	v_dual_add_f32 v102, v100, v13 :: v_dual_sub_f32 v99, v101, v99
	v_sub_f32_e32 v98, v102, v100
	s_delay_alu instid0(VALU_DEP_1) | instskip(NEXT) | instid1(VALU_DEP_1)
	v_dual_add_f32 v12, v12, v99 :: v_dual_sub_f32 v13, v13, v98
	v_add_f32_e32 v12, v12, v13
	s_delay_alu instid0(VALU_DEP_1) | instskip(NEXT) | instid1(VALU_DEP_1)
	v_add_f32_e32 v12, v102, v12
	v_cndmask_b32_e32 v98, v12, v17, vcc_lo
.LBB61_84:                              ;   in Loop: Header=BB61_12 Depth=1
	s_or_b32 exec_lo, exec_lo, s30
	v_and_b32_e32 v12, 0xffff0000, v14
	s_delay_alu instid0(VALU_DEP_1) | instskip(NEXT) | instid1(VALU_DEP_1)
	v_add_f32_e32 v99, s69, v12
	v_cmp_ge_f32_e32 vcc_lo, 0x41a00000, v99
	s_and_b32 s29, s80, vcc_lo
	s_delay_alu instid0(SALU_CYCLE_1)
	s_and_saveexec_b32 s30, s29
	s_cbranch_execz .LBB61_86
; %bb.85:                               ;   in Loop: Header=BB61_12 Depth=1
	v_mul_f32_e32 v12, 0x3fb8aa3b, v99
	v_cmp_ngt_f32_e32 vcc_lo, 0xc2ce8ed0, v99
	s_delay_alu instid0(VALU_DEP_2) | instskip(SKIP_1) | instid1(VALU_DEP_2)
	v_rndne_f32_e32 v13, v12
	v_fma_f32 v14, 0x3fb8aa3b, v99, -v12
	v_sub_f32_e32 v12, v12, v13
	s_delay_alu instid0(VALU_DEP_2) | instskip(SKIP_1) | instid1(VALU_DEP_2)
	v_fmac_f32_e32 v14, 0x32a5705f, v99
	v_cvt_i32_f32_e32 v13, v13
	v_add_f32_e32 v12, v12, v14
	s_delay_alu instid0(VALU_DEP_1) | instskip(SKIP_2) | instid1(VALU_DEP_1)
	v_exp_f32_e32 v12, v12
	s_waitcnt_depctr 0xfff
	v_ldexp_f32 v12, v12, v13
	v_cndmask_b32_e32 v12, 0, v12, vcc_lo
	v_cmp_nlt_f32_e32 vcc_lo, 0x42b17218, v99
	s_delay_alu instid0(VALU_DEP_2) | instskip(NEXT) | instid1(VALU_DEP_1)
	v_cndmask_b32_e32 v14, 0x7f800000, v12, vcc_lo
	v_add_f32_e32 v17, 1.0, v14
	s_delay_alu instid0(VALU_DEP_1) | instskip(NEXT) | instid1(VALU_DEP_1)
	v_cvt_f64_f32_e32 v[12:13], v17
	v_frexp_exp_i32_f64_e32 v12, v[12:13]
	v_frexp_mant_f32_e32 v13, v17
	s_delay_alu instid0(VALU_DEP_1) | instskip(SKIP_1) | instid1(VALU_DEP_1)
	v_cmp_gt_f32_e32 vcc_lo, 0x3f2aaaab, v13
	v_add_f32_e32 v13, -1.0, v17
	v_sub_f32_e32 v100, v13, v17
	v_sub_f32_e32 v13, v14, v13
	v_subrev_co_ci_u32_e32 v12, vcc_lo, 0, v12, vcc_lo
	s_delay_alu instid0(VALU_DEP_1) | instskip(SKIP_1) | instid1(VALU_DEP_2)
	v_sub_nc_u32_e32 v99, 0, v12
	v_cvt_f32_i32_e32 v12, v12
	v_ldexp_f32 v17, v17, v99
	s_delay_alu instid0(VALU_DEP_1) | instskip(NEXT) | instid1(VALU_DEP_1)
	v_dual_add_f32 v100, 1.0, v100 :: v_dual_add_f32 v101, 1.0, v17
	v_dual_add_f32 v13, v13, v100 :: v_dual_add_f32 v100, -1.0, v101
	s_delay_alu instid0(VALU_DEP_1) | instskip(SKIP_4) | instid1(VALU_DEP_4)
	v_ldexp_f32 v13, v13, v99
	v_add_f32_e32 v99, -1.0, v17
	v_cmp_eq_f32_e32 vcc_lo, 0x7f800000, v14
	v_cmp_gt_f32_e64 s29, 0x33800000, v14
	v_sub_f32_e32 v100, v17, v100
	v_add_f32_e32 v102, 1.0, v99
	s_delay_alu instid0(VALU_DEP_3) | instskip(NEXT) | instid1(VALU_DEP_2)
	s_or_b32 vcc_lo, s29, vcc_lo
	v_add_f32_e32 v100, v13, v100
	s_delay_alu instid0(VALU_DEP_2) | instskip(NEXT) | instid1(VALU_DEP_1)
	v_sub_f32_e32 v17, v17, v102
	v_add_f32_e32 v13, v13, v17
	s_delay_alu instid0(VALU_DEP_1) | instskip(NEXT) | instid1(VALU_DEP_1)
	v_dual_add_f32 v103, v99, v13 :: v_dual_add_f32 v102, v101, v100
	v_sub_f32_e32 v99, v99, v103
	s_delay_alu instid0(VALU_DEP_2) | instskip(SKIP_1) | instid1(VALU_DEP_1)
	v_rcp_f32_e32 v17, v102
	v_sub_f32_e32 v101, v101, v102
	v_dual_add_f32 v13, v13, v99 :: v_dual_add_f32 v100, v100, v101
	s_waitcnt_depctr 0xfff
	v_mul_f32_e32 v104, v103, v17
	s_delay_alu instid0(VALU_DEP_1) | instskip(NEXT) | instid1(VALU_DEP_1)
	v_mul_f32_e32 v105, v102, v104
	v_fma_f32 v101, v104, v102, -v105
	s_delay_alu instid0(VALU_DEP_1) | instskip(NEXT) | instid1(VALU_DEP_1)
	v_fmac_f32_e32 v101, v104, v100
	v_add_f32_e32 v106, v105, v101
	s_delay_alu instid0(VALU_DEP_1) | instskip(NEXT) | instid1(VALU_DEP_1)
	v_sub_f32_e32 v107, v103, v106
	v_sub_f32_e32 v103, v103, v107
	;; [unrolled: 1-line block ×3, first 2 shown]
	s_delay_alu instid0(VALU_DEP_2) | instskip(NEXT) | instid1(VALU_DEP_2)
	v_sub_f32_e32 v103, v103, v106
	v_sub_f32_e32 v99, v99, v101
	s_delay_alu instid0(VALU_DEP_2) | instskip(NEXT) | instid1(VALU_DEP_1)
	v_add_f32_e32 v13, v13, v103
	v_add_f32_e32 v13, v99, v13
	s_delay_alu instid0(VALU_DEP_1) | instskip(NEXT) | instid1(VALU_DEP_1)
	v_add_f32_e32 v99, v107, v13
	v_mul_f32_e32 v101, v17, v99
	s_delay_alu instid0(VALU_DEP_1) | instskip(NEXT) | instid1(VALU_DEP_1)
	v_dual_sub_f32 v106, v107, v99 :: v_dual_mul_f32 v103, v102, v101
	v_add_f32_e32 v13, v13, v106
	s_delay_alu instid0(VALU_DEP_2) | instskip(NEXT) | instid1(VALU_DEP_1)
	v_fma_f32 v102, v101, v102, -v103
	v_fmac_f32_e32 v102, v101, v100
	s_delay_alu instid0(VALU_DEP_1) | instskip(NEXT) | instid1(VALU_DEP_1)
	v_add_f32_e32 v100, v103, v102
	v_sub_f32_e32 v105, v99, v100
	v_sub_f32_e32 v103, v100, v103
	s_delay_alu instid0(VALU_DEP_2) | instskip(NEXT) | instid1(VALU_DEP_1)
	v_sub_f32_e32 v99, v99, v105
	v_sub_f32_e32 v99, v99, v100
	s_delay_alu instid0(VALU_DEP_1) | instskip(SKIP_1) | instid1(VALU_DEP_1)
	v_dual_sub_f32 v100, v103, v102 :: v_dual_add_f32 v13, v13, v99
	v_add_f32_e32 v99, v104, v101
	v_dual_add_f32 v13, v100, v13 :: v_dual_sub_f32 v100, v99, v104
	s_delay_alu instid0(VALU_DEP_1) | instskip(NEXT) | instid1(VALU_DEP_2)
	v_add_f32_e32 v13, v105, v13
	v_sub_f32_e32 v100, v101, v100
	s_delay_alu instid0(VALU_DEP_2) | instskip(NEXT) | instid1(VALU_DEP_1)
	v_mul_f32_e32 v13, v17, v13
	v_add_f32_e32 v13, v100, v13
	s_delay_alu instid0(VALU_DEP_1) | instskip(NEXT) | instid1(VALU_DEP_1)
	v_add_f32_e32 v17, v99, v13
	v_mul_f32_e32 v100, v17, v17
	s_delay_alu instid0(VALU_DEP_1) | instskip(SKIP_1) | instid1(VALU_DEP_2)
	v_fmaak_f32 v101, s84, v100, 0x3ecc95a3
	v_mul_f32_e32 v102, v17, v100
	v_fmaak_f32 v100, v100, v101, 0x3f2aaada
	v_ldexp_f32 v101, v17, 1
	s_delay_alu instid0(VALU_DEP_2) | instskip(NEXT) | instid1(VALU_DEP_1)
	v_dual_sub_f32 v17, v17, v99 :: v_dual_mul_f32 v100, v102, v100
	v_dual_mul_f32 v102, 0x3f317218, v12 :: v_dual_sub_f32 v13, v13, v17
	s_delay_alu instid0(VALU_DEP_2) | instskip(NEXT) | instid1(VALU_DEP_2)
	v_add_f32_e32 v99, v101, v100
	v_ldexp_f32 v13, v13, 1
	s_delay_alu instid0(VALU_DEP_2) | instskip(NEXT) | instid1(VALU_DEP_4)
	v_sub_f32_e32 v17, v99, v101
	v_fma_f32 v101, 0x3f317218, v12, -v102
	s_delay_alu instid0(VALU_DEP_2) | instskip(NEXT) | instid1(VALU_DEP_1)
	v_sub_f32_e32 v17, v100, v17
	v_dual_fmac_f32 v101, 0xb102e308, v12 :: v_dual_add_f32 v12, v13, v17
	s_delay_alu instid0(VALU_DEP_1) | instskip(NEXT) | instid1(VALU_DEP_1)
	v_add_f32_e32 v13, v102, v101
	v_dual_add_f32 v17, v99, v12 :: v_dual_sub_f32 v102, v13, v102
	s_delay_alu instid0(VALU_DEP_1) | instskip(SKIP_1) | instid1(VALU_DEP_3)
	v_add_f32_e32 v100, v13, v17
	v_sub_f32_e32 v99, v17, v99
	v_sub_f32_e32 v101, v101, v102
	s_delay_alu instid0(VALU_DEP_3) | instskip(NEXT) | instid1(VALU_DEP_3)
	v_sub_f32_e32 v103, v100, v13
	v_sub_f32_e32 v12, v12, v99
	s_delay_alu instid0(VALU_DEP_2) | instskip(SKIP_1) | instid1(VALU_DEP_3)
	v_sub_f32_e32 v104, v100, v103
	v_sub_f32_e32 v17, v17, v103
	v_add_f32_e32 v99, v101, v12
	s_delay_alu instid0(VALU_DEP_3) | instskip(NEXT) | instid1(VALU_DEP_1)
	v_sub_f32_e32 v13, v13, v104
	v_add_f32_e32 v13, v17, v13
	s_delay_alu instid0(VALU_DEP_3) | instskip(NEXT) | instid1(VALU_DEP_2)
	v_sub_f32_e32 v17, v99, v101
	v_add_f32_e32 v13, v99, v13
	s_delay_alu instid0(VALU_DEP_2) | instskip(SKIP_1) | instid1(VALU_DEP_2)
	v_sub_f32_e32 v99, v99, v17
	v_sub_f32_e32 v12, v12, v17
	v_dual_add_f32 v102, v100, v13 :: v_dual_sub_f32 v99, v101, v99
	s_delay_alu instid0(VALU_DEP_1) | instskip(NEXT) | instid1(VALU_DEP_1)
	v_dual_sub_f32 v17, v102, v100 :: v_dual_add_f32 v12, v12, v99
	v_sub_f32_e32 v13, v13, v17
	s_delay_alu instid0(VALU_DEP_1) | instskip(NEXT) | instid1(VALU_DEP_1)
	v_add_f32_e32 v12, v12, v13
	v_add_f32_e32 v12, v102, v12
	s_delay_alu instid0(VALU_DEP_1)
	v_cndmask_b32_e32 v99, v12, v14, vcc_lo
.LBB61_86:                              ;   in Loop: Header=BB61_12 Depth=1
	s_or_b32 exec_lo, exec_lo, s30
	v_lshlrev_b32_e32 v12, 16, v15
	s_delay_alu instid0(VALU_DEP_1) | instskip(NEXT) | instid1(VALU_DEP_1)
	v_add_f32_e32 v100, s69, v12
	v_cmp_ge_f32_e32 vcc_lo, 0x41a00000, v100
	s_and_b32 s29, s80, vcc_lo
	s_delay_alu instid0(SALU_CYCLE_1)
	s_and_saveexec_b32 s30, s29
	s_cbranch_execz .LBB61_88
; %bb.87:                               ;   in Loop: Header=BB61_12 Depth=1
	v_mul_f32_e32 v12, 0x3fb8aa3b, v100
	v_cmp_ngt_f32_e32 vcc_lo, 0xc2ce8ed0, v100
	s_delay_alu instid0(VALU_DEP_2) | instskip(SKIP_1) | instid1(VALU_DEP_2)
	v_rndne_f32_e32 v13, v12
	v_fma_f32 v14, 0x3fb8aa3b, v100, -v12
	v_sub_f32_e32 v12, v12, v13
	s_delay_alu instid0(VALU_DEP_2) | instskip(SKIP_1) | instid1(VALU_DEP_2)
	v_fmac_f32_e32 v14, 0x32a5705f, v100
	v_cvt_i32_f32_e32 v13, v13
	v_add_f32_e32 v12, v12, v14
	s_delay_alu instid0(VALU_DEP_1) | instskip(SKIP_2) | instid1(VALU_DEP_1)
	v_exp_f32_e32 v12, v12
	s_waitcnt_depctr 0xfff
	v_ldexp_f32 v12, v12, v13
	v_cndmask_b32_e32 v12, 0, v12, vcc_lo
	v_cmp_nlt_f32_e32 vcc_lo, 0x42b17218, v100
	s_delay_alu instid0(VALU_DEP_2) | instskip(NEXT) | instid1(VALU_DEP_1)
	v_cndmask_b32_e32 v14, 0x7f800000, v12, vcc_lo
	v_add_f32_e32 v17, 1.0, v14
	s_delay_alu instid0(VALU_DEP_1) | instskip(NEXT) | instid1(VALU_DEP_1)
	v_cvt_f64_f32_e32 v[12:13], v17
	v_frexp_exp_i32_f64_e32 v12, v[12:13]
	v_frexp_mant_f32_e32 v13, v17
	s_delay_alu instid0(VALU_DEP_1) | instskip(SKIP_1) | instid1(VALU_DEP_1)
	v_cmp_gt_f32_e32 vcc_lo, 0x3f2aaaab, v13
	v_add_f32_e32 v13, -1.0, v17
	v_sub_f32_e32 v101, v13, v17
	s_delay_alu instid0(VALU_DEP_1) | instskip(SKIP_2) | instid1(VALU_DEP_2)
	v_add_f32_e32 v101, 1.0, v101
	v_sub_f32_e32 v13, v14, v13
	v_cmp_gt_f32_e64 s29, 0x33800000, v14
	v_add_f32_e32 v13, v13, v101
	v_subrev_co_ci_u32_e32 v12, vcc_lo, 0, v12, vcc_lo
	v_cmp_eq_f32_e32 vcc_lo, 0x7f800000, v14
	s_delay_alu instid0(VALU_DEP_2) | instskip(SKIP_2) | instid1(VALU_DEP_2)
	v_sub_nc_u32_e32 v100, 0, v12
	v_cvt_f32_i32_e32 v12, v12
	s_or_b32 vcc_lo, s29, vcc_lo
	v_ldexp_f32 v17, v17, v100
	v_ldexp_f32 v13, v13, v100
	s_delay_alu instid0(VALU_DEP_2) | instskip(NEXT) | instid1(VALU_DEP_1)
	v_add_f32_e32 v100, -1.0, v17
	v_dual_add_f32 v102, 1.0, v17 :: v_dual_add_f32 v103, 1.0, v100
	s_delay_alu instid0(VALU_DEP_1) | instskip(NEXT) | instid1(VALU_DEP_1)
	v_add_f32_e32 v101, -1.0, v102
	v_sub_f32_e32 v101, v17, v101
	s_delay_alu instid0(VALU_DEP_3) | instskip(NEXT) | instid1(VALU_DEP_2)
	v_sub_f32_e32 v17, v17, v103
	v_add_f32_e32 v101, v13, v101
	s_delay_alu instid0(VALU_DEP_2) | instskip(NEXT) | instid1(VALU_DEP_1)
	v_add_f32_e32 v13, v13, v17
	v_add_f32_e32 v104, v100, v13
	s_delay_alu instid0(VALU_DEP_1) | instskip(NEXT) | instid1(VALU_DEP_1)
	v_dual_sub_f32 v100, v100, v104 :: v_dual_add_f32 v103, v102, v101
	v_add_f32_e32 v13, v13, v100
	s_delay_alu instid0(VALU_DEP_2) | instskip(SKIP_1) | instid1(VALU_DEP_1)
	v_rcp_f32_e32 v17, v103
	v_sub_f32_e32 v102, v102, v103
	v_add_f32_e32 v101, v101, v102
	s_waitcnt_depctr 0xfff
	v_mul_f32_e32 v105, v104, v17
	s_delay_alu instid0(VALU_DEP_1) | instskip(NEXT) | instid1(VALU_DEP_1)
	v_mul_f32_e32 v106, v103, v105
	v_fma_f32 v102, v105, v103, -v106
	s_delay_alu instid0(VALU_DEP_1) | instskip(NEXT) | instid1(VALU_DEP_1)
	v_fmac_f32_e32 v102, v105, v101
	v_add_f32_e32 v107, v106, v102
	s_delay_alu instid0(VALU_DEP_1) | instskip(SKIP_1) | instid1(VALU_DEP_2)
	v_sub_f32_e32 v108, v104, v107
	v_sub_f32_e32 v100, v107, v106
	v_sub_f32_e32 v104, v104, v108
	s_delay_alu instid0(VALU_DEP_1) | instskip(NEXT) | instid1(VALU_DEP_1)
	v_sub_f32_e32 v104, v104, v107
	v_dual_sub_f32 v100, v100, v102 :: v_dual_add_f32 v13, v13, v104
	s_delay_alu instid0(VALU_DEP_1) | instskip(NEXT) | instid1(VALU_DEP_1)
	v_add_f32_e32 v13, v100, v13
	v_add_f32_e32 v100, v108, v13
	s_delay_alu instid0(VALU_DEP_1) | instskip(NEXT) | instid1(VALU_DEP_1)
	v_mul_f32_e32 v102, v17, v100
	v_dual_sub_f32 v107, v108, v100 :: v_dual_mul_f32 v104, v103, v102
	s_delay_alu instid0(VALU_DEP_1) | instskip(NEXT) | instid1(VALU_DEP_2)
	v_add_f32_e32 v13, v13, v107
	v_fma_f32 v103, v102, v103, -v104
	s_delay_alu instid0(VALU_DEP_1) | instskip(NEXT) | instid1(VALU_DEP_1)
	v_fmac_f32_e32 v103, v102, v101
	v_add_f32_e32 v101, v104, v103
	s_delay_alu instid0(VALU_DEP_1) | instskip(NEXT) | instid1(VALU_DEP_1)
	v_sub_f32_e32 v106, v100, v101
	v_sub_f32_e32 v100, v100, v106
	s_delay_alu instid0(VALU_DEP_1) | instskip(NEXT) | instid1(VALU_DEP_1)
	v_sub_f32_e32 v100, v100, v101
	v_add_f32_e32 v13, v13, v100
	v_add_f32_e32 v100, v105, v102
	v_sub_f32_e32 v104, v101, v104
	s_delay_alu instid0(VALU_DEP_1) | instskip(NEXT) | instid1(VALU_DEP_1)
	v_sub_f32_e32 v101, v104, v103
	v_add_f32_e32 v13, v101, v13
	s_delay_alu instid0(VALU_DEP_4) | instskip(NEXT) | instid1(VALU_DEP_2)
	v_sub_f32_e32 v101, v100, v105
	v_add_f32_e32 v13, v106, v13
	s_delay_alu instid0(VALU_DEP_2) | instskip(NEXT) | instid1(VALU_DEP_2)
	v_sub_f32_e32 v101, v102, v101
	v_mul_f32_e32 v13, v17, v13
	s_delay_alu instid0(VALU_DEP_1) | instskip(NEXT) | instid1(VALU_DEP_1)
	v_add_f32_e32 v13, v101, v13
	v_add_f32_e32 v17, v100, v13
	s_delay_alu instid0(VALU_DEP_1) | instskip(NEXT) | instid1(VALU_DEP_1)
	v_mul_f32_e32 v101, v17, v17
	v_fmaak_f32 v102, s84, v101, 0x3ecc95a3
	v_mul_f32_e32 v103, v17, v101
	s_delay_alu instid0(VALU_DEP_2) | instskip(SKIP_1) | instid1(VALU_DEP_2)
	v_fmaak_f32 v101, v101, v102, 0x3f2aaada
	v_ldexp_f32 v102, v17, 1
	v_mul_f32_e32 v101, v103, v101
	s_delay_alu instid0(VALU_DEP_1) | instskip(NEXT) | instid1(VALU_DEP_1)
	v_dual_sub_f32 v17, v17, v100 :: v_dual_add_f32 v100, v102, v101
	v_sub_f32_e32 v13, v13, v17
	s_delay_alu instid0(VALU_DEP_2) | instskip(NEXT) | instid1(VALU_DEP_2)
	v_sub_f32_e32 v17, v100, v102
	v_ldexp_f32 v13, v13, 1
	s_delay_alu instid0(VALU_DEP_2) | instskip(SKIP_1) | instid1(VALU_DEP_1)
	v_sub_f32_e32 v17, v101, v17
	v_mul_f32_e32 v103, 0x3f317218, v12
	v_fma_f32 v102, 0x3f317218, v12, -v103
	s_delay_alu instid0(VALU_DEP_1) | instskip(NEXT) | instid1(VALU_DEP_1)
	v_fmac_f32_e32 v102, 0xb102e308, v12
	v_dual_add_f32 v12, v13, v17 :: v_dual_add_f32 v13, v103, v102
	s_delay_alu instid0(VALU_DEP_1) | instskip(NEXT) | instid1(VALU_DEP_1)
	v_add_f32_e32 v17, v100, v12
	v_add_f32_e32 v101, v13, v17
	v_sub_f32_e32 v100, v17, v100
	s_delay_alu instid0(VALU_DEP_2) | instskip(NEXT) | instid1(VALU_DEP_2)
	v_sub_f32_e32 v104, v101, v13
	v_dual_sub_f32 v12, v12, v100 :: v_dual_sub_f32 v103, v13, v103
	s_delay_alu instid0(VALU_DEP_2) | instskip(NEXT) | instid1(VALU_DEP_2)
	v_sub_f32_e32 v105, v101, v104
	v_dual_sub_f32 v17, v17, v104 :: v_dual_sub_f32 v102, v102, v103
	s_delay_alu instid0(VALU_DEP_1) | instskip(NEXT) | instid1(VALU_DEP_1)
	v_dual_sub_f32 v13, v13, v105 :: v_dual_add_f32 v100, v102, v12
	v_add_f32_e32 v13, v17, v13
	s_delay_alu instid0(VALU_DEP_2) | instskip(NEXT) | instid1(VALU_DEP_2)
	v_sub_f32_e32 v17, v100, v102
	v_add_f32_e32 v13, v100, v13
	s_delay_alu instid0(VALU_DEP_2) | instskip(SKIP_1) | instid1(VALU_DEP_2)
	v_sub_f32_e32 v100, v100, v17
	v_sub_f32_e32 v12, v12, v17
	v_dual_add_f32 v103, v101, v13 :: v_dual_sub_f32 v100, v102, v100
	s_delay_alu instid0(VALU_DEP_1) | instskip(NEXT) | instid1(VALU_DEP_1)
	v_dual_sub_f32 v17, v103, v101 :: v_dual_add_f32 v12, v12, v100
	v_sub_f32_e32 v13, v13, v17
	s_delay_alu instid0(VALU_DEP_1) | instskip(NEXT) | instid1(VALU_DEP_1)
	v_add_f32_e32 v12, v12, v13
	v_add_f32_e32 v12, v103, v12
	s_delay_alu instid0(VALU_DEP_1)
	v_cndmask_b32_e32 v100, v12, v14, vcc_lo
.LBB61_88:                              ;   in Loop: Header=BB61_12 Depth=1
	s_or_b32 exec_lo, exec_lo, s30
	v_and_b32_e32 v12, 0xffff0000, v15
	s_delay_alu instid0(VALU_DEP_1) | instskip(NEXT) | instid1(VALU_DEP_1)
	v_add_f32_e32 v105, s69, v12
	v_cmp_ge_f32_e32 vcc_lo, 0x41a00000, v105
	s_and_b32 s29, s80, vcc_lo
	s_delay_alu instid0(SALU_CYCLE_1)
	s_and_saveexec_b32 s30, s29
	s_cbranch_execz .LBB61_90
; %bb.89:                               ;   in Loop: Header=BB61_12 Depth=1
	v_mul_f32_e32 v12, 0x3fb8aa3b, v105
	v_cmp_ngt_f32_e32 vcc_lo, 0xc2ce8ed0, v105
	s_delay_alu instid0(VALU_DEP_2) | instskip(SKIP_1) | instid1(VALU_DEP_2)
	v_rndne_f32_e32 v13, v12
	v_fma_f32 v14, 0x3fb8aa3b, v105, -v12
	v_sub_f32_e32 v12, v12, v13
	s_delay_alu instid0(VALU_DEP_2) | instskip(SKIP_1) | instid1(VALU_DEP_2)
	v_fmac_f32_e32 v14, 0x32a5705f, v105
	v_cvt_i32_f32_e32 v13, v13
	v_add_f32_e32 v12, v12, v14
	s_delay_alu instid0(VALU_DEP_1) | instskip(SKIP_2) | instid1(VALU_DEP_1)
	v_exp_f32_e32 v12, v12
	s_waitcnt_depctr 0xfff
	v_ldexp_f32 v12, v12, v13
	v_cndmask_b32_e32 v12, 0, v12, vcc_lo
	v_cmp_nlt_f32_e32 vcc_lo, 0x42b17218, v105
	s_delay_alu instid0(VALU_DEP_2) | instskip(NEXT) | instid1(VALU_DEP_1)
	v_cndmask_b32_e32 v14, 0x7f800000, v12, vcc_lo
	v_add_f32_e32 v15, 1.0, v14
	s_delay_alu instid0(VALU_DEP_1) | instskip(NEXT) | instid1(VALU_DEP_1)
	v_cvt_f64_f32_e32 v[12:13], v15
	v_frexp_exp_i32_f64_e32 v12, v[12:13]
	v_frexp_mant_f32_e32 v13, v15
	s_delay_alu instid0(VALU_DEP_1) | instskip(SKIP_1) | instid1(VALU_DEP_1)
	v_cmp_gt_f32_e32 vcc_lo, 0x3f2aaaab, v13
	v_add_f32_e32 v13, -1.0, v15
	v_sub_f32_e32 v101, v13, v15
	v_sub_f32_e32 v13, v14, v13
	s_delay_alu instid0(VALU_DEP_2) | instskip(NEXT) | instid1(VALU_DEP_1)
	v_add_f32_e32 v101, 1.0, v101
	v_add_f32_e32 v13, v13, v101
	v_cmp_gt_f32_e64 s29, 0x33800000, v14
	v_subrev_co_ci_u32_e32 v12, vcc_lo, 0, v12, vcc_lo
	v_cmp_eq_f32_e32 vcc_lo, 0x7f800000, v14
	s_delay_alu instid0(VALU_DEP_2) | instskip(SKIP_2) | instid1(VALU_DEP_2)
	v_sub_nc_u32_e32 v17, 0, v12
	v_cvt_f32_i32_e32 v12, v12
	s_or_b32 vcc_lo, s29, vcc_lo
	v_ldexp_f32 v15, v15, v17
	v_ldexp_f32 v13, v13, v17
	s_delay_alu instid0(VALU_DEP_2) | instskip(SKIP_1) | instid1(VALU_DEP_2)
	v_add_f32_e32 v102, 1.0, v15
	v_add_f32_e32 v17, -1.0, v15
	v_add_f32_e32 v101, -1.0, v102
	s_delay_alu instid0(VALU_DEP_2) | instskip(NEXT) | instid1(VALU_DEP_2)
	v_add_f32_e32 v103, 1.0, v17
	v_sub_f32_e32 v101, v15, v101
	s_delay_alu instid0(VALU_DEP_2) | instskip(NEXT) | instid1(VALU_DEP_2)
	v_sub_f32_e32 v15, v15, v103
	v_add_f32_e32 v101, v13, v101
	s_delay_alu instid0(VALU_DEP_2) | instskip(NEXT) | instid1(VALU_DEP_1)
	v_add_f32_e32 v13, v13, v15
	v_add_f32_e32 v104, v17, v13
	s_delay_alu instid0(VALU_DEP_3) | instskip(NEXT) | instid1(VALU_DEP_1)
	v_add_f32_e32 v103, v102, v101
	v_rcp_f32_e32 v15, v103
	v_sub_f32_e32 v102, v102, v103
	s_delay_alu instid0(VALU_DEP_1) | instskip(SKIP_2) | instid1(VALU_DEP_1)
	v_add_f32_e32 v101, v101, v102
	s_waitcnt_depctr 0xfff
	v_mul_f32_e32 v105, v104, v15
	v_dual_mul_f32 v106, v103, v105 :: v_dual_sub_f32 v17, v17, v104
	s_delay_alu instid0(VALU_DEP_1) | instskip(NEXT) | instid1(VALU_DEP_2)
	v_fma_f32 v102, v105, v103, -v106
	v_add_f32_e32 v13, v13, v17
	s_delay_alu instid0(VALU_DEP_2) | instskip(NEXT) | instid1(VALU_DEP_1)
	v_fmac_f32_e32 v102, v105, v101
	v_add_f32_e32 v107, v106, v102
	s_delay_alu instid0(VALU_DEP_1) | instskip(NEXT) | instid1(VALU_DEP_1)
	v_dual_sub_f32 v108, v104, v107 :: v_dual_sub_f32 v17, v107, v106
	v_dual_sub_f32 v104, v104, v108 :: v_dual_sub_f32 v17, v17, v102
	s_delay_alu instid0(VALU_DEP_1) | instskip(NEXT) | instid1(VALU_DEP_1)
	v_sub_f32_e32 v104, v104, v107
	v_add_f32_e32 v13, v13, v104
	s_delay_alu instid0(VALU_DEP_1) | instskip(NEXT) | instid1(VALU_DEP_1)
	v_add_f32_e32 v13, v17, v13
	v_add_f32_e32 v17, v108, v13
	s_delay_alu instid0(VALU_DEP_1) | instskip(NEXT) | instid1(VALU_DEP_1)
	v_mul_f32_e32 v102, v15, v17
	v_dual_sub_f32 v107, v108, v17 :: v_dual_mul_f32 v104, v103, v102
	s_delay_alu instid0(VALU_DEP_1) | instskip(NEXT) | instid1(VALU_DEP_2)
	v_add_f32_e32 v13, v13, v107
	v_fma_f32 v103, v102, v103, -v104
	s_delay_alu instid0(VALU_DEP_1) | instskip(NEXT) | instid1(VALU_DEP_1)
	v_fmac_f32_e32 v103, v102, v101
	v_add_f32_e32 v101, v104, v103
	s_delay_alu instid0(VALU_DEP_1) | instskip(SKIP_1) | instid1(VALU_DEP_2)
	v_sub_f32_e32 v106, v17, v101
	v_sub_f32_e32 v104, v101, v104
	;; [unrolled: 1-line block ×3, first 2 shown]
	s_delay_alu instid0(VALU_DEP_1) | instskip(NEXT) | instid1(VALU_DEP_3)
	v_sub_f32_e32 v17, v17, v101
	v_sub_f32_e32 v101, v104, v103
	s_delay_alu instid0(VALU_DEP_2) | instskip(SKIP_1) | instid1(VALU_DEP_2)
	v_add_f32_e32 v13, v13, v17
	v_add_f32_e32 v17, v105, v102
	;; [unrolled: 1-line block ×3, first 2 shown]
	s_delay_alu instid0(VALU_DEP_2) | instskip(NEXT) | instid1(VALU_DEP_2)
	v_sub_f32_e32 v101, v17, v105
	v_add_f32_e32 v13, v106, v13
	s_delay_alu instid0(VALU_DEP_2) | instskip(NEXT) | instid1(VALU_DEP_2)
	v_sub_f32_e32 v101, v102, v101
	v_mul_f32_e32 v13, v15, v13
	s_delay_alu instid0(VALU_DEP_1) | instskip(NEXT) | instid1(VALU_DEP_1)
	v_add_f32_e32 v13, v101, v13
	v_add_f32_e32 v15, v17, v13
	s_delay_alu instid0(VALU_DEP_1) | instskip(NEXT) | instid1(VALU_DEP_1)
	v_mul_f32_e32 v101, v15, v15
	v_fmaak_f32 v102, s84, v101, 0x3ecc95a3
	v_mul_f32_e32 v103, v15, v101
	s_delay_alu instid0(VALU_DEP_2) | instskip(SKIP_2) | instid1(VALU_DEP_3)
	v_fmaak_f32 v101, v101, v102, 0x3f2aaada
	v_ldexp_f32 v102, v15, 1
	v_sub_f32_e32 v15, v15, v17
	v_mul_f32_e32 v101, v103, v101
	v_mul_f32_e32 v103, 0x3f317218, v12
	s_delay_alu instid0(VALU_DEP_3) | instskip(NEXT) | instid1(VALU_DEP_3)
	v_sub_f32_e32 v13, v13, v15
	v_add_f32_e32 v17, v102, v101
	s_delay_alu instid0(VALU_DEP_2) | instskip(NEXT) | instid1(VALU_DEP_2)
	v_ldexp_f32 v13, v13, 1
	v_sub_f32_e32 v15, v17, v102
	v_fma_f32 v102, 0x3f317218, v12, -v103
	s_delay_alu instid0(VALU_DEP_1) | instskip(NEXT) | instid1(VALU_DEP_1)
	v_dual_sub_f32 v15, v101, v15 :: v_dual_fmac_f32 v102, 0xb102e308, v12
	v_dual_add_f32 v12, v13, v15 :: v_dual_add_f32 v13, v103, v102
	s_delay_alu instid0(VALU_DEP_1) | instskip(NEXT) | instid1(VALU_DEP_1)
	v_add_f32_e32 v15, v17, v12
	v_add_f32_e32 v101, v13, v15
	v_sub_f32_e32 v17, v15, v17
	s_delay_alu instid0(VALU_DEP_2) | instskip(NEXT) | instid1(VALU_DEP_2)
	v_sub_f32_e32 v104, v101, v13
	v_dual_sub_f32 v103, v13, v103 :: v_dual_sub_f32 v12, v12, v17
	s_delay_alu instid0(VALU_DEP_1) | instskip(SKIP_1) | instid1(VALU_DEP_2)
	v_dual_sub_f32 v105, v101, v104 :: v_dual_sub_f32 v102, v102, v103
	v_sub_f32_e32 v15, v15, v104
	v_sub_f32_e32 v13, v13, v105
	s_delay_alu instid0(VALU_DEP_3) | instskip(NEXT) | instid1(VALU_DEP_2)
	v_add_f32_e32 v17, v102, v12
	v_add_f32_e32 v13, v15, v13
	s_delay_alu instid0(VALU_DEP_2) | instskip(NEXT) | instid1(VALU_DEP_2)
	v_sub_f32_e32 v15, v17, v102
	v_add_f32_e32 v13, v17, v13
	s_delay_alu instid0(VALU_DEP_2) | instskip(NEXT) | instid1(VALU_DEP_2)
	v_sub_f32_e32 v17, v17, v15
	v_dual_sub_f32 v12, v12, v15 :: v_dual_add_f32 v103, v101, v13
	s_delay_alu instid0(VALU_DEP_2) | instskip(NEXT) | instid1(VALU_DEP_2)
	v_sub_f32_e32 v17, v102, v17
	v_sub_f32_e32 v15, v103, v101
	s_delay_alu instid0(VALU_DEP_1) | instskip(NEXT) | instid1(VALU_DEP_1)
	v_dual_add_f32 v12, v12, v17 :: v_dual_sub_f32 v13, v13, v15
	v_add_f32_e32 v12, v12, v13
	s_delay_alu instid0(VALU_DEP_1) | instskip(NEXT) | instid1(VALU_DEP_1)
	v_add_f32_e32 v12, v103, v12
	v_cndmask_b32_e32 v105, v12, v14, vcc_lo
.LBB61_90:                              ;   in Loop: Header=BB61_12 Depth=1
	s_or_b32 exec_lo, exec_lo, s30
	s_waitcnt lgkmcnt(0)
	v_lshlrev_b32_e32 v12, 16, v8
	s_delay_alu instid0(VALU_DEP_1) | instskip(NEXT) | instid1(VALU_DEP_1)
	v_add_f32_e32 v108, s69, v12
	v_cmp_ge_f32_e32 vcc_lo, 0x41a00000, v108
	s_and_b32 s29, s80, vcc_lo
	s_delay_alu instid0(SALU_CYCLE_1)
	s_and_saveexec_b32 s30, s29
	s_cbranch_execz .LBB61_92
; %bb.91:                               ;   in Loop: Header=BB61_12 Depth=1
	v_mul_f32_e32 v12, 0x3fb8aa3b, v108
	v_cmp_ngt_f32_e32 vcc_lo, 0xc2ce8ed0, v108
	s_delay_alu instid0(VALU_DEP_2) | instskip(SKIP_1) | instid1(VALU_DEP_2)
	v_rndne_f32_e32 v13, v12
	v_fma_f32 v14, 0x3fb8aa3b, v108, -v12
	v_sub_f32_e32 v12, v12, v13
	s_delay_alu instid0(VALU_DEP_2) | instskip(SKIP_1) | instid1(VALU_DEP_2)
	v_fmac_f32_e32 v14, 0x32a5705f, v108
	v_cvt_i32_f32_e32 v13, v13
	v_add_f32_e32 v12, v12, v14
	s_delay_alu instid0(VALU_DEP_1) | instskip(SKIP_2) | instid1(VALU_DEP_1)
	v_exp_f32_e32 v12, v12
	s_waitcnt_depctr 0xfff
	v_ldexp_f32 v12, v12, v13
	v_cndmask_b32_e32 v12, 0, v12, vcc_lo
	v_cmp_nlt_f32_e32 vcc_lo, 0x42b17218, v108
	s_delay_alu instid0(VALU_DEP_2) | instskip(NEXT) | instid1(VALU_DEP_1)
	v_cndmask_b32_e32 v14, 0x7f800000, v12, vcc_lo
	v_add_f32_e32 v15, 1.0, v14
	s_delay_alu instid0(VALU_DEP_1) | instskip(NEXT) | instid1(VALU_DEP_1)
	v_cvt_f64_f32_e32 v[12:13], v15
	v_frexp_exp_i32_f64_e32 v12, v[12:13]
	v_frexp_mant_f32_e32 v13, v15
	s_delay_alu instid0(VALU_DEP_1) | instskip(SKIP_1) | instid1(VALU_DEP_1)
	v_cmp_gt_f32_e32 vcc_lo, 0x3f2aaaab, v13
	v_add_f32_e32 v13, -1.0, v15
	v_sub_f32_e32 v101, v13, v15
	v_sub_f32_e32 v13, v14, v13
	s_delay_alu instid0(VALU_DEP_2) | instskip(NEXT) | instid1(VALU_DEP_1)
	v_add_f32_e32 v101, 1.0, v101
	v_add_f32_e32 v13, v13, v101
	v_cmp_gt_f32_e64 s29, 0x33800000, v14
	v_subrev_co_ci_u32_e32 v12, vcc_lo, 0, v12, vcc_lo
	v_cmp_eq_f32_e32 vcc_lo, 0x7f800000, v14
	s_delay_alu instid0(VALU_DEP_2) | instskip(SKIP_2) | instid1(VALU_DEP_2)
	v_sub_nc_u32_e32 v17, 0, v12
	v_cvt_f32_i32_e32 v12, v12
	s_or_b32 vcc_lo, s29, vcc_lo
	v_ldexp_f32 v15, v15, v17
	v_ldexp_f32 v13, v13, v17
	s_delay_alu instid0(VALU_DEP_2) | instskip(SKIP_1) | instid1(VALU_DEP_2)
	v_add_f32_e32 v102, 1.0, v15
	v_add_f32_e32 v17, -1.0, v15
	v_add_f32_e32 v101, -1.0, v102
	s_delay_alu instid0(VALU_DEP_2) | instskip(NEXT) | instid1(VALU_DEP_2)
	v_add_f32_e32 v103, 1.0, v17
	v_sub_f32_e32 v101, v15, v101
	s_delay_alu instid0(VALU_DEP_2) | instskip(NEXT) | instid1(VALU_DEP_2)
	v_sub_f32_e32 v15, v15, v103
	v_add_f32_e32 v101, v13, v101
	s_delay_alu instid0(VALU_DEP_2) | instskip(NEXT) | instid1(VALU_DEP_2)
	v_add_f32_e32 v13, v13, v15
	v_add_f32_e32 v103, v102, v101
	s_delay_alu instid0(VALU_DEP_2) | instskip(NEXT) | instid1(VALU_DEP_2)
	v_add_f32_e32 v104, v17, v13
	v_rcp_f32_e32 v15, v103
	v_sub_f32_e32 v102, v102, v103
	s_waitcnt_depctr 0xfff
	v_dual_add_f32 v101, v101, v102 :: v_dual_mul_f32 v106, v104, v15
	s_delay_alu instid0(VALU_DEP_1) | instskip(NEXT) | instid1(VALU_DEP_1)
	v_mul_f32_e32 v107, v103, v106
	v_fma_f32 v102, v106, v103, -v107
	s_delay_alu instid0(VALU_DEP_1) | instskip(NEXT) | instid1(VALU_DEP_1)
	v_dual_fmac_f32 v102, v106, v101 :: v_dual_sub_f32 v17, v17, v104
	v_add_f32_e32 v108, v107, v102
	s_delay_alu instid0(VALU_DEP_1) | instskip(NEXT) | instid1(VALU_DEP_1)
	v_sub_f32_e32 v109, v104, v108
	v_sub_f32_e32 v104, v104, v109
	s_delay_alu instid0(VALU_DEP_1) | instskip(SKIP_1) | instid1(VALU_DEP_2)
	v_dual_sub_f32 v104, v104, v108 :: v_dual_add_f32 v13, v13, v17
	v_sub_f32_e32 v17, v108, v107
	v_add_f32_e32 v13, v13, v104
	s_delay_alu instid0(VALU_DEP_2) | instskip(NEXT) | instid1(VALU_DEP_1)
	v_sub_f32_e32 v17, v17, v102
	v_add_f32_e32 v13, v17, v13
	s_delay_alu instid0(VALU_DEP_1) | instskip(NEXT) | instid1(VALU_DEP_1)
	v_add_f32_e32 v17, v109, v13
	v_mul_f32_e32 v102, v15, v17
	s_delay_alu instid0(VALU_DEP_1) | instskip(SKIP_1) | instid1(VALU_DEP_2)
	v_mul_f32_e32 v104, v103, v102
	v_sub_f32_e32 v108, v109, v17
	v_fma_f32 v103, v102, v103, -v104
	s_delay_alu instid0(VALU_DEP_2) | instskip(NEXT) | instid1(VALU_DEP_2)
	v_add_f32_e32 v13, v13, v108
	v_fmac_f32_e32 v103, v102, v101
	s_delay_alu instid0(VALU_DEP_1) | instskip(NEXT) | instid1(VALU_DEP_1)
	v_add_f32_e32 v101, v104, v103
	v_sub_f32_e32 v107, v17, v101
	v_sub_f32_e32 v104, v101, v104
	s_delay_alu instid0(VALU_DEP_2) | instskip(NEXT) | instid1(VALU_DEP_1)
	v_sub_f32_e32 v17, v17, v107
	v_sub_f32_e32 v17, v17, v101
	s_delay_alu instid0(VALU_DEP_3) | instskip(NEXT) | instid1(VALU_DEP_2)
	v_sub_f32_e32 v101, v104, v103
	v_add_f32_e32 v13, v13, v17
	v_add_f32_e32 v17, v106, v102
	s_delay_alu instid0(VALU_DEP_2) | instskip(NEXT) | instid1(VALU_DEP_2)
	v_add_f32_e32 v13, v101, v13
	v_sub_f32_e32 v101, v17, v106
	s_delay_alu instid0(VALU_DEP_2) | instskip(NEXT) | instid1(VALU_DEP_2)
	v_add_f32_e32 v13, v107, v13
	v_sub_f32_e32 v101, v102, v101
	s_delay_alu instid0(VALU_DEP_2) | instskip(NEXT) | instid1(VALU_DEP_1)
	v_mul_f32_e32 v13, v15, v13
	v_add_f32_e32 v13, v101, v13
	s_delay_alu instid0(VALU_DEP_1) | instskip(NEXT) | instid1(VALU_DEP_1)
	v_add_f32_e32 v15, v17, v13
	v_mul_f32_e32 v101, v15, v15
	s_delay_alu instid0(VALU_DEP_1) | instskip(SKIP_1) | instid1(VALU_DEP_2)
	v_fmaak_f32 v102, s84, v101, 0x3ecc95a3
	v_mul_f32_e32 v103, v15, v101
	v_fmaak_f32 v101, v101, v102, 0x3f2aaada
	v_ldexp_f32 v102, v15, 1
	v_sub_f32_e32 v15, v15, v17
	s_delay_alu instid0(VALU_DEP_3) | instskip(SKIP_1) | instid1(VALU_DEP_3)
	v_mul_f32_e32 v101, v103, v101
	v_mul_f32_e32 v103, 0x3f317218, v12
	v_sub_f32_e32 v13, v13, v15
	s_delay_alu instid0(VALU_DEP_3) | instskip(NEXT) | instid1(VALU_DEP_2)
	v_add_f32_e32 v17, v102, v101
	v_ldexp_f32 v13, v13, 1
	s_delay_alu instid0(VALU_DEP_2) | instskip(SKIP_1) | instid1(VALU_DEP_1)
	v_sub_f32_e32 v15, v17, v102
	v_fma_f32 v102, 0x3f317218, v12, -v103
	v_dual_sub_f32 v15, v101, v15 :: v_dual_fmac_f32 v102, 0xb102e308, v12
	s_delay_alu instid0(VALU_DEP_1) | instskip(NEXT) | instid1(VALU_DEP_1)
	v_dual_add_f32 v12, v13, v15 :: v_dual_add_f32 v13, v103, v102
	v_add_f32_e32 v15, v17, v12
	s_delay_alu instid0(VALU_DEP_2) | instskip(NEXT) | instid1(VALU_DEP_2)
	v_sub_f32_e32 v103, v13, v103
	v_add_f32_e32 v101, v13, v15
	s_delay_alu instid0(VALU_DEP_2) | instskip(NEXT) | instid1(VALU_DEP_2)
	v_dual_sub_f32 v17, v15, v17 :: v_dual_sub_f32 v102, v102, v103
	v_sub_f32_e32 v104, v101, v13
	s_delay_alu instid0(VALU_DEP_2) | instskip(NEXT) | instid1(VALU_DEP_2)
	v_sub_f32_e32 v12, v12, v17
	v_sub_f32_e32 v106, v101, v104
	;; [unrolled: 1-line block ×3, first 2 shown]
	s_delay_alu instid0(VALU_DEP_3) | instskip(NEXT) | instid1(VALU_DEP_3)
	v_add_f32_e32 v17, v102, v12
	v_sub_f32_e32 v13, v13, v106
	s_delay_alu instid0(VALU_DEP_1) | instskip(NEXT) | instid1(VALU_DEP_3)
	v_add_f32_e32 v13, v15, v13
	v_sub_f32_e32 v15, v17, v102
	s_delay_alu instid0(VALU_DEP_2) | instskip(NEXT) | instid1(VALU_DEP_2)
	v_add_f32_e32 v13, v17, v13
	v_sub_f32_e32 v17, v17, v15
	s_delay_alu instid0(VALU_DEP_2) | instskip(NEXT) | instid1(VALU_DEP_2)
	v_dual_sub_f32 v12, v12, v15 :: v_dual_add_f32 v103, v101, v13
	v_sub_f32_e32 v17, v102, v17
	s_delay_alu instid0(VALU_DEP_2) | instskip(NEXT) | instid1(VALU_DEP_1)
	v_sub_f32_e32 v15, v103, v101
	v_dual_add_f32 v12, v12, v17 :: v_dual_sub_f32 v13, v13, v15
	s_delay_alu instid0(VALU_DEP_1) | instskip(NEXT) | instid1(VALU_DEP_1)
	v_add_f32_e32 v12, v12, v13
	v_add_f32_e32 v12, v103, v12
	s_delay_alu instid0(VALU_DEP_1)
	v_cndmask_b32_e32 v108, v12, v14, vcc_lo
.LBB61_92:                              ;   in Loop: Header=BB61_12 Depth=1
	s_or_b32 exec_lo, exec_lo, s30
	v_and_b32_e32 v8, 0xffff0000, v8
	s_delay_alu instid0(VALU_DEP_1) | instskip(NEXT) | instid1(VALU_DEP_1)
	v_add_f32_e32 v113, s69, v8
	v_cmp_ge_f32_e32 vcc_lo, 0x41a00000, v113
	s_and_b32 s29, s80, vcc_lo
	s_delay_alu instid0(SALU_CYCLE_1)
	s_and_saveexec_b32 s30, s29
	s_cbranch_execz .LBB61_94
; %bb.93:                               ;   in Loop: Header=BB61_12 Depth=1
	v_mul_f32_e32 v8, 0x3fb8aa3b, v113
	v_cmp_ngt_f32_e32 vcc_lo, 0xc2ce8ed0, v113
	s_delay_alu instid0(VALU_DEP_2) | instskip(SKIP_1) | instid1(VALU_DEP_1)
	v_rndne_f32_e32 v12, v8
	v_fma_f32 v13, 0x3fb8aa3b, v113, -v8
	v_dual_sub_f32 v8, v8, v12 :: v_dual_fmac_f32 v13, 0x32a5705f, v113
	v_cvt_i32_f32_e32 v12, v12
	s_delay_alu instid0(VALU_DEP_2) | instskip(NEXT) | instid1(VALU_DEP_1)
	v_add_f32_e32 v8, v8, v13
	v_exp_f32_e32 v8, v8
	s_waitcnt_depctr 0xfff
	v_ldexp_f32 v8, v8, v12
	s_delay_alu instid0(VALU_DEP_1) | instskip(SKIP_1) | instid1(VALU_DEP_2)
	v_cndmask_b32_e32 v8, 0, v8, vcc_lo
	v_cmp_nlt_f32_e32 vcc_lo, 0x42b17218, v113
	v_cndmask_b32_e32 v8, 0x7f800000, v8, vcc_lo
	s_delay_alu instid0(VALU_DEP_1) | instskip(NEXT) | instid1(VALU_DEP_1)
	v_add_f32_e32 v14, 1.0, v8
	v_cvt_f64_f32_e32 v[12:13], v14
	s_delay_alu instid0(VALU_DEP_1) | instskip(SKIP_1) | instid1(VALU_DEP_1)
	v_frexp_exp_i32_f64_e32 v12, v[12:13]
	v_frexp_mant_f32_e32 v13, v14
	v_cmp_gt_f32_e32 vcc_lo, 0x3f2aaaab, v13
	v_add_f32_e32 v13, -1.0, v14
	s_delay_alu instid0(VALU_DEP_1) | instskip(NEXT) | instid1(VALU_DEP_1)
	v_sub_f32_e32 v17, v13, v14
	v_add_f32_e32 v17, 1.0, v17
	v_subrev_co_ci_u32_e32 v12, vcc_lo, 0, v12, vcc_lo
	s_delay_alu instid0(VALU_DEP_1) | instskip(SKIP_1) | instid1(VALU_DEP_2)
	v_sub_nc_u32_e32 v15, 0, v12
	v_cvt_f32_i32_e32 v12, v12
	v_ldexp_f32 v14, v14, v15
	s_delay_alu instid0(VALU_DEP_1) | instskip(SKIP_3) | instid1(VALU_DEP_3)
	v_add_f32_e32 v101, 1.0, v14
	v_sub_f32_e32 v13, v8, v13
	v_cmp_eq_f32_e32 vcc_lo, 0x7f800000, v8
	v_cmp_gt_f32_e64 s29, 0x33800000, v8
	v_add_f32_e32 v13, v13, v17
	s_delay_alu instid0(VALU_DEP_2) | instskip(NEXT) | instid1(VALU_DEP_1)
	s_or_b32 vcc_lo, s29, vcc_lo
	v_ldexp_f32 v13, v13, v15
	v_add_f32_e32 v15, -1.0, v14
	s_delay_alu instid0(VALU_DEP_1) | instskip(NEXT) | instid1(VALU_DEP_1)
	v_dual_add_f32 v102, 1.0, v15 :: v_dual_add_f32 v17, -1.0, v101
	v_sub_f32_e32 v17, v14, v17
	s_delay_alu instid0(VALU_DEP_1) | instskip(NEXT) | instid1(VALU_DEP_1)
	v_dual_sub_f32 v14, v14, v102 :: v_dual_add_f32 v17, v13, v17
	v_add_f32_e32 v13, v13, v14
	s_delay_alu instid0(VALU_DEP_2) | instskip(NEXT) | instid1(VALU_DEP_2)
	v_add_f32_e32 v102, v101, v17
	v_add_f32_e32 v103, v15, v13
	s_delay_alu instid0(VALU_DEP_2) | instskip(SKIP_1) | instid1(VALU_DEP_2)
	v_rcp_f32_e32 v14, v102
	v_sub_f32_e32 v101, v101, v102
	v_sub_f32_e32 v15, v15, v103
	s_waitcnt_depctr 0xfff
	v_dual_add_f32 v13, v13, v15 :: v_dual_mul_f32 v104, v103, v14
	s_delay_alu instid0(VALU_DEP_1) | instskip(NEXT) | instid1(VALU_DEP_1)
	v_dual_mul_f32 v106, v102, v104 :: v_dual_add_f32 v17, v17, v101
	v_fma_f32 v101, v104, v102, -v106
	s_delay_alu instid0(VALU_DEP_1) | instskip(NEXT) | instid1(VALU_DEP_1)
	v_fmac_f32_e32 v101, v104, v17
	v_add_f32_e32 v107, v106, v101
	s_delay_alu instid0(VALU_DEP_1) | instskip(SKIP_1) | instid1(VALU_DEP_2)
	v_sub_f32_e32 v109, v103, v107
	v_sub_f32_e32 v15, v107, v106
	;; [unrolled: 1-line block ×3, first 2 shown]
	s_delay_alu instid0(VALU_DEP_2) | instskip(NEXT) | instid1(VALU_DEP_2)
	v_sub_f32_e32 v15, v15, v101
	v_sub_f32_e32 v103, v103, v107
	s_delay_alu instid0(VALU_DEP_1) | instskip(NEXT) | instid1(VALU_DEP_1)
	v_add_f32_e32 v13, v13, v103
	v_add_f32_e32 v13, v15, v13
	s_delay_alu instid0(VALU_DEP_1) | instskip(NEXT) | instid1(VALU_DEP_1)
	v_add_f32_e32 v15, v109, v13
	v_mul_f32_e32 v101, v14, v15
	s_delay_alu instid0(VALU_DEP_1) | instskip(NEXT) | instid1(VALU_DEP_1)
	v_mul_f32_e32 v103, v102, v101
	v_fma_f32 v102, v101, v102, -v103
	s_delay_alu instid0(VALU_DEP_1) | instskip(SKIP_1) | instid1(VALU_DEP_2)
	v_fmac_f32_e32 v102, v101, v17
	v_sub_f32_e32 v107, v109, v15
	v_add_f32_e32 v17, v103, v102
	s_delay_alu instid0(VALU_DEP_1) | instskip(SKIP_1) | instid1(VALU_DEP_2)
	v_dual_add_f32 v13, v13, v107 :: v_dual_sub_f32 v106, v15, v17
	v_sub_f32_e32 v103, v17, v103
	v_sub_f32_e32 v15, v15, v106
	s_delay_alu instid0(VALU_DEP_1) | instskip(NEXT) | instid1(VALU_DEP_3)
	v_sub_f32_e32 v15, v15, v17
	v_sub_f32_e32 v17, v103, v102
	s_delay_alu instid0(VALU_DEP_2) | instskip(SKIP_1) | instid1(VALU_DEP_2)
	v_add_f32_e32 v13, v13, v15
	v_add_f32_e32 v15, v104, v101
	;; [unrolled: 1-line block ×3, first 2 shown]
	s_delay_alu instid0(VALU_DEP_2) | instskip(NEXT) | instid1(VALU_DEP_2)
	v_sub_f32_e32 v17, v15, v104
	v_add_f32_e32 v13, v106, v13
	s_delay_alu instid0(VALU_DEP_2) | instskip(NEXT) | instid1(VALU_DEP_2)
	v_sub_f32_e32 v17, v101, v17
	v_mul_f32_e32 v13, v14, v13
	s_delay_alu instid0(VALU_DEP_1) | instskip(NEXT) | instid1(VALU_DEP_1)
	v_add_f32_e32 v13, v17, v13
	v_add_f32_e32 v14, v15, v13
	s_delay_alu instid0(VALU_DEP_1) | instskip(NEXT) | instid1(VALU_DEP_1)
	v_mul_f32_e32 v17, v14, v14
	v_fmaak_f32 v101, s84, v17, 0x3ecc95a3
	v_mul_f32_e32 v102, v14, v17
	s_delay_alu instid0(VALU_DEP_2) | instskip(SKIP_2) | instid1(VALU_DEP_3)
	v_fmaak_f32 v17, v17, v101, 0x3f2aaada
	v_ldexp_f32 v101, v14, 1
	v_sub_f32_e32 v14, v14, v15
	v_dual_mul_f32 v17, v102, v17 :: v_dual_mul_f32 v102, 0x3f317218, v12
	s_delay_alu instid0(VALU_DEP_2) | instskip(NEXT) | instid1(VALU_DEP_2)
	v_sub_f32_e32 v13, v13, v14
	v_add_f32_e32 v15, v101, v17
	s_delay_alu instid0(VALU_DEP_2) | instskip(NEXT) | instid1(VALU_DEP_2)
	v_ldexp_f32 v13, v13, 1
	v_sub_f32_e32 v14, v15, v101
	v_fma_f32 v101, 0x3f317218, v12, -v102
	s_delay_alu instid0(VALU_DEP_1) | instskip(NEXT) | instid1(VALU_DEP_1)
	v_dual_sub_f32 v14, v17, v14 :: v_dual_fmac_f32 v101, 0xb102e308, v12
	v_dual_add_f32 v12, v13, v14 :: v_dual_add_f32 v13, v102, v101
	s_delay_alu instid0(VALU_DEP_1) | instskip(NEXT) | instid1(VALU_DEP_2)
	v_add_f32_e32 v14, v15, v12
	v_sub_f32_e32 v102, v13, v102
	s_delay_alu instid0(VALU_DEP_2) | instskip(SKIP_1) | instid1(VALU_DEP_3)
	v_add_f32_e32 v17, v13, v14
	v_sub_f32_e32 v15, v14, v15
	v_sub_f32_e32 v101, v101, v102
	s_delay_alu instid0(VALU_DEP_2) | instskip(NEXT) | instid1(VALU_DEP_1)
	v_dual_sub_f32 v103, v17, v13 :: v_dual_sub_f32 v12, v12, v15
	v_sub_f32_e32 v104, v17, v103
	s_delay_alu instid0(VALU_DEP_2) | instskip(NEXT) | instid1(VALU_DEP_2)
	v_dual_sub_f32 v14, v14, v103 :: v_dual_add_f32 v15, v101, v12
	v_sub_f32_e32 v13, v13, v104
	s_delay_alu instid0(VALU_DEP_1) | instskip(NEXT) | instid1(VALU_DEP_3)
	v_add_f32_e32 v13, v14, v13
	v_sub_f32_e32 v14, v15, v101
	s_delay_alu instid0(VALU_DEP_2) | instskip(NEXT) | instid1(VALU_DEP_2)
	v_add_f32_e32 v13, v15, v13
	v_sub_f32_e32 v15, v15, v14
	v_sub_f32_e32 v12, v12, v14
	s_delay_alu instid0(VALU_DEP_3) | instskip(NEXT) | instid1(VALU_DEP_1)
	v_add_f32_e32 v102, v17, v13
	v_dual_sub_f32 v15, v101, v15 :: v_dual_sub_f32 v14, v102, v17
	s_delay_alu instid0(VALU_DEP_1) | instskip(NEXT) | instid1(VALU_DEP_1)
	v_dual_add_f32 v12, v12, v15 :: v_dual_sub_f32 v13, v13, v14
	v_add_f32_e32 v12, v12, v13
	s_delay_alu instid0(VALU_DEP_1) | instskip(NEXT) | instid1(VALU_DEP_1)
	v_add_f32_e32 v12, v102, v12
	v_cndmask_b32_e32 v113, v12, v8, vcc_lo
.LBB61_94:                              ;   in Loop: Header=BB61_12 Depth=1
	s_or_b32 exec_lo, exec_lo, s30
	v_lshlrev_b32_e32 v8, 16, v9
	s_delay_alu instid0(VALU_DEP_1) | instskip(NEXT) | instid1(VALU_DEP_1)
	v_add_f32_e32 v116, s69, v8
	v_cmp_ge_f32_e32 vcc_lo, 0x41a00000, v116
	s_and_b32 s29, s80, vcc_lo
	s_delay_alu instid0(SALU_CYCLE_1)
	s_and_saveexec_b32 s30, s29
	s_cbranch_execz .LBB61_96
; %bb.95:                               ;   in Loop: Header=BB61_12 Depth=1
	v_mul_f32_e32 v8, 0x3fb8aa3b, v116
	v_cmp_ngt_f32_e32 vcc_lo, 0xc2ce8ed0, v116
	s_delay_alu instid0(VALU_DEP_2) | instskip(SKIP_1) | instid1(VALU_DEP_2)
	v_rndne_f32_e32 v12, v8
	v_fma_f32 v13, 0x3fb8aa3b, v116, -v8
	v_sub_f32_e32 v8, v8, v12
	s_delay_alu instid0(VALU_DEP_2) | instskip(SKIP_1) | instid1(VALU_DEP_2)
	v_fmac_f32_e32 v13, 0x32a5705f, v116
	v_cvt_i32_f32_e32 v12, v12
	v_add_f32_e32 v8, v8, v13
	s_delay_alu instid0(VALU_DEP_1) | instskip(SKIP_2) | instid1(VALU_DEP_1)
	v_exp_f32_e32 v8, v8
	s_waitcnt_depctr 0xfff
	v_ldexp_f32 v8, v8, v12
	v_cndmask_b32_e32 v8, 0, v8, vcc_lo
	v_cmp_nlt_f32_e32 vcc_lo, 0x42b17218, v116
	s_delay_alu instid0(VALU_DEP_2) | instskip(NEXT) | instid1(VALU_DEP_1)
	v_cndmask_b32_e32 v8, 0x7f800000, v8, vcc_lo
	v_add_f32_e32 v14, 1.0, v8
	s_delay_alu instid0(VALU_DEP_1) | instskip(NEXT) | instid1(VALU_DEP_1)
	v_cvt_f64_f32_e32 v[12:13], v14
	v_frexp_exp_i32_f64_e32 v12, v[12:13]
	v_frexp_mant_f32_e32 v13, v14
	s_delay_alu instid0(VALU_DEP_1) | instskip(SKIP_1) | instid1(VALU_DEP_1)
	v_cmp_gt_f32_e32 vcc_lo, 0x3f2aaaab, v13
	v_add_f32_e32 v13, -1.0, v14
	v_sub_f32_e32 v17, v13, v14
	v_sub_f32_e32 v13, v8, v13
	s_delay_alu instid0(VALU_DEP_2) | instskip(NEXT) | instid1(VALU_DEP_1)
	v_add_f32_e32 v17, 1.0, v17
	v_add_f32_e32 v13, v13, v17
	v_cmp_gt_f32_e64 s29, 0x33800000, v8
	v_subrev_co_ci_u32_e32 v12, vcc_lo, 0, v12, vcc_lo
	v_cmp_eq_f32_e32 vcc_lo, 0x7f800000, v8
	s_delay_alu instid0(VALU_DEP_2) | instskip(SKIP_2) | instid1(VALU_DEP_2)
	v_sub_nc_u32_e32 v15, 0, v12
	v_cvt_f32_i32_e32 v12, v12
	s_or_b32 vcc_lo, s29, vcc_lo
	v_ldexp_f32 v14, v14, v15
	v_ldexp_f32 v13, v13, v15
	s_delay_alu instid0(VALU_DEP_2) | instskip(SKIP_1) | instid1(VALU_DEP_1)
	v_add_f32_e32 v101, 1.0, v14
	v_add_f32_e32 v15, -1.0, v14
	v_dual_add_f32 v102, 1.0, v15 :: v_dual_add_f32 v17, -1.0, v101
	s_delay_alu instid0(VALU_DEP_1) | instskip(NEXT) | instid1(VALU_DEP_1)
	v_sub_f32_e32 v17, v14, v17
	v_dual_sub_f32 v14, v14, v102 :: v_dual_add_f32 v17, v13, v17
	s_delay_alu instid0(VALU_DEP_1) | instskip(NEXT) | instid1(VALU_DEP_2)
	v_add_f32_e32 v13, v13, v14
	v_add_f32_e32 v102, v101, v17
	s_delay_alu instid0(VALU_DEP_2) | instskip(NEXT) | instid1(VALU_DEP_2)
	v_add_f32_e32 v103, v15, v13
	v_rcp_f32_e32 v14, v102
	v_sub_f32_e32 v101, v101, v102
	s_delay_alu instid0(VALU_DEP_2) | instskip(SKIP_2) | instid1(VALU_DEP_1)
	v_sub_f32_e32 v15, v15, v103
	s_waitcnt_depctr 0xfff
	v_dual_add_f32 v13, v13, v15 :: v_dual_mul_f32 v104, v103, v14
	v_dual_mul_f32 v106, v102, v104 :: v_dual_add_f32 v17, v17, v101
	s_delay_alu instid0(VALU_DEP_1) | instskip(NEXT) | instid1(VALU_DEP_1)
	v_fma_f32 v101, v104, v102, -v106
	v_fmac_f32_e32 v101, v104, v17
	s_delay_alu instid0(VALU_DEP_1) | instskip(NEXT) | instid1(VALU_DEP_1)
	v_add_f32_e32 v107, v106, v101
	v_sub_f32_e32 v109, v103, v107
	v_sub_f32_e32 v15, v107, v106
	s_delay_alu instid0(VALU_DEP_2) | instskip(NEXT) | instid1(VALU_DEP_2)
	v_sub_f32_e32 v103, v103, v109
	v_sub_f32_e32 v15, v15, v101
	s_delay_alu instid0(VALU_DEP_2) | instskip(NEXT) | instid1(VALU_DEP_1)
	v_sub_f32_e32 v103, v103, v107
	v_add_f32_e32 v13, v13, v103
	s_delay_alu instid0(VALU_DEP_1) | instskip(NEXT) | instid1(VALU_DEP_1)
	v_add_f32_e32 v13, v15, v13
	v_add_f32_e32 v15, v109, v13
	s_delay_alu instid0(VALU_DEP_1) | instskip(NEXT) | instid1(VALU_DEP_1)
	v_mul_f32_e32 v101, v14, v15
	v_mul_f32_e32 v103, v102, v101
	s_delay_alu instid0(VALU_DEP_1) | instskip(NEXT) | instid1(VALU_DEP_1)
	v_fma_f32 v102, v101, v102, -v103
	v_fmac_f32_e32 v102, v101, v17
	v_sub_f32_e32 v107, v109, v15
	s_delay_alu instid0(VALU_DEP_2) | instskip(NEXT) | instid1(VALU_DEP_1)
	v_add_f32_e32 v17, v103, v102
	v_dual_add_f32 v13, v13, v107 :: v_dual_sub_f32 v106, v15, v17
	v_sub_f32_e32 v103, v17, v103
	s_delay_alu instid0(VALU_DEP_2) | instskip(NEXT) | instid1(VALU_DEP_1)
	v_sub_f32_e32 v15, v15, v106
	v_sub_f32_e32 v15, v15, v17
	s_delay_alu instid0(VALU_DEP_3) | instskip(NEXT) | instid1(VALU_DEP_2)
	v_sub_f32_e32 v17, v103, v102
	v_add_f32_e32 v13, v13, v15
	v_add_f32_e32 v15, v104, v101
	s_delay_alu instid0(VALU_DEP_2) | instskip(NEXT) | instid1(VALU_DEP_2)
	v_add_f32_e32 v13, v17, v13
	v_sub_f32_e32 v17, v15, v104
	s_delay_alu instid0(VALU_DEP_2) | instskip(NEXT) | instid1(VALU_DEP_2)
	v_add_f32_e32 v13, v106, v13
	v_sub_f32_e32 v17, v101, v17
	s_delay_alu instid0(VALU_DEP_2) | instskip(NEXT) | instid1(VALU_DEP_1)
	v_mul_f32_e32 v13, v14, v13
	v_add_f32_e32 v13, v17, v13
	s_delay_alu instid0(VALU_DEP_1) | instskip(NEXT) | instid1(VALU_DEP_1)
	v_add_f32_e32 v14, v15, v13
	v_mul_f32_e32 v17, v14, v14
	s_delay_alu instid0(VALU_DEP_1) | instskip(SKIP_1) | instid1(VALU_DEP_2)
	v_fmaak_f32 v101, s84, v17, 0x3ecc95a3
	v_mul_f32_e32 v102, v14, v17
	v_fmaak_f32 v17, v17, v101, 0x3f2aaada
	v_ldexp_f32 v101, v14, 1
	v_sub_f32_e32 v14, v14, v15
	s_delay_alu instid0(VALU_DEP_3) | instskip(NEXT) | instid1(VALU_DEP_2)
	v_dual_mul_f32 v17, v102, v17 :: v_dual_mul_f32 v102, 0x3f317218, v12
	v_sub_f32_e32 v13, v13, v14
	s_delay_alu instid0(VALU_DEP_2) | instskip(NEXT) | instid1(VALU_DEP_2)
	v_add_f32_e32 v15, v101, v17
	v_ldexp_f32 v13, v13, 1
	s_delay_alu instid0(VALU_DEP_2) | instskip(SKIP_1) | instid1(VALU_DEP_1)
	v_sub_f32_e32 v14, v15, v101
	v_fma_f32 v101, 0x3f317218, v12, -v102
	v_dual_sub_f32 v14, v17, v14 :: v_dual_fmac_f32 v101, 0xb102e308, v12
	s_delay_alu instid0(VALU_DEP_1) | instskip(NEXT) | instid1(VALU_DEP_1)
	v_dual_add_f32 v12, v13, v14 :: v_dual_add_f32 v13, v102, v101
	v_add_f32_e32 v14, v15, v12
	s_delay_alu instid0(VALU_DEP_2) | instskip(NEXT) | instid1(VALU_DEP_2)
	v_sub_f32_e32 v102, v13, v102
	v_add_f32_e32 v17, v13, v14
	v_sub_f32_e32 v15, v14, v15
	s_delay_alu instid0(VALU_DEP_3) | instskip(NEXT) | instid1(VALU_DEP_2)
	v_sub_f32_e32 v101, v101, v102
	v_dual_sub_f32 v103, v17, v13 :: v_dual_sub_f32 v12, v12, v15
	s_delay_alu instid0(VALU_DEP_1) | instskip(NEXT) | instid1(VALU_DEP_2)
	v_sub_f32_e32 v104, v17, v103
	v_dual_sub_f32 v14, v14, v103 :: v_dual_add_f32 v15, v101, v12
	s_delay_alu instid0(VALU_DEP_2) | instskip(NEXT) | instid1(VALU_DEP_1)
	v_sub_f32_e32 v13, v13, v104
	v_add_f32_e32 v13, v14, v13
	s_delay_alu instid0(VALU_DEP_3) | instskip(NEXT) | instid1(VALU_DEP_2)
	v_sub_f32_e32 v14, v15, v101
	v_add_f32_e32 v13, v15, v13
	s_delay_alu instid0(VALU_DEP_2) | instskip(SKIP_1) | instid1(VALU_DEP_3)
	v_sub_f32_e32 v15, v15, v14
	v_sub_f32_e32 v12, v12, v14
	v_add_f32_e32 v102, v17, v13
	s_delay_alu instid0(VALU_DEP_1) | instskip(NEXT) | instid1(VALU_DEP_1)
	v_dual_sub_f32 v15, v101, v15 :: v_dual_sub_f32 v14, v102, v17
	v_dual_add_f32 v12, v12, v15 :: v_dual_sub_f32 v13, v13, v14
	s_delay_alu instid0(VALU_DEP_1) | instskip(NEXT) | instid1(VALU_DEP_1)
	v_add_f32_e32 v12, v12, v13
	v_add_f32_e32 v12, v102, v12
	s_delay_alu instid0(VALU_DEP_1)
	v_cndmask_b32_e32 v116, v12, v8, vcc_lo
.LBB61_96:                              ;   in Loop: Header=BB61_12 Depth=1
	s_or_b32 exec_lo, exec_lo, s30
	v_and_b32_e32 v8, 0xffff0000, v9
	s_delay_alu instid0(VALU_DEP_1) | instskip(NEXT) | instid1(VALU_DEP_1)
	v_add_f32_e32 v121, s69, v8
	v_cmp_ge_f32_e32 vcc_lo, 0x41a00000, v121
	s_and_b32 s29, s80, vcc_lo
	s_delay_alu instid0(SALU_CYCLE_1)
	s_and_saveexec_b32 s30, s29
	s_cbranch_execz .LBB61_98
; %bb.97:                               ;   in Loop: Header=BB61_12 Depth=1
	v_mul_f32_e32 v8, 0x3fb8aa3b, v121
	v_cmp_ngt_f32_e32 vcc_lo, 0xc2ce8ed0, v121
	s_delay_alu instid0(VALU_DEP_2) | instskip(SKIP_1) | instid1(VALU_DEP_2)
	v_rndne_f32_e32 v9, v8
	v_fma_f32 v12, 0x3fb8aa3b, v121, -v8
	v_sub_f32_e32 v8, v8, v9
	s_delay_alu instid0(VALU_DEP_2) | instskip(SKIP_1) | instid1(VALU_DEP_2)
	v_fmac_f32_e32 v12, 0x32a5705f, v121
	v_cvt_i32_f32_e32 v9, v9
	v_add_f32_e32 v8, v8, v12
	s_delay_alu instid0(VALU_DEP_1) | instskip(SKIP_2) | instid1(VALU_DEP_1)
	v_exp_f32_e32 v8, v8
	s_waitcnt_depctr 0xfff
	v_ldexp_f32 v8, v8, v9
	v_cndmask_b32_e32 v8, 0, v8, vcc_lo
	v_cmp_nlt_f32_e32 vcc_lo, 0x42b17218, v121
	s_delay_alu instid0(VALU_DEP_2) | instskip(NEXT) | instid1(VALU_DEP_1)
	v_cndmask_b32_e32 v12, 0x7f800000, v8, vcc_lo
	v_add_f32_e32 v13, 1.0, v12
	s_delay_alu instid0(VALU_DEP_1) | instskip(NEXT) | instid1(VALU_DEP_1)
	v_cvt_f64_f32_e32 v[8:9], v13
	v_frexp_exp_i32_f64_e32 v8, v[8:9]
	v_frexp_mant_f32_e32 v9, v13
	s_delay_alu instid0(VALU_DEP_1) | instskip(SKIP_1) | instid1(VALU_DEP_1)
	v_cmp_gt_f32_e32 vcc_lo, 0x3f2aaaab, v9
	v_add_f32_e32 v9, -1.0, v13
	v_sub_f32_e32 v15, v9, v13
	s_delay_alu instid0(VALU_DEP_1) | instskip(SKIP_1) | instid1(VALU_DEP_1)
	v_add_f32_e32 v15, 1.0, v15
	v_subrev_co_ci_u32_e32 v8, vcc_lo, 0, v8, vcc_lo
	v_sub_nc_u32_e32 v14, 0, v8
	v_cvt_f32_i32_e32 v8, v8
	s_delay_alu instid0(VALU_DEP_2) | instskip(NEXT) | instid1(VALU_DEP_1)
	v_ldexp_f32 v13, v13, v14
	v_add_f32_e32 v17, 1.0, v13
	v_sub_f32_e32 v9, v12, v9
	v_cmp_eq_f32_e32 vcc_lo, 0x7f800000, v12
	v_cmp_gt_f32_e64 s29, 0x33800000, v12
	s_delay_alu instid0(VALU_DEP_3) | instskip(NEXT) | instid1(VALU_DEP_2)
	v_add_f32_e32 v9, v9, v15
	s_or_b32 vcc_lo, s29, vcc_lo
	s_delay_alu instid0(VALU_DEP_1) | instskip(SKIP_2) | instid1(VALU_DEP_1)
	v_ldexp_f32 v9, v9, v14
	v_add_f32_e32 v14, -1.0, v13
	v_add_f32_e32 v15, -1.0, v17
	v_sub_f32_e32 v15, v13, v15
	s_delay_alu instid0(VALU_DEP_3) | instskip(NEXT) | instid1(VALU_DEP_2)
	v_add_f32_e32 v101, 1.0, v14
	v_add_f32_e32 v15, v9, v15
	s_delay_alu instid0(VALU_DEP_2) | instskip(NEXT) | instid1(VALU_DEP_2)
	v_sub_f32_e32 v13, v13, v101
	v_add_f32_e32 v101, v17, v15
	s_delay_alu instid0(VALU_DEP_2) | instskip(NEXT) | instid1(VALU_DEP_2)
	v_add_f32_e32 v9, v9, v13
	v_rcp_f32_e32 v13, v101
	s_delay_alu instid0(VALU_DEP_1) | instskip(NEXT) | instid1(VALU_DEP_1)
	v_add_f32_e32 v102, v14, v9
	v_dual_sub_f32 v17, v17, v101 :: v_dual_sub_f32 v14, v14, v102
	s_delay_alu instid0(VALU_DEP_1) | instskip(SKIP_2) | instid1(VALU_DEP_1)
	v_add_f32_e32 v15, v15, v17
	s_waitcnt_depctr 0xfff
	v_mul_f32_e32 v103, v102, v13
	v_mul_f32_e32 v104, v101, v103
	s_delay_alu instid0(VALU_DEP_1) | instskip(NEXT) | instid1(VALU_DEP_1)
	v_fma_f32 v17, v103, v101, -v104
	v_fmac_f32_e32 v17, v103, v15
	s_delay_alu instid0(VALU_DEP_1) | instskip(NEXT) | instid1(VALU_DEP_1)
	v_add_f32_e32 v106, v104, v17
	v_sub_f32_e32 v107, v102, v106
	s_delay_alu instid0(VALU_DEP_1) | instskip(NEXT) | instid1(VALU_DEP_1)
	v_sub_f32_e32 v102, v102, v107
	v_sub_f32_e32 v102, v102, v106
	v_dual_add_f32 v9, v9, v14 :: v_dual_sub_f32 v14, v106, v104
	s_delay_alu instid0(VALU_DEP_1) | instskip(NEXT) | instid1(VALU_DEP_1)
	v_dual_sub_f32 v14, v14, v17 :: v_dual_add_f32 v9, v9, v102
	v_add_f32_e32 v9, v14, v9
	s_delay_alu instid0(VALU_DEP_1) | instskip(NEXT) | instid1(VALU_DEP_1)
	v_add_f32_e32 v14, v107, v9
	v_mul_f32_e32 v17, v13, v14
	s_delay_alu instid0(VALU_DEP_1) | instskip(NEXT) | instid1(VALU_DEP_1)
	v_mul_f32_e32 v102, v101, v17
	v_fma_f32 v101, v17, v101, -v102
	s_delay_alu instid0(VALU_DEP_1) | instskip(NEXT) | instid1(VALU_DEP_1)
	v_dual_fmac_f32 v101, v17, v15 :: v_dual_sub_f32 v106, v107, v14
	v_add_f32_e32 v15, v102, v101
	s_delay_alu instid0(VALU_DEP_1) | instskip(SKIP_1) | instid1(VALU_DEP_2)
	v_sub_f32_e32 v104, v14, v15
	v_sub_f32_e32 v102, v15, v102
	v_dual_add_f32 v9, v9, v106 :: v_dual_sub_f32 v14, v14, v104
	s_delay_alu instid0(VALU_DEP_1) | instskip(NEXT) | instid1(VALU_DEP_3)
	v_sub_f32_e32 v14, v14, v15
	v_sub_f32_e32 v15, v102, v101
	s_delay_alu instid0(VALU_DEP_2) | instskip(NEXT) | instid1(VALU_DEP_1)
	v_dual_add_f32 v9, v9, v14 :: v_dual_add_f32 v14, v103, v17
	v_add_f32_e32 v9, v15, v9
	s_delay_alu instid0(VALU_DEP_2) | instskip(NEXT) | instid1(VALU_DEP_2)
	v_sub_f32_e32 v15, v14, v103
	v_add_f32_e32 v9, v104, v9
	s_delay_alu instid0(VALU_DEP_2) | instskip(NEXT) | instid1(VALU_DEP_2)
	v_sub_f32_e32 v15, v17, v15
	v_mul_f32_e32 v9, v13, v9
	s_delay_alu instid0(VALU_DEP_1) | instskip(NEXT) | instid1(VALU_DEP_1)
	v_add_f32_e32 v9, v15, v9
	v_add_f32_e32 v13, v14, v9
	s_delay_alu instid0(VALU_DEP_1) | instskip(NEXT) | instid1(VALU_DEP_1)
	v_mul_f32_e32 v15, v13, v13
	v_fmaak_f32 v17, s84, v15, 0x3ecc95a3
	v_mul_f32_e32 v101, v13, v15
	s_delay_alu instid0(VALU_DEP_2) | instskip(SKIP_2) | instid1(VALU_DEP_3)
	v_fmaak_f32 v15, v15, v17, 0x3f2aaada
	v_ldexp_f32 v17, v13, 1
	v_sub_f32_e32 v13, v13, v14
	v_mul_f32_e32 v15, v101, v15
	v_mul_f32_e32 v101, 0x3f317218, v8
	s_delay_alu instid0(VALU_DEP_3) | instskip(NEXT) | instid1(VALU_DEP_3)
	v_sub_f32_e32 v9, v9, v13
	v_add_f32_e32 v14, v17, v15
	s_delay_alu instid0(VALU_DEP_2) | instskip(NEXT) | instid1(VALU_DEP_2)
	v_ldexp_f32 v9, v9, 1
	v_sub_f32_e32 v13, v14, v17
	v_fma_f32 v17, 0x3f317218, v8, -v101
	s_delay_alu instid0(VALU_DEP_2) | instskip(NEXT) | instid1(VALU_DEP_1)
	v_sub_f32_e32 v13, v15, v13
	v_dual_fmac_f32 v17, 0xb102e308, v8 :: v_dual_add_f32 v8, v9, v13
	s_delay_alu instid0(VALU_DEP_1) | instskip(NEXT) | instid1(VALU_DEP_2)
	v_add_f32_e32 v9, v101, v17
	v_add_f32_e32 v13, v14, v8
	s_delay_alu instid0(VALU_DEP_2) | instskip(NEXT) | instid1(VALU_DEP_2)
	v_sub_f32_e32 v101, v9, v101
	v_add_f32_e32 v15, v9, v13
	v_sub_f32_e32 v14, v13, v14
	s_delay_alu instid0(VALU_DEP_3) | instskip(NEXT) | instid1(VALU_DEP_3)
	v_sub_f32_e32 v17, v17, v101
	v_sub_f32_e32 v102, v15, v9
	s_delay_alu instid0(VALU_DEP_3) | instskip(NEXT) | instid1(VALU_DEP_2)
	v_sub_f32_e32 v8, v8, v14
	v_sub_f32_e32 v103, v15, v102
	;; [unrolled: 1-line block ×3, first 2 shown]
	s_delay_alu instid0(VALU_DEP_3) | instskip(NEXT) | instid1(VALU_DEP_3)
	v_add_f32_e32 v14, v17, v8
	v_sub_f32_e32 v9, v9, v103
	s_delay_alu instid0(VALU_DEP_1) | instskip(NEXT) | instid1(VALU_DEP_3)
	v_add_f32_e32 v9, v13, v9
	v_sub_f32_e32 v13, v14, v17
	s_delay_alu instid0(VALU_DEP_2) | instskip(NEXT) | instid1(VALU_DEP_2)
	v_add_f32_e32 v9, v14, v9
	v_sub_f32_e32 v14, v14, v13
	v_sub_f32_e32 v8, v8, v13
	s_delay_alu instid0(VALU_DEP_2) | instskip(NEXT) | instid1(VALU_DEP_1)
	v_dual_add_f32 v101, v15, v9 :: v_dual_sub_f32 v14, v17, v14
	v_dual_sub_f32 v13, v101, v15 :: v_dual_add_f32 v8, v8, v14
	s_delay_alu instid0(VALU_DEP_1) | instskip(NEXT) | instid1(VALU_DEP_1)
	v_sub_f32_e32 v9, v9, v13
	v_add_f32_e32 v8, v8, v9
	s_delay_alu instid0(VALU_DEP_1) | instskip(NEXT) | instid1(VALU_DEP_1)
	v_add_f32_e32 v8, v101, v8
	v_cndmask_b32_e32 v121, v8, v12, vcc_lo
.LBB61_98:                              ;   in Loop: Header=BB61_12 Depth=1
	s_or_b32 exec_lo, exec_lo, s30
	v_lshlrev_b32_e32 v8, 16, v10
	s_delay_alu instid0(VALU_DEP_1) | instskip(NEXT) | instid1(VALU_DEP_1)
	v_add_f32_e32 v122, s69, v8
	v_cmp_ge_f32_e32 vcc_lo, 0x41a00000, v122
	s_and_b32 s29, s80, vcc_lo
	s_delay_alu instid0(SALU_CYCLE_1)
	s_and_saveexec_b32 s30, s29
	s_cbranch_execz .LBB61_100
; %bb.99:                               ;   in Loop: Header=BB61_12 Depth=1
	v_mul_f32_e32 v8, 0x3fb8aa3b, v122
	v_cmp_ngt_f32_e32 vcc_lo, 0xc2ce8ed0, v122
	s_delay_alu instid0(VALU_DEP_2) | instskip(SKIP_1) | instid1(VALU_DEP_2)
	v_rndne_f32_e32 v9, v8
	v_fma_f32 v12, 0x3fb8aa3b, v122, -v8
	v_sub_f32_e32 v8, v8, v9
	s_delay_alu instid0(VALU_DEP_2) | instskip(SKIP_1) | instid1(VALU_DEP_2)
	v_fmac_f32_e32 v12, 0x32a5705f, v122
	v_cvt_i32_f32_e32 v9, v9
	v_add_f32_e32 v8, v8, v12
	s_delay_alu instid0(VALU_DEP_1) | instskip(SKIP_2) | instid1(VALU_DEP_1)
	v_exp_f32_e32 v8, v8
	s_waitcnt_depctr 0xfff
	v_ldexp_f32 v8, v8, v9
	v_cndmask_b32_e32 v8, 0, v8, vcc_lo
	v_cmp_nlt_f32_e32 vcc_lo, 0x42b17218, v122
	s_delay_alu instid0(VALU_DEP_2) | instskip(NEXT) | instid1(VALU_DEP_1)
	v_cndmask_b32_e32 v12, 0x7f800000, v8, vcc_lo
	v_add_f32_e32 v13, 1.0, v12
	s_delay_alu instid0(VALU_DEP_1) | instskip(NEXT) | instid1(VALU_DEP_1)
	v_cvt_f64_f32_e32 v[8:9], v13
	v_frexp_exp_i32_f64_e32 v8, v[8:9]
	v_frexp_mant_f32_e32 v9, v13
	s_delay_alu instid0(VALU_DEP_1) | instskip(SKIP_1) | instid1(VALU_DEP_1)
	v_cmp_gt_f32_e32 vcc_lo, 0x3f2aaaab, v9
	v_add_f32_e32 v9, -1.0, v13
	v_sub_f32_e32 v15, v9, v13
	s_delay_alu instid0(VALU_DEP_1) | instskip(SKIP_1) | instid1(VALU_DEP_1)
	v_add_f32_e32 v15, 1.0, v15
	v_subrev_co_ci_u32_e32 v8, vcc_lo, 0, v8, vcc_lo
	v_sub_nc_u32_e32 v14, 0, v8
	v_cvt_f32_i32_e32 v8, v8
	s_delay_alu instid0(VALU_DEP_2) | instskip(NEXT) | instid1(VALU_DEP_1)
	v_ldexp_f32 v13, v13, v14
	v_add_f32_e32 v17, 1.0, v13
	v_sub_f32_e32 v9, v12, v9
	v_cmp_eq_f32_e32 vcc_lo, 0x7f800000, v12
	v_cmp_gt_f32_e64 s29, 0x33800000, v12
	s_delay_alu instid0(VALU_DEP_3) | instskip(SKIP_1) | instid1(VALU_DEP_3)
	v_add_f32_e32 v9, v9, v15
	v_add_f32_e32 v15, -1.0, v17
	s_or_b32 vcc_lo, s29, vcc_lo
	s_delay_alu instid0(VALU_DEP_2) | instskip(NEXT) | instid1(VALU_DEP_2)
	v_ldexp_f32 v9, v9, v14
	v_dual_add_f32 v14, -1.0, v13 :: v_dual_sub_f32 v15, v13, v15
	s_delay_alu instid0(VALU_DEP_1) | instskip(NEXT) | instid1(VALU_DEP_2)
	v_add_f32_e32 v101, 1.0, v14
	v_add_f32_e32 v15, v9, v15
	s_delay_alu instid0(VALU_DEP_2) | instskip(NEXT) | instid1(VALU_DEP_1)
	v_sub_f32_e32 v13, v13, v101
	v_add_f32_e32 v9, v9, v13
	s_delay_alu instid0(VALU_DEP_1) | instskip(NEXT) | instid1(VALU_DEP_1)
	v_add_f32_e32 v102, v14, v9
	v_dual_sub_f32 v14, v14, v102 :: v_dual_add_f32 v101, v17, v15
	s_delay_alu instid0(VALU_DEP_1) | instskip(SKIP_1) | instid1(VALU_DEP_1)
	v_rcp_f32_e32 v13, v101
	v_sub_f32_e32 v17, v17, v101
	v_add_f32_e32 v15, v15, v17
	s_waitcnt_depctr 0xfff
	v_mul_f32_e32 v103, v102, v13
	s_delay_alu instid0(VALU_DEP_1) | instskip(NEXT) | instid1(VALU_DEP_1)
	v_mul_f32_e32 v104, v101, v103
	v_fma_f32 v17, v103, v101, -v104
	s_delay_alu instid0(VALU_DEP_1) | instskip(NEXT) | instid1(VALU_DEP_1)
	v_fmac_f32_e32 v17, v103, v15
	v_add_f32_e32 v106, v104, v17
	s_delay_alu instid0(VALU_DEP_1) | instskip(NEXT) | instid1(VALU_DEP_1)
	v_sub_f32_e32 v107, v102, v106
	v_sub_f32_e32 v102, v102, v107
	s_delay_alu instid0(VALU_DEP_1) | instskip(SKIP_1) | instid1(VALU_DEP_1)
	v_sub_f32_e32 v102, v102, v106
	v_dual_add_f32 v9, v9, v14 :: v_dual_sub_f32 v14, v106, v104
	v_dual_sub_f32 v14, v14, v17 :: v_dual_add_f32 v9, v9, v102
	s_delay_alu instid0(VALU_DEP_1) | instskip(NEXT) | instid1(VALU_DEP_1)
	v_add_f32_e32 v9, v14, v9
	v_add_f32_e32 v14, v107, v9
	s_delay_alu instid0(VALU_DEP_1) | instskip(NEXT) | instid1(VALU_DEP_1)
	v_mul_f32_e32 v17, v13, v14
	v_mul_f32_e32 v102, v101, v17
	s_delay_alu instid0(VALU_DEP_1) | instskip(NEXT) | instid1(VALU_DEP_1)
	v_fma_f32 v101, v17, v101, -v102
	v_dual_fmac_f32 v101, v17, v15 :: v_dual_sub_f32 v106, v107, v14
	s_delay_alu instid0(VALU_DEP_1) | instskip(NEXT) | instid1(VALU_DEP_1)
	v_add_f32_e32 v15, v102, v101
	v_sub_f32_e32 v104, v14, v15
	v_sub_f32_e32 v102, v15, v102
	s_delay_alu instid0(VALU_DEP_2) | instskip(NEXT) | instid1(VALU_DEP_1)
	v_dual_add_f32 v9, v9, v106 :: v_dual_sub_f32 v14, v14, v104
	v_sub_f32_e32 v14, v14, v15
	s_delay_alu instid0(VALU_DEP_3) | instskip(NEXT) | instid1(VALU_DEP_2)
	v_sub_f32_e32 v15, v102, v101
	v_dual_add_f32 v9, v9, v14 :: v_dual_add_f32 v14, v103, v17
	s_delay_alu instid0(VALU_DEP_1) | instskip(NEXT) | instid1(VALU_DEP_2)
	v_add_f32_e32 v9, v15, v9
	v_sub_f32_e32 v15, v14, v103
	s_delay_alu instid0(VALU_DEP_2) | instskip(NEXT) | instid1(VALU_DEP_2)
	v_add_f32_e32 v9, v104, v9
	v_sub_f32_e32 v15, v17, v15
	s_delay_alu instid0(VALU_DEP_2) | instskip(NEXT) | instid1(VALU_DEP_1)
	v_mul_f32_e32 v9, v13, v9
	v_add_f32_e32 v9, v15, v9
	s_delay_alu instid0(VALU_DEP_1) | instskip(NEXT) | instid1(VALU_DEP_1)
	v_add_f32_e32 v13, v14, v9
	v_mul_f32_e32 v15, v13, v13
	s_delay_alu instid0(VALU_DEP_1) | instskip(SKIP_1) | instid1(VALU_DEP_2)
	v_fmaak_f32 v17, s84, v15, 0x3ecc95a3
	v_mul_f32_e32 v101, v13, v15
	v_fmaak_f32 v15, v15, v17, 0x3f2aaada
	v_ldexp_f32 v17, v13, 1
	v_sub_f32_e32 v13, v13, v14
	s_delay_alu instid0(VALU_DEP_3) | instskip(SKIP_1) | instid1(VALU_DEP_3)
	v_mul_f32_e32 v15, v101, v15
	v_mul_f32_e32 v101, 0x3f317218, v8
	v_sub_f32_e32 v9, v9, v13
	s_delay_alu instid0(VALU_DEP_3) | instskip(NEXT) | instid1(VALU_DEP_2)
	v_add_f32_e32 v14, v17, v15
	v_ldexp_f32 v9, v9, 1
	s_delay_alu instid0(VALU_DEP_2) | instskip(SKIP_1) | instid1(VALU_DEP_2)
	v_sub_f32_e32 v13, v14, v17
	v_fma_f32 v17, 0x3f317218, v8, -v101
	v_sub_f32_e32 v13, v15, v13
	s_delay_alu instid0(VALU_DEP_1) | instskip(NEXT) | instid1(VALU_DEP_1)
	v_dual_fmac_f32 v17, 0xb102e308, v8 :: v_dual_add_f32 v8, v9, v13
	v_add_f32_e32 v9, v101, v17
	s_delay_alu instid0(VALU_DEP_2) | instskip(NEXT) | instid1(VALU_DEP_2)
	v_add_f32_e32 v13, v14, v8
	v_sub_f32_e32 v101, v9, v101
	s_delay_alu instid0(VALU_DEP_2) | instskip(SKIP_1) | instid1(VALU_DEP_3)
	v_add_f32_e32 v15, v9, v13
	v_sub_f32_e32 v14, v13, v14
	v_sub_f32_e32 v17, v17, v101
	s_delay_alu instid0(VALU_DEP_3) | instskip(NEXT) | instid1(VALU_DEP_3)
	v_sub_f32_e32 v102, v15, v9
	v_sub_f32_e32 v8, v8, v14
	s_delay_alu instid0(VALU_DEP_2) | instskip(SKIP_1) | instid1(VALU_DEP_3)
	v_sub_f32_e32 v103, v15, v102
	v_sub_f32_e32 v13, v13, v102
	v_add_f32_e32 v14, v17, v8
	s_delay_alu instid0(VALU_DEP_3) | instskip(NEXT) | instid1(VALU_DEP_1)
	v_sub_f32_e32 v9, v9, v103
	v_add_f32_e32 v9, v13, v9
	s_delay_alu instid0(VALU_DEP_3) | instskip(NEXT) | instid1(VALU_DEP_2)
	v_sub_f32_e32 v13, v14, v17
	v_add_f32_e32 v9, v14, v9
	s_delay_alu instid0(VALU_DEP_2) | instskip(SKIP_1) | instid1(VALU_DEP_2)
	v_sub_f32_e32 v14, v14, v13
	v_sub_f32_e32 v8, v8, v13
	v_dual_add_f32 v101, v15, v9 :: v_dual_sub_f32 v14, v17, v14
	s_delay_alu instid0(VALU_DEP_1) | instskip(NEXT) | instid1(VALU_DEP_1)
	v_dual_sub_f32 v13, v101, v15 :: v_dual_add_f32 v8, v8, v14
	v_sub_f32_e32 v9, v9, v13
	s_delay_alu instid0(VALU_DEP_1) | instskip(NEXT) | instid1(VALU_DEP_1)
	v_add_f32_e32 v8, v8, v9
	v_add_f32_e32 v8, v101, v8
	s_delay_alu instid0(VALU_DEP_1)
	v_cndmask_b32_e32 v122, v8, v12, vcc_lo
.LBB61_100:                             ;   in Loop: Header=BB61_12 Depth=1
	s_or_b32 exec_lo, exec_lo, s30
	v_and_b32_e32 v8, 0xffff0000, v10
	s_delay_alu instid0(VALU_DEP_1) | instskip(NEXT) | instid1(VALU_DEP_1)
	v_add_f32_e32 v123, s69, v8
	v_cmp_ge_f32_e32 vcc_lo, 0x41a00000, v123
	s_and_b32 s29, s80, vcc_lo
	s_delay_alu instid0(SALU_CYCLE_1)
	s_and_saveexec_b32 s30, s29
	s_cbranch_execz .LBB61_102
; %bb.101:                              ;   in Loop: Header=BB61_12 Depth=1
	v_mul_f32_e32 v8, 0x3fb8aa3b, v123
	v_cmp_ngt_f32_e32 vcc_lo, 0xc2ce8ed0, v123
	s_delay_alu instid0(VALU_DEP_2) | instskip(SKIP_1) | instid1(VALU_DEP_2)
	v_rndne_f32_e32 v9, v8
	v_fma_f32 v10, 0x3fb8aa3b, v123, -v8
	v_sub_f32_e32 v8, v8, v9
	s_delay_alu instid0(VALU_DEP_2) | instskip(SKIP_1) | instid1(VALU_DEP_2)
	v_fmac_f32_e32 v10, 0x32a5705f, v123
	v_cvt_i32_f32_e32 v9, v9
	v_add_f32_e32 v8, v8, v10
	s_delay_alu instid0(VALU_DEP_1) | instskip(SKIP_2) | instid1(VALU_DEP_1)
	v_exp_f32_e32 v8, v8
	s_waitcnt_depctr 0xfff
	v_ldexp_f32 v8, v8, v9
	v_cndmask_b32_e32 v8, 0, v8, vcc_lo
	v_cmp_nlt_f32_e32 vcc_lo, 0x42b17218, v123
	s_delay_alu instid0(VALU_DEP_2) | instskip(NEXT) | instid1(VALU_DEP_1)
	v_cndmask_b32_e32 v10, 0x7f800000, v8, vcc_lo
	v_add_f32_e32 v12, 1.0, v10
	s_delay_alu instid0(VALU_DEP_1) | instskip(NEXT) | instid1(VALU_DEP_1)
	v_cvt_f64_f32_e32 v[8:9], v12
	v_frexp_exp_i32_f64_e32 v8, v[8:9]
	v_frexp_mant_f32_e32 v9, v12
	s_delay_alu instid0(VALU_DEP_1) | instskip(SKIP_1) | instid1(VALU_DEP_1)
	v_cmp_gt_f32_e32 vcc_lo, 0x3f2aaaab, v9
	v_add_f32_e32 v9, -1.0, v12
	v_dual_sub_f32 v14, v9, v12 :: v_dual_sub_f32 v9, v10, v9
	v_subrev_co_ci_u32_e32 v8, vcc_lo, 0, v8, vcc_lo
	s_delay_alu instid0(VALU_DEP_1) | instskip(SKIP_1) | instid1(VALU_DEP_2)
	v_sub_nc_u32_e32 v13, 0, v8
	v_cvt_f32_i32_e32 v8, v8
	v_ldexp_f32 v12, v12, v13
	s_delay_alu instid0(VALU_DEP_1) | instskip(NEXT) | instid1(VALU_DEP_1)
	v_dual_add_f32 v14, 1.0, v14 :: v_dual_add_f32 v15, 1.0, v12
	v_add_f32_e32 v9, v9, v14
	s_delay_alu instid0(VALU_DEP_1) | instskip(NEXT) | instid1(VALU_DEP_3)
	v_ldexp_f32 v9, v9, v13
	v_dual_add_f32 v13, -1.0, v12 :: v_dual_add_f32 v14, -1.0, v15
	s_delay_alu instid0(VALU_DEP_1) | instskip(NEXT) | instid1(VALU_DEP_1)
	v_dual_add_f32 v17, 1.0, v13 :: v_dual_sub_f32 v14, v12, v14
	v_sub_f32_e32 v12, v12, v17
	s_delay_alu instid0(VALU_DEP_2) | instskip(NEXT) | instid1(VALU_DEP_2)
	v_add_f32_e32 v14, v9, v14
	v_add_f32_e32 v9, v9, v12
	s_delay_alu instid0(VALU_DEP_2) | instskip(SKIP_2) | instid1(VALU_DEP_4)
	v_add_f32_e32 v17, v15, v14
	v_cmp_eq_f32_e32 vcc_lo, 0x7f800000, v10
	v_cmp_gt_f32_e64 s29, 0x33800000, v10
	v_add_f32_e32 v101, v13, v9
	s_delay_alu instid0(VALU_DEP_4) | instskip(SKIP_1) | instid1(VALU_DEP_3)
	v_rcp_f32_e32 v12, v17
	v_sub_f32_e32 v15, v15, v17
	s_or_b32 vcc_lo, s29, vcc_lo
	s_delay_alu instid0(VALU_DEP_1) | instskip(NEXT) | instid1(VALU_DEP_1)
	v_dual_sub_f32 v13, v13, v101 :: v_dual_add_f32 v14, v14, v15
	v_add_f32_e32 v9, v9, v13
	s_waitcnt_depctr 0xfff
	v_mul_f32_e32 v102, v101, v12
	s_delay_alu instid0(VALU_DEP_1) | instskip(NEXT) | instid1(VALU_DEP_1)
	v_mul_f32_e32 v103, v17, v102
	v_fma_f32 v15, v102, v17, -v103
	s_delay_alu instid0(VALU_DEP_1) | instskip(NEXT) | instid1(VALU_DEP_1)
	v_fmac_f32_e32 v15, v102, v14
	v_add_f32_e32 v104, v103, v15
	s_delay_alu instid0(VALU_DEP_1) | instskip(NEXT) | instid1(VALU_DEP_1)
	v_dual_sub_f32 v106, v101, v104 :: v_dual_sub_f32 v13, v104, v103
	v_sub_f32_e32 v101, v101, v106
	s_delay_alu instid0(VALU_DEP_2) | instskip(NEXT) | instid1(VALU_DEP_2)
	v_sub_f32_e32 v13, v13, v15
	v_sub_f32_e32 v101, v101, v104
	s_delay_alu instid0(VALU_DEP_1) | instskip(NEXT) | instid1(VALU_DEP_1)
	v_add_f32_e32 v9, v9, v101
	v_add_f32_e32 v9, v13, v9
	s_delay_alu instid0(VALU_DEP_1) | instskip(NEXT) | instid1(VALU_DEP_1)
	v_add_f32_e32 v13, v106, v9
	v_mul_f32_e32 v15, v12, v13
	s_delay_alu instid0(VALU_DEP_1) | instskip(NEXT) | instid1(VALU_DEP_1)
	v_dual_sub_f32 v104, v106, v13 :: v_dual_mul_f32 v101, v17, v15
	v_add_f32_e32 v9, v9, v104
	s_delay_alu instid0(VALU_DEP_2) | instskip(NEXT) | instid1(VALU_DEP_1)
	v_fma_f32 v17, v15, v17, -v101
	v_fmac_f32_e32 v17, v15, v14
	s_delay_alu instid0(VALU_DEP_1) | instskip(NEXT) | instid1(VALU_DEP_1)
	v_add_f32_e32 v14, v101, v17
	v_sub_f32_e32 v103, v13, v14
	s_delay_alu instid0(VALU_DEP_1) | instskip(NEXT) | instid1(VALU_DEP_1)
	v_sub_f32_e32 v13, v13, v103
	v_sub_f32_e32 v13, v13, v14
	s_delay_alu instid0(VALU_DEP_1) | instskip(SKIP_2) | instid1(VALU_DEP_1)
	v_add_f32_e32 v9, v9, v13
	v_add_f32_e32 v13, v102, v15
	v_sub_f32_e32 v101, v14, v101
	v_sub_f32_e32 v14, v101, v17
	s_delay_alu instid0(VALU_DEP_1) | instskip(NEXT) | instid1(VALU_DEP_1)
	v_dual_add_f32 v9, v14, v9 :: v_dual_sub_f32 v14, v13, v102
	v_add_f32_e32 v9, v103, v9
	s_delay_alu instid0(VALU_DEP_1) | instskip(NEXT) | instid1(VALU_DEP_1)
	v_dual_sub_f32 v14, v15, v14 :: v_dual_mul_f32 v9, v12, v9
	v_add_f32_e32 v9, v14, v9
	s_delay_alu instid0(VALU_DEP_1) | instskip(NEXT) | instid1(VALU_DEP_1)
	v_add_f32_e32 v12, v13, v9
	v_mul_f32_e32 v14, v12, v12
	s_delay_alu instid0(VALU_DEP_1) | instskip(NEXT) | instid1(VALU_DEP_1)
	v_fmaak_f32 v15, s84, v14, 0x3ecc95a3
	v_dual_mul_f32 v17, v12, v14 :: v_dual_fmaak_f32 v14, v14, v15, 0x3f2aaada
	v_ldexp_f32 v15, v12, 1
	v_sub_f32_e32 v12, v12, v13
	s_delay_alu instid0(VALU_DEP_3) | instskip(NEXT) | instid1(VALU_DEP_2)
	v_dual_mul_f32 v14, v17, v14 :: v_dual_mul_f32 v17, 0x3f317218, v8
	v_sub_f32_e32 v9, v9, v12
	s_delay_alu instid0(VALU_DEP_2) | instskip(NEXT) | instid1(VALU_DEP_2)
	v_add_f32_e32 v13, v15, v14
	v_ldexp_f32 v9, v9, 1
	s_delay_alu instid0(VALU_DEP_2) | instskip(SKIP_1) | instid1(VALU_DEP_2)
	v_sub_f32_e32 v12, v13, v15
	v_fma_f32 v15, 0x3f317218, v8, -v17
	v_sub_f32_e32 v12, v14, v12
	s_delay_alu instid0(VALU_DEP_2) | instskip(NEXT) | instid1(VALU_DEP_2)
	v_fmac_f32_e32 v15, 0xb102e308, v8
	v_add_f32_e32 v8, v9, v12
	s_delay_alu instid0(VALU_DEP_2) | instskip(NEXT) | instid1(VALU_DEP_2)
	v_add_f32_e32 v9, v17, v15
	v_add_f32_e32 v12, v13, v8
	s_delay_alu instid0(VALU_DEP_2) | instskip(NEXT) | instid1(VALU_DEP_2)
	v_sub_f32_e32 v17, v9, v17
	v_dual_add_f32 v14, v9, v12 :: v_dual_sub_f32 v13, v12, v13
	s_delay_alu instid0(VALU_DEP_2) | instskip(NEXT) | instid1(VALU_DEP_2)
	v_sub_f32_e32 v15, v15, v17
	v_sub_f32_e32 v101, v14, v9
	s_delay_alu instid0(VALU_DEP_3) | instskip(NEXT) | instid1(VALU_DEP_2)
	v_sub_f32_e32 v8, v8, v13
	v_sub_f32_e32 v102, v14, v101
	s_delay_alu instid0(VALU_DEP_2) | instskip(NEXT) | instid1(VALU_DEP_2)
	v_dual_sub_f32 v12, v12, v101 :: v_dual_add_f32 v13, v15, v8
	v_sub_f32_e32 v9, v9, v102
	s_delay_alu instid0(VALU_DEP_1) | instskip(NEXT) | instid1(VALU_DEP_1)
	v_dual_add_f32 v9, v12, v9 :: v_dual_sub_f32 v12, v13, v15
	v_add_f32_e32 v9, v13, v9
	s_delay_alu instid0(VALU_DEP_2) | instskip(NEXT) | instid1(VALU_DEP_2)
	v_sub_f32_e32 v13, v13, v12
	v_dual_sub_f32 v8, v8, v12 :: v_dual_add_f32 v17, v14, v9
	s_delay_alu instid0(VALU_DEP_1) | instskip(NEXT) | instid1(VALU_DEP_1)
	v_dual_sub_f32 v13, v15, v13 :: v_dual_sub_f32 v12, v17, v14
	v_dual_add_f32 v8, v8, v13 :: v_dual_sub_f32 v9, v9, v12
	s_delay_alu instid0(VALU_DEP_1) | instskip(NEXT) | instid1(VALU_DEP_1)
	v_add_f32_e32 v8, v8, v9
	v_add_f32_e32 v8, v17, v8
	s_delay_alu instid0(VALU_DEP_1)
	v_cndmask_b32_e32 v123, v8, v10, vcc_lo
.LBB61_102:                             ;   in Loop: Header=BB61_12 Depth=1
	s_or_b32 exec_lo, exec_lo, s30
	v_lshlrev_b32_e32 v8, 16, v11
	s_delay_alu instid0(VALU_DEP_1) | instskip(NEXT) | instid1(VALU_DEP_1)
	v_add_f32_e32 v124, s69, v8
	v_cmp_ge_f32_e32 vcc_lo, 0x41a00000, v124
	s_and_b32 s29, s80, vcc_lo
	s_delay_alu instid0(SALU_CYCLE_1)
	s_and_saveexec_b32 s30, s29
	s_cbranch_execz .LBB61_104
; %bb.103:                              ;   in Loop: Header=BB61_12 Depth=1
	v_mul_f32_e32 v8, 0x3fb8aa3b, v124
	v_cmp_ngt_f32_e32 vcc_lo, 0xc2ce8ed0, v124
	s_delay_alu instid0(VALU_DEP_2) | instskip(SKIP_1) | instid1(VALU_DEP_2)
	v_rndne_f32_e32 v9, v8
	v_fma_f32 v10, 0x3fb8aa3b, v124, -v8
	v_sub_f32_e32 v8, v8, v9
	s_delay_alu instid0(VALU_DEP_2) | instskip(SKIP_1) | instid1(VALU_DEP_2)
	v_fmac_f32_e32 v10, 0x32a5705f, v124
	v_cvt_i32_f32_e32 v9, v9
	v_add_f32_e32 v8, v8, v10
	s_delay_alu instid0(VALU_DEP_1) | instskip(SKIP_2) | instid1(VALU_DEP_1)
	v_exp_f32_e32 v8, v8
	s_waitcnt_depctr 0xfff
	v_ldexp_f32 v8, v8, v9
	v_cndmask_b32_e32 v8, 0, v8, vcc_lo
	v_cmp_nlt_f32_e32 vcc_lo, 0x42b17218, v124
	s_delay_alu instid0(VALU_DEP_2) | instskip(NEXT) | instid1(VALU_DEP_1)
	v_cndmask_b32_e32 v10, 0x7f800000, v8, vcc_lo
	v_add_f32_e32 v12, 1.0, v10
	s_delay_alu instid0(VALU_DEP_1) | instskip(NEXT) | instid1(VALU_DEP_1)
	v_cvt_f64_f32_e32 v[8:9], v12
	v_frexp_exp_i32_f64_e32 v8, v[8:9]
	v_frexp_mant_f32_e32 v9, v12
	s_delay_alu instid0(VALU_DEP_1) | instskip(SKIP_1) | instid1(VALU_DEP_1)
	v_cmp_gt_f32_e32 vcc_lo, 0x3f2aaaab, v9
	v_add_f32_e32 v9, -1.0, v12
	v_dual_sub_f32 v14, v9, v12 :: v_dual_sub_f32 v9, v10, v9
	v_subrev_co_ci_u32_e32 v8, vcc_lo, 0, v8, vcc_lo
	s_delay_alu instid0(VALU_DEP_1) | instskip(SKIP_1) | instid1(VALU_DEP_2)
	v_sub_nc_u32_e32 v13, 0, v8
	v_cvt_f32_i32_e32 v8, v8
	v_ldexp_f32 v12, v12, v13
	s_delay_alu instid0(VALU_DEP_1) | instskip(NEXT) | instid1(VALU_DEP_1)
	v_dual_add_f32 v14, 1.0, v14 :: v_dual_add_f32 v15, 1.0, v12
	v_add_f32_e32 v9, v9, v14
	s_delay_alu instid0(VALU_DEP_1) | instskip(NEXT) | instid1(VALU_DEP_3)
	v_ldexp_f32 v9, v9, v13
	v_dual_add_f32 v13, -1.0, v12 :: v_dual_add_f32 v14, -1.0, v15
	s_delay_alu instid0(VALU_DEP_1) | instskip(NEXT) | instid1(VALU_DEP_1)
	v_dual_add_f32 v17, 1.0, v13 :: v_dual_sub_f32 v14, v12, v14
	v_sub_f32_e32 v12, v12, v17
	s_delay_alu instid0(VALU_DEP_2) | instskip(NEXT) | instid1(VALU_DEP_2)
	v_add_f32_e32 v14, v9, v14
	v_add_f32_e32 v9, v9, v12
	s_delay_alu instid0(VALU_DEP_2) | instskip(SKIP_2) | instid1(VALU_DEP_4)
	v_add_f32_e32 v17, v15, v14
	v_cmp_eq_f32_e32 vcc_lo, 0x7f800000, v10
	v_cmp_gt_f32_e64 s29, 0x33800000, v10
	v_add_f32_e32 v101, v13, v9
	s_delay_alu instid0(VALU_DEP_4) | instskip(SKIP_1) | instid1(VALU_DEP_3)
	v_rcp_f32_e32 v12, v17
	v_sub_f32_e32 v15, v15, v17
	s_or_b32 vcc_lo, s29, vcc_lo
	s_delay_alu instid0(VALU_DEP_1) | instskip(NEXT) | instid1(VALU_DEP_1)
	v_dual_sub_f32 v13, v13, v101 :: v_dual_add_f32 v14, v14, v15
	v_add_f32_e32 v9, v9, v13
	s_waitcnt_depctr 0xfff
	v_mul_f32_e32 v102, v101, v12
	s_delay_alu instid0(VALU_DEP_1) | instskip(NEXT) | instid1(VALU_DEP_1)
	v_mul_f32_e32 v103, v17, v102
	v_fma_f32 v15, v102, v17, -v103
	s_delay_alu instid0(VALU_DEP_1) | instskip(NEXT) | instid1(VALU_DEP_1)
	v_fmac_f32_e32 v15, v102, v14
	v_add_f32_e32 v104, v103, v15
	s_delay_alu instid0(VALU_DEP_1) | instskip(NEXT) | instid1(VALU_DEP_1)
	v_dual_sub_f32 v106, v101, v104 :: v_dual_sub_f32 v13, v104, v103
	v_sub_f32_e32 v101, v101, v106
	s_delay_alu instid0(VALU_DEP_2) | instskip(NEXT) | instid1(VALU_DEP_2)
	v_sub_f32_e32 v13, v13, v15
	v_sub_f32_e32 v101, v101, v104
	s_delay_alu instid0(VALU_DEP_1) | instskip(NEXT) | instid1(VALU_DEP_1)
	v_add_f32_e32 v9, v9, v101
	v_add_f32_e32 v9, v13, v9
	s_delay_alu instid0(VALU_DEP_1) | instskip(NEXT) | instid1(VALU_DEP_1)
	v_add_f32_e32 v13, v106, v9
	v_mul_f32_e32 v15, v12, v13
	s_delay_alu instid0(VALU_DEP_1) | instskip(NEXT) | instid1(VALU_DEP_1)
	v_dual_sub_f32 v104, v106, v13 :: v_dual_mul_f32 v101, v17, v15
	v_add_f32_e32 v9, v9, v104
	s_delay_alu instid0(VALU_DEP_2) | instskip(NEXT) | instid1(VALU_DEP_1)
	v_fma_f32 v17, v15, v17, -v101
	v_fmac_f32_e32 v17, v15, v14
	s_delay_alu instid0(VALU_DEP_1) | instskip(NEXT) | instid1(VALU_DEP_1)
	v_add_f32_e32 v14, v101, v17
	v_sub_f32_e32 v103, v13, v14
	s_delay_alu instid0(VALU_DEP_1) | instskip(NEXT) | instid1(VALU_DEP_1)
	v_sub_f32_e32 v13, v13, v103
	v_sub_f32_e32 v13, v13, v14
	s_delay_alu instid0(VALU_DEP_1) | instskip(SKIP_2) | instid1(VALU_DEP_1)
	v_add_f32_e32 v9, v9, v13
	v_add_f32_e32 v13, v102, v15
	v_sub_f32_e32 v101, v14, v101
	v_sub_f32_e32 v14, v101, v17
	s_delay_alu instid0(VALU_DEP_1) | instskip(NEXT) | instid1(VALU_DEP_1)
	v_dual_add_f32 v9, v14, v9 :: v_dual_sub_f32 v14, v13, v102
	v_add_f32_e32 v9, v103, v9
	s_delay_alu instid0(VALU_DEP_1) | instskip(NEXT) | instid1(VALU_DEP_1)
	v_dual_sub_f32 v14, v15, v14 :: v_dual_mul_f32 v9, v12, v9
	v_add_f32_e32 v9, v14, v9
	s_delay_alu instid0(VALU_DEP_1) | instskip(NEXT) | instid1(VALU_DEP_1)
	v_add_f32_e32 v12, v13, v9
	v_mul_f32_e32 v14, v12, v12
	s_delay_alu instid0(VALU_DEP_1) | instskip(NEXT) | instid1(VALU_DEP_1)
	v_fmaak_f32 v15, s84, v14, 0x3ecc95a3
	v_dual_mul_f32 v17, v12, v14 :: v_dual_fmaak_f32 v14, v14, v15, 0x3f2aaada
	v_ldexp_f32 v15, v12, 1
	v_sub_f32_e32 v12, v12, v13
	s_delay_alu instid0(VALU_DEP_3) | instskip(NEXT) | instid1(VALU_DEP_2)
	v_dual_mul_f32 v14, v17, v14 :: v_dual_mul_f32 v17, 0x3f317218, v8
	v_sub_f32_e32 v9, v9, v12
	s_delay_alu instid0(VALU_DEP_2) | instskip(NEXT) | instid1(VALU_DEP_2)
	v_add_f32_e32 v13, v15, v14
	v_ldexp_f32 v9, v9, 1
	s_delay_alu instid0(VALU_DEP_2) | instskip(SKIP_1) | instid1(VALU_DEP_2)
	v_sub_f32_e32 v12, v13, v15
	v_fma_f32 v15, 0x3f317218, v8, -v17
	v_sub_f32_e32 v12, v14, v12
	s_delay_alu instid0(VALU_DEP_2) | instskip(NEXT) | instid1(VALU_DEP_2)
	v_fmac_f32_e32 v15, 0xb102e308, v8
	v_add_f32_e32 v8, v9, v12
	s_delay_alu instid0(VALU_DEP_2) | instskip(NEXT) | instid1(VALU_DEP_2)
	v_add_f32_e32 v9, v17, v15
	v_add_f32_e32 v12, v13, v8
	s_delay_alu instid0(VALU_DEP_2) | instskip(NEXT) | instid1(VALU_DEP_2)
	v_sub_f32_e32 v17, v9, v17
	v_dual_add_f32 v14, v9, v12 :: v_dual_sub_f32 v13, v12, v13
	s_delay_alu instid0(VALU_DEP_2) | instskip(NEXT) | instid1(VALU_DEP_2)
	v_sub_f32_e32 v15, v15, v17
	v_sub_f32_e32 v101, v14, v9
	s_delay_alu instid0(VALU_DEP_3) | instskip(NEXT) | instid1(VALU_DEP_2)
	v_sub_f32_e32 v8, v8, v13
	v_sub_f32_e32 v102, v14, v101
	s_delay_alu instid0(VALU_DEP_2) | instskip(NEXT) | instid1(VALU_DEP_2)
	v_dual_sub_f32 v12, v12, v101 :: v_dual_add_f32 v13, v15, v8
	v_sub_f32_e32 v9, v9, v102
	s_delay_alu instid0(VALU_DEP_1) | instskip(NEXT) | instid1(VALU_DEP_1)
	v_dual_add_f32 v9, v12, v9 :: v_dual_sub_f32 v12, v13, v15
	v_add_f32_e32 v9, v13, v9
	s_delay_alu instid0(VALU_DEP_2) | instskip(NEXT) | instid1(VALU_DEP_2)
	v_sub_f32_e32 v13, v13, v12
	v_dual_sub_f32 v8, v8, v12 :: v_dual_add_f32 v17, v14, v9
	s_delay_alu instid0(VALU_DEP_1) | instskip(NEXT) | instid1(VALU_DEP_1)
	v_dual_sub_f32 v13, v15, v13 :: v_dual_sub_f32 v12, v17, v14
	v_dual_add_f32 v8, v8, v13 :: v_dual_sub_f32 v9, v9, v12
	s_delay_alu instid0(VALU_DEP_1) | instskip(NEXT) | instid1(VALU_DEP_1)
	v_add_f32_e32 v8, v8, v9
	v_add_f32_e32 v8, v17, v8
	s_delay_alu instid0(VALU_DEP_1)
	v_cndmask_b32_e32 v124, v8, v10, vcc_lo
.LBB61_104:                             ;   in Loop: Header=BB61_12 Depth=1
	s_or_b32 exec_lo, exec_lo, s30
	v_and_b32_e32 v8, 0xffff0000, v11
	s_delay_alu instid0(VALU_DEP_1) | instskip(NEXT) | instid1(VALU_DEP_1)
	v_add_f32_e32 v125, s69, v8
	v_cmp_ge_f32_e32 vcc_lo, 0x41a00000, v125
	s_and_b32 s29, s80, vcc_lo
	s_delay_alu instid0(SALU_CYCLE_1)
	s_and_saveexec_b32 s30, s29
	s_cbranch_execz .LBB61_106
; %bb.105:                              ;   in Loop: Header=BB61_12 Depth=1
	v_mul_f32_e32 v8, 0x3fb8aa3b, v125
	v_cmp_ngt_f32_e32 vcc_lo, 0xc2ce8ed0, v125
	s_delay_alu instid0(VALU_DEP_2) | instskip(SKIP_1) | instid1(VALU_DEP_2)
	v_rndne_f32_e32 v9, v8
	v_fma_f32 v10, 0x3fb8aa3b, v125, -v8
	v_sub_f32_e32 v8, v8, v9
	s_delay_alu instid0(VALU_DEP_2) | instskip(SKIP_1) | instid1(VALU_DEP_2)
	v_fmac_f32_e32 v10, 0x32a5705f, v125
	v_cvt_i32_f32_e32 v9, v9
	v_add_f32_e32 v8, v8, v10
	s_delay_alu instid0(VALU_DEP_1) | instskip(SKIP_2) | instid1(VALU_DEP_1)
	v_exp_f32_e32 v8, v8
	s_waitcnt_depctr 0xfff
	v_ldexp_f32 v8, v8, v9
	v_cndmask_b32_e32 v8, 0, v8, vcc_lo
	v_cmp_nlt_f32_e32 vcc_lo, 0x42b17218, v125
	s_delay_alu instid0(VALU_DEP_2) | instskip(NEXT) | instid1(VALU_DEP_1)
	v_cndmask_b32_e32 v10, 0x7f800000, v8, vcc_lo
	v_add_f32_e32 v11, 1.0, v10
	s_delay_alu instid0(VALU_DEP_1) | instskip(NEXT) | instid1(VALU_DEP_1)
	v_cvt_f64_f32_e32 v[8:9], v11
	v_frexp_exp_i32_f64_e32 v8, v[8:9]
	v_frexp_mant_f32_e32 v9, v11
	s_delay_alu instid0(VALU_DEP_1) | instskip(SKIP_1) | instid1(VALU_DEP_1)
	v_cmp_gt_f32_e32 vcc_lo, 0x3f2aaaab, v9
	v_add_f32_e32 v9, -1.0, v11
	v_sub_f32_e32 v13, v9, v11
	v_sub_f32_e32 v9, v10, v9
	s_delay_alu instid0(VALU_DEP_2) | instskip(NEXT) | instid1(VALU_DEP_1)
	v_add_f32_e32 v13, 1.0, v13
	v_add_f32_e32 v9, v9, v13
	v_cmp_gt_f32_e64 s29, 0x33800000, v10
	v_subrev_co_ci_u32_e32 v8, vcc_lo, 0, v8, vcc_lo
	v_cmp_eq_f32_e32 vcc_lo, 0x7f800000, v10
	s_delay_alu instid0(VALU_DEP_2) | instskip(SKIP_2) | instid1(VALU_DEP_2)
	v_sub_nc_u32_e32 v12, 0, v8
	v_cvt_f32_i32_e32 v8, v8
	s_or_b32 vcc_lo, s29, vcc_lo
	v_ldexp_f32 v11, v11, v12
	v_ldexp_f32 v9, v9, v12
	s_delay_alu instid0(VALU_DEP_2) | instskip(NEXT) | instid1(VALU_DEP_1)
	v_add_f32_e32 v14, 1.0, v11
	v_dual_add_f32 v12, -1.0, v11 :: v_dual_add_f32 v13, -1.0, v14
	s_delay_alu instid0(VALU_DEP_1) | instskip(NEXT) | instid1(VALU_DEP_2)
	v_add_f32_e32 v15, 1.0, v12
	v_sub_f32_e32 v13, v11, v13
	s_delay_alu instid0(VALU_DEP_2) | instskip(NEXT) | instid1(VALU_DEP_2)
	v_sub_f32_e32 v11, v11, v15
	v_add_f32_e32 v13, v9, v13
	s_delay_alu instid0(VALU_DEP_2) | instskip(NEXT) | instid1(VALU_DEP_1)
	v_add_f32_e32 v9, v9, v11
	v_add_f32_e32 v17, v12, v9
	s_delay_alu instid0(VALU_DEP_3) | instskip(NEXT) | instid1(VALU_DEP_2)
	v_add_f32_e32 v15, v14, v13
	v_sub_f32_e32 v12, v12, v17
	s_delay_alu instid0(VALU_DEP_2) | instskip(SKIP_1) | instid1(VALU_DEP_1)
	v_rcp_f32_e32 v11, v15
	v_sub_f32_e32 v14, v14, v15
	v_add_f32_e32 v13, v13, v14
	s_waitcnt_depctr 0xfff
	v_mul_f32_e32 v101, v17, v11
	s_delay_alu instid0(VALU_DEP_1) | instskip(NEXT) | instid1(VALU_DEP_1)
	v_dual_mul_f32 v102, v15, v101 :: v_dual_add_f32 v9, v9, v12
	v_fma_f32 v14, v101, v15, -v102
	s_delay_alu instid0(VALU_DEP_1) | instskip(NEXT) | instid1(VALU_DEP_1)
	v_fmac_f32_e32 v14, v101, v13
	v_add_f32_e32 v103, v102, v14
	s_delay_alu instid0(VALU_DEP_1) | instskip(SKIP_1) | instid1(VALU_DEP_1)
	v_sub_f32_e32 v12, v103, v102
	v_sub_f32_e32 v104, v17, v103
	v_dual_sub_f32 v12, v12, v14 :: v_dual_sub_f32 v17, v17, v104
	s_delay_alu instid0(VALU_DEP_1) | instskip(NEXT) | instid1(VALU_DEP_1)
	v_sub_f32_e32 v17, v17, v103
	v_add_f32_e32 v9, v9, v17
	s_delay_alu instid0(VALU_DEP_1) | instskip(NEXT) | instid1(VALU_DEP_1)
	v_add_f32_e32 v9, v12, v9
	v_add_f32_e32 v12, v104, v9
	s_delay_alu instid0(VALU_DEP_1) | instskip(SKIP_1) | instid1(VALU_DEP_2)
	v_mul_f32_e32 v14, v11, v12
	v_sub_f32_e32 v103, v104, v12
	v_mul_f32_e32 v17, v15, v14
	s_delay_alu instid0(VALU_DEP_2) | instskip(NEXT) | instid1(VALU_DEP_2)
	v_add_f32_e32 v9, v9, v103
	v_fma_f32 v15, v14, v15, -v17
	s_delay_alu instid0(VALU_DEP_1) | instskip(NEXT) | instid1(VALU_DEP_1)
	v_fmac_f32_e32 v15, v14, v13
	v_add_f32_e32 v13, v17, v15
	s_delay_alu instid0(VALU_DEP_1) | instskip(NEXT) | instid1(VALU_DEP_1)
	v_sub_f32_e32 v102, v12, v13
	v_dual_sub_f32 v17, v13, v17 :: v_dual_sub_f32 v12, v12, v102
	s_delay_alu instid0(VALU_DEP_1) | instskip(NEXT) | instid1(VALU_DEP_1)
	v_dual_sub_f32 v12, v12, v13 :: v_dual_sub_f32 v13, v17, v15
	v_add_f32_e32 v9, v9, v12
	v_add_f32_e32 v12, v101, v14
	s_delay_alu instid0(VALU_DEP_2) | instskip(NEXT) | instid1(VALU_DEP_2)
	v_add_f32_e32 v9, v13, v9
	v_sub_f32_e32 v13, v12, v101
	s_delay_alu instid0(VALU_DEP_2) | instskip(NEXT) | instid1(VALU_DEP_2)
	v_add_f32_e32 v9, v102, v9
	v_sub_f32_e32 v13, v14, v13
	s_delay_alu instid0(VALU_DEP_2) | instskip(NEXT) | instid1(VALU_DEP_1)
	v_mul_f32_e32 v9, v11, v9
	v_add_f32_e32 v9, v13, v9
	s_delay_alu instid0(VALU_DEP_1) | instskip(NEXT) | instid1(VALU_DEP_1)
	v_add_f32_e32 v11, v12, v9
	v_mul_f32_e32 v13, v11, v11
	s_delay_alu instid0(VALU_DEP_1) | instskip(SKIP_1) | instid1(VALU_DEP_2)
	v_fmaak_f32 v14, s84, v13, 0x3ecc95a3
	v_mul_f32_e32 v15, v11, v13
	v_fmaak_f32 v13, v13, v14, 0x3f2aaada
	v_ldexp_f32 v14, v11, 1
	v_sub_f32_e32 v11, v11, v12
	s_delay_alu instid0(VALU_DEP_3) | instskip(SKIP_1) | instid1(VALU_DEP_2)
	v_mul_f32_e32 v13, v15, v13
	v_mul_f32_e32 v15, 0x3f317218, v8
	v_dual_sub_f32 v9, v9, v11 :: v_dual_add_f32 v12, v14, v13
	s_delay_alu instid0(VALU_DEP_1) | instskip(NEXT) | instid1(VALU_DEP_2)
	v_ldexp_f32 v9, v9, 1
	v_sub_f32_e32 v11, v12, v14
	s_delay_alu instid0(VALU_DEP_4) | instskip(NEXT) | instid1(VALU_DEP_1)
	v_fma_f32 v14, 0x3f317218, v8, -v15
	v_dual_sub_f32 v11, v13, v11 :: v_dual_fmac_f32 v14, 0xb102e308, v8
	s_delay_alu instid0(VALU_DEP_1) | instskip(NEXT) | instid1(VALU_DEP_1)
	v_dual_add_f32 v8, v9, v11 :: v_dual_add_f32 v9, v15, v14
	v_add_f32_e32 v11, v12, v8
	s_delay_alu instid0(VALU_DEP_2) | instskip(NEXT) | instid1(VALU_DEP_2)
	v_sub_f32_e32 v15, v9, v15
	v_dual_add_f32 v13, v9, v11 :: v_dual_sub_f32 v12, v11, v12
	s_delay_alu instid0(VALU_DEP_1) | instskip(NEXT) | instid1(VALU_DEP_1)
	v_dual_sub_f32 v14, v14, v15 :: v_dual_sub_f32 v17, v13, v9
	v_dual_sub_f32 v8, v8, v12 :: v_dual_sub_f32 v101, v13, v17
	s_delay_alu instid0(VALU_DEP_1) | instskip(NEXT) | instid1(VALU_DEP_2)
	v_dual_sub_f32 v11, v11, v17 :: v_dual_add_f32 v12, v14, v8
	v_sub_f32_e32 v9, v9, v101
	s_delay_alu instid0(VALU_DEP_1) | instskip(NEXT) | instid1(VALU_DEP_3)
	v_add_f32_e32 v9, v11, v9
	v_sub_f32_e32 v11, v12, v14
	s_delay_alu instid0(VALU_DEP_2) | instskip(NEXT) | instid1(VALU_DEP_2)
	v_add_f32_e32 v9, v12, v9
	v_sub_f32_e32 v12, v12, v11
	s_delay_alu instid0(VALU_DEP_2) | instskip(NEXT) | instid1(VALU_DEP_1)
	v_dual_sub_f32 v8, v8, v11 :: v_dual_add_f32 v15, v13, v9
	v_dual_sub_f32 v12, v14, v12 :: v_dual_sub_f32 v11, v15, v13
	s_delay_alu instid0(VALU_DEP_1) | instskip(NEXT) | instid1(VALU_DEP_1)
	v_dual_add_f32 v8, v8, v12 :: v_dual_sub_f32 v9, v9, v11
	v_add_f32_e32 v8, v8, v9
	s_delay_alu instid0(VALU_DEP_1) | instskip(NEXT) | instid1(VALU_DEP_1)
	v_add_f32_e32 v8, v15, v8
	v_cndmask_b32_e32 v125, v8, v10, vcc_lo
.LBB61_106:                             ;   in Loop: Header=BB61_12 Depth=1
	s_or_b32 exec_lo, exec_lo, s30
	v_and_b32_e32 v10, 0xffff0000, v5
	v_lshlrev_b32_e32 v5, 16, v5
	v_and_b32_e32 v9, 0xffff0000, v6
	v_and_b32_e32 v14, 0xffff0000, v7
	;; [unrolled: 1-line block ×4, first 2 shown]
	v_lshlrev_b32_e32 v1, 16, v1
	v_and_b32_e32 v12, 0xffff0000, v2
	v_lshlrev_b32_e32 v0, 16, v0
	v_lshlrev_b32_e32 v2, 16, v2
	v_mul_f32_e32 v106, s70, v5
	v_dual_mul_f32 v103, s70, v9 :: v_dual_lshlrev_b32 v8, 16, v7
	v_lshlrev_b32_e32 v6, 16, v6
	v_mul_f32_e32 v120, s70, v15
	s_delay_alu instid0(VALU_DEP_3)
	v_dual_mul_f32 v118, s70, v13 :: v_dual_mul_f32 v101, s70, v8
	v_mul_f32_e32 v119, s70, v0
	v_dual_mul_f32 v114, s70, v2 :: v_dual_and_b32 v11, 0xffff0000, v3
	v_and_b32_e32 v7, 0xffff0000, v4
	v_lshlrev_b32_e32 v3, 16, v3
	v_lshlrev_b32_e32 v4, 16, v4
	v_mul_f32_e32 v102, s70, v6
	v_mul_f32_e32 v112, s70, v11
	s_and_b32 vcc_lo, exec_lo, s81
	v_mul_f32_e32 v111, s70, v3
	v_mul_f32_e32 v109, s70, v4
	;; [unrolled: 1-line block ×3, first 2 shown]
	v_dual_mul_f32 v104, s70, v14 :: v_dual_mul_f32 v117, s70, v1
	v_dual_mul_f32 v110, s70, v7 :: v_dual_mul_f32 v115, s70, v12
	s_barrier
	buffer_gl0_inv
	s_cbranch_vccz .LBB61_204
; %bb.107:                              ;   in Loop: Header=BB61_12 Depth=1
	v_dual_mul_f32 v126, v125, v14 :: v_dual_mul_f32 v131, v124, v8
	v_add_co_u32 v14, s29, s61, v16
	s_delay_alu instid0(VALU_DEP_1) | instskip(SKIP_1) | instid1(VALU_DEP_1)
	v_add_co_ci_u32_e64 v17, null, s62, 0, s29
	v_add_co_u32 v16, s29, s75, v16
	v_add_co_ci_u32_e64 v130, null, s76, 0, s29
	s_delay_alu instid0(VALU_DEP_4) | instskip(NEXT) | instid1(VALU_DEP_4)
	v_add_co_u32 v127, vcc_lo, v14, v93
	v_add_co_ci_u32_e32 v128, vcc_lo, 0, v17, vcc_lo
	s_delay_alu instid0(VALU_DEP_4) | instskip(NEXT) | instid1(VALU_DEP_4)
	v_add_co_u32 v129, vcc_lo, v16, v93
	v_add_co_ci_u32_e32 v130, vcc_lo, 0, v130, vcc_lo
	v_cmp_gt_u32_e32 vcc_lo, s41, v18
	s_cmp_lg_u32 s86, 0
	v_cmp_gt_u32_e64 s31, s41, v79
	s_cselect_b32 s51, -1, 0
	s_cmp_eq_u32 s86, s83
	v_cmp_gt_u32_e64 s33, s41, v80
	s_cselect_b32 s87, -1, 0
	s_or_b32 s29, s82, vcc_lo
	v_cmp_gt_u32_e32 vcc_lo, s41, v78
	v_cmp_gt_u32_e64 s34, s41, v81
	v_cmp_gt_u32_e64 s35, s41, v82
	;; [unrolled: 1-line block ×4, first 2 shown]
	s_or_b32 s30, s82, vcc_lo
	v_cmp_gt_u32_e32 vcc_lo, s41, v83
	v_cmp_gt_u32_e64 s39, s41, v86
	v_cmp_gt_u32_e64 s40, s41, v87
	;; [unrolled: 1-line block ×4, first 2 shown]
	s_or_b32 s36, s82, vcc_lo
	v_cmp_gt_u32_e32 vcc_lo, s41, v88
	v_cmp_gt_u32_e64 s44, s41, v91
	v_cmp_gt_u32_e64 s45, s41, v92
	v_dual_mul_f32 v132, v123, v9 :: v_dual_mul_f32 v133, v122, v6
	v_dual_mul_f32 v134, v121, v10 :: v_dual_mul_f32 v135, v116, v5
	;; [unrolled: 1-line block ×7, first 2 shown]
	s_mov_b32 s66, 0
	s_or_b32 s31, s82, s31
	s_or_b32 s33, s82, s33
	;; [unrolled: 1-line block ×8, first 2 shown]
	s_or_b32 s41, s82, vcc_lo
	s_or_b32 s42, s82, s42
	s_or_b32 s43, s82, s43
	;; [unrolled: 1-line block ×4, first 2 shown]
	s_mov_b32 s52, s66
	s_mov_b32 s54, s66
	;; [unrolled: 1-line block ×5, first 2 shown]
	s_branch .LBB61_109
.LBB61_108:                             ;   in Loop: Header=BB61_109 Depth=2
	s_or_b32 exec_lo, exec_lo, s46
	v_cndmask_b32_e64 v9, v175, v11, s12
	v_cndmask_b32_e64 v10, v174, v10, s12
	s_add_i32 s88, s88, -1
	s_add_i32 s89, s89, 8
	s_add_i32 s58, s58, s49
	v_fma_f32 v9, v9, v149, v148
	v_mul_f32_e32 v10, v10, v149
	s_add_i32 s54, s54, s48
	s_add_i32 s52, s52, s60
	;; [unrolled: 1-line block ×3, first 2 shown]
	v_cndmask_b32_e64 v9, v9, v148, s11
	v_cndmask_b32_e64 v10, v10, v149, s11
	s_cmp_eq_u32 s88, 0
	s_waitcnt lgkmcnt(0)
	s_delay_alu instid0(VALU_DEP_1) | instskip(NEXT) | instid1(VALU_DEP_1)
	v_dual_fmac_f32 v9, v8, v10 :: v_dual_and_b32 v10, 0xffff0000, v5
	v_dual_fmac_f32 v12, v9, v151 :: v_dual_lshlrev_b32 v5, 16, v5
	s_delay_alu instid0(VALU_DEP_1) | instskip(NEXT) | instid1(VALU_DEP_1)
	v_fmac_f32_e32 v13, v12, v152
	v_fmac_f32_e32 v14, v13, v154
	s_delay_alu instid0(VALU_DEP_3) | instskip(NEXT) | instid1(VALU_DEP_2)
	v_fmac_f32_e32 v117, v13, v5
	v_fmac_f32_e32 v15, v14, v157
	s_delay_alu instid0(VALU_DEP_1) | instskip(NEXT) | instid1(VALU_DEP_1)
	v_fmac_f32_e32 v146, v15, v158
	v_fmac_f32_e32 v147, v146, v159
	s_delay_alu instid0(VALU_DEP_1) | instskip(NEXT) | instid1(VALU_DEP_1)
	v_fmac_f32_e32 v150, v147, v160
	v_dual_fmac_f32 v153, v150, v162 :: v_dual_and_b32 v8, 0xffff0000, v4
	v_lshlrev_b32_e32 v4, 16, v4
	s_delay_alu instid0(VALU_DEP_2) | instskip(SKIP_1) | instid1(VALU_DEP_3)
	v_dual_fmac_f32 v120, v12, v8 :: v_dual_fmac_f32 v155, v153, v163
	v_and_b32_e32 v11, 0xffff0000, v6
	v_dual_fmac_f32 v119, v9, v4 :: v_dual_and_b32 v16, 0xffff0000, v7
	s_delay_alu instid0(VALU_DEP_3) | instskip(NEXT) | instid1(VALU_DEP_3)
	v_dual_fmac_f32 v156, v155, v164 :: v_dual_lshlrev_b32 v7, 16, v7
	v_dual_fmac_f32 v115, v146, v11 :: v_dual_and_b32 v148, 0xffff0000, v1
	s_delay_alu instid0(VALU_DEP_2) | instskip(NEXT) | instid1(VALU_DEP_3)
	v_dual_fmac_f32 v112, v150, v16 :: v_dual_fmac_f32 v111, v147, v7
	v_dual_fmac_f32 v161, v156, v172 :: v_dual_lshlrev_b32 v6, 16, v6
	v_dual_fmac_f32 v118, v14, v10 :: v_dual_lshlrev_b32 v1, 16, v1
	s_delay_alu instid0(VALU_DEP_2) | instskip(SKIP_3) | instid1(VALU_DEP_4)
	v_fmac_f32_e32 v165, v161, v167
	v_and_b32_e32 v17, 0xffff0000, v0
	v_lshlrev_b32_e32 v0, 16, v0
	v_dual_fmac_f32 v114, v15, v6 :: v_dual_and_b32 v151, 0xffff0000, v3
	v_dual_fmac_f32 v166, v165, v169 :: v_dual_and_b32 v149, 0xffff0000, v2
	v_lshlrev_b32_e32 v2, 16, v2
	v_lshlrev_b32_e32 v3, 16, v3
	v_dual_fmac_f32 v109, v153, v0 :: v_dual_fmac_f32 v110, v155, v17
	s_delay_alu instid0(VALU_DEP_4) | instskip(SKIP_2) | instid1(VALU_DEP_3)
	v_fmac_f32_e32 v168, v166, v171
	v_dual_fmac_f32 v106, v156, v1 :: v_dual_fmac_f32 v107, v161, v148
	v_dual_fmac_f32 v102, v165, v2 :: v_dual_fmac_f32 v103, v166, v149
	v_fmac_f32_e32 v170, v168, v173
	v_fmac_f32_e32 v101, v168, v3
	s_delay_alu instid0(VALU_DEP_2)
	v_fmac_f32_e32 v104, v170, v151
	s_cbranch_scc1 .LBB61_204
.LBB61_109:                             ;   Parent Loop BB61_12 Depth=1
                                        ; =>  This Inner Loop Header: Depth=2
	s_lshl_b64 s[46:47], s[66:67], 2
	s_mov_b32 s53, s67
	s_add_u32 s46, s73, s46
	s_addc_u32 s47, s74, s47
	v_dual_mov_b32 v2, 0 :: v_dual_mov_b32 v3, 0
	global_load_b32 v146, v21, s[46:47]
	s_lshl_b64 s[46:47], s[52:53], 1
	s_delay_alu instid0(SALU_CYCLE_1)
	v_add_co_u32 v0, vcc_lo, v127, s46
	v_add_co_ci_u32_e32 v1, vcc_lo, s47, v128, vcc_lo
	s_and_saveexec_b32 s46, s13
	s_cbranch_execz .LBB61_111
; %bb.110:                              ;   in Loop: Header=BB61_109 Depth=2
	global_load_u16 v3, v[0:1], off
.LBB61_111:                             ;   in Loop: Header=BB61_109 Depth=2
	s_or_b32 exec_lo, exec_lo, s46
	s_and_saveexec_b32 s46, s14
	s_cbranch_execz .LBB61_113
; %bb.112:                              ;   in Loop: Header=BB61_109 Depth=2
	global_load_u16 v2, v[0:1], off offset:64
.LBB61_113:                             ;   in Loop: Header=BB61_109 Depth=2
	s_or_b32 exec_lo, exec_lo, s46
	v_dual_mov_b32 v4, 0 :: v_dual_mov_b32 v5, 0
	s_and_saveexec_b32 s46, s15
	s_cbranch_execz .LBB61_115
; %bb.114:                              ;   in Loop: Header=BB61_109 Depth=2
	global_load_u16 v5, v[0:1], off offset:128
.LBB61_115:                             ;   in Loop: Header=BB61_109 Depth=2
	s_or_b32 exec_lo, exec_lo, s46
	s_and_saveexec_b32 s46, s16
	s_cbranch_execz .LBB61_117
; %bb.116:                              ;   in Loop: Header=BB61_109 Depth=2
	global_load_u16 v4, v[0:1], off offset:192
.LBB61_117:                             ;   in Loop: Header=BB61_109 Depth=2
	s_or_b32 exec_lo, exec_lo, s46
	v_dual_mov_b32 v6, 0 :: v_dual_mov_b32 v7, 0
	s_and_saveexec_b32 s46, s17
	s_cbranch_execz .LBB61_119
; %bb.118:                              ;   in Loop: Header=BB61_109 Depth=2
	global_load_u16 v7, v[0:1], off offset:256
.LBB61_119:                             ;   in Loop: Header=BB61_109 Depth=2
	;; [unrolled: 13-line block ×7, first 2 shown]
	s_or_b32 exec_lo, exec_lo, s46
	s_and_saveexec_b32 s46, s28
	s_cbranch_execz .LBB61_141
; %bb.140:                              ;   in Loop: Header=BB61_109 Depth=2
	global_load_u16 v16, v[0:1], off offset:960
.LBB61_141:                             ;   in Loop: Header=BB61_109 Depth=2
	s_or_b32 exec_lo, exec_lo, s46
	s_waitcnt vmcnt(0)
	ds_store_b16 v37, v3
	ds_store_b16 v37, v2 offset:64
	ds_store_b16 v38, v5 offset:128
	;; [unrolled: 1-line block ×15, first 2 shown]
	; wave barrier
	ds_load_b128 v[12:15], v52
	ds_load_b128 v[8:11], v52 offset:16
	s_mov_b32 s55, s67
	v_dual_mov_b32 v2, 0 :: v_dual_mov_b32 v3, 0
	s_lshl_b64 s[46:47], s[54:55], 1
	s_delay_alu instid0(SALU_CYCLE_1)
	v_add_co_u32 v0, vcc_lo, v129, s46
	v_add_co_ci_u32_e32 v1, vcc_lo, s47, v130, vcc_lo
	s_and_saveexec_b32 s46, s13
	s_cbranch_execz .LBB61_143
; %bb.142:                              ;   in Loop: Header=BB61_109 Depth=2
	global_load_u16 v3, v[0:1], off
.LBB61_143:                             ;   in Loop: Header=BB61_109 Depth=2
	s_or_b32 exec_lo, exec_lo, s46
	s_and_saveexec_b32 s46, s14
	s_cbranch_execz .LBB61_145
; %bb.144:                              ;   in Loop: Header=BB61_109 Depth=2
	global_load_u16 v2, v[0:1], off offset:64
.LBB61_145:                             ;   in Loop: Header=BB61_109 Depth=2
	s_or_b32 exec_lo, exec_lo, s46
	v_dual_mov_b32 v4, 0 :: v_dual_mov_b32 v5, 0
	s_and_saveexec_b32 s46, s15
	s_cbranch_execz .LBB61_147
; %bb.146:                              ;   in Loop: Header=BB61_109 Depth=2
	global_load_u16 v5, v[0:1], off offset:128
.LBB61_147:                             ;   in Loop: Header=BB61_109 Depth=2
	s_or_b32 exec_lo, exec_lo, s46
	s_and_saveexec_b32 s46, s16
	s_cbranch_execz .LBB61_149
; %bb.148:                              ;   in Loop: Header=BB61_109 Depth=2
	global_load_u16 v4, v[0:1], off offset:192
.LBB61_149:                             ;   in Loop: Header=BB61_109 Depth=2
	s_or_b32 exec_lo, exec_lo, s46
	v_dual_mov_b32 v6, 0 :: v_dual_mov_b32 v7, 0
	s_and_saveexec_b32 s46, s17
	s_cbranch_execz .LBB61_151
; %bb.150:                              ;   in Loop: Header=BB61_109 Depth=2
	global_load_u16 v7, v[0:1], off offset:256
.LBB61_151:                             ;   in Loop: Header=BB61_109 Depth=2
	;; [unrolled: 13-line block ×7, first 2 shown]
	s_or_b32 exec_lo, exec_lo, s46
	s_and_saveexec_b32 s46, s28
	s_cbranch_execz .LBB61_173
; %bb.172:                              ;   in Loop: Header=BB61_109 Depth=2
	global_load_u16 v153, v[0:1], off offset:960
.LBB61_173:                             ;   in Loop: Header=BB61_109 Depth=2
	s_or_b32 exec_lo, exec_lo, s46
	s_waitcnt vmcnt(0)
	ds_store_b16 v37, v3 offset:4224
	ds_store_b16 v53, v2 offset:64
	;; [unrolled: 1-line block ×16, first 2 shown]
	; wave barrier
	ds_load_b128 v[4:7], v52 offset:4224
	ds_load_b128 v[0:3], v68 offset:16
	s_and_not1_b32 vcc_lo, exec_lo, s51
	s_cbranch_vccnz .LBB61_175
; %bb.174:                              ;   in Loop: Header=BB61_109 Depth=2
	v_mov_b32_e32 v16, s89
	ds_load_b64 v[16:17], v16
	s_cbranch_execz .LBB61_176
	s_branch .LBB61_179
.LBB61_175:                             ;   in Loop: Header=BB61_109 Depth=2
                                        ; implicit-def: $vgpr16
.LBB61_176:                             ;   in Loop: Header=BB61_109 Depth=2
	s_waitcnt lgkmcnt(0)
	v_mov_b32_e32 v17, 0
	s_and_not1_b32 vcc_lo, exec_lo, s68
	s_cbranch_vccnz .LBB61_178
; %bb.177:                              ;   in Loop: Header=BB61_109 Depth=2
	s_mov_b32 s59, s67
	s_delay_alu instid0(SALU_CYCLE_1) | instskip(NEXT) | instid1(SALU_CYCLE_1)
	s_lshl_b64 s[46:47], s[58:59], 2
	s_add_u32 s46, s77, s46
	s_addc_u32 s47, s78, s47
	global_load_b32 v17, v21, s[46:47]
.LBB61_178:                             ;   in Loop: Header=BB61_109 Depth=2
	v_mov_b32_e32 v16, 1.0
.LBB61_179:                             ;   in Loop: Header=BB61_109 Depth=2
	s_waitcnt lgkmcnt(19)
	v_dual_mul_f32 v168, 0x3fb8aa3b, v146 :: v_dual_lshlrev_b32 v147, 16, v12
	v_and_b32_e32 v12, 0xffff0000, v12
	v_lshlrev_b32_e32 v146, 16, v13
	v_and_b32_e32 v150, 0xffff0000, v13
	v_lshlrev_b32_e32 v153, 16, v14
	v_mul_f32_e32 v13, v168, v94
	v_dual_mul_f32 v14, v168, v95 :: v_dual_and_b32 v155, 0xffff0000, v14
	v_dual_mul_f32 v149, v168, v97 :: v_dual_lshlrev_b32 v156, 16, v15
	s_delay_alu instid0(VALU_DEP_3) | instskip(SKIP_1) | instid1(VALU_DEP_4)
	v_cmp_gt_f32_e32 vcc_lo, 0xc2fc0000, v13
	v_dual_mul_f32 v12, v144, v12 :: v_dual_and_b32 v159, 0xffff0000, v15
	v_cmp_gt_f32_e64 s46, 0xc2fc0000, v14
	v_mul_f32_e32 v15, v168, v96
	v_cndmask_b32_e64 v13, 0, 0x42800000, vcc_lo
	v_cndmask_b32_e64 v148, 1.0, 0x1f800000, vcc_lo
	s_waitcnt lgkmcnt(18)
	v_lshlrev_b32_e32 v165, 16, v10
	v_cndmask_b32_e64 v14, 0, 0x42800000, s46
	v_mul_f32_e32 v147, v145, v147
	v_fmac_f32_e32 v13, v168, v94
	v_dual_mul_f32 v146, v143, v146 :: v_dual_lshlrev_b32 v161, 16, v8
	v_and_b32_e32 v8, 0xffff0000, v8
	v_fmac_f32_e32 v14, v168, v95
	s_delay_alu instid0(VALU_DEP_4) | instskip(SKIP_2) | instid1(VALU_DEP_3)
	v_exp_f32_e32 v13, v13
	v_cmp_gt_f32_e32 vcc_lo, 0xc2fc0000, v15
	v_dual_mul_f32 v155, v140, v155 :: v_dual_and_b32 v10, 0xffff0000, v10
	v_exp_f32_e32 v14, v14
	v_dual_mul_f32 v161, v137, v161 :: v_dual_mul_f32 v8, v136, v8
	v_cndmask_b32_e64 v15, 0, 0x42800000, vcc_lo
	v_lshlrev_b32_e32 v170, 16, v11
	v_and_b32_e32 v11, 0xffff0000, v11
	s_delay_alu instid0(TRANS32_DEP_2)
	v_mul_f32_e32 v13, v13, v148
	v_cndmask_b32_e64 v148, 0, v147, s29
	v_cndmask_b32_e64 v147, 1.0, 0x1f800000, s46
	v_cmp_gt_f32_e64 s46, 0xc2fc0000, v149
	v_fmac_f32_e32 v15, v168, v96
	v_cndmask_b32_e64 v149, 1.0, v13, s29
	v_cndmask_b32_e64 v12, 0, v12, s30
	v_mul_f32_e32 v13, v14, v147
	v_cndmask_b32_e64 v151, 0, 0x42800000, s46
	v_exp_f32_e32 v14, v15
	v_cndmask_b32_e64 v147, 1.0, 0x1f800000, vcc_lo
	v_lshlrev_b32_e32 v163, 16, v9
	v_mul_f32_e32 v15, v168, v98
	v_fmac_f32_e32 v151, v168, v97
	v_and_b32_e32 v9, 0xffff0000, v9
	v_mul_f32_e32 v171, v168, v123
	v_mul_f32_e32 v173, v168, v125
	v_cmp_gt_f32_e32 vcc_lo, 0xc2fc0000, v15
	v_exp_f32_e32 v154, v151
	v_mul_f32_e32 v14, v14, v147
	v_cndmask_b32_e64 v147, 1.0, 0x1f800000, s46
	v_mul_f32_e32 v157, v168, v105
	v_cndmask_b32_e64 v15, 0, 0x42800000, vcc_lo
	v_mul_f32_e32 v160, v168, v108
	v_cndmask_b32_e64 v152, 1.0, v14, s31
	v_mul_f32_e32 v14, v142, v150
	v_mul_f32_e32 v150, v168, v100
	v_fmac_f32_e32 v15, v168, v98
	v_mul_f32_e32 v147, v154, v147
	v_cmp_gt_f32_e64 s47, 0xc2fc0000, v157
	v_cndmask_b32_e64 v14, 0, v14, s33
	v_mul_f32_e32 v162, v168, v116
	v_exp_f32_e32 v15, v15
	v_cndmask_b32_e64 v154, 1.0, v147, s33
	v_cndmask_b32_e64 v147, 1.0, 0x1f800000, vcc_lo
	v_cmp_gt_f32_e32 vcc_lo, 0xc2fc0000, v150
	v_mul_f32_e32 v170, v131, v170
	v_dual_mul_f32 v10, v132, v10 :: v_dual_mul_f32 v11, v126, v11
	v_cndmask_b32_e64 v150, 0, 0x42800000, vcc_lo
	s_delay_alu instid0(TRANS32_DEP_1) | instskip(SKIP_2) | instid1(VALU_DEP_4)
	v_mul_f32_e32 v147, v15, v147
	v_mul_f32_e32 v15, v141, v153
	v_cndmask_b32_e64 v153, 0, 0x42800000, s47
	v_fmac_f32_e32 v150, v168, v100
	v_cndmask_b32_e64 v151, 1.0, v13, s30
	v_cndmask_b32_e64 v13, 0, v146, s31
	v_mul_f32_e32 v146, v168, v99
	v_cndmask_b32_e64 v157, 1.0, v147, s34
	v_exp_f32_e32 v150, v150
	v_fma_f32 v169, v151, v148, v12
	v_cndmask_b32_e64 v15, 0, v15, s34
	v_cmp_gt_f32_e64 s46, 0xc2fc0000, v146
	s_delay_alu instid0(VALU_DEP_1) | instskip(SKIP_1) | instid1(VALU_DEP_2)
	v_cndmask_b32_e64 v146, 0, 0x42800000, s46
	v_cndmask_b32_e64 v158, 1.0, 0x1f800000, s46
	v_fmac_f32_e32 v146, v168, v99
	s_delay_alu instid0(VALU_DEP_1)
	v_exp_f32_e32 v146, v146
	s_waitcnt_depctr 0xfff
	v_mul_f32_e32 v147, v146, v158
	v_cndmask_b32_e64 v146, 0, v155, s35
	v_cndmask_b32_e64 v155, 1.0, 0x1f800000, vcc_lo
	v_cmp_gt_f32_e32 vcc_lo, 0xc2fc0000, v160
	v_mul_f32_e32 v160, v138, v159
	v_cndmask_b32_e64 v158, 1.0, v147, s35
	s_delay_alu instid0(VALU_DEP_4)
	v_dual_mul_f32 v147, v139, v156 :: v_dual_mul_f32 v150, v150, v155
	v_cndmask_b32_e64 v155, 1.0, 0x1f800000, s47
	v_cmp_gt_f32_e64 s47, 0xc2fc0000, v162
	v_mul_f32_e32 v162, v168, v121
	v_cndmask_b32_e64 v156, 0, 0x42800000, vcc_lo
	v_cndmask_b32_e64 v164, 1.0, 0x1f800000, vcc_lo
	v_cndmask_b32_e64 v159, 1.0, v150, s36
	v_cndmask_b32_e64 v150, 0, v160, s37
	v_cmp_gt_f32_e32 vcc_lo, 0xc2fc0000, v162
	v_fmac_f32_e32 v156, v168, v108
	v_cndmask_b32_e64 v147, 0, v147, s36
	v_cndmask_b32_e64 v166, 0, 0x42800000, vcc_lo
	v_cndmask_b32_e64 v167, 1.0, 0x1f800000, vcc_lo
	s_delay_alu instid0(VALU_DEP_2) | instskip(NEXT) | instid1(VALU_DEP_1)
	v_fmac_f32_e32 v166, v168, v121
	v_exp_f32_e32 v166, v166
	v_fmac_f32_e32 v153, v168, v105
	s_delay_alu instid0(VALU_DEP_1) | instskip(SKIP_3) | instid1(VALU_DEP_2)
	v_exp_f32_e32 v153, v153
	s_waitcnt_depctr 0xfff
	v_mul_f32_e32 v153, v153, v155
	v_mul_f32_e32 v155, v168, v113
	v_cndmask_b32_e64 v160, 1.0, v153, s37
	s_delay_alu instid0(VALU_DEP_2) | instskip(SKIP_2) | instid1(VALU_DEP_2)
	v_cmp_gt_f32_e64 s46, 0xc2fc0000, v155
	v_exp_f32_e32 v153, v156
	v_cndmask_b32_e64 v156, 0, 0x42800000, s47
	v_cndmask_b32_e64 v155, 0, 0x42800000, s46
	s_delay_alu instid0(VALU_DEP_2)
	v_fmac_f32_e32 v156, v168, v116
	s_waitcnt_depctr 0xfff
	v_dual_fmac_f32 v155, v168, v113 :: v_dual_mul_f32 v162, v153, v164
	v_cndmask_b32_e64 v153, 0, v161, s38
	v_exp_f32_e32 v156, v156
	v_cndmask_b32_e64 v161, 1.0, 0x1f800000, s46
	s_delay_alu instid0(VALU_DEP_3) | instskip(SKIP_3) | instid1(VALU_DEP_2)
	v_exp_f32_e32 v155, v155
	v_cndmask_b32_e64 v164, 1.0, 0x1f800000, s47
	v_cmp_gt_f32_e64 s46, 0xc2fc0000, v171
	v_cndmask_b32_e64 v162, 1.0, v162, s38
	v_cndmask_b32_e64 v171, 1.0, 0x1f800000, s46
	s_waitcnt_depctr 0xfff
	v_dual_mul_f32 v164, v156, v164 :: v_dual_mul_f32 v161, v155, v161
	v_cndmask_b32_e64 v155, 0, v8, s39
	v_mul_f32_e32 v8, v135, v163
	s_delay_alu instid0(VALU_DEP_3) | instskip(NEXT) | instid1(VALU_DEP_4)
	v_cndmask_b32_e64 v164, 1.0, v164, s40
	v_cndmask_b32_e64 v163, 1.0, v161, s39
	v_mul_f32_e32 v161, v168, v122
	s_delay_alu instid0(VALU_DEP_4) | instskip(SKIP_1) | instid1(VALU_DEP_3)
	v_cndmask_b32_e64 v156, 0, v8, s40
	v_dual_mul_f32 v8, v166, v167 :: v_dual_mul_f32 v167, v151, v149
	v_cmp_gt_f32_e32 vcc_lo, 0xc2fc0000, v161
	s_delay_alu instid0(VALU_DEP_2) | instskip(SKIP_3) | instid1(VALU_DEP_3)
	v_cndmask_b32_e64 v172, 1.0, v8, s41
	v_cndmask_b32_e64 v166, 0, 0x42800000, vcc_lo
	v_mul_f32_e32 v9, v134, v9
	v_cndmask_b32_e64 v8, 1.0, 0x1f800000, vcc_lo
	v_fmac_f32_e32 v166, v168, v122
	s_delay_alu instid0(VALU_DEP_3)
	v_cndmask_b32_e64 v161, 0, v9, s41
	v_mul_f32_e32 v9, v167, v152
	v_fma_f32 v167, v169, v152, v13
	v_cndmask_b32_e64 v169, 0, 0x42800000, s46
	v_exp_f32_e32 v166, v166
	v_cmp_gt_f32_e64 s46, 0xc2fc0000, v173
	v_mul_f32_e32 v9, v9, v154
	v_fma_f32 v167, v167, v154, v14
	v_fmac_f32_e32 v169, v168, v123
	s_delay_alu instid0(VALU_DEP_3) | instskip(NEXT) | instid1(VALU_DEP_3)
	v_mul_f32_e32 v9, v9, v157
	v_fma_f32 v167, v167, v157, v15
	s_delay_alu instid0(VALU_DEP_3)
	v_exp_f32_e32 v169, v169
	s_delay_alu instid0(TRANS32_DEP_2) | instid1(VALU_DEP_2)
	v_dual_mul_f32 v8, v166, v8 :: v_dual_mul_f32 v9, v9, v158
	s_delay_alu instid0(VALU_DEP_2) | instskip(NEXT) | instid1(VALU_DEP_2)
	v_fma_f32 v166, v167, v158, v146
	v_cndmask_b32_e64 v167, 1.0, v8, s42
	s_delay_alu instid0(VALU_DEP_3) | instskip(NEXT) | instid1(VALU_DEP_3)
	v_mul_f32_e32 v8, v9, v159
	v_fma_f32 v9, v166, v159, v147
	v_mul_f32_e32 v166, v168, v124
	s_delay_alu instid0(VALU_DEP_3) | instskip(NEXT) | instid1(VALU_DEP_3)
	v_mul_f32_e32 v8, v8, v160
	v_fma_f32 v9, v9, v160, v150
	s_delay_alu instid0(VALU_DEP_3)
	v_cmp_gt_f32_e32 vcc_lo, 0xc2fc0000, v166
	v_mul_f32_e32 v165, v133, v165
	v_cndmask_b32_e64 v166, 0, v10, s43
	v_mul_f32_e32 v8, v8, v162
	v_fma_f32 v9, v9, v162, v153
	v_cndmask_b32_e64 v10, 0, 0x42800000, s46
	v_mul_f32_e32 v169, v169, v171
	v_cndmask_b32_e64 v171, 0, 0x42800000, vcc_lo
	v_mul_f32_e32 v8, v8, v163
	v_fma_f32 v9, v9, v163, v155
	v_fmac_f32_e32 v10, v168, v125
	v_cndmask_b32_e64 v165, 0, v165, s42
	v_fmac_f32_e32 v171, v168, v124
	v_mul_f32_e32 v8, v8, v164
	v_fma_f32 v9, v9, v164, v156
	v_cndmask_b32_e64 v168, 1.0, 0x1f800000, vcc_lo
	v_exp_f32_e32 v10, v10
	v_exp_f32_e32 v171, v171
	v_mul_f32_e32 v8, v8, v172
	v_fma_f32 v9, v9, v172, v161
	v_cndmask_b32_e64 v169, 1.0, v169, s43
	s_delay_alu instid0(VALU_DEP_3) | instskip(NEXT) | instid1(VALU_DEP_3)
	v_mul_f32_e32 v8, v8, v167
	v_fma_f32 v9, v9, v167, v165
	s_waitcnt_depctr 0xfff
	v_mul_f32_e32 v171, v171, v168
	v_cndmask_b32_e64 v168, 0, v170, s44
	v_cndmask_b32_e64 v170, 1.0, 0x1f800000, s46
	v_mul_f32_e32 v8, v8, v169
	v_fma_f32 v9, v9, v169, v166
	v_cndmask_b32_e64 v171, 1.0, v171, s44
	s_delay_alu instid0(VALU_DEP_4) | instskip(SKIP_1) | instid1(VALU_DEP_3)
	v_mul_f32_e32 v10, v10, v170
	v_cndmask_b32_e64 v170, 0, v11, s45
	v_mul_f32_e32 v8, v8, v171
	v_fma_f32 v9, v9, v171, v168
	s_delay_alu instid0(VALU_DEP_4) | instskip(NEXT) | instid1(VALU_DEP_1)
	v_cndmask_b32_e64 v173, 1.0, v10, s45
	v_mul_f32_e32 v8, v8, v173
	s_delay_alu instid0(VALU_DEP_3) | instskip(NEXT) | instid1(VALU_DEP_2)
	v_fma_f32 v9, v9, v173, v170
	v_mov_b32_dpp v11, v8 row_shr:1 row_mask:0xf bank_mask:0xf
	s_delay_alu instid0(VALU_DEP_2)
	v_mov_b32_dpp v10, v9 row_shr:1 row_mask:0xf bank_mask:0xf
	s_and_saveexec_b32 s46, s0
; %bb.180:                              ;   in Loop: Header=BB61_109 Depth=2
	s_delay_alu instid0(VALU_DEP_2) | instskip(NEXT) | instid1(VALU_DEP_1)
	v_mul_f32_e32 v11, v8, v11
	v_dual_fmac_f32 v9, v8, v10 :: v_dual_mov_b32 v8, v11
; %bb.181:                              ;   in Loop: Header=BB61_109 Depth=2
	s_or_b32 exec_lo, exec_lo, s46
	s_delay_alu instid0(VALU_DEP_1) | instskip(NEXT) | instid1(VALU_DEP_2)
	v_mov_b32_dpp v10, v8 row_shr:2 row_mask:0xf bank_mask:0xf
	v_mov_b32_dpp v11, v9 row_shr:2 row_mask:0xf bank_mask:0xf
	s_and_saveexec_b32 s46, s1
; %bb.182:                              ;   in Loop: Header=BB61_109 Depth=2
	s_delay_alu instid0(VALU_DEP_1) | instskip(NEXT) | instid1(VALU_DEP_3)
	v_fmac_f32_e32 v9, v8, v11
	v_mul_f32_e32 v8, v8, v10
; %bb.183:                              ;   in Loop: Header=BB61_109 Depth=2
	s_or_b32 exec_lo, exec_lo, s46
	s_delay_alu instid0(VALU_DEP_1) | instskip(NEXT) | instid1(VALU_DEP_3)
	v_mov_b32_dpp v10, v8 row_shr:4 row_mask:0xf bank_mask:0xf
	v_mov_b32_dpp v11, v9 row_shr:4 row_mask:0xf bank_mask:0xf
	s_and_saveexec_b32 s46, s2
; %bb.184:                              ;   in Loop: Header=BB61_109 Depth=2
	s_delay_alu instid0(VALU_DEP_1) | instskip(NEXT) | instid1(VALU_DEP_3)
	v_fmac_f32_e32 v9, v8, v11
	v_mul_f32_e32 v8, v8, v10
; %bb.185:                              ;   in Loop: Header=BB61_109 Depth=2
	s_or_b32 exec_lo, exec_lo, s46
	s_delay_alu instid0(VALU_DEP_1) | instskip(NEXT) | instid1(VALU_DEP_3)
	v_mov_b32_dpp v10, v8 row_shr:8 row_mask:0xf bank_mask:0xf
	v_mov_b32_dpp v11, v9 row_shr:8 row_mask:0xf bank_mask:0xf
	s_and_saveexec_b32 s46, s3
; %bb.186:                              ;   in Loop: Header=BB61_109 Depth=2
	s_delay_alu instid0(VALU_DEP_1) | instskip(NEXT) | instid1(VALU_DEP_3)
	v_fmac_f32_e32 v9, v8, v11
	v_mul_f32_e32 v8, v8, v10
; %bb.187:                              ;   in Loop: Header=BB61_109 Depth=2
	s_or_b32 exec_lo, exec_lo, s46
	ds_swizzle_b32 v11, v8 offset:swizzle(BROADCAST,32,15)
	ds_swizzle_b32 v10, v9 offset:swizzle(BROADCAST,32,15)
	s_and_saveexec_b32 s46, s4
	s_cbranch_execz .LBB61_189
; %bb.188:                              ;   in Loop: Header=BB61_109 Depth=2
	s_waitcnt lgkmcnt(1)
	v_mul_f32_e32 v11, v8, v11
	s_waitcnt lgkmcnt(0)
	s_delay_alu instid0(VALU_DEP_1)
	v_dual_fmac_f32 v9, v8, v10 :: v_dual_mov_b32 v8, v11
.LBB61_189:                             ;   in Loop: Header=BB61_109 Depth=2
	s_or_b32 exec_lo, exec_lo, s46
	s_and_saveexec_b32 s46, s5
	s_cbranch_execz .LBB61_191
; %bb.190:                              ;   in Loop: Header=BB61_109 Depth=2
	ds_store_b64 v69, v[8:9] offset:8448
.LBB61_191:                             ;   in Loop: Header=BB61_109 Depth=2
	s_or_b32 exec_lo, exec_lo, s46
	s_waitcnt vmcnt(0) lgkmcnt(0)
	s_waitcnt_vscnt null, 0x0
	s_barrier
	buffer_gl0_inv
	s_and_saveexec_b32 s46, s6
	s_cbranch_execz .LBB61_195
; %bb.192:                              ;   in Loop: Header=BB61_109 Depth=2
	ds_load_b64 v[10:11], v70 offset:8448
	s_waitcnt lgkmcnt(0)
	v_mov_b32_dpp v176, v10 row_shr:1 row_mask:0xf bank_mask:0xf
	v_mov_b32_dpp v175, v11 row_shr:1 row_mask:0xf bank_mask:0xf
	v_mov_b32_e32 v174, v10
	s_and_saveexec_b32 s47, s7
; %bb.193:                              ;   in Loop: Header=BB61_109 Depth=2
	s_delay_alu instid0(VALU_DEP_3) | instskip(NEXT) | instid1(VALU_DEP_3)
	v_mul_f32_e32 v174, v10, v176
	v_fmac_f32_e32 v11, v10, v175
	s_delay_alu instid0(VALU_DEP_2)
	v_mov_b32_e32 v10, v174
; %bb.194:                              ;   in Loop: Header=BB61_109 Depth=2
	s_or_b32 exec_lo, exec_lo, s47
	v_mov_b32_dpp v174, v174 row_shr:2 row_mask:0xf bank_mask:0xf
	s_delay_alu instid0(VALU_DEP_3) | instskip(NEXT) | instid1(VALU_DEP_2)
	v_mov_b32_dpp v175, v11 row_shr:2 row_mask:0xf bank_mask:0xf
	v_mul_f32_e32 v174, v10, v174
	s_delay_alu instid0(VALU_DEP_2) | instskip(NEXT) | instid1(VALU_DEP_2)
	v_fma_f32 v175, v10, v175, v11
	v_cndmask_b32_e64 v10, v10, v174, s8
	s_delay_alu instid0(VALU_DEP_2)
	v_cndmask_b32_e64 v11, v11, v175, s8
	ds_store_b64 v70, v[10:11] offset:8448
.LBB61_195:                             ;   in Loop: Header=BB61_109 Depth=2
	s_or_b32 exec_lo, exec_lo, s46
	s_waitcnt lgkmcnt(0)
	s_barrier
	buffer_gl0_inv
                                        ; implicit-def: $vgpr11
	s_and_saveexec_b32 s46, s10
	s_cbranch_execz .LBB61_197
; %bb.196:                              ;   in Loop: Header=BB61_109 Depth=2
	ds_load_b64 v[10:11], v69 offset:8440
	s_waitcnt lgkmcnt(0)
	v_mul_f32_e32 v174, v8, v10
	s_delay_alu instid0(VALU_DEP_1)
	v_dual_fmac_f32 v9, v8, v11 :: v_dual_mov_b32 v8, v174
.LBB61_197:                             ;   in Loop: Header=BB61_109 Depth=2
	s_or_b32 exec_lo, exec_lo, s46
	ds_bpermute_b32 v174, v71, v8
	ds_bpermute_b32 v175, v71, v9
	s_and_saveexec_b32 s46, s9
	s_cbranch_execz .LBB61_201
; %bb.198:                              ;   in Loop: Header=BB61_109 Depth=2
	ds_load_b64 v[8:9], v21 offset:8472
	s_and_saveexec_b32 s47, s11
	s_cbranch_execz .LBB61_200
; %bb.199:                              ;   in Loop: Header=BB61_109 Depth=2
	ds_store_b64 v21, v[16:17] offset:8472
.LBB61_200:                             ;   in Loop: Header=BB61_109 Depth=2
	s_or_b32 exec_lo, exec_lo, s47
	s_waitcnt lgkmcnt(0)
	v_fmac_f32_e32 v9, v17, v8
	s_delay_alu instid0(VALU_DEP_1)
	v_dual_mul_f32 v16, v16, v8 :: v_dual_mov_b32 v17, v9
.LBB61_201:                             ;   in Loop: Header=BB61_109 Depth=2
	s_or_b32 exec_lo, exec_lo, s46
	s_waitcnt lgkmcnt(0)
	s_barrier
	buffer_gl0_inv
	ds_load_b32 v8, v21 offset:8476
	s_and_saveexec_b32 s46, s11
	s_cbranch_execz .LBB61_108
; %bb.202:                              ;   in Loop: Header=BB61_109 Depth=2
	v_mov_b32_e32 v9, s89
	s_and_not1_b32 vcc_lo, exec_lo, s87
	ds_store_b64 v9, v[16:17]
	s_cbranch_vccnz .LBB61_108
; %bb.203:                              ;   in Loop: Header=BB61_109 Depth=2
	s_mov_b32 s59, s67
	s_delay_alu instid0(SALU_CYCLE_1) | instskip(NEXT) | instid1(SALU_CYCLE_1)
	s_lshl_b64 s[90:91], s[58:59], 2
	s_add_u32 s90, s77, s90
	s_addc_u32 s91, s78, s91
	global_store_b32 v21, v17, s[90:91]
	s_branch .LBB61_108
.LBB61_204:                             ;   in Loop: Header=BB61_12 Depth=1
	v_bfe_u32 v0, v119, 16, 1
	v_bfe_u32 v1, v120, 16, 1
	v_cmp_o_f32_e32 vcc_lo, v119, v119
	v_bfe_u32 v2, v117, 16, 1
	v_bfe_u32 v4, v115, 16, 1
	v_add3_u32 v0, v119, v0, 0x7fff
	v_add3_u32 v1, v120, v1, 0x7fff
	v_bfe_u32 v7, v111, 16, 1
	v_add3_u32 v2, v117, v2, 0x7fff
	v_bfe_u32 v6, v112, 16, 1
	v_lshrrev_b32_e32 v0, 16, v0
	v_lshrrev_b32_e32 v1, 16, v1
	v_add3_u32 v4, v115, v4, 0x7fff
	v_lshrrev_b32_e32 v2, 16, v2
	v_add3_u32 v7, v111, v7, 0x7fff
	v_cndmask_b32_e32 v0, 0x7fc0, v0, vcc_lo
	v_cmp_o_f32_e32 vcc_lo, v120, v120
	v_add3_u32 v6, v112, v6, 0x7fff
	v_bfe_u32 v3, v118, 16, 1
	v_bfe_u32 v10, v107, 16, 1
	;; [unrolled: 1-line block ×3, first 2 shown]
	v_cndmask_b32_e32 v5, 0x7fc0, v1, vcc_lo
	v_bfe_u32 v1, v114, 16, 1
	v_cmp_o_f32_e32 vcc_lo, v117, v117
	v_lshrrev_b32_e32 v6, 16, v6
	v_add3_u32 v3, v118, v3, 0x7fff
	v_bfe_u32 v12, v104, 16, 1
	v_add3_u32 v1, v114, v1, 0x7fff
	v_cndmask_b32_e32 v8, 0x7fc0, v2, vcc_lo
	v_cmp_o_f32_e32 vcc_lo, v114, v114
	v_lshrrev_b32_e32 v2, 16, v4
	v_lshrrev_b32_e32 v4, 16, v7
	;; [unrolled: 1-line block ×4, first 2 shown]
	v_bfe_u32 v7, v109, 16, 1
	v_add3_u32 v11, v101, v11, 0x7fff
	v_perm_b32 v0, v5, v0, 0x5040100
	v_cndmask_b32_e32 v1, 0x7fc0, v1, vcc_lo
	v_cmp_o_f32_e32 vcc_lo, v111, v111
	s_waitcnt_vscnt null, 0x0
	s_barrier
	buffer_gl0_inv
	s_mov_b32 s51, s67
	v_cndmask_b32_e32 v4, 0x7fc0, v4, vcc_lo
	v_cmp_o_f32_e32 vcc_lo, v112, v112
	s_lshl_b64 s[34:35], s[50:51], 1
	v_cndmask_b32_e32 v6, 0x7fc0, v6, vcc_lo
	v_cmp_o_f32_e32 vcc_lo, v115, v115
	v_cndmask_b32_e32 v2, 0x7fc0, v2, vcc_lo
	v_cmp_o_f32_e32 vcc_lo, v118, v118
	s_delay_alu instid0(VALU_DEP_2)
	v_perm_b32 v2, v2, v1, 0x5040100
	v_cndmask_b32_e32 v9, 0x7fc0, v3, vcc_lo
	v_perm_b32 v3, v6, v4, 0x5040100
	v_add3_u32 v6, v109, v7, 0x7fff
	v_bfe_u32 v7, v106, 16, 1
	v_cmp_o_f32_e32 vcc_lo, v109, v109
	v_perm_b32 v1, v9, v8, 0x5040100
	v_add3_u32 v8, v107, v10, 0x7fff
	v_lshrrev_b32_e32 v6, 16, v6
	v_add3_u32 v7, v106, v7, 0x7fff
	v_bfe_u32 v10, v103, 16, 1
	v_bfe_u32 v4, v110, 16, 1
	s_delay_alu instid0(VALU_DEP_4) | instskip(NEXT) | instid1(VALU_DEP_4)
	v_cndmask_b32_e32 v9, 0x7fc0, v6, vcc_lo
	v_lshrrev_b32_e32 v6, 16, v7
	v_lshrrev_b32_e32 v7, 16, v8
	v_bfe_u32 v8, v102, 16, 1
	v_cmp_o_f32_e32 vcc_lo, v106, v106
	v_add3_u32 v4, v110, v4, 0x7fff
	s_delay_alu instid0(VALU_DEP_3)
	v_add3_u32 v8, v102, v8, 0x7fff
	v_cndmask_b32_e32 v13, 0x7fc0, v6, vcc_lo
	v_cmp_o_f32_e32 vcc_lo, v107, v107
	v_add3_u32 v6, v103, v10, 0x7fff
	v_add3_u32 v10, v104, v12, 0x7fff
	v_lshrrev_b32_e32 v4, 16, v4
	v_cndmask_b32_e32 v12, 0x7fc0, v7, vcc_lo
	v_lshrrev_b32_e32 v7, 16, v8
	v_cmp_o_f32_e32 vcc_lo, v102, v102
	v_lshrrev_b32_e32 v8, 16, v11
	v_lshrrev_b32_e32 v10, 16, v10
	;; [unrolled: 1-line block ×3, first 2 shown]
	v_perm_b32 v5, v12, v13, 0x5040100
	v_cndmask_b32_e32 v11, 0x7fc0, v7, vcc_lo
	v_cmp_o_f32_e32 vcc_lo, v101, v101
	v_cndmask_b32_e32 v7, 0x7fc0, v8, vcc_lo
	v_cmp_o_f32_e32 vcc_lo, v104, v104
	;; [unrolled: 2-line block ×3, first 2 shown]
	s_delay_alu instid0(VALU_DEP_2) | instskip(SKIP_2) | instid1(VALU_DEP_2)
	v_perm_b32 v7, v8, v7, 0x5040100
	v_cndmask_b32_e32 v6, 0x7fc0, v6, vcc_lo
	v_cmp_o_f32_e32 vcc_lo, v110, v110
	v_perm_b32 v6, v6, v11, 0x5040100
	v_cndmask_b32_e32 v4, 0x7fc0, v4, vcc_lo
	s_delay_alu instid0(VALU_DEP_1)
	v_perm_b32 v4, v4, v9, 0x5040100
	ds_store_b128 v52, v[0:3]
	ds_store_b128 v52, v[4:7] offset:16
	; wave barrier
	ds_load_u16 v16, v37 offset:64
	ds_load_u16 v15, v38 offset:128
	;; [unrolled: 1-line block ×15, first 2 shown]
	v_add_co_u32 v0, vcc_lo, v72, s34
	v_add_co_ci_u32_e32 v1, vcc_lo, s35, v73, vcc_lo
	s_and_saveexec_b32 s29, s13
	s_cbranch_execnz .LBB61_271
; %bb.205:                              ;   in Loop: Header=BB61_12 Depth=1
	s_or_b32 exec_lo, exec_lo, s29
	s_and_saveexec_b32 s29, s14
	s_cbranch_execnz .LBB61_272
.LBB61_206:                             ;   in Loop: Header=BB61_12 Depth=1
	s_or_b32 exec_lo, exec_lo, s29
	s_and_saveexec_b32 s29, s15
	s_cbranch_execnz .LBB61_273
.LBB61_207:                             ;   in Loop: Header=BB61_12 Depth=1
	s_or_b32 exec_lo, exec_lo, s29
	s_and_saveexec_b32 s29, s16
	s_cbranch_execnz .LBB61_274
.LBB61_208:                             ;   in Loop: Header=BB61_12 Depth=1
	s_or_b32 exec_lo, exec_lo, s29
	s_and_saveexec_b32 s29, s17
	s_cbranch_execnz .LBB61_275
.LBB61_209:                             ;   in Loop: Header=BB61_12 Depth=1
	s_or_b32 exec_lo, exec_lo, s29
	s_and_saveexec_b32 s29, s18
	s_cbranch_execnz .LBB61_276
.LBB61_210:                             ;   in Loop: Header=BB61_12 Depth=1
	s_or_b32 exec_lo, exec_lo, s29
	s_and_saveexec_b32 s29, s19
	s_cbranch_execnz .LBB61_277
.LBB61_211:                             ;   in Loop: Header=BB61_12 Depth=1
	s_or_b32 exec_lo, exec_lo, s29
	s_and_saveexec_b32 s29, s20
	s_cbranch_execnz .LBB61_278
.LBB61_212:                             ;   in Loop: Header=BB61_12 Depth=1
	s_or_b32 exec_lo, exec_lo, s29
	s_and_saveexec_b32 s29, s21
	s_cbranch_execnz .LBB61_279
.LBB61_213:                             ;   in Loop: Header=BB61_12 Depth=1
	s_or_b32 exec_lo, exec_lo, s29
	s_and_saveexec_b32 s29, s22
	s_cbranch_execnz .LBB61_280
.LBB61_214:                             ;   in Loop: Header=BB61_12 Depth=1
	s_or_b32 exec_lo, exec_lo, s29
	s_and_saveexec_b32 s29, s23
	s_cbranch_execnz .LBB61_281
.LBB61_215:                             ;   in Loop: Header=BB61_12 Depth=1
	s_or_b32 exec_lo, exec_lo, s29
	s_and_saveexec_b32 s29, s24
	s_cbranch_execnz .LBB61_282
.LBB61_216:                             ;   in Loop: Header=BB61_12 Depth=1
	s_or_b32 exec_lo, exec_lo, s29
	s_and_saveexec_b32 s29, s25
	s_cbranch_execnz .LBB61_283
.LBB61_217:                             ;   in Loop: Header=BB61_12 Depth=1
	s_or_b32 exec_lo, exec_lo, s29
	s_and_saveexec_b32 s29, s26
	s_cbranch_execnz .LBB61_284
.LBB61_218:                             ;   in Loop: Header=BB61_12 Depth=1
	s_or_b32 exec_lo, exec_lo, s29
	s_and_saveexec_b32 s29, s27
	s_cbranch_execnz .LBB61_285
.LBB61_219:                             ;   in Loop: Header=BB61_12 Depth=1
	s_or_b32 exec_lo, exec_lo, s29
	s_and_saveexec_b32 s29, s28
	s_cbranch_execz .LBB61_221
.LBB61_220:                             ;   in Loop: Header=BB61_12 Depth=1
	s_waitcnt lgkmcnt(0)
	global_store_b16 v[0:1], v2, off offset:960
.LBB61_221:                             ;   in Loop: Header=BB61_12 Depth=1
	s_or_b32 exec_lo, exec_lo, s29
	v_add_co_u32 v0, vcc_lo, v74, s34
	v_add_co_ci_u32_e32 v1, vcc_lo, s35, v75, vcc_lo
	s_waitcnt lgkmcnt(0)
	v_dual_mov_b32 v2, 0 :: v_dual_mov_b32 v3, 0
	s_waitcnt_vscnt null, 0x0
	s_barrier
	buffer_gl0_inv
	s_and_saveexec_b32 s29, s13
	s_cbranch_execz .LBB61_223
; %bb.222:                              ;   in Loop: Header=BB61_12 Depth=1
	global_load_u16 v3, v[0:1], off
.LBB61_223:                             ;   in Loop: Header=BB61_12 Depth=1
	s_or_b32 exec_lo, exec_lo, s29
	s_and_saveexec_b32 s29, s14
	s_cbranch_execz .LBB61_225
; %bb.224:                              ;   in Loop: Header=BB61_12 Depth=1
	global_load_u16 v2, v[0:1], off offset:64
.LBB61_225:                             ;   in Loop: Header=BB61_12 Depth=1
	s_or_b32 exec_lo, exec_lo, s29
	v_dual_mov_b32 v4, 0 :: v_dual_mov_b32 v5, 0
	s_and_saveexec_b32 s29, s15
	s_cbranch_execz .LBB61_227
; %bb.226:                              ;   in Loop: Header=BB61_12 Depth=1
	global_load_u16 v5, v[0:1], off offset:128
.LBB61_227:                             ;   in Loop: Header=BB61_12 Depth=1
	s_or_b32 exec_lo, exec_lo, s29
	s_and_saveexec_b32 s29, s16
	s_cbranch_execz .LBB61_229
; %bb.228:                              ;   in Loop: Header=BB61_12 Depth=1
	global_load_u16 v4, v[0:1], off offset:192
.LBB61_229:                             ;   in Loop: Header=BB61_12 Depth=1
	s_or_b32 exec_lo, exec_lo, s29
	v_dual_mov_b32 v6, 0 :: v_dual_mov_b32 v7, 0
	s_and_saveexec_b32 s29, s17
	s_cbranch_execz .LBB61_231
; %bb.230:                              ;   in Loop: Header=BB61_12 Depth=1
	global_load_u16 v7, v[0:1], off offset:256
.LBB61_231:                             ;   in Loop: Header=BB61_12 Depth=1
	;; [unrolled: 13-line block ×7, first 2 shown]
	s_or_b32 exec_lo, exec_lo, s29
	s_and_saveexec_b32 s29, s28
	s_cbranch_execz .LBB61_253
; %bb.252:                              ;   in Loop: Header=BB61_12 Depth=1
	global_load_u16 v16, v[0:1], off offset:960
.LBB61_253:                             ;   in Loop: Header=BB61_12 Depth=1
	s_or_b32 exec_lo, exec_lo, s29
	s_waitcnt vmcnt(0)
	ds_store_b16 v37, v3
	ds_store_b16 v37, v2 offset:64
	ds_store_b16 v38, v5 offset:128
	;; [unrolled: 1-line block ×15, first 2 shown]
	; wave barrier
	ds_load_b128 v[4:7], v52
	ds_load_b128 v[0:3], v52 offset:16
	s_waitcnt lgkmcnt(0)
	s_barrier
	buffer_gl0_inv
	v_and_b32_e32 v8, 0xffff0000, v4
	v_and_b32_e32 v15, 0xffff0000, v5
	;; [unrolled: 1-line block ×3, first 2 shown]
	v_lshlrev_b32_e32 v5, 16, v5
	s_delay_alu instid0(VALU_DEP_4) | instskip(NEXT) | instid1(VALU_DEP_3)
	v_mul_f32_e32 v9, 0xbfb8aa3b, v8
	v_mul_f32_e32 v17, 0xbfb8aa3b, v16
	s_delay_alu instid0(VALU_DEP_3) | instskip(NEXT) | instid1(VALU_DEP_3)
	v_cmp_nlt_f32_e64 s30, 0x42ce8ed0, v5
	v_fma_f32 v11, 0xbfb8aa3b, v8, -v9
	v_rndne_f32_e32 v12, v9
	s_delay_alu instid0(VALU_DEP_4) | instskip(NEXT) | instid1(VALU_DEP_3)
	v_rndne_f32_e32 v100, v17
	v_fmac_f32_e32 v11, 0xb2a5705f, v8
	s_delay_alu instid0(VALU_DEP_3) | instskip(SKIP_1) | instid1(VALU_DEP_2)
	v_sub_f32_e32 v9, v9, v12
	v_cvt_i32_f32_e32 v12, v12
	v_add_f32_e32 v9, v9, v11
	v_cmp_nlt_f32_e32 vcc_lo, 0x42ce8ed0, v8
	v_lshlrev_b32_e32 v11, 16, v6
	s_delay_alu instid0(VALU_DEP_3) | instskip(SKIP_2) | instid1(VALU_DEP_1)
	v_exp_f32_e32 v9, v9
	s_waitcnt_depctr 0xfff
	v_ldexp_f32 v9, v9, v12
	v_dual_cndmask_b32 v9, 0, v9 :: v_dual_lshlrev_b32 v4, 16, v4
	s_delay_alu instid0(VALU_DEP_1) | instskip(SKIP_1) | instid1(VALU_DEP_2)
	v_mul_f32_e32 v10, 0xbfb8aa3b, v4
	v_cmp_nlt_f32_e32 vcc_lo, 0x42ce8ed0, v4
	v_rndne_f32_e32 v13, v10
	v_fma_f32 v14, 0xbfb8aa3b, v4, -v10
	s_delay_alu instid0(VALU_DEP_2) | instskip(NEXT) | instid1(VALU_DEP_2)
	v_sub_f32_e32 v10, v10, v13
	v_fmac_f32_e32 v14, 0xb2a5705f, v4
	v_cvt_i32_f32_e32 v13, v13
	s_delay_alu instid0(VALU_DEP_2) | instskip(SKIP_2) | instid1(VALU_DEP_3)
	v_add_f32_e32 v6, v10, v14
	v_mul_f32_e32 v14, 0xbfb8aa3b, v5
	v_mul_f32_e32 v10, 0xbfb8aa3b, v15
	v_exp_f32_e32 v6, v6
	s_delay_alu instid0(VALU_DEP_1) | instskip(SKIP_1) | instid1(VALU_DEP_2)
	v_fma_f32 v94, 0xbfb8aa3b, v15, -v10
	v_rndne_f32_e32 v95, v10
	v_fmac_f32_e32 v94, 0xb2a5705f, v15
	s_waitcnt_depctr 0xfff
	v_ldexp_f32 v6, v6, v13
	v_mul_f32_e32 v13, 0xbfb8aa3b, v11
	v_rndne_f32_e32 v96, v14
	v_fma_f32 v97, 0xbfb8aa3b, v5, -v14
	v_sub_f32_e32 v10, v10, v95
	v_cndmask_b32_e32 v6, 0, v6, vcc_lo
	v_cmp_ngt_f32_e32 vcc_lo, 0xc2b17218, v8
	s_delay_alu instid0(VALU_DEP_4) | instskip(SKIP_4) | instid1(VALU_DEP_2)
	v_dual_sub_f32 v12, v14, v96 :: v_dual_fmac_f32 v97, 0xb2a5705f, v5
	v_cvt_i32_f32_e32 v95, v95
	v_cvt_i32_f32_e32 v96, v96
	v_cndmask_b32_e32 v9, 0x7f800000, v9, vcc_lo
	v_cmp_ngt_f32_e32 vcc_lo, 0xc2b17218, v4
	v_dual_add_f32 v9, 1.0, v9 :: v_dual_cndmask_b32 v6, 0x7f800000, v6
	v_cmp_nlt_f32_e32 vcc_lo, 0x42ce8ed0, v15
	s_delay_alu instid0(VALU_DEP_2) | instskip(NEXT) | instid1(VALU_DEP_3)
	v_div_scale_f32 v14, null, v9, v9, v8
	v_add_f32_e32 v6, 1.0, v6
	s_delay_alu instid0(VALU_DEP_2) | instskip(NEXT) | instid1(VALU_DEP_1)
	v_rcp_f32_e32 v98, v14
	v_div_scale_f32 v113, s29, v4, v6, v4
	v_add_f32_e32 v12, v12, v97
	v_fma_f32 v97, 0xbfb8aa3b, v16, -v17
	v_dual_add_f32 v10, v10, v94 :: v_dual_sub_f32 v17, v17, v100
	v_div_scale_f32 v94, null, v6, v6, v4
	s_delay_alu instid0(VALU_DEP_3) | instskip(NEXT) | instid1(VALU_DEP_3)
	v_fmac_f32_e32 v97, 0xb2a5705f, v16
	v_exp_f32_e32 v10, v10
	v_cvt_i32_f32_e32 v100, v100
	s_delay_alu instid0(VALU_DEP_3) | instskip(NEXT) | instid1(VALU_DEP_2)
	v_rcp_f32_e32 v99, v94
	v_add_f32_e32 v17, v17, v97
	s_waitcnt_depctr 0xfff
	v_ldexp_f32 v10, v10, v95
	v_rndne_f32_e32 v95, v13
	v_fma_f32 v105, -v94, v99, 1.0
	s_delay_alu instid0(VALU_DEP_1) | instskip(NEXT) | instid1(VALU_DEP_1)
	v_fmac_f32_e32 v99, v105, v99
	v_mul_f32_e32 v105, v113, v99
	v_exp_f32_e32 v12, v12
	s_delay_alu instid0(VALU_DEP_1) | instskip(SKIP_2) | instid1(VALU_DEP_3)
	v_fma_f32 v121, -v94, v105, v113
	v_cndmask_b32_e32 v10, 0, v10, vcc_lo
	v_div_scale_f32 v108, vcc_lo, v8, v9, v8
	v_fmac_f32_e32 v105, v121, v99
	s_waitcnt_depctr 0xfff
	v_ldexp_f32 v12, v12, v96
	v_fma_f32 v96, -v14, v98, 1.0
	v_fma_f32 v94, -v94, v105, v113
	s_delay_alu instid0(VALU_DEP_3) | instskip(SKIP_1) | instid1(VALU_DEP_4)
	v_cndmask_b32_e64 v12, 0, v12, s30
	v_cmp_ngt_f32_e64 s30, 0xc2b17218, v15
	v_fmac_f32_e32 v98, v96, v98
	s_delay_alu instid0(VALU_DEP_2) | instskip(SKIP_1) | instid1(VALU_DEP_2)
	v_cndmask_b32_e64 v10, 0x7f800000, v10, s30
	v_cmp_ngt_f32_e64 s30, 0xc2b17218, v5
	v_add_f32_e32 v10, 1.0, v10
	s_delay_alu instid0(VALU_DEP_2) | instskip(SKIP_1) | instid1(VALU_DEP_3)
	v_cndmask_b32_e64 v12, 0x7f800000, v12, s30
	v_cmp_nlt_f32_e64 s30, 0x42ce8ed0, v16
	v_div_scale_f32 v122, null, v10, v10, v15
	s_delay_alu instid0(VALU_DEP_1) | instskip(SKIP_1) | instid1(VALU_DEP_1)
	v_rcp_f32_e32 v121, v122
	v_mul_f32_e32 v96, v108, v98
	v_fma_f32 v116, -v14, v96, v108
	s_delay_alu instid0(VALU_DEP_1) | instskip(NEXT) | instid1(VALU_DEP_1)
	v_fmac_f32_e32 v96, v116, v98
	v_fma_f32 v14, -v14, v96, v108
	v_sub_f32_e32 v108, v13, v95
	v_fma_f32 v13, 0xbfb8aa3b, v11, -v13
	v_add_f32_e32 v12, 1.0, v12
	v_cvt_i32_f32_e32 v95, v95
	v_div_fmas_f32 v14, v14, v98, v96
	s_mov_b32 vcc_lo, s29
	v_fmac_f32_e32 v13, 0xb2a5705f, v11
	v_div_scale_f32 v116, null, v12, v12, v5
	v_div_fmas_f32 v94, v94, v99, v105
	v_div_fixup_f32 v8, v14, v9, v8
	v_fma_f32 v9, -v122, v121, 1.0
	s_delay_alu instid0(VALU_DEP_4) | instskip(SKIP_2) | instid1(VALU_DEP_3)
	v_rcp_f32_e32 v96, v116
	v_div_scale_f32 v98, s29, v5, v12, v5
	v_div_fixup_f32 v4, v94, v6, v4
	v_fmac_f32_e32 v121, v9, v121
	s_delay_alu instid0(VALU_DEP_2)
	v_mul_f32_e32 v9, v119, v4
	v_div_scale_f32 v6, vcc_lo, v15, v10, v15
	s_waitcnt_depctr 0xfff
	v_fma_f32 v14, -v116, v96, 1.0
	v_exp_f32_e32 v4, v17
	v_bfe_u32 v97, v9, 16, 1
	s_delay_alu instid0(VALU_DEP_2) | instskip(NEXT) | instid1(VALU_DEP_2)
	v_fmac_f32_e32 v96, v14, v96
	v_add3_u32 v14, v9, v97, 0x7fff
	s_delay_alu instid0(VALU_DEP_2) | instskip(SKIP_2) | instid1(VALU_DEP_4)
	v_mul_f32_e32 v97, v98, v96
	v_add_f32_e32 v13, v108, v13
	v_mul_f32_e32 v94, v6, v121
	v_lshrrev_b32_e32 v14, 16, v14
	s_delay_alu instid0(TRANS32_DEP_1) | instskip(NEXT) | instid1(VALU_DEP_4)
	v_ldexp_f32 v4, v4, v100
	v_exp_f32_e32 v13, v13
	s_delay_alu instid0(VALU_DEP_3) | instskip(NEXT) | instid1(VALU_DEP_2)
	v_fma_f32 v99, -v122, v94, v6
	v_cndmask_b32_e64 v4, 0, v4, s30
	s_delay_alu instid0(VALU_DEP_2) | instskip(SKIP_1) | instid1(VALU_DEP_2)
	v_fmac_f32_e32 v94, v99, v121
	v_fma_f32 v99, -v116, v97, v98
	v_fma_f32 v6, -v122, v94, v6
	s_delay_alu instid0(VALU_DEP_2) | instskip(SKIP_1) | instid1(VALU_DEP_3)
	v_fmac_f32_e32 v97, v99, v96
	v_lshlrev_b32_e32 v99, 16, v7
	v_div_fmas_f32 v6, v6, v121, v94
	v_cmp_ngt_f32_e32 vcc_lo, 0xc2b17218, v16
	s_delay_alu instid0(VALU_DEP_3) | instskip(NEXT) | instid1(VALU_DEP_3)
	v_mul_f32_e32 v100, 0xbfb8aa3b, v99
	v_div_fixup_f32 v6, v6, v10, v15
	v_cndmask_b32_e32 v94, 0x7f800000, v4, vcc_lo
	v_mul_f32_e32 v8, v120, v8
	v_ldexp_f32 v10, v13, v95
	v_fma_f32 v113, 0xbfb8aa3b, v99, -v100
	s_delay_alu instid0(VALU_DEP_4) | instskip(NEXT) | instid1(VALU_DEP_4)
	v_add_f32_e32 v13, 1.0, v94
	v_bfe_u32 v17, v8, 16, 1
	v_cmp_o_f32_e32 vcc_lo, v8, v8
	s_delay_alu instid0(VALU_DEP_4) | instskip(NEXT) | instid1(VALU_DEP_4)
	v_fmac_f32_e32 v113, 0xb2a5705f, v99
	v_div_scale_f32 v15, null, v13, v13, v16
	s_delay_alu instid0(VALU_DEP_4) | instskip(SKIP_1) | instid1(VALU_DEP_2)
	v_add3_u32 v17, v8, v17, 0x7fff
	v_fma_f32 v8, -v116, v97, v98
	v_lshrrev_b32_e32 v17, 16, v17
	s_delay_alu instid0(VALU_DEP_1) | instskip(SKIP_1) | instid1(VALU_DEP_3)
	v_cndmask_b32_e32 v4, 0x7fc0, v17, vcc_lo
	s_mov_b32 vcc_lo, s29
	v_div_fmas_f32 v8, v8, v96, v97
	v_cmp_nlt_f32_e32 vcc_lo, 0x42ce8ed0, v11
	s_delay_alu instid0(VALU_DEP_2) | instskip(SKIP_3) | instid1(VALU_DEP_3)
	v_div_fixup_f32 v5, v8, v12, v5
	v_cndmask_b32_e32 v10, 0, v10, vcc_lo
	v_cmp_ngt_f32_e32 vcc_lo, 0xc2b17218, v11
	v_rcp_f32_e32 v8, v15
	v_mul_f32_e32 v12, v117, v5
	s_delay_alu instid0(VALU_DEP_3)
	v_cndmask_b32_e32 v10, 0x7f800000, v10, vcc_lo
	v_cmp_o_f32_e32 vcc_lo, v9, v9
	v_cndmask_b32_e32 v5, 0x7fc0, v14, vcc_lo
	v_and_b32_e32 v14, 0xffff0000, v7
	s_waitcnt_depctr 0xfff
	v_fma_f32 v94, -v15, v8, 1.0
	v_div_scale_f32 v7, vcc_lo, v16, v13, v16
	v_mul_f32_e32 v96, 0xbfb8aa3b, v14
	s_delay_alu instid0(VALU_DEP_3) | instskip(NEXT) | instid1(VALU_DEP_2)
	v_fmac_f32_e32 v8, v94, v8
	v_fma_f32 v97, 0xbfb8aa3b, v14, -v96
	v_rndne_f32_e32 v98, v96
	s_delay_alu instid0(VALU_DEP_3) | instskip(NEXT) | instid1(VALU_DEP_3)
	v_mul_f32_e32 v105, v7, v8
	v_fmac_f32_e32 v97, 0xb2a5705f, v14
	v_bfe_u32 v17, v12, 16, 1
	s_delay_alu instid0(VALU_DEP_3) | instskip(SKIP_1) | instid1(VALU_DEP_3)
	v_fma_f32 v116, -v15, v105, v7
	v_mul_f32_e32 v6, v118, v6
	v_add3_u32 v17, v12, v17, 0x7fff
	s_delay_alu instid0(VALU_DEP_3) | instskip(NEXT) | instid1(VALU_DEP_3)
	v_fmac_f32_e32 v105, v116, v8
	v_bfe_u32 v9, v6, 16, 1
	v_cmp_o_f32_e64 s30, v6, v6
	s_delay_alu instid0(VALU_DEP_4) | instskip(SKIP_1) | instid1(VALU_DEP_4)
	v_lshrrev_b32_e32 v17, 16, v17
	v_sub_f32_e32 v96, v96, v98
	v_add3_u32 v9, v6, v9, 0x7fff
	v_cvt_i32_f32_e32 v98, v98
	v_fma_f32 v7, -v15, v105, v7
	s_delay_alu instid0(VALU_DEP_4) | instskip(NEXT) | instid1(VALU_DEP_4)
	v_add_f32_e32 v96, v96, v97
	v_lshrrev_b32_e32 v9, 16, v9
	v_rndne_f32_e32 v97, v100
	s_delay_alu instid0(VALU_DEP_4)
	v_div_fmas_f32 v7, v7, v8, v105
	v_cmp_ngt_f32_e32 vcc_lo, 0xc2b17218, v14
	v_exp_f32_e32 v96, v96
	v_cndmask_b32_e64 v6, 0x7fc0, v9, s30
	v_cmp_nlt_f32_e64 s30, 0x42ce8ed0, v14
	v_sub_f32_e32 v100, v100, v97
	v_cvt_i32_f32_e32 v97, v97
	v_div_fixup_f32 v13, v7, v13, v16
	s_delay_alu instid0(VALU_DEP_3) | instskip(NEXT) | instid1(TRANS32_DEP_1)
	v_add_f32_e32 v100, v100, v113
	v_ldexp_f32 v9, v96, v98
	s_delay_alu instid0(VALU_DEP_2) | instskip(NEXT) | instid1(VALU_DEP_1)
	v_exp_f32_e32 v96, v100
	v_cndmask_b32_e64 v9, 0, v9, s30
	s_delay_alu instid0(VALU_DEP_1) | instskip(NEXT) | instid1(VALU_DEP_1)
	v_dual_add_f32 v10, 1.0, v10 :: v_dual_cndmask_b32 v9, 0x7f800000, v9
	v_div_scale_f32 v95, null, v10, v10, v11
	s_waitcnt_depctr 0xfff
	v_ldexp_f32 v8, v96, v97
	v_cmp_nlt_f32_e32 vcc_lo, 0x42ce8ed0, v99
	v_add_f32_e32 v9, 1.0, v9
	v_rcp_f32_e32 v94, v95
	s_delay_alu instid0(VALU_DEP_3) | instskip(SKIP_2) | instid1(VALU_DEP_1)
	v_cndmask_b32_e32 v8, 0, v8, vcc_lo
	s_waitcnt_depctr 0xfff
	v_fma_f32 v108, -v95, v94, 1.0
	v_fmac_f32_e32 v94, v108, v94
	v_div_scale_f32 v108, s29, v11, v10, v11
	s_delay_alu instid0(VALU_DEP_1) | instskip(NEXT) | instid1(VALU_DEP_1)
	s_mov_b32 vcc_lo, s29
	v_mul_f32_e32 v113, v108, v94
	v_div_scale_f32 v16, null, v9, v9, v14
	s_delay_alu instid0(VALU_DEP_2) | instskip(NEXT) | instid1(VALU_DEP_1)
	v_fma_f32 v15, -v95, v113, v108
	v_fmac_f32_e32 v113, v15, v94
	s_delay_alu instid0(VALU_DEP_1) | instskip(NEXT) | instid1(VALU_DEP_1)
	v_fma_f32 v7, -v95, v113, v108
	v_div_fmas_f32 v15, v7, v94, v113
	v_cmp_ngt_f32_e32 vcc_lo, 0xc2b17218, v99
	s_delay_alu instid0(VALU_DEP_2)
	v_div_fixup_f32 v10, v15, v10, v11
	v_cndmask_b32_e32 v8, 0x7f800000, v8, vcc_lo
	v_cmp_o_f32_e32 vcc_lo, v12, v12
	v_mul_f32_e32 v11, v115, v13
	v_rcp_f32_e32 v12, v16
	v_and_b32_e32 v13, 0xffff0000, v0
	v_dual_cndmask_b32 v7, 0x7fc0, v17 :: v_dual_lshlrev_b32 v0, 16, v0
	v_div_scale_f32 v105, vcc_lo, v14, v9, v14
	s_delay_alu instid0(VALU_DEP_3) | instskip(SKIP_3) | instid1(TRANS32_DEP_1)
	v_mul_f32_e32 v94, 0xbfb8aa3b, v13
	v_mul_f32_e32 v10, v114, v10
	v_cmp_nlt_f32_e64 s30, 0x42ce8ed0, v13
	v_bfe_u32 v15, v11, 16, 1
	v_fma_f32 v96, -v16, v12, 1.0
	v_fma_f32 v98, 0xbfb8aa3b, v13, -v94
	v_rndne_f32_e32 v100, v94
	s_delay_alu instid0(VALU_DEP_4) | instskip(NEXT) | instid1(VALU_DEP_4)
	v_add3_u32 v15, v11, v15, 0x7fff
	v_fmac_f32_e32 v12, v96, v12
	s_delay_alu instid0(VALU_DEP_4) | instskip(NEXT) | instid1(VALU_DEP_4)
	v_fmac_f32_e32 v98, 0xb2a5705f, v13
	v_sub_f32_e32 v94, v94, v100
	v_mul_f32_e32 v96, 0xbfb8aa3b, v0
	v_cvt_i32_f32_e32 v100, v100
	v_lshrrev_b32_e32 v15, 16, v15
	s_delay_alu instid0(VALU_DEP_4) | instskip(NEXT) | instid1(VALU_DEP_4)
	v_add_f32_e32 v94, v94, v98
	v_rndne_f32_e32 v98, v96
	v_fma_f32 v113, 0xbfb8aa3b, v0, -v96
	s_delay_alu instid0(VALU_DEP_1) | instskip(SKIP_1) | instid1(VALU_DEP_2)
	v_dual_sub_f32 v96, v96, v98 :: v_dual_fmac_f32 v113, 0xb2a5705f, v0
	v_cvt_i32_f32_e32 v98, v98
	v_add_f32_e32 v96, v96, v113
	s_delay_alu instid0(VALU_DEP_1) | instskip(SKIP_4) | instid1(VALU_DEP_1)
	v_exp_f32_e32 v96, v96
	s_waitcnt_depctr 0xfff
	v_ldexp_f32 v96, v96, v98
	v_and_b32_e32 v98, 0xffff0000, v1
	v_dual_mul_f32 v114, v105, v12 :: v_dual_lshlrev_b32 v1, 16, v1
	v_fma_f32 v113, -v16, v114, v105
	s_delay_alu instid0(VALU_DEP_1) | instskip(NEXT) | instid1(VALU_DEP_1)
	v_fmac_f32_e32 v114, v113, v12
	v_fma_f32 v16, -v16, v114, v105
	s_delay_alu instid0(VALU_DEP_1) | instskip(SKIP_1) | instid1(VALU_DEP_2)
	v_div_fmas_f32 v12, v16, v12, v114
	v_cmp_nlt_f32_e32 vcc_lo, 0x42ce8ed0, v0
	v_div_fixup_f32 v9, v12, v9, v14
	s_delay_alu instid0(VALU_DEP_1) | instskip(NEXT) | instid1(VALU_DEP_1)
	v_dual_add_f32 v8, 1.0, v8 :: v_dual_mul_f32 v9, v112, v9
	v_div_scale_f32 v17, null, v8, v8, v99
	v_mul_f32_e32 v112, 0xbfb8aa3b, v1
	s_delay_alu instid0(VALU_DEP_2) | instskip(NEXT) | instid1(VALU_DEP_1)
	v_rcp_f32_e32 v97, v17
	v_fma_f32 v113, 0xbfb8aa3b, v1, -v112
	s_delay_alu instid0(VALU_DEP_1) | instskip(SKIP_3) | instid1(VALU_DEP_1)
	v_fmac_f32_e32 v113, 0xb2a5705f, v1
	v_exp_f32_e32 v94, v94
	s_waitcnt_depctr 0xfff
	v_fma_f32 v108, -v17, v97, 1.0
	v_fmac_f32_e32 v97, v108, v97
	v_div_scale_f32 v108, s29, v99, v8, v99
	v_ldexp_f32 v94, v94, v100
	s_delay_alu instid0(VALU_DEP_2) | instskip(NEXT) | instid1(VALU_DEP_2)
	v_mul_f32_e32 v115, v108, v97
	v_cndmask_b32_e64 v94, 0, v94, s30
	v_cmp_ngt_f32_e64 s30, 0xc2b17218, v13
	s_delay_alu instid0(VALU_DEP_3) | instskip(NEXT) | instid1(VALU_DEP_2)
	v_fma_f32 v100, -v17, v115, v108
	v_cndmask_b32_e64 v94, 0x7f800000, v94, s30
	v_cmp_nlt_f32_e64 s30, 0x42ce8ed0, v98
	s_delay_alu instid0(VALU_DEP_3) | instskip(NEXT) | instid1(VALU_DEP_3)
	v_dual_fmac_f32 v115, v100, v97 :: v_dual_mul_f32 v100, 0xbfb8aa3b, v98
	v_add_f32_e32 v16, 1.0, v94
	v_cndmask_b32_e32 v94, 0, v96, vcc_lo
	s_delay_alu instid0(VALU_DEP_3) | instskip(SKIP_3) | instid1(VALU_DEP_3)
	v_fma_f32 v17, -v17, v115, v108
	s_mov_b32 vcc_lo, s29
	v_fma_f32 v14, 0xbfb8aa3b, v98, -v100
	v_div_scale_f32 v96, null, v16, v16, v13
	v_div_fmas_f32 v17, v17, v97, v115
	v_cmp_ngt_f32_e32 vcc_lo, 0xc2b17218, v0
	s_delay_alu instid0(VALU_DEP_4) | instskip(NEXT) | instid1(VALU_DEP_4)
	v_fmac_f32_e32 v14, 0xb2a5705f, v98
	v_rcp_f32_e32 v97, v96
	s_delay_alu instid0(VALU_DEP_3) | instskip(SKIP_2) | instid1(VALU_DEP_3)
	v_div_fixup_f32 v8, v17, v8, v99
	v_cndmask_b32_e32 v94, 0x7f800000, v94, vcc_lo
	v_cmp_o_f32_e32 vcc_lo, v11, v11
	v_mul_f32_e32 v8, v111, v8
	s_delay_alu instid0(VALU_DEP_3) | instskip(SKIP_1) | instid1(TRANS32_DEP_1)
	v_dual_add_f32 v12, 1.0, v94 :: v_dual_cndmask_b32 v11, 0x7fc0, v15
	v_rndne_f32_e32 v15, v100
	v_fma_f32 v17, -v96, v97, 1.0
	s_delay_alu instid0(VALU_DEP_2) | instskip(NEXT) | instid1(VALU_DEP_2)
	v_sub_f32_e32 v99, v100, v15
	v_fmac_f32_e32 v97, v17, v97
	v_bfe_u32 v95, v10, 16, 1
	v_cmp_o_f32_e64 s29, v10, v10
	v_cvt_i32_f32_e32 v15, v15
	v_add_f32_e32 v14, v99, v14
	v_div_scale_f32 v99, vcc_lo, v13, v16, v13
	v_add3_u32 v95, v10, v95, 0x7fff
	v_bfe_u32 v100, v8, 16, 1
	s_delay_alu instid0(VALU_DEP_4) | instskip(NEXT) | instid1(VALU_DEP_3)
	v_exp_f32_e32 v14, v14
	v_mul_f32_e32 v105, v99, v97
	v_div_scale_f32 v94, null, v12, v12, v0
	v_lshrrev_b32_e32 v95, 16, v95
	v_add3_u32 v100, v8, v100, 0x7fff
	s_delay_alu instid0(VALU_DEP_4) | instskip(NEXT) | instid1(VALU_DEP_4)
	v_fma_f32 v111, -v96, v105, v99
	v_rcp_f32_e32 v17, v94
	s_delay_alu instid0(VALU_DEP_3) | instskip(NEXT) | instid1(TRANS32_DEP_2)
	v_cndmask_b32_e64 v10, 0x7fc0, v95, s29
	v_ldexp_f32 v14, v14, v15
	v_div_scale_f32 v15, s29, v0, v12, v0
	v_fmac_f32_e32 v105, v111, v97
	v_bfe_u32 v95, v9, 16, 1
	s_delay_alu instid0(VALU_DEP_4) | instskip(SKIP_1) | instid1(TRANS32_DEP_1)
	v_cndmask_b32_e64 v14, 0, v14, s30
	v_cmp_ngt_f32_e64 s30, 0xc2b17218, v98
	v_fma_f32 v108, -v94, v17, 1.0
	v_fma_f32 v96, -v96, v105, v99
	v_add3_u32 v95, v9, v95, 0x7fff
	s_delay_alu instid0(VALU_DEP_4) | instskip(NEXT) | instid1(VALU_DEP_4)
	v_cndmask_b32_e64 v14, 0x7f800000, v14, s30
	v_fmac_f32_e32 v17, v108, v17
	v_rndne_f32_e32 v108, v112
	v_div_fmas_f32 v96, v96, v97, v105
	s_mov_b32 vcc_lo, s29
	v_add_f32_e32 v14, 1.0, v14
	v_mul_f32_e32 v114, v15, v17
	v_sub_f32_e32 v112, v112, v108
	v_div_fixup_f32 v13, v96, v16, v13
	v_lshrrev_b32_e32 v16, 16, v95
	v_cmp_o_f32_e64 s29, v9, v9
	v_fma_f32 v111, -v94, v114, v15
	v_add_f32_e32 v112, v112, v113
	s_delay_alu instid0(VALU_DEP_3) | instskip(NEXT) | instid1(VALU_DEP_3)
	v_cndmask_b32_e64 v9, 0x7fc0, v16, s29
	v_fmac_f32_e32 v114, v111, v17
	s_delay_alu instid0(VALU_DEP_3) | instskip(SKIP_2) | instid1(VALU_DEP_3)
	v_exp_f32_e32 v99, v112
	v_div_scale_f32 v111, null, v14, v14, v98
	v_cmp_o_f32_e64 s29, v8, v8
	v_fma_f32 v15, -v94, v114, v15
	v_cvt_i32_f32_e32 v94, v108
	s_delay_alu instid0(VALU_DEP_4) | instskip(NEXT) | instid1(VALU_DEP_2)
	v_rcp_f32_e32 v97, v111
	v_div_fmas_f32 v15, v15, v17, v114
	s_delay_alu instid0(TRANS32_DEP_2) | instid1(VALU_DEP_2)
	v_ldexp_f32 v17, v99, v94
	v_cmp_nlt_f32_e32 vcc_lo, 0x42ce8ed0, v1
	v_lshrrev_b32_e32 v94, 16, v100
	v_and_b32_e32 v100, 0xffff0000, v2
	v_div_fixup_f32 v0, v15, v12, v0
	v_mul_f32_e32 v12, v110, v13
	v_cndmask_b32_e32 v13, 0, v17, vcc_lo
	v_cmp_ngt_f32_e32 vcc_lo, 0xc2b17218, v1
	v_fma_f32 v15, -v111, v97, 1.0
	v_mul_f32_e32 v0, v109, v0
	v_bfe_u32 v17, v12, 16, 1
	v_cndmask_b32_e64 v8, 0x7fc0, v94, s29
	v_cndmask_b32_e32 v13, 0x7f800000, v13, vcc_lo
	v_fmac_f32_e32 v97, v15, v97
	v_div_scale_f32 v15, vcc_lo, v98, v14, v98
	v_add3_u32 v17, v12, v17, 0x7fff
	s_delay_alu instid0(VALU_DEP_4) | instskip(SKIP_1) | instid1(VALU_DEP_4)
	v_add_f32_e32 v13, 1.0, v13
	v_bfe_u32 v16, v0, 16, 1
	v_mul_f32_e32 v95, v15, v97
	v_cmp_o_f32_e64 s29, v12, v12
	v_lshrrev_b32_e32 v17, 16, v17
	v_div_scale_f32 v96, null, v13, v13, v1
	s_delay_alu instid0(VALU_DEP_4) | instskip(SKIP_1) | instid1(VALU_DEP_4)
	v_fma_f32 v94, -v111, v95, v15
	v_add3_u32 v16, v0, v16, 0x7fff
	v_cndmask_b32_e64 v12, 0x7fc0, v17, s29
	s_delay_alu instid0(VALU_DEP_4) | instskip(SKIP_4) | instid1(VALU_DEP_3)
	v_rcp_f32_e32 v99, v96
	v_cmp_o_f32_e64 s29, v0, v0
	v_fmac_f32_e32 v95, v94, v97
	v_mul_f32_e32 v17, 0xbfb8aa3b, v100
	v_lshrrev_b32_e32 v16, 16, v16
	v_fma_f32 v0, -v111, v95, v15
	s_delay_alu instid0(VALU_DEP_3) | instskip(SKIP_1) | instid1(TRANS32_DEP_1)
	v_fma_f32 v94, 0xbfb8aa3b, v100, -v17
	v_rndne_f32_e32 v105, v17
	v_fma_f32 v15, -v96, v99, 1.0
	v_cndmask_b32_e64 v16, 0x7fc0, v16, s29
	v_div_fmas_f32 v0, v0, v97, v95
	v_div_scale_f32 v95, vcc_lo, v1, v13, v1
	s_delay_alu instid0(VALU_DEP_4) | instskip(SKIP_3) | instid1(VALU_DEP_4)
	v_dual_fmac_f32 v99, v15, v99 :: v_dual_fmac_f32 v94, 0xb2a5705f, v100
	v_sub_f32_e32 v17, v17, v105
	v_cvt_i32_f32_e32 v105, v105
	v_cmp_nlt_f32_e64 s29, 0x42ce8ed0, v100
	v_mul_f32_e32 v97, v95, v99
	v_div_fixup_f32 v0, v0, v14, v98
	v_dual_add_f32 v17, v17, v94 :: v_dual_and_b32 v98, 0xffff0000, v3
	v_lshlrev_b32_e32 v3, 16, v3
	s_delay_alu instid0(VALU_DEP_4) | instskip(NEXT) | instid1(VALU_DEP_4)
	v_fma_f32 v108, -v96, v97, v95
	v_mul_f32_e32 v0, v107, v0
	s_delay_alu instid0(VALU_DEP_4) | instskip(SKIP_1) | instid1(VALU_DEP_3)
	v_exp_f32_e32 v17, v17
	v_mul_f32_e32 v109, 0xbfb8aa3b, v98
	v_fmac_f32_e32 v97, v108, v99
	s_delay_alu instid0(VALU_DEP_2) | instskip(NEXT) | instid1(VALU_DEP_2)
	v_rndne_f32_e32 v108, v109
	v_fma_f32 v95, -v96, v97, v95
	s_waitcnt_depctr 0xfff
	v_ldexp_f32 v17, v17, v105
	v_mul_f32_e32 v105, 0xbfb8aa3b, v3
	v_div_fmas_f32 v95, v95, v99, v97
	s_delay_alu instid0(VALU_DEP_3) | instskip(SKIP_1) | instid1(VALU_DEP_4)
	v_cndmask_b32_e64 v17, 0, v17, s29
	v_cmp_ngt_f32_e64 s29, 0xc2b17218, v100
	v_rndne_f32_e32 v110, v105
	s_delay_alu instid0(VALU_DEP_4)
	v_div_fixup_f32 v1, v95, v13, v1
	v_lshlrev_b32_e32 v2, 16, v2
	v_fma_f32 v111, 0xbfb8aa3b, v3, -v105
	v_cndmask_b32_e64 v17, 0x7f800000, v17, s29
	v_sub_f32_e32 v105, v105, v110
	v_mul_f32_e32 v1, v106, v1
	v_mul_f32_e32 v15, 0xbfb8aa3b, v2
	v_fmac_f32_e32 v111, 0xb2a5705f, v3
	v_add_f32_e32 v17, 1.0, v17
	v_cmp_nlt_f32_e64 s29, 0x42ce8ed0, v2
	v_bfe_u32 v116, v1, 16, 1
	v_rndne_f32_e32 v14, v15
	v_fma_f32 v94, 0xbfb8aa3b, v2, -v15
	v_div_scale_f32 v99, vcc_lo, v100, v17, v100
	s_delay_alu instid0(VALU_DEP_3) | instskip(NEXT) | instid1(VALU_DEP_3)
	v_sub_f32_e32 v15, v15, v14
	v_fmac_f32_e32 v94, 0xb2a5705f, v2
	v_cvt_i32_f32_e32 v14, v14
	s_delay_alu instid0(VALU_DEP_2) | instskip(SKIP_2) | instid1(VALU_DEP_3)
	v_add_f32_e32 v15, v15, v94
	v_fma_f32 v94, 0xbfb8aa3b, v98, -v109
	v_sub_f32_e32 v109, v109, v108
	v_exp_f32_e32 v15, v15
	s_delay_alu instid0(VALU_DEP_2)
	v_fmac_f32_e32 v94, 0xb2a5705f, v98
	s_waitcnt_depctr 0xfff
	v_ldexp_f32 v14, v15, v14
	v_add_f32_e32 v15, v109, v94
	v_add_f32_e32 v94, v105, v111
	v_cvt_i32_f32_e32 v105, v108
	v_div_scale_f32 v108, null, v17, v17, v100
	v_cvt_i32_f32_e32 v109, v110
	s_delay_alu instid0(VALU_DEP_4) | instskip(SKIP_1) | instid1(VALU_DEP_2)
	v_exp_f32_e32 v94, v94
	v_exp_f32_e32 v15, v15
	v_rcp_f32_e32 v96, v108
	v_cndmask_b32_e64 v14, 0, v14, s29
	v_cmp_ngt_f32_e64 s29, 0xc2b17218, v2
	s_delay_alu instid0(VALU_DEP_1) | instskip(NEXT) | instid1(TRANS32_DEP_3)
	v_cndmask_b32_e64 v14, 0x7f800000, v14, s29
	v_ldexp_f32 v94, v94, v109
	s_waitcnt_depctr 0xfff
	v_ldexp_f32 v15, v15, v105
	v_fma_f32 v109, -v108, v96, 1.0
	s_delay_alu instid0(VALU_DEP_1) | instskip(NEXT) | instid1(VALU_DEP_1)
	v_fmac_f32_e32 v96, v109, v96
	v_mul_f32_e32 v13, v99, v96
	s_delay_alu instid0(VALU_DEP_1) | instskip(NEXT) | instid1(VALU_DEP_1)
	v_fma_f32 v113, -v108, v13, v99
	v_fmac_f32_e32 v13, v113, v96
	v_cmp_nlt_f32_e64 s29, 0x42ce8ed0, v98
	s_delay_alu instid0(VALU_DEP_2) | instskip(NEXT) | instid1(VALU_DEP_2)
	v_fma_f32 v99, -v108, v13, v99
	v_cndmask_b32_e64 v15, 0, v15, s29
	v_cmp_nlt_f32_e64 s29, 0x42ce8ed0, v3
	s_delay_alu instid0(VALU_DEP_1) | instskip(SKIP_1) | instid1(VALU_DEP_1)
	v_cndmask_b32_e64 v94, 0, v94, s29
	v_cmp_ngt_f32_e64 s29, 0xc2b17218, v98
	v_cndmask_b32_e64 v15, 0x7f800000, v15, s29
	v_cmp_ngt_f32_e64 s29, 0xc2b17218, v3
	s_delay_alu instid0(VALU_DEP_2) | instskip(NEXT) | instid1(VALU_DEP_2)
	v_add_f32_e32 v15, 1.0, v15
	v_cndmask_b32_e64 v94, 0x7f800000, v94, s29
	s_delay_alu instid0(VALU_DEP_2) | instskip(NEXT) | instid1(VALU_DEP_2)
	v_div_scale_f32 v97, null, v15, v15, v98
	v_add_f32_e32 v94, 1.0, v94
	s_delay_alu instid0(VALU_DEP_2) | instskip(NEXT) | instid1(VALU_DEP_1)
	v_rcp_f32_e32 v111, v97
	v_div_scale_f32 v112, null, v94, v94, v3
	s_delay_alu instid0(VALU_DEP_1) | instskip(SKIP_2) | instid1(VALU_DEP_1)
	v_rcp_f32_e32 v95, v112
	s_waitcnt_depctr 0xfff
	v_fma_f32 v115, -v112, v95, 1.0
	v_fmac_f32_e32 v95, v115, v95
	v_div_scale_f32 v115, s31, v3, v94, v3
	v_add_f32_e32 v14, 1.0, v14
	s_delay_alu instid0(VALU_DEP_1) | instskip(SKIP_1) | instid1(VALU_DEP_2)
	v_div_scale_f32 v105, null, v14, v14, v2
	v_div_scale_f32 v107, s29, v2, v14, v2
	v_rcp_f32_e32 v110, v105
	s_waitcnt_depctr 0xfff
	v_fma_f32 v109, -v105, v110, 1.0
	s_delay_alu instid0(VALU_DEP_1) | instskip(SKIP_1) | instid1(VALU_DEP_1)
	v_fmac_f32_e32 v110, v109, v110
	v_fma_f32 v109, -v97, v111, 1.0
	v_dual_mul_f32 v114, v107, v110 :: v_dual_fmac_f32 v111, v109, v111
	v_div_scale_f32 v109, s30, v98, v15, v98
	s_delay_alu instid0(VALU_DEP_2) | instskip(NEXT) | instid1(VALU_DEP_2)
	v_fma_f32 v113, -v105, v114, v107
	v_mul_f32_e32 v117, v109, v111
	s_delay_alu instid0(VALU_DEP_2) | instskip(NEXT) | instid1(VALU_DEP_2)
	v_dual_fmac_f32 v114, v113, v110 :: v_dual_mul_f32 v113, v115, v95
	v_fma_f32 v108, -v97, v117, v109
	s_delay_alu instid0(VALU_DEP_1) | instskip(SKIP_1) | instid1(VALU_DEP_4)
	v_fmac_f32_e32 v117, v108, v111
	v_div_fmas_f32 v13, v99, v96, v13
	v_fma_f32 v96, -v105, v114, v107
	s_mov_b32 vcc_lo, s29
	v_fma_f32 v99, -v112, v113, v115
	s_delay_alu instid0(VALU_DEP_3)
	v_div_fixup_f32 v13, v13, v17, v100
	v_fma_f32 v17, -v97, v117, v109
	v_div_fmas_f32 v96, v96, v110, v114
	s_mov_b32 vcc_lo, s30
	v_fmac_f32_e32 v113, v99, v95
	v_mul_f32_e32 v13, v103, v13
	v_div_fmas_f32 v17, v17, v111, v117
	v_div_fixup_f32 v2, v96, v14, v2
	s_mov_b32 vcc_lo, s31
	v_fma_f32 v14, -v112, v113, v115
	v_add3_u32 v99, v1, v116, 0x7fff
	v_div_fixup_f32 v15, v17, v15, v98
	v_mul_f32_e32 v2, v102, v2
	v_bfe_u32 v17, v13, 16, 1
	v_div_fmas_f32 v14, v14, v95, v113
	s_delay_alu instid0(VALU_DEP_4) | instskip(SKIP_2) | instid1(VALU_DEP_4)
	v_mul_f32_e32 v15, v104, v15
	v_bfe_u32 v106, v0, 16, 1
	v_cmp_o_f32_e32 vcc_lo, v0, v0
	v_div_fixup_f32 v3, v14, v94, v3
	v_lshrrev_b32_e32 v14, 16, v99
	v_bfe_u32 v94, v2, 16, 1
	v_add3_u32 v106, v0, v106, 0x7fff
	v_add3_u32 v0, v13, v17, 0x7fff
	v_mul_f32_e32 v3, v101, v3
	s_delay_alu instid0(VALU_DEP_4) | instskip(NEXT) | instid1(VALU_DEP_4)
	v_add3_u32 v17, v2, v94, 0x7fff
	v_lshrrev_b32_e32 v95, 16, v106
	v_bfe_u32 v94, v15, 16, 1
	v_lshrrev_b32_e32 v0, 16, v0
	v_bfe_u32 v96, v3, 16, 1
	v_lshrrev_b32_e32 v17, 16, v17
	v_cndmask_b32_e32 v95, 0x7fc0, v95, vcc_lo
	v_cmp_o_f32_e32 vcc_lo, v1, v1
	v_add3_u32 v1, v15, v94, 0x7fff
	v_add3_u32 v94, v3, v96, 0x7fff
	v_cndmask_b32_e32 v14, 0x7fc0, v14, vcc_lo
	v_cmp_o_f32_e32 vcc_lo, v13, v13
	v_cndmask_b32_e32 v13, 0x7fc0, v0, vcc_lo
	v_cmp_o_f32_e32 vcc_lo, v2, v2
	v_lshrrev_b32_e32 v0, 16, v1
	v_lshrrev_b32_e32 v1, 16, v94
	v_perm_b32 v2, v11, v10, 0x5040100
	v_cndmask_b32_e32 v17, 0x7fc0, v17, vcc_lo
	v_cmp_o_f32_e32 vcc_lo, v15, v15
	v_cndmask_b32_e32 v15, 0x7fc0, v0, vcc_lo
	v_cmp_o_f32_e32 vcc_lo, v3, v3
	v_perm_b32 v3, v9, v8, 0x5040100
	v_perm_b32 v0, v4, v5, 0x5040100
	;; [unrolled: 1-line block ×4, first 2 shown]
	v_cndmask_b32_e32 v94, 0x7fc0, v1, vcc_lo
	v_perm_b32 v1, v6, v7, 0x5040100
	v_perm_b32 v6, v13, v17, 0x5040100
	s_delay_alu instid0(VALU_DEP_3)
	v_perm_b32 v7, v15, v94, 0x5040100
	ds_store_b128 v52, v[0:3]
	ds_store_b128 v52, v[4:7] offset:16
	; wave barrier
	ds_load_u16 v16, v37 offset:64
	ds_load_u16 v15, v38 offset:128
	ds_load_u16 v14, v39 offset:192
	ds_load_u16 v13, v40 offset:256
	ds_load_u16 v12, v41 offset:320
	ds_load_u16 v11, v42 offset:384
	ds_load_u16 v10, v43 offset:448
	ds_load_u16 v9, v44 offset:512
	ds_load_u16 v8, v45 offset:576
	ds_load_u16 v7, v46 offset:640
	ds_load_u16 v6, v47 offset:704
	ds_load_u16 v5, v48 offset:768
	ds_load_u16 v4, v49 offset:832
	ds_load_u16 v3, v50 offset:896
	ds_load_u16 v2, v51 offset:960
	v_add_co_u32 v0, vcc_lo, v76, s34
	v_add_co_ci_u32_e32 v1, vcc_lo, s35, v77, vcc_lo
	s_and_saveexec_b32 s29, s13
	s_cbranch_execnz .LBB61_286
; %bb.254:                              ;   in Loop: Header=BB61_12 Depth=1
	s_or_b32 exec_lo, exec_lo, s29
	s_and_saveexec_b32 s13, s14
	s_cbranch_execnz .LBB61_287
.LBB61_255:                             ;   in Loop: Header=BB61_12 Depth=1
	s_or_b32 exec_lo, exec_lo, s13
	s_and_saveexec_b32 s13, s15
	s_cbranch_execnz .LBB61_288
.LBB61_256:                             ;   in Loop: Header=BB61_12 Depth=1
	s_or_b32 exec_lo, exec_lo, s13
	s_and_saveexec_b32 s13, s16
	s_cbranch_execnz .LBB61_289
.LBB61_257:                             ;   in Loop: Header=BB61_12 Depth=1
	s_or_b32 exec_lo, exec_lo, s13
	s_and_saveexec_b32 s13, s17
	s_cbranch_execnz .LBB61_290
.LBB61_258:                             ;   in Loop: Header=BB61_12 Depth=1
	s_or_b32 exec_lo, exec_lo, s13
	s_and_saveexec_b32 s13, s18
	s_cbranch_execnz .LBB61_291
.LBB61_259:                             ;   in Loop: Header=BB61_12 Depth=1
	s_or_b32 exec_lo, exec_lo, s13
	s_and_saveexec_b32 s13, s19
	s_cbranch_execnz .LBB61_292
.LBB61_260:                             ;   in Loop: Header=BB61_12 Depth=1
	s_or_b32 exec_lo, exec_lo, s13
	s_and_saveexec_b32 s13, s20
	s_cbranch_execnz .LBB61_293
.LBB61_261:                             ;   in Loop: Header=BB61_12 Depth=1
	s_or_b32 exec_lo, exec_lo, s13
	s_and_saveexec_b32 s13, s21
	s_cbranch_execnz .LBB61_294
.LBB61_262:                             ;   in Loop: Header=BB61_12 Depth=1
	s_or_b32 exec_lo, exec_lo, s13
	s_and_saveexec_b32 s13, s22
	s_cbranch_execnz .LBB61_295
.LBB61_263:                             ;   in Loop: Header=BB61_12 Depth=1
	s_or_b32 exec_lo, exec_lo, s13
	s_and_saveexec_b32 s13, s23
	s_cbranch_execnz .LBB61_296
.LBB61_264:                             ;   in Loop: Header=BB61_12 Depth=1
	s_or_b32 exec_lo, exec_lo, s13
	s_and_saveexec_b32 s13, s24
	s_cbranch_execnz .LBB61_297
.LBB61_265:                             ;   in Loop: Header=BB61_12 Depth=1
	s_or_b32 exec_lo, exec_lo, s13
	s_and_saveexec_b32 s13, s25
	s_cbranch_execnz .LBB61_298
.LBB61_266:                             ;   in Loop: Header=BB61_12 Depth=1
	s_or_b32 exec_lo, exec_lo, s13
	s_and_saveexec_b32 s13, s26
	s_cbranch_execnz .LBB61_299
.LBB61_267:                             ;   in Loop: Header=BB61_12 Depth=1
	s_or_b32 exec_lo, exec_lo, s13
	s_and_saveexec_b32 s13, s27
	s_cbranch_execnz .LBB61_300
.LBB61_268:                             ;   in Loop: Header=BB61_12 Depth=1
	s_or_b32 exec_lo, exec_lo, s13
	s_and_saveexec_b32 s13, s28
	s_cbranch_execz .LBB61_11
	s_branch .LBB61_301
.LBB61_269:                             ;   in Loop: Header=BB61_12 Depth=1
	global_load_u16 v101, v[8:9], off offset:832
	s_or_b32 exec_lo, exec_lo, s29
	s_and_saveexec_b32 s29, s27
	s_cbranch_execz .LBB61_72
.LBB61_270:                             ;   in Loop: Header=BB61_12 Depth=1
	global_load_u16 v100, v[8:9], off offset:896
	s_or_b32 exec_lo, exec_lo, s29
	v_mov_b32_e32 v102, 0
	s_and_saveexec_b32 s29, s28
	s_cbranch_execnz .LBB61_73
	s_branch .LBB61_74
.LBB61_271:                             ;   in Loop: Header=BB61_12 Depth=1
	ds_load_u16 v17, v37
	s_waitcnt lgkmcnt(0)
	global_store_b16 v[0:1], v17, off
	s_or_b32 exec_lo, exec_lo, s29
	s_and_saveexec_b32 s29, s14
	s_cbranch_execz .LBB61_206
.LBB61_272:                             ;   in Loop: Header=BB61_12 Depth=1
	s_waitcnt lgkmcnt(14)
	global_store_b16 v[0:1], v16, off offset:64
	s_or_b32 exec_lo, exec_lo, s29
	s_and_saveexec_b32 s29, s15
	s_cbranch_execz .LBB61_207
.LBB61_273:                             ;   in Loop: Header=BB61_12 Depth=1
	s_waitcnt lgkmcnt(13)
	global_store_b16 v[0:1], v15, off offset:128
	s_or_b32 exec_lo, exec_lo, s29
	s_and_saveexec_b32 s29, s16
	s_cbranch_execz .LBB61_208
.LBB61_274:                             ;   in Loop: Header=BB61_12 Depth=1
	s_waitcnt lgkmcnt(12)
	global_store_b16 v[0:1], v14, off offset:192
	s_or_b32 exec_lo, exec_lo, s29
	s_and_saveexec_b32 s29, s17
	s_cbranch_execz .LBB61_209
.LBB61_275:                             ;   in Loop: Header=BB61_12 Depth=1
	s_waitcnt lgkmcnt(11)
	global_store_b16 v[0:1], v13, off offset:256
	s_or_b32 exec_lo, exec_lo, s29
	s_and_saveexec_b32 s29, s18
	s_cbranch_execz .LBB61_210
.LBB61_276:                             ;   in Loop: Header=BB61_12 Depth=1
	s_waitcnt lgkmcnt(10)
	global_store_b16 v[0:1], v12, off offset:320
	s_or_b32 exec_lo, exec_lo, s29
	s_and_saveexec_b32 s29, s19
	s_cbranch_execz .LBB61_211
.LBB61_277:                             ;   in Loop: Header=BB61_12 Depth=1
	s_waitcnt lgkmcnt(9)
	global_store_b16 v[0:1], v11, off offset:384
	s_or_b32 exec_lo, exec_lo, s29
	s_and_saveexec_b32 s29, s20
	s_cbranch_execz .LBB61_212
.LBB61_278:                             ;   in Loop: Header=BB61_12 Depth=1
	s_waitcnt lgkmcnt(8)
	global_store_b16 v[0:1], v10, off offset:448
	s_or_b32 exec_lo, exec_lo, s29
	s_and_saveexec_b32 s29, s21
	s_cbranch_execz .LBB61_213
.LBB61_279:                             ;   in Loop: Header=BB61_12 Depth=1
	s_waitcnt lgkmcnt(7)
	global_store_b16 v[0:1], v9, off offset:512
	s_or_b32 exec_lo, exec_lo, s29
	s_and_saveexec_b32 s29, s22
	s_cbranch_execz .LBB61_214
.LBB61_280:                             ;   in Loop: Header=BB61_12 Depth=1
	s_waitcnt lgkmcnt(6)
	global_store_b16 v[0:1], v8, off offset:576
	s_or_b32 exec_lo, exec_lo, s29
	s_and_saveexec_b32 s29, s23
	s_cbranch_execz .LBB61_215
.LBB61_281:                             ;   in Loop: Header=BB61_12 Depth=1
	s_waitcnt lgkmcnt(5)
	global_store_b16 v[0:1], v7, off offset:640
	s_or_b32 exec_lo, exec_lo, s29
	s_and_saveexec_b32 s29, s24
	s_cbranch_execz .LBB61_216
.LBB61_282:                             ;   in Loop: Header=BB61_12 Depth=1
	s_waitcnt lgkmcnt(4)
	global_store_b16 v[0:1], v6, off offset:704
	s_or_b32 exec_lo, exec_lo, s29
	s_and_saveexec_b32 s29, s25
	s_cbranch_execz .LBB61_217
.LBB61_283:                             ;   in Loop: Header=BB61_12 Depth=1
	s_waitcnt lgkmcnt(3)
	global_store_b16 v[0:1], v5, off offset:768
	s_or_b32 exec_lo, exec_lo, s29
	s_and_saveexec_b32 s29, s26
	s_cbranch_execz .LBB61_218
.LBB61_284:                             ;   in Loop: Header=BB61_12 Depth=1
	s_waitcnt lgkmcnt(2)
	global_store_b16 v[0:1], v4, off offset:832
	s_or_b32 exec_lo, exec_lo, s29
	s_and_saveexec_b32 s29, s27
	s_cbranch_execz .LBB61_219
.LBB61_285:                             ;   in Loop: Header=BB61_12 Depth=1
	s_waitcnt lgkmcnt(1)
	global_store_b16 v[0:1], v3, off offset:896
	s_or_b32 exec_lo, exec_lo, s29
	s_and_saveexec_b32 s29, s28
	s_cbranch_execnz .LBB61_220
	s_branch .LBB61_221
.LBB61_286:                             ;   in Loop: Header=BB61_12 Depth=1
	ds_load_u16 v17, v37
	s_waitcnt lgkmcnt(0)
	global_store_b16 v[0:1], v17, off
	s_or_b32 exec_lo, exec_lo, s29
	s_and_saveexec_b32 s13, s14
	s_cbranch_execz .LBB61_255
.LBB61_287:                             ;   in Loop: Header=BB61_12 Depth=1
	s_waitcnt lgkmcnt(14)
	global_store_b16 v[0:1], v16, off offset:64
	s_or_b32 exec_lo, exec_lo, s13
	s_and_saveexec_b32 s13, s15
	s_cbranch_execz .LBB61_256
.LBB61_288:                             ;   in Loop: Header=BB61_12 Depth=1
	s_waitcnt lgkmcnt(13)
	global_store_b16 v[0:1], v15, off offset:128
	s_or_b32 exec_lo, exec_lo, s13
	s_and_saveexec_b32 s13, s16
	s_cbranch_execz .LBB61_257
.LBB61_289:                             ;   in Loop: Header=BB61_12 Depth=1
	s_waitcnt lgkmcnt(12)
	global_store_b16 v[0:1], v14, off offset:192
	s_or_b32 exec_lo, exec_lo, s13
	s_and_saveexec_b32 s13, s17
	s_cbranch_execz .LBB61_258
.LBB61_290:                             ;   in Loop: Header=BB61_12 Depth=1
	s_waitcnt lgkmcnt(11)
	global_store_b16 v[0:1], v13, off offset:256
	s_or_b32 exec_lo, exec_lo, s13
	s_and_saveexec_b32 s13, s18
	s_cbranch_execz .LBB61_259
.LBB61_291:                             ;   in Loop: Header=BB61_12 Depth=1
	s_waitcnt lgkmcnt(10)
	global_store_b16 v[0:1], v12, off offset:320
	s_or_b32 exec_lo, exec_lo, s13
	s_and_saveexec_b32 s13, s19
	s_cbranch_execz .LBB61_260
.LBB61_292:                             ;   in Loop: Header=BB61_12 Depth=1
	s_waitcnt lgkmcnt(9)
	global_store_b16 v[0:1], v11, off offset:384
	s_or_b32 exec_lo, exec_lo, s13
	s_and_saveexec_b32 s13, s20
	s_cbranch_execz .LBB61_261
.LBB61_293:                             ;   in Loop: Header=BB61_12 Depth=1
	s_waitcnt lgkmcnt(8)
	global_store_b16 v[0:1], v10, off offset:448
	s_or_b32 exec_lo, exec_lo, s13
	s_and_saveexec_b32 s13, s21
	s_cbranch_execz .LBB61_262
.LBB61_294:                             ;   in Loop: Header=BB61_12 Depth=1
	s_waitcnt lgkmcnt(7)
	global_store_b16 v[0:1], v9, off offset:512
	s_or_b32 exec_lo, exec_lo, s13
	s_and_saveexec_b32 s13, s22
	s_cbranch_execz .LBB61_263
.LBB61_295:                             ;   in Loop: Header=BB61_12 Depth=1
	s_waitcnt lgkmcnt(6)
	global_store_b16 v[0:1], v8, off offset:576
	s_or_b32 exec_lo, exec_lo, s13
	s_and_saveexec_b32 s13, s23
	s_cbranch_execz .LBB61_264
.LBB61_296:                             ;   in Loop: Header=BB61_12 Depth=1
	s_waitcnt lgkmcnt(5)
	global_store_b16 v[0:1], v7, off offset:640
	s_or_b32 exec_lo, exec_lo, s13
	s_and_saveexec_b32 s13, s24
	s_cbranch_execz .LBB61_265
.LBB61_297:                             ;   in Loop: Header=BB61_12 Depth=1
	s_waitcnt lgkmcnt(4)
	global_store_b16 v[0:1], v6, off offset:704
	s_or_b32 exec_lo, exec_lo, s13
	s_and_saveexec_b32 s13, s25
	s_cbranch_execz .LBB61_266
.LBB61_298:                             ;   in Loop: Header=BB61_12 Depth=1
	s_waitcnt lgkmcnt(3)
	global_store_b16 v[0:1], v5, off offset:768
	s_or_b32 exec_lo, exec_lo, s13
	s_and_saveexec_b32 s13, s26
	s_cbranch_execz .LBB61_267
.LBB61_299:                             ;   in Loop: Header=BB61_12 Depth=1
	s_waitcnt lgkmcnt(2)
	global_store_b16 v[0:1], v4, off offset:832
	s_or_b32 exec_lo, exec_lo, s13
	s_and_saveexec_b32 s13, s27
	s_cbranch_execz .LBB61_268
.LBB61_300:                             ;   in Loop: Header=BB61_12 Depth=1
	s_waitcnt lgkmcnt(1)
	global_store_b16 v[0:1], v3, off offset:896
	s_or_b32 exec_lo, exec_lo, s13
	s_and_saveexec_b32 s13, s28
	s_cbranch_execz .LBB61_11
.LBB61_301:                             ;   in Loop: Header=BB61_12 Depth=1
	s_waitcnt lgkmcnt(0)
	global_store_b16 v[0:1], v2, off offset:960
	s_branch .LBB61_11
.LBB61_302:
	s_nop 0
	s_sendmsg sendmsg(MSG_DEALLOC_VGPRS)
	s_endpgm
	.section	.rodata,"a",@progbits
	.p2align	6, 0x0
	.amdhsa_kernel _Z25selective_scan_fwd_kernelI32Selective_Scan_fwd_kernel_traitsILi128ELi16ELi1ELb0ELb1ELb1ELb1ELb0EN3c108BFloat16EffEEv13SSMParamsBase
		.amdhsa_group_segment_fixed_size 0
		.amdhsa_private_segment_fixed_size 0
		.amdhsa_kernarg_size 248
		.amdhsa_user_sgpr_count 14
		.amdhsa_user_sgpr_dispatch_ptr 0
		.amdhsa_user_sgpr_queue_ptr 0
		.amdhsa_user_sgpr_kernarg_segment_ptr 1
		.amdhsa_user_sgpr_dispatch_id 0
		.amdhsa_user_sgpr_private_segment_size 0
		.amdhsa_wavefront_size32 1
		.amdhsa_uses_dynamic_stack 0
		.amdhsa_enable_private_segment 0
		.amdhsa_system_sgpr_workgroup_id_x 1
		.amdhsa_system_sgpr_workgroup_id_y 1
		.amdhsa_system_sgpr_workgroup_id_z 0
		.amdhsa_system_sgpr_workgroup_info 0
		.amdhsa_system_vgpr_workitem_id 0
		.amdhsa_next_free_vgpr 177
		.amdhsa_next_free_sgpr 92
		.amdhsa_reserve_vcc 1
		.amdhsa_float_round_mode_32 0
		.amdhsa_float_round_mode_16_64 0
		.amdhsa_float_denorm_mode_32 3
		.amdhsa_float_denorm_mode_16_64 3
		.amdhsa_dx10_clamp 1
		.amdhsa_ieee_mode 1
		.amdhsa_fp16_overflow 0
		.amdhsa_workgroup_processor_mode 1
		.amdhsa_memory_ordered 1
		.amdhsa_forward_progress 0
		.amdhsa_shared_vgpr_count 0
		.amdhsa_exception_fp_ieee_invalid_op 0
		.amdhsa_exception_fp_denorm_src 0
		.amdhsa_exception_fp_ieee_div_zero 0
		.amdhsa_exception_fp_ieee_overflow 0
		.amdhsa_exception_fp_ieee_underflow 0
		.amdhsa_exception_fp_ieee_inexact 0
		.amdhsa_exception_int_div_zero 0
	.end_amdhsa_kernel
	.section	.text._Z25selective_scan_fwd_kernelI32Selective_Scan_fwd_kernel_traitsILi128ELi16ELi1ELb0ELb1ELb1ELb1ELb0EN3c108BFloat16EffEEv13SSMParamsBase,"axG",@progbits,_Z25selective_scan_fwd_kernelI32Selective_Scan_fwd_kernel_traitsILi128ELi16ELi1ELb0ELb1ELb1ELb1ELb0EN3c108BFloat16EffEEv13SSMParamsBase,comdat
.Lfunc_end61:
	.size	_Z25selective_scan_fwd_kernelI32Selective_Scan_fwd_kernel_traitsILi128ELi16ELi1ELb0ELb1ELb1ELb1ELb0EN3c108BFloat16EffEEv13SSMParamsBase, .Lfunc_end61-_Z25selective_scan_fwd_kernelI32Selective_Scan_fwd_kernel_traitsILi128ELi16ELi1ELb0ELb1ELb1ELb1ELb0EN3c108BFloat16EffEEv13SSMParamsBase
                                        ; -- End function
	.section	.AMDGPU.csdata,"",@progbits
; Kernel info:
; codeLenInByte = 27052
; NumSgprs: 94
; NumVgprs: 177
; ScratchSize: 0
; MemoryBound: 0
; FloatMode: 240
; IeeeMode: 1
; LDSByteSize: 0 bytes/workgroup (compile time only)
; SGPRBlocks: 11
; VGPRBlocks: 22
; NumSGPRsForWavesPerEU: 94
; NumVGPRsForWavesPerEU: 177
; Occupancy: 8
; WaveLimiterHint : 0
; COMPUTE_PGM_RSRC2:SCRATCH_EN: 0
; COMPUTE_PGM_RSRC2:USER_SGPR: 14
; COMPUTE_PGM_RSRC2:TRAP_HANDLER: 0
; COMPUTE_PGM_RSRC2:TGID_X_EN: 1
; COMPUTE_PGM_RSRC2:TGID_Y_EN: 1
; COMPUTE_PGM_RSRC2:TGID_Z_EN: 0
; COMPUTE_PGM_RSRC2:TIDIG_COMP_CNT: 0
	.section	.text._Z25selective_scan_fwd_kernelI32Selective_Scan_fwd_kernel_traitsILi128ELi16ELi1ELb0ELb1ELb1ELb0ELb1EN3c108BFloat16EffEEv13SSMParamsBase,"axG",@progbits,_Z25selective_scan_fwd_kernelI32Selective_Scan_fwd_kernel_traitsILi128ELi16ELi1ELb0ELb1ELb1ELb0ELb1EN3c108BFloat16EffEEv13SSMParamsBase,comdat
	.protected	_Z25selective_scan_fwd_kernelI32Selective_Scan_fwd_kernel_traitsILi128ELi16ELi1ELb0ELb1ELb1ELb0ELb1EN3c108BFloat16EffEEv13SSMParamsBase ; -- Begin function _Z25selective_scan_fwd_kernelI32Selective_Scan_fwd_kernel_traitsILi128ELi16ELi1ELb0ELb1ELb1ELb0ELb1EN3c108BFloat16EffEEv13SSMParamsBase
	.globl	_Z25selective_scan_fwd_kernelI32Selective_Scan_fwd_kernel_traitsILi128ELi16ELi1ELb0ELb1ELb1ELb0ELb1EN3c108BFloat16EffEEv13SSMParamsBase
	.p2align	8
	.type	_Z25selective_scan_fwd_kernelI32Selective_Scan_fwd_kernel_traitsILi128ELi16ELi1ELb0ELb1ELb1ELb0ELb1EN3c108BFloat16EffEEv13SSMParamsBase,@function
_Z25selective_scan_fwd_kernelI32Selective_Scan_fwd_kernel_traitsILi128ELi16ELi1ELb0ELb1ELb1ELb0ELb1EN3c108BFloat16EffEEv13SSMParamsBase: ; @_Z25selective_scan_fwd_kernelI32Selective_Scan_fwd_kernel_traitsILi128ELi16ELi1ELb0ELb1ELb1ELb0ELb1EN3c108BFloat16EffEEv13SSMParamsBase
; %bb.0:
	s_clause 0x2
	s_load_b32 s36, s[0:1], 0x18
	s_load_b128 s[4:7], s[0:1], 0xe0
	s_load_b64 s[10:11], s[0:1], 0xf0
	s_mov_b32 s12, s15
	s_ashr_i32 s15, s14, 31
	s_mov_b32 s66, 0
	s_lshl_b64 s[8:9], s[14:15], 2
	s_waitcnt lgkmcnt(0)
	s_abs_i32 s33, s36
	s_add_u32 s2, s4, s8
	v_cvt_f32_u32_e32 v1, s33
	s_addc_u32 s3, s5, s9
	s_cmp_eq_u64 s[10:11], 0
	s_delay_alu instid0(VALU_DEP_1) | instskip(SKIP_2) | instid1(VALU_DEP_1)
	v_rcp_iflag_f32_e32 v1, v1
	s_waitcnt_depctr 0xfff
	v_mul_f32_e32 v1, 0x4f7ffffe, v1
	v_cvt_u32_f32_e32 v1, v1
	s_delay_alu instid0(VALU_DEP_1)
	v_readfirstlane_b32 s37, v1
	s_cbranch_scc1 .LBB62_2
; %bb.1:
	v_mov_b32_e32 v1, 0
	s_add_u32 s4, s10, s14
	s_addc_u32 s5, s11, s15
	global_load_u8 v1, v1, s[4:5]
	s_waitcnt vmcnt(0)
	v_and_b32_e32 v1, 1, v1
	s_delay_alu instid0(VALU_DEP_1)
	v_cmp_eq_u32_e64 s66, 1, v1
.LBB62_2:
	s_load_b64 s[4:5], s[0:1], 0x20
	s_cmp_eq_u64 s[6:7], 0
	s_cbranch_scc1 .LBB62_4
; %bb.3:
	s_add_u32 s6, s6, s8
	s_addc_u32 s7, s7, s9
	s_load_b32 s14, s[6:7], 0x0
	s_waitcnt lgkmcnt(0)
	s_ashr_i32 s15, s14, 31
.LBB62_4:
	s_waitcnt lgkmcnt(0)
	s_cmp_eq_u64 s[4:5], s[14:15]
	s_cbranch_scc1 .LBB62_238
; %bb.5:
	s_load_b512 s[16:31], s[0:1], 0x88
	s_load_b64 s[34:35], s[2:3], 0x0
	s_mov_b32 s67, 0
	s_mov_b32 s68, 0
	s_waitcnt lgkmcnt(0)
	s_cmp_eq_u64 s[22:23], 0
	s_cbranch_scc1 .LBB62_7
; %bb.6:
	s_ashr_i32 s13, s12, 31
	s_delay_alu instid0(SALU_CYCLE_1) | instskip(NEXT) | instid1(SALU_CYCLE_1)
	s_lshl_b64 s[2:3], s[12:13], 2
	s_add_u32 s2, s22, s2
	s_addc_u32 s3, s23, s3
	s_load_b32 s68, s[2:3], 0x0
.LBB62_7:
	s_cmp_eq_u64 s[28:29], 0
	s_cbranch_scc1 .LBB62_9
; %bb.8:
	s_ashr_i32 s13, s12, 31
	s_delay_alu instid0(SALU_CYCLE_1) | instskip(NEXT) | instid1(SALU_CYCLE_1)
	s_lshl_b64 s[2:3], s[12:13], 2
	s_add_u32 s2, s28, s2
	s_addc_u32 s3, s29, s3
	s_load_b32 s67, s[2:3], 0x0
.LBB62_9:
	s_sub_i32 s69, s35, s34
	s_delay_alu instid0(SALU_CYCLE_1)
	s_cmp_lt_i32 s69, 1
	s_cbranch_scc1 .LBB62_238
; %bb.10:
	s_sub_i32 s2, 0, s33
	s_abs_i32 s5, s12
	s_mul_i32 s4, s2, s37
	s_clause 0x1
	s_load_b64 s[2:3], s[0:1], 0x5c
	s_load_b128 s[56:59], s[0:1], 0x4c
	s_mul_hi_u32 s4, s37, s4
	s_ashr_i32 s7, s36, 31
	s_add_i32 s37, s37, s4
	s_ashr_i32 s4, s12, 31
	s_mul_hi_u32 s6, s5, s37
	s_xor_b32 s7, s4, s7
	s_mul_i32 s8, s6, s33
	s_load_b256 s[48:55], s[0:1], 0x2c
	s_sub_i32 s4, s5, s8
	s_add_i32 s5, s6, 1
	s_sub_i32 s8, s4, s33
	s_cmp_ge_u32 s4, s33
	s_mov_b32 s65, 0
	s_cselect_b32 s5, s5, s6
	s_cselect_b32 s4, s8, s4
	s_add_i32 s6, s5, 1
	s_cmp_ge_u32 s4, s33
	s_load_b128 s[60:63], s[0:1], 0x7c
	s_cselect_b32 s4, s6, s5
	s_waitcnt lgkmcnt(0)
	s_mul_i32 s64, s34, s58
	s_xor_b32 s6, s4, s7
	s_lshl_b64 s[4:5], s[64:65], 1
	s_sub_i32 s6, s6, s7
	s_mul_i32 s64, s59, s12
	s_add_u32 s7, s24, s4
	s_addc_u32 s8, s25, s5
	s_lshl_b64 s[4:5], s[64:65], 1
	s_mul_i32 s64, s34, s2
	s_add_u32 s70, s7, s4
	s_addc_u32 s71, s8, s5
	s_lshl_b64 s[4:5], s[64:65], 1
	;; [unrolled: 4-line block ×3, first 2 shown]
	v_dual_mov_b32 v21, 0 :: v_dual_lshlrev_b32 v18, 4, v0
	s_add_u32 s72, s4, s2
	s_mul_i32 s64, s48, s12
	s_addc_u32 s48, s5, s3
	s_load_b64 s[4:5], s[0:1], 0xc8
	s_lshl_b64 s[2:3], s[64:65], 2
	v_mbcnt_lo_u32_b32 v19, -1, 0
	v_and_b32_e32 v1, 0x600, v18
	s_mul_i32 s64, s34, s50
	s_add_u32 s73, s16, s2
	s_addc_u32 s63, s17, s3
	s_lshl_b64 s[2:3], s[64:65], 1
	s_mul_i32 s64, s6, s53
	s_clause 0x2
	s_load_b64 s[16:17], s[0:1], 0x6c
	s_load_b32 s78, s[0:1], 0xc
	s_load_b32 s0, s[0:1], 0x28
	s_add_u32 s7, s18, s2
	v_or_b32_e32 v20, v19, v1
	s_addc_u32 s8, s19, s3
	s_lshl_b64 s[2:3], s[64:65], 1
	s_mul_i32 s64, s34, s54
	s_add_u32 s53, s7, s2
	s_addc_u32 s74, s8, s3
	s_lshl_b64 s[2:3], s[64:65], 1
	s_mul_i32 s64, s6, s57
	v_or_b32_e32 v24, 0x60, v20
	v_and_b32_e32 v14, 0x60, v0
	s_add_u32 s7, s20, s2
	s_addc_u32 s6, s21, s3
	s_lshl_b64 s[2:3], s[64:65], 1
	s_mul_i32 s64, s14, s60
	s_add_u32 s57, s7, s2
	s_addc_u32 s75, s6, s3
	s_lshl_b64 s[2:3], s[64:65], 2
	v_or_b32_e32 v26, 0xa0, v20
	v_or_b32_e32 v28, 0xe0, v20
	;; [unrolled: 1-line block ×5, first 2 shown]
	v_lshrrev_b32_e32 v2, 5, v24
	v_or_b32_e32 v36, 0x1e0, v20
	v_or_b32_e32 v16, v19, v14
	s_mul_i32 s64, s61, s12
	s_waitcnt lgkmcnt(0)
	s_add_u32 s4, s4, s2
	s_addc_u32 s5, s5, s3
	s_lshl_b64 s[2:3], s[64:65], 2
	v_or_b32_e32 v23, 64, v20
	s_add_u32 s76, s4, s2
	v_or_b32_e32 v25, 0x80, v20
	v_or_b32_e32 v27, 0xc0, v20
	;; [unrolled: 1-line block ×6, first 2 shown]
	v_and_b32_e32 v2, 50, v2
	v_lshrrev_b32_e32 v5, 5, v26
	v_lshrrev_b32_e32 v8, 5, v28
	v_lshrrev_b32_e32 v9, 5, v30
	v_lshrrev_b32_e32 v11, 5, v32
	v_lshrrev_b32_e32 v15, 5, v34
	v_lshrrev_b32_e32 v49, 5, v36
	v_lshrrev_b16 v50, 1, v16
	s_addc_u32 s77, s5, s3
	s_add_i32 s2, s69, 0x7ff
	v_lshrrev_b32_e32 v3, 5, v1
	s_lshr_b32 s79, s2, 11
	s_bitcmp1_b32 s0, 0
	v_lshrrev_b32_e32 v4, 5, v23
	v_lshrrev_b32_e32 v6, 5, v25
	v_add_lshl_u32 v2, v2, v20, 1
	v_and_b32_e32 v5, 52, v5
	v_lshrrev_b32_e32 v7, 5, v27
	v_and_b32_e32 v8, 54, v8
	v_lshrrev_b32_e32 v10, 5, v29
	;; [unrolled: 2-line block ×5, first 2 shown]
	v_and_b32_e32 v51, 62, v49
	v_lshlrev_b32_e32 v16, 4, v16
	v_and_b32_e32 v52, 62, v50
	s_cselect_b32 s80, -1, 0
	s_cmp_gt_i32 s78, 0
	v_add_lshl_u32 v3, v3, v20, 1
	s_cselect_b32 s81, -1, 0
	s_add_i32 s0, 0, 0x1080
	v_add_lshl_u32 v4, v4, v20, 1
	v_add_lshl_u32 v6, v6, v20, 1
	v_add_nc_u32_e32 v39, 0, v2
	v_add_lshl_u32 v5, v5, v20, 1
	v_add_lshl_u32 v7, v7, v20, 1
	;; [unrolled: 1-line block ×12, first 2 shown]
	v_add_nc_u32_e32 v55, s0, v2
	v_and_b32_e32 v2, 15, v19
	s_and_b32 s1, s69, 0x7ff
	v_add_nc_u32_e32 v51, 0, v67
	v_add_nc_u32_e32 v53, s0, v3
	;; [unrolled: 1-line block ×15, first 2 shown]
	s_cmp_eq_u32 s1, 0
	v_add_nc_u32_e32 v68, s0, v16
	v_cmp_ne_u32_e64 s0, 0, v2
	v_cmp_lt_u32_e64 s1, 1, v2
	v_cmp_lt_u32_e64 s2, 3, v2
	;; [unrolled: 1-line block ×3, first 2 shown]
	v_add_nc_u32_e32 v2, -1, v19
	v_add_nc_u32_e32 v37, 0, v3
	v_lshrrev_b32_e32 v3, 2, v0
	v_add_nc_u32_e32 v41, 0, v5
	v_or_b32_e32 v5, 31, v14
	v_cmp_gt_i32_e32 vcc_lo, 0, v2
	s_mul_i32 s64, s34, s16
	v_and_b32_e32 v3, 24, v3
	s_cselect_b32 s82, -1, 0
	s_lshl_b64 s[14:15], s[64:65], 1
	v_cndmask_b32_e32 v2, v2, v19, vcc_lo
	s_add_i32 s83, s79, -1
	s_mul_i32 s64, s17, s12
	v_cmp_eq_u32_e64 s5, v5, v0
	v_cmp_gt_u32_e64 s6, 4, v0
	v_lshl_add_u32 v70, v0, 3, 0
	v_cmp_gt_u32_e64 s9, 32, v0
	v_cmp_lt_u32_e64 s10, 31, v0
	v_cmp_eq_u32_e64 s11, 0, v0
	s_add_u32 s14, s30, s14
	v_lshlrev_b32_e32 v0, 1, v19
	s_addc_u32 s15, s31, s15
	s_lshl_b64 s[12:13], s[64:65], 1
	v_add_nc_u32_e32 v69, 0, v3
	v_and_b32_e32 v3, 3, v19
	s_add_u32 s12, s14, s12
	v_lshlrev_b32_e32 v71, 2, v2
	s_addc_u32 s13, s15, s13
	v_lshlrev_b32_e32 v2, 1, v1
	v_add_co_u32 v0, s12, s12, v0
	v_add_nc_u32_e32 v38, 0, v4
	v_and_b32_e32 v4, 16, v19
	v_cmp_ne_u32_e64 s7, 0, v3
	v_cmp_lt_u32_e64 s8, 1, v3
	v_add_co_ci_u32_e64 v3, null, s13, 0, s12
	v_add_co_u32 v72, vcc_lo, v0, v2
	v_or_b32_e32 v22, 32, v20
	v_add_nc_u32_e32 v40, 0, v6
	v_add_nc_u32_e32 v42, 0, v7
	;; [unrolled: 1-line block ×11, first 2 shown]
	v_cmp_ne_u32_e64 s4, 0, v4
	v_cmp_eq_u32_e64 s12, 0, v19
	v_add_co_ci_u32_e32 v73, vcc_lo, 0, v3, vcc_lo
	v_or_b32_e32 v74, 1, v18
	v_or_b32_e32 v75, 2, v18
	;; [unrolled: 1-line block ×15, first 2 shown]
	v_lshlrev_b32_e32 v89, 1, v1
	s_mov_b32 s84, 0x3e9b6dac
	s_add_i32 s85, 0, 0x2120
	s_mov_b32 s86, 0
	s_branch .LBB62_12
.LBB62_11:                              ;   in Loop: Header=BB62_12 Depth=1
	s_or_b32 exec_lo, exec_lo, s13
	s_add_u32 s72, s72, 0x1000
	s_addc_u32 s48, s48, 0
	s_add_u32 s70, s70, 0x1000
	s_addc_u32 s71, s71, 0
	;; [unrolled: 2-line block ×4, first 2 shown]
	s_add_i32 s86, s86, 1
	s_delay_alu instid0(SALU_CYCLE_1)
	s_cmp_eq_u32 s86, s79
	s_cbranch_scc1 .LBB62_238
.LBB62_12:                              ; =>This Loop Header: Depth=1
                                        ;     Child Loop BB62_109 Depth 2
	s_waitcnt lgkmcnt(14)
	v_lshlrev_b32_e32 v16, 1, v19
	s_lshl_b32 s50, s86, 11
	s_waitcnt lgkmcnt(0)
	v_mov_b32_e32 v2, 0
	s_sub_i32 s41, s69, s50
	v_add_co_u32 v0, s13, s70, v16
	s_delay_alu instid0(VALU_DEP_1) | instskip(SKIP_1) | instid1(VALU_DEP_3)
	v_add_co_ci_u32_e64 v1, null, s71, 0, s13
	v_cmp_gt_u32_e64 s13, s41, v20
	v_add_co_u32 v0, vcc_lo, v0, v89
	s_delay_alu instid0(VALU_DEP_3)
	v_add_co_ci_u32_e32 v1, vcc_lo, 0, v1, vcc_lo
	s_waitcnt_vscnt null, 0x0
	s_barrier
	buffer_gl0_inv
	s_and_saveexec_b32 s14, s13
	s_cbranch_execz .LBB62_14
; %bb.13:                               ;   in Loop: Header=BB62_12 Depth=1
	global_load_u16 v2, v[0:1], off
.LBB62_14:                              ;   in Loop: Header=BB62_12 Depth=1
	s_or_b32 exec_lo, exec_lo, s14
	v_cmp_gt_u32_e64 s14, s41, v22
	v_dual_mov_b32 v3, 0 :: v_dual_mov_b32 v4, 0
	s_delay_alu instid0(VALU_DEP_2)
	s_and_saveexec_b32 s15, s14
	s_cbranch_execz .LBB62_16
; %bb.15:                               ;   in Loop: Header=BB62_12 Depth=1
	global_load_u16 v4, v[0:1], off offset:64
.LBB62_16:                              ;   in Loop: Header=BB62_12 Depth=1
	s_or_b32 exec_lo, exec_lo, s15
	v_cmp_gt_u32_e64 s15, s41, v23
	s_delay_alu instid0(VALU_DEP_1)
	s_and_saveexec_b32 s16, s15
	s_cbranch_execz .LBB62_18
; %bb.17:                               ;   in Loop: Header=BB62_12 Depth=1
	global_load_u16 v3, v[0:1], off offset:128
.LBB62_18:                              ;   in Loop: Header=BB62_12 Depth=1
	s_or_b32 exec_lo, exec_lo, s16
	v_cmp_gt_u32_e64 s16, s41, v24
	v_dual_mov_b32 v5, 0 :: v_dual_mov_b32 v6, 0
	s_delay_alu instid0(VALU_DEP_2)
	s_and_saveexec_b32 s17, s16
	s_cbranch_execz .LBB62_20
; %bb.19:                               ;   in Loop: Header=BB62_12 Depth=1
	global_load_u16 v6, v[0:1], off offset:192
.LBB62_20:                              ;   in Loop: Header=BB62_12 Depth=1
	s_or_b32 exec_lo, exec_lo, s17
	v_cmp_gt_u32_e64 s17, s41, v25
	s_delay_alu instid0(VALU_DEP_1)
	s_and_saveexec_b32 s18, s17
	s_cbranch_execz .LBB62_22
; %bb.21:                               ;   in Loop: Header=BB62_12 Depth=1
	global_load_u16 v5, v[0:1], off offset:256
.LBB62_22:                              ;   in Loop: Header=BB62_12 Depth=1
	;; [unrolled: 17-line block ×3, first 2 shown]
	s_or_b32 exec_lo, exec_lo, s20
	v_cmp_gt_u32_e64 s20, s41, v28
	v_mov_b32_e32 v9, 0
	v_mov_b32_e32 v11, 0
	s_delay_alu instid0(VALU_DEP_3)
	s_and_saveexec_b32 s21, s20
	s_cbranch_execz .LBB62_28
; %bb.27:                               ;   in Loop: Header=BB62_12 Depth=1
	global_load_u16 v11, v[0:1], off offset:448
.LBB62_28:                              ;   in Loop: Header=BB62_12 Depth=1
	s_or_b32 exec_lo, exec_lo, s21
	v_cmp_gt_u32_e64 s21, s41, v29
	s_delay_alu instid0(VALU_DEP_1)
	s_and_saveexec_b32 s22, s21
	s_cbranch_execz .LBB62_30
; %bb.29:                               ;   in Loop: Header=BB62_12 Depth=1
	global_load_u16 v9, v[0:1], off offset:512
.LBB62_30:                              ;   in Loop: Header=BB62_12 Depth=1
	s_or_b32 exec_lo, exec_lo, s22
	v_cmp_gt_u32_e64 s22, s41, v30
	v_dual_mov_b32 v12, 0 :: v_dual_mov_b32 v13, 0
	s_delay_alu instid0(VALU_DEP_2)
	s_and_saveexec_b32 s23, s22
	s_cbranch_execz .LBB62_32
; %bb.31:                               ;   in Loop: Header=BB62_12 Depth=1
	global_load_u16 v13, v[0:1], off offset:576
.LBB62_32:                              ;   in Loop: Header=BB62_12 Depth=1
	s_or_b32 exec_lo, exec_lo, s23
	v_cmp_gt_u32_e64 s23, s41, v31
	s_delay_alu instid0(VALU_DEP_1)
	s_and_saveexec_b32 s24, s23
	s_cbranch_execz .LBB62_34
; %bb.33:                               ;   in Loop: Header=BB62_12 Depth=1
	global_load_u16 v12, v[0:1], off offset:640
.LBB62_34:                              ;   in Loop: Header=BB62_12 Depth=1
	s_or_b32 exec_lo, exec_lo, s24
	v_cmp_gt_u32_e64 s24, s41, v32
	v_dual_mov_b32 v14, 0 :: v_dual_mov_b32 v15, 0
	s_delay_alu instid0(VALU_DEP_2)
	;; [unrolled: 17-line block ×4, first 2 shown]
	s_and_saveexec_b32 s29, s28
	s_cbranch_execz .LBB62_44
; %bb.43:                               ;   in Loop: Header=BB62_12 Depth=1
	global_load_u16 v91, v[0:1], off offset:960
.LBB62_44:                              ;   in Loop: Header=BB62_12 Depth=1
	s_or_b32 exec_lo, exec_lo, s29
	s_waitcnt vmcnt(0)
	ds_store_b16 v37, v2
	ds_store_b16 v37, v4 offset:64
	ds_store_b16 v38, v3 offset:128
	;; [unrolled: 1-line block ×15, first 2 shown]
	; wave barrier
	ds_load_b128 v[0:3], v52
	ds_load_b128 v[4:7], v52 offset:16
	v_add_co_u32 v8, s29, s72, v16
	s_delay_alu instid0(VALU_DEP_1) | instskip(SKIP_1) | instid1(VALU_DEP_2)
	v_add_co_ci_u32_e64 v9, null, s48, 0, s29
	s_waitcnt lgkmcnt(0)
	v_add_co_u32 v8, vcc_lo, v8, v89
	s_delay_alu instid0(VALU_DEP_2)
	v_add_co_ci_u32_e32 v9, vcc_lo, 0, v9, vcc_lo
	s_barrier
	buffer_gl0_inv
	s_and_saveexec_b32 s29, s13
	s_cbranch_execz .LBB62_46
; %bb.45:                               ;   in Loop: Header=BB62_12 Depth=1
	global_load_u16 v10, v[8:9], off
.LBB62_46:                              ;   in Loop: Header=BB62_12 Depth=1
	s_or_b32 exec_lo, exec_lo, s29
	v_dual_mov_b32 v11, 0 :: v_dual_mov_b32 v12, 0
	s_and_saveexec_b32 s29, s14
	s_cbranch_execz .LBB62_48
; %bb.47:                               ;   in Loop: Header=BB62_12 Depth=1
	global_load_u16 v12, v[8:9], off offset:64
.LBB62_48:                              ;   in Loop: Header=BB62_12 Depth=1
	s_or_b32 exec_lo, exec_lo, s29
	s_and_saveexec_b32 s29, s15
	s_cbranch_execz .LBB62_50
; %bb.49:                               ;   in Loop: Header=BB62_12 Depth=1
	global_load_u16 v11, v[8:9], off offset:128
.LBB62_50:                              ;   in Loop: Header=BB62_12 Depth=1
	s_or_b32 exec_lo, exec_lo, s29
	v_dual_mov_b32 v13, 0 :: v_dual_mov_b32 v14, 0
	s_and_saveexec_b32 s29, s16
	s_cbranch_execz .LBB62_52
; %bb.51:                               ;   in Loop: Header=BB62_12 Depth=1
	global_load_u16 v14, v[8:9], off offset:192
.LBB62_52:                              ;   in Loop: Header=BB62_12 Depth=1
	s_or_b32 exec_lo, exec_lo, s29
	s_and_saveexec_b32 s29, s17
	s_cbranch_execz .LBB62_54
; %bb.53:                               ;   in Loop: Header=BB62_12 Depth=1
	global_load_u16 v13, v[8:9], off offset:256
.LBB62_54:                              ;   in Loop: Header=BB62_12 Depth=1
	s_or_b32 exec_lo, exec_lo, s29
	v_mov_b32_e32 v15, 0
	v_mov_b32_e32 v17, 0
	s_and_saveexec_b32 s29, s18
	s_cbranch_execz .LBB62_56
; %bb.55:                               ;   in Loop: Header=BB62_12 Depth=1
	global_load_u16 v17, v[8:9], off offset:320
.LBB62_56:                              ;   in Loop: Header=BB62_12 Depth=1
	s_or_b32 exec_lo, exec_lo, s29
	s_and_saveexec_b32 s29, s19
	s_cbranch_execz .LBB62_58
; %bb.57:                               ;   in Loop: Header=BB62_12 Depth=1
	global_load_u16 v15, v[8:9], off offset:384
.LBB62_58:                              ;   in Loop: Header=BB62_12 Depth=1
	s_or_b32 exec_lo, exec_lo, s29
	v_dual_mov_b32 v90, 0 :: v_dual_mov_b32 v91, 0
	s_and_saveexec_b32 s29, s20
	s_cbranch_execz .LBB62_60
; %bb.59:                               ;   in Loop: Header=BB62_12 Depth=1
	global_load_u16 v91, v[8:9], off offset:448
.LBB62_60:                              ;   in Loop: Header=BB62_12 Depth=1
	s_or_b32 exec_lo, exec_lo, s29
	s_and_saveexec_b32 s29, s21
	s_cbranch_execz .LBB62_62
; %bb.61:                               ;   in Loop: Header=BB62_12 Depth=1
	global_load_u16 v90, v[8:9], off offset:512
.LBB62_62:                              ;   in Loop: Header=BB62_12 Depth=1
	s_or_b32 exec_lo, exec_lo, s29
	v_dual_mov_b32 v92, 0 :: v_dual_mov_b32 v93, 0
	;; [unrolled: 13-line block ×4, first 2 shown]
	s_and_saveexec_b32 s29, s26
	s_cbranch_execnz .LBB62_220
; %bb.71:                               ;   in Loop: Header=BB62_12 Depth=1
	s_or_b32 exec_lo, exec_lo, s29
	s_and_saveexec_b32 s29, s27
	s_cbranch_execnz .LBB62_221
.LBB62_72:                              ;   in Loop: Header=BB62_12 Depth=1
	s_or_b32 exec_lo, exec_lo, s29
	v_mov_b32_e32 v98, 0
	s_and_saveexec_b32 s29, s28
	s_cbranch_execz .LBB62_74
.LBB62_73:                              ;   in Loop: Header=BB62_12 Depth=1
	global_load_u16 v98, v[8:9], off offset:960
.LBB62_74:                              ;   in Loop: Header=BB62_12 Depth=1
	s_or_b32 exec_lo, exec_lo, s29
	s_waitcnt vmcnt(0)
	ds_store_b16 v37, v10
	ds_store_b16 v37, v12 offset:64
	ds_store_b16 v38, v11 offset:128
	;; [unrolled: 1-line block ×15, first 2 shown]
	; wave barrier
	ds_load_b128 v[12:15], v52
	ds_load_b128 v[8:11], v52 offset:16
	s_waitcnt lgkmcnt(1)
	v_lshlrev_b32_e32 v17, 16, v12
	s_delay_alu instid0(VALU_DEP_1) | instskip(NEXT) | instid1(VALU_DEP_1)
	v_add_f32_e32 v90, s67, v17
	v_cmp_ge_f32_e32 vcc_lo, 0x41a00000, v90
	s_and_b32 s29, s80, vcc_lo
	s_delay_alu instid0(SALU_CYCLE_1)
	s_and_saveexec_b32 s30, s29
	s_cbranch_execz .LBB62_76
; %bb.75:                               ;   in Loop: Header=BB62_12 Depth=1
	v_mul_f32_e32 v17, 0x3fb8aa3b, v90
	v_cmp_ngt_f32_e32 vcc_lo, 0xc2ce8ed0, v90
	s_delay_alu instid0(VALU_DEP_2) | instskip(SKIP_1) | instid1(VALU_DEP_1)
	v_rndne_f32_e32 v91, v17
	v_fma_f32 v92, 0x3fb8aa3b, v90, -v17
	v_dual_sub_f32 v17, v17, v91 :: v_dual_fmac_f32 v92, 0x32a5705f, v90
	v_cvt_i32_f32_e32 v91, v91
	s_delay_alu instid0(VALU_DEP_2) | instskip(NEXT) | instid1(VALU_DEP_1)
	v_add_f32_e32 v17, v17, v92
	v_exp_f32_e32 v17, v17
	s_waitcnt_depctr 0xfff
	v_ldexp_f32 v17, v17, v91
	s_delay_alu instid0(VALU_DEP_1) | instskip(SKIP_1) | instid1(VALU_DEP_2)
	v_cndmask_b32_e32 v17, 0, v17, vcc_lo
	v_cmp_nlt_f32_e32 vcc_lo, 0x42b17218, v90
	v_cndmask_b32_e32 v17, 0x7f800000, v17, vcc_lo
	s_delay_alu instid0(VALU_DEP_1) | instskip(NEXT) | instid1(VALU_DEP_1)
	v_add_f32_e32 v92, 1.0, v17
	v_cvt_f64_f32_e32 v[90:91], v92
	s_delay_alu instid0(VALU_DEP_1) | instskip(SKIP_1) | instid1(VALU_DEP_1)
	v_frexp_exp_i32_f64_e32 v90, v[90:91]
	v_frexp_mant_f32_e32 v91, v92
	v_cmp_gt_f32_e32 vcc_lo, 0x3f2aaaab, v91
	v_add_f32_e32 v91, -1.0, v92
	s_delay_alu instid0(VALU_DEP_1) | instskip(NEXT) | instid1(VALU_DEP_1)
	v_dual_sub_f32 v94, v91, v92 :: v_dual_sub_f32 v91, v17, v91
	v_add_f32_e32 v94, 1.0, v94
	v_subrev_co_ci_u32_e32 v90, vcc_lo, 0, v90, vcc_lo
	s_delay_alu instid0(VALU_DEP_1) | instskip(SKIP_1) | instid1(VALU_DEP_2)
	v_sub_nc_u32_e32 v93, 0, v90
	v_cvt_f32_i32_e32 v90, v90
	v_ldexp_f32 v92, v92, v93
	v_add_f32_e32 v91, v91, v94
	s_delay_alu instid0(VALU_DEP_1) | instskip(NEXT) | instid1(VALU_DEP_3)
	v_ldexp_f32 v91, v91, v93
	v_add_f32_e32 v95, 1.0, v92
	s_delay_alu instid0(VALU_DEP_1) | instskip(NEXT) | instid1(VALU_DEP_1)
	v_add_f32_e32 v94, -1.0, v95
	v_sub_f32_e32 v94, v92, v94
	v_cmp_eq_f32_e32 vcc_lo, 0x7f800000, v17
	v_cmp_gt_f32_e64 s29, 0x33800000, v17
	s_delay_alu instid0(VALU_DEP_3) | instskip(NEXT) | instid1(VALU_DEP_2)
	v_dual_add_f32 v94, v91, v94 :: v_dual_add_f32 v93, -1.0, v92
	s_or_b32 vcc_lo, s29, vcc_lo
	s_delay_alu instid0(VALU_DEP_1) | instskip(NEXT) | instid1(VALU_DEP_1)
	v_add_f32_e32 v96, 1.0, v93
	v_sub_f32_e32 v92, v92, v96
	s_delay_alu instid0(VALU_DEP_3) | instskip(NEXT) | instid1(VALU_DEP_1)
	v_add_f32_e32 v96, v95, v94
	v_sub_f32_e32 v95, v95, v96
	s_delay_alu instid0(VALU_DEP_3) | instskip(SKIP_1) | instid1(VALU_DEP_2)
	v_add_f32_e32 v91, v91, v92
	v_rcp_f32_e32 v92, v96
	v_add_f32_e32 v94, v94, v95
	s_delay_alu instid0(VALU_DEP_2) | instskip(NEXT) | instid1(VALU_DEP_1)
	v_add_f32_e32 v97, v93, v91
	v_sub_f32_e32 v93, v93, v97
	s_waitcnt_depctr 0xfff
	v_dual_mul_f32 v98, v97, v92 :: v_dual_add_f32 v91, v91, v93
	s_delay_alu instid0(VALU_DEP_1) | instskip(NEXT) | instid1(VALU_DEP_1)
	v_mul_f32_e32 v99, v96, v98
	v_fma_f32 v95, v98, v96, -v99
	s_delay_alu instid0(VALU_DEP_1) | instskip(NEXT) | instid1(VALU_DEP_1)
	v_fmac_f32_e32 v95, v98, v94
	v_add_f32_e32 v100, v99, v95
	s_delay_alu instid0(VALU_DEP_1) | instskip(NEXT) | instid1(VALU_DEP_1)
	v_sub_f32_e32 v101, v97, v100
	v_sub_f32_e32 v97, v97, v101
	;; [unrolled: 1-line block ×3, first 2 shown]
	s_delay_alu instid0(VALU_DEP_2) | instskip(NEXT) | instid1(VALU_DEP_2)
	v_sub_f32_e32 v97, v97, v100
	v_sub_f32_e32 v93, v93, v95
	s_delay_alu instid0(VALU_DEP_2) | instskip(NEXT) | instid1(VALU_DEP_1)
	v_add_f32_e32 v91, v91, v97
	v_add_f32_e32 v91, v93, v91
	s_delay_alu instid0(VALU_DEP_1) | instskip(NEXT) | instid1(VALU_DEP_1)
	v_add_f32_e32 v93, v101, v91
	v_mul_f32_e32 v95, v92, v93
	s_delay_alu instid0(VALU_DEP_1) | instskip(NEXT) | instid1(VALU_DEP_1)
	v_dual_sub_f32 v100, v101, v93 :: v_dual_mul_f32 v97, v96, v95
	v_add_f32_e32 v91, v91, v100
	s_delay_alu instid0(VALU_DEP_2) | instskip(NEXT) | instid1(VALU_DEP_1)
	v_fma_f32 v96, v95, v96, -v97
	v_fmac_f32_e32 v96, v95, v94
	s_delay_alu instid0(VALU_DEP_1) | instskip(NEXT) | instid1(VALU_DEP_1)
	v_add_f32_e32 v94, v97, v96
	v_sub_f32_e32 v99, v93, v94
	v_sub_f32_e32 v97, v94, v97
	s_delay_alu instid0(VALU_DEP_2) | instskip(NEXT) | instid1(VALU_DEP_1)
	v_sub_f32_e32 v93, v93, v99
	v_sub_f32_e32 v93, v93, v94
	s_delay_alu instid0(VALU_DEP_1) | instskip(SKIP_1) | instid1(VALU_DEP_1)
	v_dual_sub_f32 v94, v97, v96 :: v_dual_add_f32 v91, v91, v93
	v_add_f32_e32 v93, v98, v95
	v_dual_add_f32 v91, v94, v91 :: v_dual_sub_f32 v94, v93, v98
	s_delay_alu instid0(VALU_DEP_1) | instskip(NEXT) | instid1(VALU_DEP_1)
	v_add_f32_e32 v91, v99, v91
	v_dual_sub_f32 v94, v95, v94 :: v_dual_mul_f32 v91, v92, v91
	s_delay_alu instid0(VALU_DEP_1) | instskip(NEXT) | instid1(VALU_DEP_1)
	v_add_f32_e32 v91, v94, v91
	v_add_f32_e32 v92, v93, v91
	s_delay_alu instid0(VALU_DEP_1) | instskip(NEXT) | instid1(VALU_DEP_1)
	v_mul_f32_e32 v94, v92, v92
	v_fmaak_f32 v95, s84, v94, 0x3ecc95a3
	v_mul_f32_e32 v96, v92, v94
	s_delay_alu instid0(VALU_DEP_2) | instskip(SKIP_2) | instid1(VALU_DEP_3)
	v_fmaak_f32 v94, v94, v95, 0x3f2aaada
	v_ldexp_f32 v95, v92, 1
	v_sub_f32_e32 v92, v92, v93
	v_mul_f32_e32 v94, v96, v94
	s_delay_alu instid0(VALU_DEP_2) | instskip(NEXT) | instid1(VALU_DEP_2)
	v_dual_mul_f32 v96, 0x3f317218, v90 :: v_dual_sub_f32 v91, v91, v92
	v_add_f32_e32 v93, v95, v94
	s_delay_alu instid0(VALU_DEP_2) | instskip(NEXT) | instid1(VALU_DEP_2)
	v_ldexp_f32 v91, v91, 1
	v_sub_f32_e32 v92, v93, v95
	s_delay_alu instid0(VALU_DEP_4) | instskip(NEXT) | instid1(VALU_DEP_1)
	v_fma_f32 v95, 0x3f317218, v90, -v96
	v_dual_sub_f32 v92, v94, v92 :: v_dual_fmac_f32 v95, 0xb102e308, v90
	s_delay_alu instid0(VALU_DEP_1) | instskip(NEXT) | instid1(VALU_DEP_1)
	v_dual_add_f32 v90, v91, v92 :: v_dual_add_f32 v91, v96, v95
	v_add_f32_e32 v92, v93, v90
	s_delay_alu instid0(VALU_DEP_2) | instskip(NEXT) | instid1(VALU_DEP_2)
	v_sub_f32_e32 v96, v91, v96
	v_dual_add_f32 v94, v91, v92 :: v_dual_sub_f32 v93, v92, v93
	s_delay_alu instid0(VALU_DEP_2) | instskip(NEXT) | instid1(VALU_DEP_2)
	v_sub_f32_e32 v95, v95, v96
	v_sub_f32_e32 v97, v94, v91
	s_delay_alu instid0(VALU_DEP_3) | instskip(NEXT) | instid1(VALU_DEP_2)
	v_sub_f32_e32 v90, v90, v93
	v_sub_f32_e32 v98, v94, v97
	s_delay_alu instid0(VALU_DEP_2) | instskip(NEXT) | instid1(VALU_DEP_2)
	v_dual_sub_f32 v92, v92, v97 :: v_dual_add_f32 v93, v95, v90
	v_sub_f32_e32 v91, v91, v98
	s_delay_alu instid0(VALU_DEP_1) | instskip(NEXT) | instid1(VALU_DEP_3)
	v_add_f32_e32 v91, v92, v91
	v_sub_f32_e32 v92, v93, v95
	s_delay_alu instid0(VALU_DEP_2) | instskip(NEXT) | instid1(VALU_DEP_2)
	v_add_f32_e32 v91, v93, v91
	v_sub_f32_e32 v93, v93, v92
	v_sub_f32_e32 v90, v90, v92
	s_delay_alu instid0(VALU_DEP_2) | instskip(NEXT) | instid1(VALU_DEP_1)
	v_dual_add_f32 v96, v94, v91 :: v_dual_sub_f32 v93, v95, v93
	v_sub_f32_e32 v92, v96, v94
	s_delay_alu instid0(VALU_DEP_1) | instskip(NEXT) | instid1(VALU_DEP_1)
	v_dual_add_f32 v90, v90, v93 :: v_dual_sub_f32 v91, v91, v92
	v_add_f32_e32 v90, v90, v91
	s_delay_alu instid0(VALU_DEP_1) | instskip(NEXT) | instid1(VALU_DEP_1)
	v_add_f32_e32 v90, v96, v90
	v_cndmask_b32_e32 v90, v90, v17, vcc_lo
.LBB62_76:                              ;   in Loop: Header=BB62_12 Depth=1
	s_or_b32 exec_lo, exec_lo, s30
	v_and_b32_e32 v12, 0xffff0000, v12
	s_delay_alu instid0(VALU_DEP_1) | instskip(NEXT) | instid1(VALU_DEP_1)
	v_add_f32_e32 v91, s67, v12
	v_cmp_ge_f32_e32 vcc_lo, 0x41a00000, v91
	s_and_b32 s29, s80, vcc_lo
	s_delay_alu instid0(SALU_CYCLE_1)
	s_and_saveexec_b32 s30, s29
	s_cbranch_execz .LBB62_78
; %bb.77:                               ;   in Loop: Header=BB62_12 Depth=1
	v_mul_f32_e32 v12, 0x3fb8aa3b, v91
	v_cmp_ngt_f32_e32 vcc_lo, 0xc2ce8ed0, v91
	s_delay_alu instid0(VALU_DEP_2) | instskip(SKIP_1) | instid1(VALU_DEP_2)
	v_rndne_f32_e32 v17, v12
	v_fma_f32 v92, 0x3fb8aa3b, v91, -v12
	v_sub_f32_e32 v12, v12, v17
	s_delay_alu instid0(VALU_DEP_2) | instskip(SKIP_1) | instid1(VALU_DEP_2)
	v_fmac_f32_e32 v92, 0x32a5705f, v91
	v_cvt_i32_f32_e32 v17, v17
	v_add_f32_e32 v12, v12, v92
	s_delay_alu instid0(VALU_DEP_1) | instskip(SKIP_2) | instid1(VALU_DEP_1)
	v_exp_f32_e32 v12, v12
	s_waitcnt_depctr 0xfff
	v_ldexp_f32 v12, v12, v17
	v_cndmask_b32_e32 v12, 0, v12, vcc_lo
	v_cmp_nlt_f32_e32 vcc_lo, 0x42b17218, v91
	s_delay_alu instid0(VALU_DEP_2) | instskip(NEXT) | instid1(VALU_DEP_1)
	v_cndmask_b32_e32 v12, 0x7f800000, v12, vcc_lo
	v_add_f32_e32 v17, 1.0, v12
	s_delay_alu instid0(VALU_DEP_1) | instskip(NEXT) | instid1(VALU_DEP_1)
	v_cvt_f64_f32_e32 v[91:92], v17
	v_frexp_exp_i32_f64_e32 v91, v[91:92]
	v_frexp_mant_f32_e32 v92, v17
	s_delay_alu instid0(VALU_DEP_1) | instskip(SKIP_1) | instid1(VALU_DEP_1)
	v_cmp_gt_f32_e32 vcc_lo, 0x3f2aaaab, v92
	v_add_f32_e32 v92, -1.0, v17
	v_sub_f32_e32 v94, v92, v17
	v_sub_f32_e32 v92, v12, v92
	s_delay_alu instid0(VALU_DEP_2) | instskip(NEXT) | instid1(VALU_DEP_1)
	v_add_f32_e32 v94, 1.0, v94
	v_add_f32_e32 v92, v92, v94
	v_subrev_co_ci_u32_e32 v91, vcc_lo, 0, v91, vcc_lo
	s_delay_alu instid0(VALU_DEP_1) | instskip(SKIP_1) | instid1(VALU_DEP_2)
	v_sub_nc_u32_e32 v93, 0, v91
	v_cvt_f32_i32_e32 v91, v91
	v_ldexp_f32 v17, v17, v93
	v_ldexp_f32 v92, v92, v93
	s_delay_alu instid0(VALU_DEP_2) | instskip(NEXT) | instid1(VALU_DEP_1)
	v_add_f32_e32 v95, 1.0, v17
	v_dual_add_f32 v93, -1.0, v17 :: v_dual_add_f32 v94, -1.0, v95
	s_delay_alu instid0(VALU_DEP_1) | instskip(NEXT) | instid1(VALU_DEP_2)
	v_add_f32_e32 v96, 1.0, v93
	v_sub_f32_e32 v94, v17, v94
	s_delay_alu instid0(VALU_DEP_2) | instskip(NEXT) | instid1(VALU_DEP_1)
	v_sub_f32_e32 v17, v17, v96
	v_add_f32_e32 v17, v92, v17
	s_delay_alu instid0(VALU_DEP_1) | instskip(SKIP_2) | instid1(VALU_DEP_3)
	v_add_f32_e32 v97, v93, v17
	v_cmp_eq_f32_e32 vcc_lo, 0x7f800000, v12
	v_cmp_gt_f32_e64 s29, 0x33800000, v12
	v_dual_sub_f32 v93, v93, v97 :: v_dual_add_f32 v94, v92, v94
	s_delay_alu instid0(VALU_DEP_2) | instskip(NEXT) | instid1(VALU_DEP_1)
	s_or_b32 vcc_lo, s29, vcc_lo
	v_dual_add_f32 v17, v17, v93 :: v_dual_add_f32 v96, v95, v94
	s_delay_alu instid0(VALU_DEP_1) | instskip(SKIP_1) | instid1(VALU_DEP_1)
	v_rcp_f32_e32 v92, v96
	v_sub_f32_e32 v95, v95, v96
	v_add_f32_e32 v94, v94, v95
	s_waitcnt_depctr 0xfff
	v_mul_f32_e32 v98, v97, v92
	s_delay_alu instid0(VALU_DEP_1) | instskip(NEXT) | instid1(VALU_DEP_1)
	v_mul_f32_e32 v99, v96, v98
	v_fma_f32 v95, v98, v96, -v99
	s_delay_alu instid0(VALU_DEP_1) | instskip(NEXT) | instid1(VALU_DEP_1)
	v_fmac_f32_e32 v95, v98, v94
	v_add_f32_e32 v100, v99, v95
	s_delay_alu instid0(VALU_DEP_1) | instskip(SKIP_1) | instid1(VALU_DEP_2)
	v_sub_f32_e32 v101, v97, v100
	v_sub_f32_e32 v93, v100, v99
	;; [unrolled: 1-line block ×3, first 2 shown]
	s_delay_alu instid0(VALU_DEP_2) | instskip(NEXT) | instid1(VALU_DEP_2)
	v_sub_f32_e32 v93, v93, v95
	v_sub_f32_e32 v97, v97, v100
	s_delay_alu instid0(VALU_DEP_1) | instskip(NEXT) | instid1(VALU_DEP_1)
	v_add_f32_e32 v17, v17, v97
	v_add_f32_e32 v17, v93, v17
	s_delay_alu instid0(VALU_DEP_1) | instskip(NEXT) | instid1(VALU_DEP_1)
	v_add_f32_e32 v93, v101, v17
	v_mul_f32_e32 v95, v92, v93
	s_delay_alu instid0(VALU_DEP_1) | instskip(NEXT) | instid1(VALU_DEP_1)
	v_mul_f32_e32 v97, v96, v95
	v_fma_f32 v96, v95, v96, -v97
	s_delay_alu instid0(VALU_DEP_1) | instskip(SKIP_1) | instid1(VALU_DEP_2)
	v_fmac_f32_e32 v96, v95, v94
	v_sub_f32_e32 v100, v101, v93
	v_add_f32_e32 v94, v97, v96
	s_delay_alu instid0(VALU_DEP_2) | instskip(NEXT) | instid1(VALU_DEP_2)
	v_add_f32_e32 v17, v17, v100
	v_sub_f32_e32 v99, v93, v94
	s_delay_alu instid0(VALU_DEP_1) | instskip(NEXT) | instid1(VALU_DEP_1)
	v_sub_f32_e32 v93, v93, v99
	v_sub_f32_e32 v93, v93, v94
	s_delay_alu instid0(VALU_DEP_1) | instskip(SKIP_2) | instid1(VALU_DEP_1)
	v_add_f32_e32 v17, v17, v93
	v_add_f32_e32 v93, v98, v95
	v_sub_f32_e32 v97, v94, v97
	v_sub_f32_e32 v94, v97, v96
	s_delay_alu instid0(VALU_DEP_1) | instskip(NEXT) | instid1(VALU_DEP_1)
	v_dual_add_f32 v17, v94, v17 :: v_dual_sub_f32 v94, v93, v98
	v_add_f32_e32 v17, v99, v17
	s_delay_alu instid0(VALU_DEP_1) | instskip(NEXT) | instid1(VALU_DEP_1)
	v_dual_sub_f32 v94, v95, v94 :: v_dual_mul_f32 v17, v92, v17
	v_add_f32_e32 v17, v94, v17
	s_delay_alu instid0(VALU_DEP_1) | instskip(NEXT) | instid1(VALU_DEP_1)
	v_add_f32_e32 v92, v93, v17
	v_mul_f32_e32 v94, v92, v92
	s_delay_alu instid0(VALU_DEP_1) | instskip(SKIP_1) | instid1(VALU_DEP_2)
	v_fmaak_f32 v95, s84, v94, 0x3ecc95a3
	v_mul_f32_e32 v96, v92, v94
	v_fmaak_f32 v94, v94, v95, 0x3f2aaada
	v_ldexp_f32 v95, v92, 1
	s_delay_alu instid0(VALU_DEP_2) | instskip(SKIP_1) | instid1(VALU_DEP_2)
	v_mul_f32_e32 v94, v96, v94
	v_sub_f32_e32 v92, v92, v93
	v_dual_mul_f32 v96, 0x3f317218, v91 :: v_dual_add_f32 v93, v95, v94
	s_delay_alu instid0(VALU_DEP_2) | instskip(NEXT) | instid1(VALU_DEP_2)
	v_sub_f32_e32 v17, v17, v92
	v_sub_f32_e32 v92, v93, v95
	s_delay_alu instid0(VALU_DEP_3) | instskip(NEXT) | instid1(VALU_DEP_3)
	v_fma_f32 v95, 0x3f317218, v91, -v96
	v_ldexp_f32 v17, v17, 1
	s_delay_alu instid0(VALU_DEP_2) | instskip(NEXT) | instid1(VALU_DEP_1)
	v_dual_sub_f32 v92, v94, v92 :: v_dual_fmac_f32 v95, 0xb102e308, v91
	v_add_f32_e32 v17, v17, v92
	s_delay_alu instid0(VALU_DEP_1) | instskip(NEXT) | instid1(VALU_DEP_1)
	v_dual_add_f32 v91, v96, v95 :: v_dual_add_f32 v92, v93, v17
	v_sub_f32_e32 v96, v91, v96
	s_delay_alu instid0(VALU_DEP_2) | instskip(NEXT) | instid1(VALU_DEP_2)
	v_dual_add_f32 v94, v91, v92 :: v_dual_sub_f32 v93, v92, v93
	v_sub_f32_e32 v95, v95, v96
	s_delay_alu instid0(VALU_DEP_2) | instskip(NEXT) | instid1(VALU_DEP_1)
	v_sub_f32_e32 v97, v94, v91
	v_sub_f32_e32 v98, v94, v97
	;; [unrolled: 1-line block ×4, first 2 shown]
	s_delay_alu instid0(VALU_DEP_1) | instskip(NEXT) | instid1(VALU_DEP_4)
	v_add_f32_e32 v93, v95, v17
	v_sub_f32_e32 v91, v91, v98
	s_delay_alu instid0(VALU_DEP_1) | instskip(NEXT) | instid1(VALU_DEP_3)
	v_add_f32_e32 v91, v92, v91
	v_sub_f32_e32 v92, v93, v95
	s_delay_alu instid0(VALU_DEP_2) | instskip(NEXT) | instid1(VALU_DEP_2)
	v_add_f32_e32 v91, v93, v91
	v_sub_f32_e32 v93, v93, v92
	s_delay_alu instid0(VALU_DEP_2) | instskip(NEXT) | instid1(VALU_DEP_1)
	v_dual_sub_f32 v17, v17, v92 :: v_dual_add_f32 v96, v94, v91
	v_dual_sub_f32 v92, v96, v94 :: v_dual_sub_f32 v93, v95, v93
	s_delay_alu instid0(VALU_DEP_1) | instskip(NEXT) | instid1(VALU_DEP_2)
	v_sub_f32_e32 v91, v91, v92
	v_add_f32_e32 v17, v17, v93
	s_delay_alu instid0(VALU_DEP_1) | instskip(NEXT) | instid1(VALU_DEP_1)
	v_add_f32_e32 v17, v17, v91
	v_add_f32_e32 v17, v96, v17
	s_delay_alu instid0(VALU_DEP_1)
	v_cndmask_b32_e32 v91, v17, v12, vcc_lo
.LBB62_78:                              ;   in Loop: Header=BB62_12 Depth=1
	s_or_b32 exec_lo, exec_lo, s30
	v_lshlrev_b32_e32 v12, 16, v13
	s_delay_alu instid0(VALU_DEP_1) | instskip(NEXT) | instid1(VALU_DEP_1)
	v_add_f32_e32 v92, s67, v12
	v_cmp_ge_f32_e32 vcc_lo, 0x41a00000, v92
	s_and_b32 s29, s80, vcc_lo
	s_delay_alu instid0(SALU_CYCLE_1)
	s_and_saveexec_b32 s30, s29
	s_cbranch_execz .LBB62_80
; %bb.79:                               ;   in Loop: Header=BB62_12 Depth=1
	v_mul_f32_e32 v12, 0x3fb8aa3b, v92
	v_cmp_ngt_f32_e32 vcc_lo, 0xc2ce8ed0, v92
	s_delay_alu instid0(VALU_DEP_2) | instskip(SKIP_1) | instid1(VALU_DEP_1)
	v_rndne_f32_e32 v17, v12
	v_fma_f32 v93, 0x3fb8aa3b, v92, -v12
	v_dual_sub_f32 v12, v12, v17 :: v_dual_fmac_f32 v93, 0x32a5705f, v92
	v_cvt_i32_f32_e32 v17, v17
	s_delay_alu instid0(VALU_DEP_2) | instskip(NEXT) | instid1(VALU_DEP_1)
	v_add_f32_e32 v12, v12, v93
	v_exp_f32_e32 v12, v12
	s_waitcnt_depctr 0xfff
	v_ldexp_f32 v12, v12, v17
	s_delay_alu instid0(VALU_DEP_1) | instskip(SKIP_1) | instid1(VALU_DEP_2)
	v_cndmask_b32_e32 v12, 0, v12, vcc_lo
	v_cmp_nlt_f32_e32 vcc_lo, 0x42b17218, v92
	v_cndmask_b32_e32 v12, 0x7f800000, v12, vcc_lo
	s_delay_alu instid0(VALU_DEP_1) | instskip(NEXT) | instid1(VALU_DEP_1)
	v_add_f32_e32 v17, 1.0, v12
	v_cvt_f64_f32_e32 v[92:93], v17
	s_delay_alu instid0(VALU_DEP_1) | instskip(SKIP_1) | instid1(VALU_DEP_1)
	v_frexp_exp_i32_f64_e32 v92, v[92:93]
	v_frexp_mant_f32_e32 v93, v17
	v_cmp_gt_f32_e32 vcc_lo, 0x3f2aaaab, v93
	v_add_f32_e32 v93, -1.0, v17
	s_delay_alu instid0(VALU_DEP_1) | instskip(SKIP_1) | instid1(VALU_DEP_2)
	v_sub_f32_e32 v95, v93, v17
	v_sub_f32_e32 v93, v12, v93
	v_add_f32_e32 v95, 1.0, v95
	s_delay_alu instid0(VALU_DEP_1) | instskip(SKIP_3) | instid1(VALU_DEP_2)
	v_add_f32_e32 v93, v93, v95
	v_cmp_gt_f32_e64 s29, 0x33800000, v12
	v_subrev_co_ci_u32_e32 v92, vcc_lo, 0, v92, vcc_lo
	v_cmp_eq_f32_e32 vcc_lo, 0x7f800000, v12
	v_sub_nc_u32_e32 v94, 0, v92
	v_cvt_f32_i32_e32 v92, v92
	s_or_b32 vcc_lo, s29, vcc_lo
	s_delay_alu instid0(VALU_DEP_2) | instskip(SKIP_1) | instid1(VALU_DEP_2)
	v_ldexp_f32 v17, v17, v94
	v_ldexp_f32 v93, v93, v94
	v_add_f32_e32 v96, 1.0, v17
	s_delay_alu instid0(VALU_DEP_1) | instskip(NEXT) | instid1(VALU_DEP_1)
	v_dual_add_f32 v94, -1.0, v17 :: v_dual_add_f32 v95, -1.0, v96
	v_add_f32_e32 v97, 1.0, v94
	s_delay_alu instid0(VALU_DEP_2) | instskip(NEXT) | instid1(VALU_DEP_2)
	v_sub_f32_e32 v95, v17, v95
	v_sub_f32_e32 v17, v17, v97
	s_delay_alu instid0(VALU_DEP_1) | instskip(NEXT) | instid1(VALU_DEP_1)
	v_add_f32_e32 v17, v93, v17
	v_dual_add_f32 v98, v94, v17 :: v_dual_add_f32 v95, v93, v95
	s_delay_alu instid0(VALU_DEP_1) | instskip(NEXT) | instid1(VALU_DEP_1)
	v_dual_sub_f32 v94, v94, v98 :: v_dual_add_f32 v97, v96, v95
	v_rcp_f32_e32 v93, v97
	v_sub_f32_e32 v96, v96, v97
	s_delay_alu instid0(VALU_DEP_1) | instskip(SKIP_2) | instid1(VALU_DEP_1)
	v_add_f32_e32 v95, v95, v96
	s_waitcnt_depctr 0xfff
	v_mul_f32_e32 v99, v98, v93
	v_mul_f32_e32 v100, v97, v99
	s_delay_alu instid0(VALU_DEP_1) | instskip(NEXT) | instid1(VALU_DEP_1)
	v_fma_f32 v96, v99, v97, -v100
	v_fmac_f32_e32 v96, v99, v95
	s_delay_alu instid0(VALU_DEP_1) | instskip(NEXT) | instid1(VALU_DEP_1)
	v_add_f32_e32 v101, v100, v96
	v_sub_f32_e32 v102, v98, v101
	s_delay_alu instid0(VALU_DEP_1) | instskip(SKIP_2) | instid1(VALU_DEP_3)
	v_sub_f32_e32 v98, v98, v102
	v_add_f32_e32 v17, v17, v94
	v_sub_f32_e32 v94, v101, v100
	v_sub_f32_e32 v98, v98, v101
	s_delay_alu instid0(VALU_DEP_1) | instskip(NEXT) | instid1(VALU_DEP_1)
	v_dual_sub_f32 v94, v94, v96 :: v_dual_add_f32 v17, v17, v98
	v_add_f32_e32 v17, v94, v17
	s_delay_alu instid0(VALU_DEP_1) | instskip(NEXT) | instid1(VALU_DEP_1)
	v_add_f32_e32 v94, v102, v17
	v_mul_f32_e32 v96, v93, v94
	s_delay_alu instid0(VALU_DEP_1) | instskip(NEXT) | instid1(VALU_DEP_1)
	v_dual_sub_f32 v101, v102, v94 :: v_dual_mul_f32 v98, v97, v96
	v_add_f32_e32 v17, v17, v101
	s_delay_alu instid0(VALU_DEP_2) | instskip(NEXT) | instid1(VALU_DEP_1)
	v_fma_f32 v97, v96, v97, -v98
	v_fmac_f32_e32 v97, v96, v95
	s_delay_alu instid0(VALU_DEP_1) | instskip(NEXT) | instid1(VALU_DEP_1)
	v_add_f32_e32 v95, v98, v97
	v_sub_f32_e32 v100, v94, v95
	s_delay_alu instid0(VALU_DEP_1) | instskip(NEXT) | instid1(VALU_DEP_1)
	v_sub_f32_e32 v94, v94, v100
	v_sub_f32_e32 v94, v94, v95
	s_delay_alu instid0(VALU_DEP_1) | instskip(SKIP_1) | instid1(VALU_DEP_1)
	v_dual_add_f32 v17, v17, v94 :: v_dual_add_f32 v94, v99, v96
	v_sub_f32_e32 v98, v95, v98
	v_sub_f32_e32 v95, v98, v97
	s_delay_alu instid0(VALU_DEP_1) | instskip(NEXT) | instid1(VALU_DEP_4)
	v_add_f32_e32 v17, v95, v17
	v_sub_f32_e32 v95, v94, v99
	s_delay_alu instid0(VALU_DEP_2) | instskip(NEXT) | instid1(VALU_DEP_2)
	v_add_f32_e32 v17, v100, v17
	v_sub_f32_e32 v95, v96, v95
	s_delay_alu instid0(VALU_DEP_2) | instskip(NEXT) | instid1(VALU_DEP_1)
	v_mul_f32_e32 v17, v93, v17
	v_add_f32_e32 v17, v95, v17
	s_delay_alu instid0(VALU_DEP_1) | instskip(NEXT) | instid1(VALU_DEP_1)
	v_add_f32_e32 v93, v94, v17
	v_mul_f32_e32 v95, v93, v93
	s_delay_alu instid0(VALU_DEP_1) | instskip(SKIP_1) | instid1(VALU_DEP_2)
	v_fmaak_f32 v96, s84, v95, 0x3ecc95a3
	v_mul_f32_e32 v97, v93, v95
	v_fmaak_f32 v95, v95, v96, 0x3f2aaada
	v_ldexp_f32 v96, v93, 1
	v_sub_f32_e32 v93, v93, v94
	s_delay_alu instid0(VALU_DEP_3) | instskip(SKIP_1) | instid1(VALU_DEP_2)
	v_mul_f32_e32 v95, v97, v95
	v_mul_f32_e32 v97, 0x3f317218, v92
	v_dual_sub_f32 v17, v17, v93 :: v_dual_add_f32 v94, v96, v95
	s_delay_alu instid0(VALU_DEP_1) | instskip(NEXT) | instid1(VALU_DEP_2)
	v_ldexp_f32 v17, v17, 1
	v_sub_f32_e32 v93, v94, v96
	s_delay_alu instid0(VALU_DEP_4) | instskip(NEXT) | instid1(VALU_DEP_1)
	v_fma_f32 v96, 0x3f317218, v92, -v97
	v_dual_sub_f32 v93, v95, v93 :: v_dual_fmac_f32 v96, 0xb102e308, v92
	s_delay_alu instid0(VALU_DEP_1) | instskip(NEXT) | instid1(VALU_DEP_1)
	v_add_f32_e32 v17, v17, v93
	v_dual_add_f32 v92, v97, v96 :: v_dual_add_f32 v93, v94, v17
	s_delay_alu instid0(VALU_DEP_1) | instskip(NEXT) | instid1(VALU_DEP_2)
	v_sub_f32_e32 v97, v92, v97
	v_dual_add_f32 v95, v92, v93 :: v_dual_sub_f32 v94, v93, v94
	s_delay_alu instid0(VALU_DEP_2) | instskip(NEXT) | instid1(VALU_DEP_2)
	v_sub_f32_e32 v96, v96, v97
	v_dual_sub_f32 v98, v95, v92 :: v_dual_sub_f32 v17, v17, v94
	s_delay_alu instid0(VALU_DEP_1) | instskip(NEXT) | instid1(VALU_DEP_2)
	v_sub_f32_e32 v99, v95, v98
	v_dual_sub_f32 v93, v93, v98 :: v_dual_add_f32 v94, v96, v17
	s_delay_alu instid0(VALU_DEP_2) | instskip(NEXT) | instid1(VALU_DEP_1)
	v_sub_f32_e32 v92, v92, v99
	v_add_f32_e32 v92, v93, v92
	s_delay_alu instid0(VALU_DEP_3) | instskip(NEXT) | instid1(VALU_DEP_2)
	v_sub_f32_e32 v93, v94, v96
	v_add_f32_e32 v92, v94, v92
	s_delay_alu instid0(VALU_DEP_2) | instskip(SKIP_1) | instid1(VALU_DEP_2)
	v_sub_f32_e32 v94, v94, v93
	v_sub_f32_e32 v17, v17, v93
	v_dual_add_f32 v97, v95, v92 :: v_dual_sub_f32 v94, v96, v94
	s_delay_alu instid0(VALU_DEP_1) | instskip(NEXT) | instid1(VALU_DEP_1)
	v_sub_f32_e32 v93, v97, v95
	v_dual_add_f32 v17, v17, v94 :: v_dual_sub_f32 v92, v92, v93
	s_delay_alu instid0(VALU_DEP_1) | instskip(NEXT) | instid1(VALU_DEP_1)
	v_add_f32_e32 v17, v17, v92
	v_add_f32_e32 v17, v97, v17
	s_delay_alu instid0(VALU_DEP_1)
	v_cndmask_b32_e32 v92, v17, v12, vcc_lo
.LBB62_80:                              ;   in Loop: Header=BB62_12 Depth=1
	s_or_b32 exec_lo, exec_lo, s30
	v_and_b32_e32 v12, 0xffff0000, v13
	s_delay_alu instid0(VALU_DEP_1) | instskip(NEXT) | instid1(VALU_DEP_1)
	v_add_f32_e32 v93, s67, v12
	v_cmp_ge_f32_e32 vcc_lo, 0x41a00000, v93
	s_and_b32 s29, s80, vcc_lo
	s_delay_alu instid0(SALU_CYCLE_1)
	s_and_saveexec_b32 s30, s29
	s_cbranch_execz .LBB62_82
; %bb.81:                               ;   in Loop: Header=BB62_12 Depth=1
	v_mul_f32_e32 v12, 0x3fb8aa3b, v93
	v_cmp_ngt_f32_e32 vcc_lo, 0xc2ce8ed0, v93
	s_delay_alu instid0(VALU_DEP_2) | instskip(SKIP_1) | instid1(VALU_DEP_2)
	v_rndne_f32_e32 v13, v12
	v_fma_f32 v17, 0x3fb8aa3b, v93, -v12
	v_sub_f32_e32 v12, v12, v13
	s_delay_alu instid0(VALU_DEP_2) | instskip(SKIP_1) | instid1(VALU_DEP_2)
	v_fmac_f32_e32 v17, 0x32a5705f, v93
	v_cvt_i32_f32_e32 v13, v13
	v_add_f32_e32 v12, v12, v17
	s_delay_alu instid0(VALU_DEP_1) | instskip(SKIP_2) | instid1(VALU_DEP_1)
	v_exp_f32_e32 v12, v12
	s_waitcnt_depctr 0xfff
	v_ldexp_f32 v12, v12, v13
	v_cndmask_b32_e32 v12, 0, v12, vcc_lo
	v_cmp_nlt_f32_e32 vcc_lo, 0x42b17218, v93
	s_delay_alu instid0(VALU_DEP_2) | instskip(NEXT) | instid1(VALU_DEP_1)
	v_cndmask_b32_e32 v17, 0x7f800000, v12, vcc_lo
	v_add_f32_e32 v93, 1.0, v17
	s_delay_alu instid0(VALU_DEP_1) | instskip(NEXT) | instid1(VALU_DEP_1)
	v_cvt_f64_f32_e32 v[12:13], v93
	v_frexp_exp_i32_f64_e32 v12, v[12:13]
	v_frexp_mant_f32_e32 v13, v93
	s_delay_alu instid0(VALU_DEP_1) | instskip(SKIP_1) | instid1(VALU_DEP_1)
	v_cmp_gt_f32_e32 vcc_lo, 0x3f2aaaab, v13
	v_add_f32_e32 v13, -1.0, v93
	v_sub_f32_e32 v95, v13, v93
	s_delay_alu instid0(VALU_DEP_1) | instskip(SKIP_1) | instid1(VALU_DEP_1)
	v_add_f32_e32 v95, 1.0, v95
	v_subrev_co_ci_u32_e32 v12, vcc_lo, 0, v12, vcc_lo
	v_sub_nc_u32_e32 v94, 0, v12
	v_cvt_f32_i32_e32 v12, v12
	s_delay_alu instid0(VALU_DEP_2) | instskip(NEXT) | instid1(VALU_DEP_1)
	v_ldexp_f32 v93, v93, v94
	v_add_f32_e32 v96, 1.0, v93
	v_sub_f32_e32 v13, v17, v13
	v_cmp_eq_f32_e32 vcc_lo, 0x7f800000, v17
	v_cmp_gt_f32_e64 s29, 0x33800000, v17
	s_delay_alu instid0(VALU_DEP_3) | instskip(SKIP_1) | instid1(VALU_DEP_3)
	v_add_f32_e32 v13, v13, v95
	v_add_f32_e32 v95, -1.0, v96
	s_or_b32 vcc_lo, s29, vcc_lo
	s_delay_alu instid0(VALU_DEP_2) | instskip(NEXT) | instid1(VALU_DEP_2)
	v_ldexp_f32 v13, v13, v94
	v_dual_add_f32 v94, -1.0, v93 :: v_dual_sub_f32 v95, v93, v95
	s_delay_alu instid0(VALU_DEP_1) | instskip(NEXT) | instid1(VALU_DEP_2)
	v_add_f32_e32 v97, 1.0, v94
	v_add_f32_e32 v95, v13, v95
	s_delay_alu instid0(VALU_DEP_2) | instskip(NEXT) | instid1(VALU_DEP_1)
	v_sub_f32_e32 v93, v93, v97
	v_add_f32_e32 v13, v13, v93
	s_delay_alu instid0(VALU_DEP_1) | instskip(NEXT) | instid1(VALU_DEP_1)
	v_dual_add_f32 v98, v94, v13 :: v_dual_add_f32 v97, v96, v95
	v_sub_f32_e32 v94, v94, v98
	s_delay_alu instid0(VALU_DEP_2) | instskip(NEXT) | instid1(VALU_DEP_1)
	v_rcp_f32_e32 v93, v97
	v_dual_sub_f32 v96, v96, v97 :: v_dual_add_f32 v13, v13, v94
	s_delay_alu instid0(VALU_DEP_1) | instskip(SKIP_2) | instid1(VALU_DEP_1)
	v_add_f32_e32 v95, v95, v96
	s_waitcnt_depctr 0xfff
	v_mul_f32_e32 v99, v98, v93
	v_mul_f32_e32 v100, v97, v99
	s_delay_alu instid0(VALU_DEP_1) | instskip(NEXT) | instid1(VALU_DEP_1)
	v_fma_f32 v96, v99, v97, -v100
	v_fmac_f32_e32 v96, v99, v95
	s_delay_alu instid0(VALU_DEP_1) | instskip(NEXT) | instid1(VALU_DEP_1)
	v_add_f32_e32 v101, v100, v96
	v_sub_f32_e32 v102, v98, v101
	v_sub_f32_e32 v94, v101, v100
	s_delay_alu instid0(VALU_DEP_2) | instskip(NEXT) | instid1(VALU_DEP_2)
	v_sub_f32_e32 v98, v98, v102
	v_sub_f32_e32 v94, v94, v96
	s_delay_alu instid0(VALU_DEP_2) | instskip(NEXT) | instid1(VALU_DEP_1)
	v_sub_f32_e32 v98, v98, v101
	v_add_f32_e32 v13, v13, v98
	s_delay_alu instid0(VALU_DEP_1) | instskip(NEXT) | instid1(VALU_DEP_1)
	v_add_f32_e32 v13, v94, v13
	v_add_f32_e32 v94, v102, v13
	s_delay_alu instid0(VALU_DEP_1) | instskip(NEXT) | instid1(VALU_DEP_1)
	v_mul_f32_e32 v96, v93, v94
	v_dual_sub_f32 v101, v102, v94 :: v_dual_mul_f32 v98, v97, v96
	s_delay_alu instid0(VALU_DEP_1) | instskip(NEXT) | instid1(VALU_DEP_1)
	v_fma_f32 v97, v96, v97, -v98
	v_fmac_f32_e32 v97, v96, v95
	s_delay_alu instid0(VALU_DEP_1) | instskip(NEXT) | instid1(VALU_DEP_1)
	v_add_f32_e32 v95, v98, v97
	v_dual_add_f32 v13, v13, v101 :: v_dual_sub_f32 v100, v94, v95
	s_delay_alu instid0(VALU_DEP_1) | instskip(NEXT) | instid1(VALU_DEP_1)
	v_sub_f32_e32 v94, v94, v100
	v_sub_f32_e32 v94, v94, v95
	s_delay_alu instid0(VALU_DEP_1) | instskip(SKIP_1) | instid1(VALU_DEP_1)
	v_dual_add_f32 v13, v13, v94 :: v_dual_add_f32 v94, v99, v96
	v_sub_f32_e32 v98, v95, v98
	v_sub_f32_e32 v95, v98, v97
	s_delay_alu instid0(VALU_DEP_1) | instskip(NEXT) | instid1(VALU_DEP_4)
	v_add_f32_e32 v13, v95, v13
	v_sub_f32_e32 v95, v94, v99
	s_delay_alu instid0(VALU_DEP_2) | instskip(NEXT) | instid1(VALU_DEP_2)
	v_add_f32_e32 v13, v100, v13
	v_sub_f32_e32 v95, v96, v95
	s_delay_alu instid0(VALU_DEP_2) | instskip(NEXT) | instid1(VALU_DEP_1)
	v_mul_f32_e32 v13, v93, v13
	v_add_f32_e32 v13, v95, v13
	s_delay_alu instid0(VALU_DEP_1) | instskip(NEXT) | instid1(VALU_DEP_1)
	v_add_f32_e32 v93, v94, v13
	v_mul_f32_e32 v95, v93, v93
	s_delay_alu instid0(VALU_DEP_1) | instskip(SKIP_1) | instid1(VALU_DEP_2)
	v_fmaak_f32 v96, s84, v95, 0x3ecc95a3
	v_mul_f32_e32 v97, v93, v95
	v_fmaak_f32 v95, v95, v96, 0x3f2aaada
	v_ldexp_f32 v96, v93, 1
	v_sub_f32_e32 v93, v93, v94
	s_delay_alu instid0(VALU_DEP_3) | instskip(SKIP_1) | instid1(VALU_DEP_2)
	v_mul_f32_e32 v95, v97, v95
	v_mul_f32_e32 v97, 0x3f317218, v12
	v_dual_sub_f32 v13, v13, v93 :: v_dual_add_f32 v94, v96, v95
	s_delay_alu instid0(VALU_DEP_1) | instskip(NEXT) | instid1(VALU_DEP_2)
	v_ldexp_f32 v13, v13, 1
	v_sub_f32_e32 v93, v94, v96
	s_delay_alu instid0(VALU_DEP_4) | instskip(NEXT) | instid1(VALU_DEP_1)
	v_fma_f32 v96, 0x3f317218, v12, -v97
	v_dual_sub_f32 v93, v95, v93 :: v_dual_fmac_f32 v96, 0xb102e308, v12
	s_delay_alu instid0(VALU_DEP_1) | instskip(NEXT) | instid1(VALU_DEP_2)
	v_add_f32_e32 v12, v13, v93
	v_add_f32_e32 v13, v97, v96
	s_delay_alu instid0(VALU_DEP_2) | instskip(NEXT) | instid1(VALU_DEP_2)
	v_add_f32_e32 v93, v94, v12
	v_sub_f32_e32 v97, v13, v97
	s_delay_alu instid0(VALU_DEP_2) | instskip(SKIP_1) | instid1(VALU_DEP_3)
	v_add_f32_e32 v95, v13, v93
	v_sub_f32_e32 v94, v93, v94
	v_sub_f32_e32 v96, v96, v97
	s_delay_alu instid0(VALU_DEP_3) | instskip(NEXT) | instid1(VALU_DEP_3)
	v_sub_f32_e32 v98, v95, v13
	v_sub_f32_e32 v12, v12, v94
	s_delay_alu instid0(VALU_DEP_2) | instskip(NEXT) | instid1(VALU_DEP_2)
	v_sub_f32_e32 v99, v95, v98
	v_dual_sub_f32 v93, v93, v98 :: v_dual_add_f32 v94, v96, v12
	s_delay_alu instid0(VALU_DEP_2) | instskip(NEXT) | instid1(VALU_DEP_1)
	v_sub_f32_e32 v13, v13, v99
	v_add_f32_e32 v13, v93, v13
	s_delay_alu instid0(VALU_DEP_3) | instskip(NEXT) | instid1(VALU_DEP_2)
	v_sub_f32_e32 v93, v94, v96
	v_add_f32_e32 v13, v94, v13
	s_delay_alu instid0(VALU_DEP_2) | instskip(SKIP_1) | instid1(VALU_DEP_1)
	v_sub_f32_e32 v12, v12, v93
	v_sub_f32_e32 v94, v94, v93
	v_dual_add_f32 v97, v95, v13 :: v_dual_sub_f32 v94, v96, v94
	s_delay_alu instid0(VALU_DEP_1) | instskip(NEXT) | instid1(VALU_DEP_1)
	v_dual_sub_f32 v93, v97, v95 :: v_dual_add_f32 v12, v12, v94
	v_sub_f32_e32 v13, v13, v93
	s_delay_alu instid0(VALU_DEP_1) | instskip(NEXT) | instid1(VALU_DEP_1)
	v_add_f32_e32 v12, v12, v13
	v_add_f32_e32 v12, v97, v12
	s_delay_alu instid0(VALU_DEP_1)
	v_cndmask_b32_e32 v93, v12, v17, vcc_lo
.LBB62_82:                              ;   in Loop: Header=BB62_12 Depth=1
	s_or_b32 exec_lo, exec_lo, s30
	v_lshlrev_b32_e32 v12, 16, v14
	s_delay_alu instid0(VALU_DEP_1) | instskip(NEXT) | instid1(VALU_DEP_1)
	v_add_f32_e32 v94, s67, v12
	v_cmp_ge_f32_e32 vcc_lo, 0x41a00000, v94
	s_and_b32 s29, s80, vcc_lo
	s_delay_alu instid0(SALU_CYCLE_1)
	s_and_saveexec_b32 s30, s29
	s_cbranch_execz .LBB62_84
; %bb.83:                               ;   in Loop: Header=BB62_12 Depth=1
	v_mul_f32_e32 v12, 0x3fb8aa3b, v94
	v_cmp_ngt_f32_e32 vcc_lo, 0xc2ce8ed0, v94
	s_delay_alu instid0(VALU_DEP_2) | instskip(SKIP_1) | instid1(VALU_DEP_1)
	v_rndne_f32_e32 v13, v12
	v_fma_f32 v17, 0x3fb8aa3b, v94, -v12
	v_dual_sub_f32 v12, v12, v13 :: v_dual_fmac_f32 v17, 0x32a5705f, v94
	v_cvt_i32_f32_e32 v13, v13
	s_delay_alu instid0(VALU_DEP_2) | instskip(NEXT) | instid1(VALU_DEP_1)
	v_add_f32_e32 v12, v12, v17
	v_exp_f32_e32 v12, v12
	s_waitcnt_depctr 0xfff
	v_ldexp_f32 v12, v12, v13
	s_delay_alu instid0(VALU_DEP_1) | instskip(SKIP_1) | instid1(VALU_DEP_2)
	v_cndmask_b32_e32 v12, 0, v12, vcc_lo
	v_cmp_nlt_f32_e32 vcc_lo, 0x42b17218, v94
	v_cndmask_b32_e32 v17, 0x7f800000, v12, vcc_lo
	s_delay_alu instid0(VALU_DEP_1) | instskip(NEXT) | instid1(VALU_DEP_1)
	v_add_f32_e32 v94, 1.0, v17
	v_cvt_f64_f32_e32 v[12:13], v94
	s_delay_alu instid0(VALU_DEP_1) | instskip(SKIP_1) | instid1(VALU_DEP_1)
	v_frexp_exp_i32_f64_e32 v12, v[12:13]
	v_frexp_mant_f32_e32 v13, v94
	v_cmp_gt_f32_e32 vcc_lo, 0x3f2aaaab, v13
	v_add_f32_e32 v13, -1.0, v94
	s_delay_alu instid0(VALU_DEP_1) | instskip(SKIP_2) | instid1(VALU_DEP_3)
	v_sub_f32_e32 v96, v13, v94
	v_sub_f32_e32 v13, v17, v13
	v_cmp_gt_f32_e64 s29, 0x33800000, v17
	v_add_f32_e32 v96, 1.0, v96
	s_delay_alu instid0(VALU_DEP_1) | instskip(SKIP_2) | instid1(VALU_DEP_2)
	v_add_f32_e32 v13, v13, v96
	v_subrev_co_ci_u32_e32 v12, vcc_lo, 0, v12, vcc_lo
	v_cmp_eq_f32_e32 vcc_lo, 0x7f800000, v17
	v_sub_nc_u32_e32 v95, 0, v12
	v_cvt_f32_i32_e32 v12, v12
	s_or_b32 vcc_lo, s29, vcc_lo
	s_delay_alu instid0(VALU_DEP_2) | instskip(SKIP_1) | instid1(VALU_DEP_2)
	v_ldexp_f32 v94, v94, v95
	v_ldexp_f32 v13, v13, v95
	v_add_f32_e32 v95, -1.0, v94
	s_delay_alu instid0(VALU_DEP_1) | instskip(NEXT) | instid1(VALU_DEP_1)
	v_dual_add_f32 v97, 1.0, v94 :: v_dual_add_f32 v98, 1.0, v95
	v_add_f32_e32 v96, -1.0, v97
	s_delay_alu instid0(VALU_DEP_1) | instskip(NEXT) | instid1(VALU_DEP_3)
	v_sub_f32_e32 v96, v94, v96
	v_sub_f32_e32 v94, v94, v98
	s_delay_alu instid0(VALU_DEP_2) | instskip(NEXT) | instid1(VALU_DEP_2)
	v_add_f32_e32 v96, v13, v96
	v_add_f32_e32 v13, v13, v94
	s_delay_alu instid0(VALU_DEP_1) | instskip(NEXT) | instid1(VALU_DEP_1)
	v_dual_add_f32 v99, v95, v13 :: v_dual_add_f32 v98, v97, v96
	v_sub_f32_e32 v95, v95, v99
	s_delay_alu instid0(VALU_DEP_2) | instskip(SKIP_1) | instid1(VALU_DEP_1)
	v_rcp_f32_e32 v94, v98
	v_sub_f32_e32 v97, v97, v98
	v_dual_add_f32 v13, v13, v95 :: v_dual_add_f32 v96, v96, v97
	s_waitcnt_depctr 0xfff
	v_mul_f32_e32 v100, v99, v94
	s_delay_alu instid0(VALU_DEP_1) | instskip(NEXT) | instid1(VALU_DEP_1)
	v_mul_f32_e32 v101, v98, v100
	v_fma_f32 v97, v100, v98, -v101
	s_delay_alu instid0(VALU_DEP_1) | instskip(NEXT) | instid1(VALU_DEP_1)
	v_fmac_f32_e32 v97, v100, v96
	v_add_f32_e32 v102, v101, v97
	s_delay_alu instid0(VALU_DEP_1) | instskip(SKIP_1) | instid1(VALU_DEP_2)
	v_sub_f32_e32 v103, v99, v102
	v_sub_f32_e32 v95, v102, v101
	;; [unrolled: 1-line block ×3, first 2 shown]
	s_delay_alu instid0(VALU_DEP_2) | instskip(NEXT) | instid1(VALU_DEP_2)
	v_sub_f32_e32 v95, v95, v97
	v_sub_f32_e32 v99, v99, v102
	s_delay_alu instid0(VALU_DEP_1) | instskip(NEXT) | instid1(VALU_DEP_1)
	v_add_f32_e32 v13, v13, v99
	v_add_f32_e32 v13, v95, v13
	s_delay_alu instid0(VALU_DEP_1) | instskip(NEXT) | instid1(VALU_DEP_1)
	v_add_f32_e32 v95, v103, v13
	v_mul_f32_e32 v97, v94, v95
	s_delay_alu instid0(VALU_DEP_1) | instskip(NEXT) | instid1(VALU_DEP_1)
	v_dual_sub_f32 v102, v103, v95 :: v_dual_mul_f32 v99, v98, v97
	v_add_f32_e32 v13, v13, v102
	s_delay_alu instid0(VALU_DEP_2) | instskip(NEXT) | instid1(VALU_DEP_1)
	v_fma_f32 v98, v97, v98, -v99
	v_fmac_f32_e32 v98, v97, v96
	s_delay_alu instid0(VALU_DEP_1) | instskip(NEXT) | instid1(VALU_DEP_1)
	v_add_f32_e32 v96, v99, v98
	v_sub_f32_e32 v101, v95, v96
	s_delay_alu instid0(VALU_DEP_1) | instskip(NEXT) | instid1(VALU_DEP_1)
	v_sub_f32_e32 v95, v95, v101
	v_sub_f32_e32 v95, v95, v96
	s_delay_alu instid0(VALU_DEP_1) | instskip(SKIP_2) | instid1(VALU_DEP_1)
	v_add_f32_e32 v13, v13, v95
	v_add_f32_e32 v95, v100, v97
	v_sub_f32_e32 v99, v96, v99
	v_sub_f32_e32 v96, v99, v98
	s_delay_alu instid0(VALU_DEP_1) | instskip(NEXT) | instid1(VALU_DEP_1)
	v_dual_add_f32 v13, v96, v13 :: v_dual_sub_f32 v96, v95, v100
	v_add_f32_e32 v13, v101, v13
	s_delay_alu instid0(VALU_DEP_1) | instskip(NEXT) | instid1(VALU_DEP_1)
	v_dual_sub_f32 v96, v97, v96 :: v_dual_mul_f32 v13, v94, v13
	v_add_f32_e32 v13, v96, v13
	s_delay_alu instid0(VALU_DEP_1) | instskip(NEXT) | instid1(VALU_DEP_1)
	v_add_f32_e32 v94, v95, v13
	v_mul_f32_e32 v96, v94, v94
	s_delay_alu instid0(VALU_DEP_1) | instskip(SKIP_1) | instid1(VALU_DEP_2)
	v_fmaak_f32 v97, s84, v96, 0x3ecc95a3
	v_mul_f32_e32 v98, v94, v96
	v_fmaak_f32 v96, v96, v97, 0x3f2aaada
	v_ldexp_f32 v97, v94, 1
	v_sub_f32_e32 v94, v94, v95
	s_delay_alu instid0(VALU_DEP_3) | instskip(NEXT) | instid1(VALU_DEP_2)
	v_mul_f32_e32 v96, v98, v96
	v_dual_mul_f32 v98, 0x3f317218, v12 :: v_dual_sub_f32 v13, v13, v94
	s_delay_alu instid0(VALU_DEP_2) | instskip(NEXT) | instid1(VALU_DEP_2)
	v_add_f32_e32 v95, v97, v96
	v_ldexp_f32 v13, v13, 1
	s_delay_alu instid0(VALU_DEP_2) | instskip(NEXT) | instid1(VALU_DEP_4)
	v_sub_f32_e32 v94, v95, v97
	v_fma_f32 v97, 0x3f317218, v12, -v98
	s_delay_alu instid0(VALU_DEP_1) | instskip(NEXT) | instid1(VALU_DEP_1)
	v_dual_sub_f32 v94, v96, v94 :: v_dual_fmac_f32 v97, 0xb102e308, v12
	v_add_f32_e32 v12, v13, v94
	s_delay_alu instid0(VALU_DEP_1) | instskip(NEXT) | instid1(VALU_DEP_1)
	v_add_f32_e32 v94, v95, v12
	v_sub_f32_e32 v95, v94, v95
	s_delay_alu instid0(VALU_DEP_1) | instskip(NEXT) | instid1(VALU_DEP_1)
	v_dual_sub_f32 v12, v12, v95 :: v_dual_add_f32 v13, v98, v97
	v_add_f32_e32 v96, v13, v94
	s_delay_alu instid0(VALU_DEP_1) | instskip(NEXT) | instid1(VALU_DEP_1)
	v_dual_sub_f32 v98, v13, v98 :: v_dual_sub_f32 v99, v96, v13
	v_dual_sub_f32 v97, v97, v98 :: v_dual_sub_f32 v100, v96, v99
	s_delay_alu instid0(VALU_DEP_1) | instskip(NEXT) | instid1(VALU_DEP_2)
	v_dual_sub_f32 v94, v94, v99 :: v_dual_add_f32 v95, v97, v12
	v_sub_f32_e32 v13, v13, v100
	s_delay_alu instid0(VALU_DEP_1) | instskip(NEXT) | instid1(VALU_DEP_3)
	v_add_f32_e32 v13, v94, v13
	v_sub_f32_e32 v94, v95, v97
	s_delay_alu instid0(VALU_DEP_2) | instskip(NEXT) | instid1(VALU_DEP_2)
	v_add_f32_e32 v13, v95, v13
	v_sub_f32_e32 v95, v95, v94
	v_sub_f32_e32 v12, v12, v94
	s_delay_alu instid0(VALU_DEP_2) | instskip(NEXT) | instid1(VALU_DEP_1)
	v_dual_add_f32 v98, v96, v13 :: v_dual_sub_f32 v95, v97, v95
	v_sub_f32_e32 v94, v98, v96
	s_delay_alu instid0(VALU_DEP_1) | instskip(NEXT) | instid1(VALU_DEP_1)
	v_dual_add_f32 v12, v12, v95 :: v_dual_sub_f32 v13, v13, v94
	v_add_f32_e32 v12, v12, v13
	s_delay_alu instid0(VALU_DEP_1) | instskip(NEXT) | instid1(VALU_DEP_1)
	v_add_f32_e32 v12, v98, v12
	v_cndmask_b32_e32 v94, v12, v17, vcc_lo
.LBB62_84:                              ;   in Loop: Header=BB62_12 Depth=1
	s_or_b32 exec_lo, exec_lo, s30
	v_and_b32_e32 v12, 0xffff0000, v14
	s_delay_alu instid0(VALU_DEP_1) | instskip(NEXT) | instid1(VALU_DEP_1)
	v_add_f32_e32 v95, s67, v12
	v_cmp_ge_f32_e32 vcc_lo, 0x41a00000, v95
	s_and_b32 s29, s80, vcc_lo
	s_delay_alu instid0(SALU_CYCLE_1)
	s_and_saveexec_b32 s30, s29
	s_cbranch_execz .LBB62_86
; %bb.85:                               ;   in Loop: Header=BB62_12 Depth=1
	v_mul_f32_e32 v12, 0x3fb8aa3b, v95
	v_cmp_ngt_f32_e32 vcc_lo, 0xc2ce8ed0, v95
	s_delay_alu instid0(VALU_DEP_2) | instskip(SKIP_1) | instid1(VALU_DEP_2)
	v_rndne_f32_e32 v13, v12
	v_fma_f32 v14, 0x3fb8aa3b, v95, -v12
	v_sub_f32_e32 v12, v12, v13
	s_delay_alu instid0(VALU_DEP_2) | instskip(SKIP_1) | instid1(VALU_DEP_2)
	v_fmac_f32_e32 v14, 0x32a5705f, v95
	v_cvt_i32_f32_e32 v13, v13
	v_add_f32_e32 v12, v12, v14
	s_delay_alu instid0(VALU_DEP_1) | instskip(SKIP_2) | instid1(VALU_DEP_1)
	v_exp_f32_e32 v12, v12
	s_waitcnt_depctr 0xfff
	v_ldexp_f32 v12, v12, v13
	v_cndmask_b32_e32 v12, 0, v12, vcc_lo
	v_cmp_nlt_f32_e32 vcc_lo, 0x42b17218, v95
	s_delay_alu instid0(VALU_DEP_2) | instskip(NEXT) | instid1(VALU_DEP_1)
	v_cndmask_b32_e32 v14, 0x7f800000, v12, vcc_lo
	v_add_f32_e32 v17, 1.0, v14
	s_delay_alu instid0(VALU_DEP_1) | instskip(NEXT) | instid1(VALU_DEP_1)
	v_cvt_f64_f32_e32 v[12:13], v17
	v_frexp_exp_i32_f64_e32 v12, v[12:13]
	v_frexp_mant_f32_e32 v13, v17
	s_delay_alu instid0(VALU_DEP_1) | instskip(SKIP_1) | instid1(VALU_DEP_1)
	v_cmp_gt_f32_e32 vcc_lo, 0x3f2aaaab, v13
	v_add_f32_e32 v13, -1.0, v17
	v_sub_f32_e32 v96, v13, v17
	v_sub_f32_e32 v13, v14, v13
	v_subrev_co_ci_u32_e32 v12, vcc_lo, 0, v12, vcc_lo
	s_delay_alu instid0(VALU_DEP_1) | instskip(SKIP_1) | instid1(VALU_DEP_2)
	v_sub_nc_u32_e32 v95, 0, v12
	v_cvt_f32_i32_e32 v12, v12
	v_ldexp_f32 v17, v17, v95
	s_delay_alu instid0(VALU_DEP_1) | instskip(NEXT) | instid1(VALU_DEP_1)
	v_dual_add_f32 v96, 1.0, v96 :: v_dual_add_f32 v97, 1.0, v17
	v_dual_add_f32 v13, v13, v96 :: v_dual_add_f32 v96, -1.0, v97
	s_delay_alu instid0(VALU_DEP_1) | instskip(SKIP_4) | instid1(VALU_DEP_4)
	v_ldexp_f32 v13, v13, v95
	v_add_f32_e32 v95, -1.0, v17
	v_cmp_eq_f32_e32 vcc_lo, 0x7f800000, v14
	v_cmp_gt_f32_e64 s29, 0x33800000, v14
	v_sub_f32_e32 v96, v17, v96
	v_add_f32_e32 v98, 1.0, v95
	s_delay_alu instid0(VALU_DEP_3) | instskip(NEXT) | instid1(VALU_DEP_2)
	s_or_b32 vcc_lo, s29, vcc_lo
	v_add_f32_e32 v96, v13, v96
	s_delay_alu instid0(VALU_DEP_2) | instskip(NEXT) | instid1(VALU_DEP_1)
	v_sub_f32_e32 v17, v17, v98
	v_add_f32_e32 v13, v13, v17
	s_delay_alu instid0(VALU_DEP_1) | instskip(NEXT) | instid1(VALU_DEP_1)
	v_dual_add_f32 v99, v95, v13 :: v_dual_add_f32 v98, v97, v96
	v_sub_f32_e32 v95, v95, v99
	s_delay_alu instid0(VALU_DEP_2) | instskip(SKIP_1) | instid1(VALU_DEP_1)
	v_rcp_f32_e32 v17, v98
	v_sub_f32_e32 v97, v97, v98
	v_dual_add_f32 v13, v13, v95 :: v_dual_add_f32 v96, v96, v97
	s_waitcnt_depctr 0xfff
	v_mul_f32_e32 v100, v99, v17
	s_delay_alu instid0(VALU_DEP_1) | instskip(NEXT) | instid1(VALU_DEP_1)
	v_mul_f32_e32 v101, v98, v100
	v_fma_f32 v97, v100, v98, -v101
	s_delay_alu instid0(VALU_DEP_1) | instskip(NEXT) | instid1(VALU_DEP_1)
	v_fmac_f32_e32 v97, v100, v96
	v_add_f32_e32 v102, v101, v97
	s_delay_alu instid0(VALU_DEP_1) | instskip(NEXT) | instid1(VALU_DEP_1)
	v_sub_f32_e32 v103, v99, v102
	v_sub_f32_e32 v99, v99, v103
	;; [unrolled: 1-line block ×3, first 2 shown]
	s_delay_alu instid0(VALU_DEP_2) | instskip(NEXT) | instid1(VALU_DEP_2)
	v_sub_f32_e32 v99, v99, v102
	v_sub_f32_e32 v95, v95, v97
	s_delay_alu instid0(VALU_DEP_2) | instskip(NEXT) | instid1(VALU_DEP_1)
	v_add_f32_e32 v13, v13, v99
	v_add_f32_e32 v13, v95, v13
	s_delay_alu instid0(VALU_DEP_1) | instskip(NEXT) | instid1(VALU_DEP_1)
	v_add_f32_e32 v95, v103, v13
	v_mul_f32_e32 v97, v17, v95
	s_delay_alu instid0(VALU_DEP_1) | instskip(NEXT) | instid1(VALU_DEP_1)
	v_dual_sub_f32 v102, v103, v95 :: v_dual_mul_f32 v99, v98, v97
	v_add_f32_e32 v13, v13, v102
	s_delay_alu instid0(VALU_DEP_2) | instskip(NEXT) | instid1(VALU_DEP_1)
	v_fma_f32 v98, v97, v98, -v99
	v_fmac_f32_e32 v98, v97, v96
	s_delay_alu instid0(VALU_DEP_1) | instskip(NEXT) | instid1(VALU_DEP_1)
	v_add_f32_e32 v96, v99, v98
	v_sub_f32_e32 v101, v95, v96
	v_sub_f32_e32 v99, v96, v99
	s_delay_alu instid0(VALU_DEP_2) | instskip(NEXT) | instid1(VALU_DEP_1)
	v_sub_f32_e32 v95, v95, v101
	v_sub_f32_e32 v95, v95, v96
	s_delay_alu instid0(VALU_DEP_1) | instskip(SKIP_1) | instid1(VALU_DEP_1)
	v_dual_sub_f32 v96, v99, v98 :: v_dual_add_f32 v13, v13, v95
	v_add_f32_e32 v95, v100, v97
	v_dual_add_f32 v13, v96, v13 :: v_dual_sub_f32 v96, v95, v100
	s_delay_alu instid0(VALU_DEP_1) | instskip(NEXT) | instid1(VALU_DEP_2)
	v_add_f32_e32 v13, v101, v13
	v_sub_f32_e32 v96, v97, v96
	s_delay_alu instid0(VALU_DEP_2) | instskip(NEXT) | instid1(VALU_DEP_1)
	v_mul_f32_e32 v13, v17, v13
	v_add_f32_e32 v13, v96, v13
	s_delay_alu instid0(VALU_DEP_1) | instskip(NEXT) | instid1(VALU_DEP_1)
	v_add_f32_e32 v17, v95, v13
	v_mul_f32_e32 v96, v17, v17
	s_delay_alu instid0(VALU_DEP_1) | instskip(SKIP_1) | instid1(VALU_DEP_2)
	v_fmaak_f32 v97, s84, v96, 0x3ecc95a3
	v_mul_f32_e32 v98, v17, v96
	v_fmaak_f32 v96, v96, v97, 0x3f2aaada
	v_ldexp_f32 v97, v17, 1
	s_delay_alu instid0(VALU_DEP_2) | instskip(NEXT) | instid1(VALU_DEP_1)
	v_dual_sub_f32 v17, v17, v95 :: v_dual_mul_f32 v96, v98, v96
	v_dual_mul_f32 v98, 0x3f317218, v12 :: v_dual_sub_f32 v13, v13, v17
	s_delay_alu instid0(VALU_DEP_2) | instskip(NEXT) | instid1(VALU_DEP_2)
	v_add_f32_e32 v95, v97, v96
	v_ldexp_f32 v13, v13, 1
	s_delay_alu instid0(VALU_DEP_2) | instskip(NEXT) | instid1(VALU_DEP_4)
	v_sub_f32_e32 v17, v95, v97
	v_fma_f32 v97, 0x3f317218, v12, -v98
	s_delay_alu instid0(VALU_DEP_2) | instskip(NEXT) | instid1(VALU_DEP_1)
	v_sub_f32_e32 v17, v96, v17
	v_dual_fmac_f32 v97, 0xb102e308, v12 :: v_dual_add_f32 v12, v13, v17
	s_delay_alu instid0(VALU_DEP_1) | instskip(NEXT) | instid1(VALU_DEP_1)
	v_add_f32_e32 v13, v98, v97
	v_dual_add_f32 v17, v95, v12 :: v_dual_sub_f32 v98, v13, v98
	s_delay_alu instid0(VALU_DEP_1) | instskip(SKIP_1) | instid1(VALU_DEP_3)
	v_add_f32_e32 v96, v13, v17
	v_sub_f32_e32 v95, v17, v95
	v_sub_f32_e32 v97, v97, v98
	s_delay_alu instid0(VALU_DEP_3) | instskip(NEXT) | instid1(VALU_DEP_3)
	v_sub_f32_e32 v99, v96, v13
	v_sub_f32_e32 v12, v12, v95
	s_delay_alu instid0(VALU_DEP_2) | instskip(SKIP_1) | instid1(VALU_DEP_3)
	v_sub_f32_e32 v100, v96, v99
	v_sub_f32_e32 v17, v17, v99
	v_add_f32_e32 v95, v97, v12
	s_delay_alu instid0(VALU_DEP_3) | instskip(NEXT) | instid1(VALU_DEP_1)
	v_sub_f32_e32 v13, v13, v100
	v_add_f32_e32 v13, v17, v13
	s_delay_alu instid0(VALU_DEP_3) | instskip(NEXT) | instid1(VALU_DEP_2)
	v_sub_f32_e32 v17, v95, v97
	v_add_f32_e32 v13, v95, v13
	s_delay_alu instid0(VALU_DEP_2) | instskip(SKIP_1) | instid1(VALU_DEP_2)
	v_sub_f32_e32 v95, v95, v17
	v_sub_f32_e32 v12, v12, v17
	v_dual_add_f32 v98, v96, v13 :: v_dual_sub_f32 v95, v97, v95
	s_delay_alu instid0(VALU_DEP_1) | instskip(NEXT) | instid1(VALU_DEP_1)
	v_dual_sub_f32 v17, v98, v96 :: v_dual_add_f32 v12, v12, v95
	v_sub_f32_e32 v13, v13, v17
	s_delay_alu instid0(VALU_DEP_1) | instskip(NEXT) | instid1(VALU_DEP_1)
	v_add_f32_e32 v12, v12, v13
	v_add_f32_e32 v12, v98, v12
	s_delay_alu instid0(VALU_DEP_1)
	v_cndmask_b32_e32 v95, v12, v14, vcc_lo
.LBB62_86:                              ;   in Loop: Header=BB62_12 Depth=1
	s_or_b32 exec_lo, exec_lo, s30
	v_lshlrev_b32_e32 v12, 16, v15
	s_delay_alu instid0(VALU_DEP_1) | instskip(NEXT) | instid1(VALU_DEP_1)
	v_add_f32_e32 v96, s67, v12
	v_cmp_ge_f32_e32 vcc_lo, 0x41a00000, v96
	s_and_b32 s29, s80, vcc_lo
	s_delay_alu instid0(SALU_CYCLE_1)
	s_and_saveexec_b32 s30, s29
	s_cbranch_execz .LBB62_88
; %bb.87:                               ;   in Loop: Header=BB62_12 Depth=1
	v_mul_f32_e32 v12, 0x3fb8aa3b, v96
	v_cmp_ngt_f32_e32 vcc_lo, 0xc2ce8ed0, v96
	s_delay_alu instid0(VALU_DEP_2) | instskip(SKIP_1) | instid1(VALU_DEP_2)
	v_rndne_f32_e32 v13, v12
	v_fma_f32 v14, 0x3fb8aa3b, v96, -v12
	v_sub_f32_e32 v12, v12, v13
	s_delay_alu instid0(VALU_DEP_2) | instskip(SKIP_1) | instid1(VALU_DEP_2)
	v_fmac_f32_e32 v14, 0x32a5705f, v96
	v_cvt_i32_f32_e32 v13, v13
	v_add_f32_e32 v12, v12, v14
	s_delay_alu instid0(VALU_DEP_1) | instskip(SKIP_2) | instid1(VALU_DEP_1)
	v_exp_f32_e32 v12, v12
	s_waitcnt_depctr 0xfff
	v_ldexp_f32 v12, v12, v13
	v_cndmask_b32_e32 v12, 0, v12, vcc_lo
	v_cmp_nlt_f32_e32 vcc_lo, 0x42b17218, v96
	s_delay_alu instid0(VALU_DEP_2) | instskip(NEXT) | instid1(VALU_DEP_1)
	v_cndmask_b32_e32 v14, 0x7f800000, v12, vcc_lo
	v_add_f32_e32 v17, 1.0, v14
	s_delay_alu instid0(VALU_DEP_1) | instskip(NEXT) | instid1(VALU_DEP_1)
	v_cvt_f64_f32_e32 v[12:13], v17
	v_frexp_exp_i32_f64_e32 v12, v[12:13]
	v_frexp_mant_f32_e32 v13, v17
	s_delay_alu instid0(VALU_DEP_1) | instskip(SKIP_1) | instid1(VALU_DEP_1)
	v_cmp_gt_f32_e32 vcc_lo, 0x3f2aaaab, v13
	v_add_f32_e32 v13, -1.0, v17
	v_sub_f32_e32 v97, v13, v17
	s_delay_alu instid0(VALU_DEP_1) | instskip(SKIP_2) | instid1(VALU_DEP_2)
	v_add_f32_e32 v97, 1.0, v97
	v_sub_f32_e32 v13, v14, v13
	v_cmp_gt_f32_e64 s29, 0x33800000, v14
	v_add_f32_e32 v13, v13, v97
	v_subrev_co_ci_u32_e32 v12, vcc_lo, 0, v12, vcc_lo
	v_cmp_eq_f32_e32 vcc_lo, 0x7f800000, v14
	s_delay_alu instid0(VALU_DEP_2) | instskip(SKIP_2) | instid1(VALU_DEP_2)
	v_sub_nc_u32_e32 v96, 0, v12
	v_cvt_f32_i32_e32 v12, v12
	s_or_b32 vcc_lo, s29, vcc_lo
	v_ldexp_f32 v17, v17, v96
	v_ldexp_f32 v13, v13, v96
	s_delay_alu instid0(VALU_DEP_2) | instskip(NEXT) | instid1(VALU_DEP_1)
	v_add_f32_e32 v96, -1.0, v17
	v_dual_add_f32 v98, 1.0, v17 :: v_dual_add_f32 v99, 1.0, v96
	s_delay_alu instid0(VALU_DEP_1) | instskip(NEXT) | instid1(VALU_DEP_1)
	v_add_f32_e32 v97, -1.0, v98
	v_sub_f32_e32 v97, v17, v97
	s_delay_alu instid0(VALU_DEP_3) | instskip(NEXT) | instid1(VALU_DEP_2)
	v_sub_f32_e32 v17, v17, v99
	v_add_f32_e32 v97, v13, v97
	s_delay_alu instid0(VALU_DEP_2) | instskip(NEXT) | instid1(VALU_DEP_1)
	v_add_f32_e32 v13, v13, v17
	v_add_f32_e32 v100, v96, v13
	s_delay_alu instid0(VALU_DEP_1) | instskip(NEXT) | instid1(VALU_DEP_1)
	v_dual_sub_f32 v96, v96, v100 :: v_dual_add_f32 v99, v98, v97
	v_add_f32_e32 v13, v13, v96
	s_delay_alu instid0(VALU_DEP_2) | instskip(SKIP_1) | instid1(VALU_DEP_1)
	v_rcp_f32_e32 v17, v99
	v_sub_f32_e32 v98, v98, v99
	v_add_f32_e32 v97, v97, v98
	s_waitcnt_depctr 0xfff
	v_mul_f32_e32 v101, v100, v17
	s_delay_alu instid0(VALU_DEP_1) | instskip(NEXT) | instid1(VALU_DEP_1)
	v_mul_f32_e32 v102, v99, v101
	v_fma_f32 v98, v101, v99, -v102
	s_delay_alu instid0(VALU_DEP_1) | instskip(NEXT) | instid1(VALU_DEP_1)
	v_fmac_f32_e32 v98, v101, v97
	v_add_f32_e32 v103, v102, v98
	s_delay_alu instid0(VALU_DEP_1) | instskip(SKIP_1) | instid1(VALU_DEP_2)
	v_sub_f32_e32 v104, v100, v103
	v_sub_f32_e32 v96, v103, v102
	;; [unrolled: 1-line block ×3, first 2 shown]
	s_delay_alu instid0(VALU_DEP_1) | instskip(NEXT) | instid1(VALU_DEP_1)
	v_sub_f32_e32 v100, v100, v103
	v_dual_sub_f32 v96, v96, v98 :: v_dual_add_f32 v13, v13, v100
	s_delay_alu instid0(VALU_DEP_1) | instskip(NEXT) | instid1(VALU_DEP_1)
	v_add_f32_e32 v13, v96, v13
	v_add_f32_e32 v96, v104, v13
	s_delay_alu instid0(VALU_DEP_1) | instskip(NEXT) | instid1(VALU_DEP_1)
	v_mul_f32_e32 v98, v17, v96
	v_dual_sub_f32 v103, v104, v96 :: v_dual_mul_f32 v100, v99, v98
	s_delay_alu instid0(VALU_DEP_1) | instskip(NEXT) | instid1(VALU_DEP_2)
	v_add_f32_e32 v13, v13, v103
	v_fma_f32 v99, v98, v99, -v100
	s_delay_alu instid0(VALU_DEP_1) | instskip(NEXT) | instid1(VALU_DEP_1)
	v_fmac_f32_e32 v99, v98, v97
	v_add_f32_e32 v97, v100, v99
	s_delay_alu instid0(VALU_DEP_1) | instskip(NEXT) | instid1(VALU_DEP_1)
	v_sub_f32_e32 v102, v96, v97
	v_sub_f32_e32 v96, v96, v102
	s_delay_alu instid0(VALU_DEP_1) | instskip(NEXT) | instid1(VALU_DEP_1)
	v_sub_f32_e32 v96, v96, v97
	v_add_f32_e32 v13, v13, v96
	v_add_f32_e32 v96, v101, v98
	v_sub_f32_e32 v100, v97, v100
	s_delay_alu instid0(VALU_DEP_1) | instskip(NEXT) | instid1(VALU_DEP_1)
	v_sub_f32_e32 v97, v100, v99
	v_add_f32_e32 v13, v97, v13
	s_delay_alu instid0(VALU_DEP_4) | instskip(NEXT) | instid1(VALU_DEP_2)
	v_sub_f32_e32 v97, v96, v101
	v_add_f32_e32 v13, v102, v13
	s_delay_alu instid0(VALU_DEP_2) | instskip(NEXT) | instid1(VALU_DEP_2)
	v_sub_f32_e32 v97, v98, v97
	v_mul_f32_e32 v13, v17, v13
	s_delay_alu instid0(VALU_DEP_1) | instskip(NEXT) | instid1(VALU_DEP_1)
	v_add_f32_e32 v13, v97, v13
	v_add_f32_e32 v17, v96, v13
	s_delay_alu instid0(VALU_DEP_1) | instskip(NEXT) | instid1(VALU_DEP_1)
	v_mul_f32_e32 v97, v17, v17
	v_fmaak_f32 v98, s84, v97, 0x3ecc95a3
	v_mul_f32_e32 v99, v17, v97
	s_delay_alu instid0(VALU_DEP_2) | instskip(SKIP_1) | instid1(VALU_DEP_2)
	v_fmaak_f32 v97, v97, v98, 0x3f2aaada
	v_ldexp_f32 v98, v17, 1
	v_mul_f32_e32 v97, v99, v97
	s_delay_alu instid0(VALU_DEP_1) | instskip(NEXT) | instid1(VALU_DEP_1)
	v_dual_sub_f32 v17, v17, v96 :: v_dual_add_f32 v96, v98, v97
	v_sub_f32_e32 v13, v13, v17
	s_delay_alu instid0(VALU_DEP_2) | instskip(NEXT) | instid1(VALU_DEP_2)
	v_sub_f32_e32 v17, v96, v98
	v_ldexp_f32 v13, v13, 1
	s_delay_alu instid0(VALU_DEP_2) | instskip(SKIP_1) | instid1(VALU_DEP_1)
	v_sub_f32_e32 v17, v97, v17
	v_mul_f32_e32 v99, 0x3f317218, v12
	v_fma_f32 v98, 0x3f317218, v12, -v99
	s_delay_alu instid0(VALU_DEP_1) | instskip(NEXT) | instid1(VALU_DEP_1)
	v_fmac_f32_e32 v98, 0xb102e308, v12
	v_dual_add_f32 v12, v13, v17 :: v_dual_add_f32 v13, v99, v98
	s_delay_alu instid0(VALU_DEP_1) | instskip(NEXT) | instid1(VALU_DEP_1)
	v_add_f32_e32 v17, v96, v12
	v_add_f32_e32 v97, v13, v17
	v_sub_f32_e32 v96, v17, v96
	s_delay_alu instid0(VALU_DEP_2) | instskip(NEXT) | instid1(VALU_DEP_2)
	v_sub_f32_e32 v100, v97, v13
	v_dual_sub_f32 v12, v12, v96 :: v_dual_sub_f32 v99, v13, v99
	s_delay_alu instid0(VALU_DEP_2) | instskip(NEXT) | instid1(VALU_DEP_2)
	v_sub_f32_e32 v101, v97, v100
	v_dual_sub_f32 v17, v17, v100 :: v_dual_sub_f32 v98, v98, v99
	s_delay_alu instid0(VALU_DEP_1) | instskip(NEXT) | instid1(VALU_DEP_1)
	v_dual_sub_f32 v13, v13, v101 :: v_dual_add_f32 v96, v98, v12
	v_add_f32_e32 v13, v17, v13
	s_delay_alu instid0(VALU_DEP_2) | instskip(NEXT) | instid1(VALU_DEP_2)
	v_sub_f32_e32 v17, v96, v98
	v_add_f32_e32 v13, v96, v13
	s_delay_alu instid0(VALU_DEP_2) | instskip(SKIP_1) | instid1(VALU_DEP_2)
	v_sub_f32_e32 v96, v96, v17
	v_sub_f32_e32 v12, v12, v17
	v_dual_add_f32 v99, v97, v13 :: v_dual_sub_f32 v96, v98, v96
	s_delay_alu instid0(VALU_DEP_1) | instskip(NEXT) | instid1(VALU_DEP_1)
	v_dual_sub_f32 v17, v99, v97 :: v_dual_add_f32 v12, v12, v96
	v_sub_f32_e32 v13, v13, v17
	s_delay_alu instid0(VALU_DEP_1) | instskip(NEXT) | instid1(VALU_DEP_1)
	v_add_f32_e32 v12, v12, v13
	v_add_f32_e32 v12, v99, v12
	s_delay_alu instid0(VALU_DEP_1)
	v_cndmask_b32_e32 v96, v12, v14, vcc_lo
.LBB62_88:                              ;   in Loop: Header=BB62_12 Depth=1
	s_or_b32 exec_lo, exec_lo, s30
	v_and_b32_e32 v12, 0xffff0000, v15
	s_delay_alu instid0(VALU_DEP_1) | instskip(NEXT) | instid1(VALU_DEP_1)
	v_add_f32_e32 v97, s67, v12
	v_cmp_ge_f32_e32 vcc_lo, 0x41a00000, v97
	s_and_b32 s29, s80, vcc_lo
	s_delay_alu instid0(SALU_CYCLE_1)
	s_and_saveexec_b32 s30, s29
	s_cbranch_execz .LBB62_90
; %bb.89:                               ;   in Loop: Header=BB62_12 Depth=1
	v_mul_f32_e32 v12, 0x3fb8aa3b, v97
	v_cmp_ngt_f32_e32 vcc_lo, 0xc2ce8ed0, v97
	s_delay_alu instid0(VALU_DEP_2) | instskip(SKIP_1) | instid1(VALU_DEP_2)
	v_rndne_f32_e32 v13, v12
	v_fma_f32 v14, 0x3fb8aa3b, v97, -v12
	v_sub_f32_e32 v12, v12, v13
	s_delay_alu instid0(VALU_DEP_2) | instskip(SKIP_1) | instid1(VALU_DEP_2)
	v_fmac_f32_e32 v14, 0x32a5705f, v97
	v_cvt_i32_f32_e32 v13, v13
	v_add_f32_e32 v12, v12, v14
	s_delay_alu instid0(VALU_DEP_1) | instskip(SKIP_2) | instid1(VALU_DEP_1)
	v_exp_f32_e32 v12, v12
	s_waitcnt_depctr 0xfff
	v_ldexp_f32 v12, v12, v13
	v_cndmask_b32_e32 v12, 0, v12, vcc_lo
	v_cmp_nlt_f32_e32 vcc_lo, 0x42b17218, v97
	s_delay_alu instid0(VALU_DEP_2) | instskip(NEXT) | instid1(VALU_DEP_1)
	v_cndmask_b32_e32 v14, 0x7f800000, v12, vcc_lo
	v_add_f32_e32 v15, 1.0, v14
	s_delay_alu instid0(VALU_DEP_1) | instskip(NEXT) | instid1(VALU_DEP_1)
	v_cvt_f64_f32_e32 v[12:13], v15
	v_frexp_exp_i32_f64_e32 v12, v[12:13]
	v_frexp_mant_f32_e32 v13, v15
	s_delay_alu instid0(VALU_DEP_1) | instskip(SKIP_1) | instid1(VALU_DEP_1)
	v_cmp_gt_f32_e32 vcc_lo, 0x3f2aaaab, v13
	v_add_f32_e32 v13, -1.0, v15
	v_sub_f32_e32 v97, v13, v15
	v_sub_f32_e32 v13, v14, v13
	s_delay_alu instid0(VALU_DEP_2) | instskip(NEXT) | instid1(VALU_DEP_1)
	v_add_f32_e32 v97, 1.0, v97
	v_add_f32_e32 v13, v13, v97
	v_cmp_gt_f32_e64 s29, 0x33800000, v14
	v_subrev_co_ci_u32_e32 v12, vcc_lo, 0, v12, vcc_lo
	v_cmp_eq_f32_e32 vcc_lo, 0x7f800000, v14
	s_delay_alu instid0(VALU_DEP_2) | instskip(SKIP_2) | instid1(VALU_DEP_2)
	v_sub_nc_u32_e32 v17, 0, v12
	v_cvt_f32_i32_e32 v12, v12
	s_or_b32 vcc_lo, s29, vcc_lo
	v_ldexp_f32 v15, v15, v17
	v_ldexp_f32 v13, v13, v17
	s_delay_alu instid0(VALU_DEP_2) | instskip(SKIP_1) | instid1(VALU_DEP_2)
	v_add_f32_e32 v98, 1.0, v15
	v_add_f32_e32 v17, -1.0, v15
	v_add_f32_e32 v97, -1.0, v98
	s_delay_alu instid0(VALU_DEP_2) | instskip(NEXT) | instid1(VALU_DEP_2)
	v_add_f32_e32 v99, 1.0, v17
	v_sub_f32_e32 v97, v15, v97
	s_delay_alu instid0(VALU_DEP_2) | instskip(NEXT) | instid1(VALU_DEP_2)
	v_sub_f32_e32 v15, v15, v99
	v_add_f32_e32 v97, v13, v97
	s_delay_alu instid0(VALU_DEP_2) | instskip(NEXT) | instid1(VALU_DEP_1)
	v_add_f32_e32 v13, v13, v15
	v_add_f32_e32 v100, v17, v13
	s_delay_alu instid0(VALU_DEP_3) | instskip(NEXT) | instid1(VALU_DEP_1)
	v_add_f32_e32 v99, v98, v97
	v_rcp_f32_e32 v15, v99
	v_sub_f32_e32 v98, v98, v99
	s_delay_alu instid0(VALU_DEP_1) | instskip(SKIP_2) | instid1(VALU_DEP_1)
	v_add_f32_e32 v97, v97, v98
	s_waitcnt_depctr 0xfff
	v_mul_f32_e32 v101, v100, v15
	v_dual_mul_f32 v102, v99, v101 :: v_dual_sub_f32 v17, v17, v100
	s_delay_alu instid0(VALU_DEP_1) | instskip(NEXT) | instid1(VALU_DEP_2)
	v_fma_f32 v98, v101, v99, -v102
	v_add_f32_e32 v13, v13, v17
	s_delay_alu instid0(VALU_DEP_2) | instskip(NEXT) | instid1(VALU_DEP_1)
	v_fmac_f32_e32 v98, v101, v97
	v_add_f32_e32 v103, v102, v98
	s_delay_alu instid0(VALU_DEP_1) | instskip(NEXT) | instid1(VALU_DEP_1)
	v_dual_sub_f32 v104, v100, v103 :: v_dual_sub_f32 v17, v103, v102
	v_dual_sub_f32 v100, v100, v104 :: v_dual_sub_f32 v17, v17, v98
	s_delay_alu instid0(VALU_DEP_1) | instskip(NEXT) | instid1(VALU_DEP_1)
	v_sub_f32_e32 v100, v100, v103
	v_add_f32_e32 v13, v13, v100
	s_delay_alu instid0(VALU_DEP_1) | instskip(NEXT) | instid1(VALU_DEP_1)
	v_add_f32_e32 v13, v17, v13
	v_add_f32_e32 v17, v104, v13
	s_delay_alu instid0(VALU_DEP_1) | instskip(NEXT) | instid1(VALU_DEP_1)
	v_mul_f32_e32 v98, v15, v17
	v_dual_sub_f32 v103, v104, v17 :: v_dual_mul_f32 v100, v99, v98
	s_delay_alu instid0(VALU_DEP_1) | instskip(NEXT) | instid1(VALU_DEP_2)
	v_add_f32_e32 v13, v13, v103
	v_fma_f32 v99, v98, v99, -v100
	s_delay_alu instid0(VALU_DEP_1) | instskip(NEXT) | instid1(VALU_DEP_1)
	v_fmac_f32_e32 v99, v98, v97
	v_add_f32_e32 v97, v100, v99
	s_delay_alu instid0(VALU_DEP_1) | instskip(SKIP_1) | instid1(VALU_DEP_2)
	v_sub_f32_e32 v102, v17, v97
	v_sub_f32_e32 v100, v97, v100
	;; [unrolled: 1-line block ×3, first 2 shown]
	s_delay_alu instid0(VALU_DEP_1) | instskip(NEXT) | instid1(VALU_DEP_3)
	v_sub_f32_e32 v17, v17, v97
	v_sub_f32_e32 v97, v100, v99
	s_delay_alu instid0(VALU_DEP_2) | instskip(SKIP_1) | instid1(VALU_DEP_2)
	v_add_f32_e32 v13, v13, v17
	v_add_f32_e32 v17, v101, v98
	;; [unrolled: 1-line block ×3, first 2 shown]
	s_delay_alu instid0(VALU_DEP_2) | instskip(NEXT) | instid1(VALU_DEP_2)
	v_sub_f32_e32 v97, v17, v101
	v_add_f32_e32 v13, v102, v13
	s_delay_alu instid0(VALU_DEP_2) | instskip(NEXT) | instid1(VALU_DEP_2)
	v_sub_f32_e32 v97, v98, v97
	v_mul_f32_e32 v13, v15, v13
	s_delay_alu instid0(VALU_DEP_1) | instskip(NEXT) | instid1(VALU_DEP_1)
	v_add_f32_e32 v13, v97, v13
	v_add_f32_e32 v15, v17, v13
	s_delay_alu instid0(VALU_DEP_1) | instskip(NEXT) | instid1(VALU_DEP_1)
	v_mul_f32_e32 v97, v15, v15
	v_fmaak_f32 v98, s84, v97, 0x3ecc95a3
	v_mul_f32_e32 v99, v15, v97
	s_delay_alu instid0(VALU_DEP_2) | instskip(SKIP_2) | instid1(VALU_DEP_3)
	v_fmaak_f32 v97, v97, v98, 0x3f2aaada
	v_ldexp_f32 v98, v15, 1
	v_sub_f32_e32 v15, v15, v17
	v_mul_f32_e32 v97, v99, v97
	v_mul_f32_e32 v99, 0x3f317218, v12
	s_delay_alu instid0(VALU_DEP_3) | instskip(NEXT) | instid1(VALU_DEP_3)
	v_sub_f32_e32 v13, v13, v15
	v_add_f32_e32 v17, v98, v97
	s_delay_alu instid0(VALU_DEP_2) | instskip(NEXT) | instid1(VALU_DEP_2)
	v_ldexp_f32 v13, v13, 1
	v_sub_f32_e32 v15, v17, v98
	v_fma_f32 v98, 0x3f317218, v12, -v99
	s_delay_alu instid0(VALU_DEP_1) | instskip(NEXT) | instid1(VALU_DEP_1)
	v_dual_sub_f32 v15, v97, v15 :: v_dual_fmac_f32 v98, 0xb102e308, v12
	v_dual_add_f32 v12, v13, v15 :: v_dual_add_f32 v13, v99, v98
	s_delay_alu instid0(VALU_DEP_1) | instskip(NEXT) | instid1(VALU_DEP_1)
	v_add_f32_e32 v15, v17, v12
	v_add_f32_e32 v97, v13, v15
	v_sub_f32_e32 v17, v15, v17
	s_delay_alu instid0(VALU_DEP_2) | instskip(NEXT) | instid1(VALU_DEP_2)
	v_sub_f32_e32 v100, v97, v13
	v_dual_sub_f32 v99, v13, v99 :: v_dual_sub_f32 v12, v12, v17
	s_delay_alu instid0(VALU_DEP_1) | instskip(SKIP_1) | instid1(VALU_DEP_2)
	v_dual_sub_f32 v101, v97, v100 :: v_dual_sub_f32 v98, v98, v99
	v_sub_f32_e32 v15, v15, v100
	v_sub_f32_e32 v13, v13, v101
	s_delay_alu instid0(VALU_DEP_3) | instskip(NEXT) | instid1(VALU_DEP_2)
	v_add_f32_e32 v17, v98, v12
	v_add_f32_e32 v13, v15, v13
	s_delay_alu instid0(VALU_DEP_2) | instskip(NEXT) | instid1(VALU_DEP_2)
	v_sub_f32_e32 v15, v17, v98
	v_add_f32_e32 v13, v17, v13
	s_delay_alu instid0(VALU_DEP_2) | instskip(NEXT) | instid1(VALU_DEP_2)
	v_sub_f32_e32 v17, v17, v15
	v_dual_sub_f32 v12, v12, v15 :: v_dual_add_f32 v99, v97, v13
	s_delay_alu instid0(VALU_DEP_2) | instskip(NEXT) | instid1(VALU_DEP_2)
	v_sub_f32_e32 v17, v98, v17
	v_sub_f32_e32 v15, v99, v97
	s_delay_alu instid0(VALU_DEP_1) | instskip(NEXT) | instid1(VALU_DEP_1)
	v_dual_add_f32 v12, v12, v17 :: v_dual_sub_f32 v13, v13, v15
	v_add_f32_e32 v12, v12, v13
	s_delay_alu instid0(VALU_DEP_1) | instskip(NEXT) | instid1(VALU_DEP_1)
	v_add_f32_e32 v12, v99, v12
	v_cndmask_b32_e32 v97, v12, v14, vcc_lo
.LBB62_90:                              ;   in Loop: Header=BB62_12 Depth=1
	s_or_b32 exec_lo, exec_lo, s30
	s_waitcnt lgkmcnt(0)
	v_lshlrev_b32_e32 v12, 16, v8
	s_delay_alu instid0(VALU_DEP_1) | instskip(NEXT) | instid1(VALU_DEP_1)
	v_add_f32_e32 v98, s67, v12
	v_cmp_ge_f32_e32 vcc_lo, 0x41a00000, v98
	s_and_b32 s29, s80, vcc_lo
	s_delay_alu instid0(SALU_CYCLE_1)
	s_and_saveexec_b32 s30, s29
	s_cbranch_execz .LBB62_92
; %bb.91:                               ;   in Loop: Header=BB62_12 Depth=1
	v_mul_f32_e32 v12, 0x3fb8aa3b, v98
	v_cmp_ngt_f32_e32 vcc_lo, 0xc2ce8ed0, v98
	s_delay_alu instid0(VALU_DEP_2) | instskip(SKIP_1) | instid1(VALU_DEP_2)
	v_rndne_f32_e32 v13, v12
	v_fma_f32 v14, 0x3fb8aa3b, v98, -v12
	v_sub_f32_e32 v12, v12, v13
	s_delay_alu instid0(VALU_DEP_2) | instskip(SKIP_1) | instid1(VALU_DEP_2)
	v_fmac_f32_e32 v14, 0x32a5705f, v98
	v_cvt_i32_f32_e32 v13, v13
	v_add_f32_e32 v12, v12, v14
	s_delay_alu instid0(VALU_DEP_1) | instskip(SKIP_2) | instid1(VALU_DEP_1)
	v_exp_f32_e32 v12, v12
	s_waitcnt_depctr 0xfff
	v_ldexp_f32 v12, v12, v13
	v_cndmask_b32_e32 v12, 0, v12, vcc_lo
	v_cmp_nlt_f32_e32 vcc_lo, 0x42b17218, v98
	s_delay_alu instid0(VALU_DEP_2) | instskip(NEXT) | instid1(VALU_DEP_1)
	v_cndmask_b32_e32 v14, 0x7f800000, v12, vcc_lo
	v_add_f32_e32 v15, 1.0, v14
	s_delay_alu instid0(VALU_DEP_1) | instskip(NEXT) | instid1(VALU_DEP_1)
	v_cvt_f64_f32_e32 v[12:13], v15
	v_frexp_exp_i32_f64_e32 v12, v[12:13]
	v_frexp_mant_f32_e32 v13, v15
	s_delay_alu instid0(VALU_DEP_1) | instskip(SKIP_1) | instid1(VALU_DEP_1)
	v_cmp_gt_f32_e32 vcc_lo, 0x3f2aaaab, v13
	v_add_f32_e32 v13, -1.0, v15
	v_dual_sub_f32 v98, v13, v15 :: v_dual_sub_f32 v13, v14, v13
	s_delay_alu instid0(VALU_DEP_1) | instskip(NEXT) | instid1(VALU_DEP_1)
	v_add_f32_e32 v98, 1.0, v98
	v_add_f32_e32 v13, v13, v98
	v_subrev_co_ci_u32_e32 v12, vcc_lo, 0, v12, vcc_lo
	s_delay_alu instid0(VALU_DEP_1) | instskip(SKIP_1) | instid1(VALU_DEP_2)
	v_sub_nc_u32_e32 v17, 0, v12
	v_cvt_f32_i32_e32 v12, v12
	v_ldexp_f32 v15, v15, v17
	v_ldexp_f32 v13, v13, v17
	s_delay_alu instid0(VALU_DEP_2) | instskip(SKIP_3) | instid1(VALU_DEP_4)
	v_add_f32_e32 v99, 1.0, v15
	v_add_f32_e32 v17, -1.0, v15
	v_cmp_eq_f32_e32 vcc_lo, 0x7f800000, v14
	v_cmp_gt_f32_e64 s29, 0x33800000, v14
	v_add_f32_e32 v98, -1.0, v99
	s_delay_alu instid0(VALU_DEP_4) | instskip(NEXT) | instid1(VALU_DEP_3)
	v_add_f32_e32 v100, 1.0, v17
	s_or_b32 vcc_lo, s29, vcc_lo
	s_delay_alu instid0(VALU_DEP_2) | instskip(NEXT) | instid1(VALU_DEP_1)
	v_sub_f32_e32 v98, v15, v98
	v_dual_sub_f32 v15, v15, v100 :: v_dual_add_f32 v98, v13, v98
	s_delay_alu instid0(VALU_DEP_1) | instskip(NEXT) | instid1(VALU_DEP_1)
	v_add_f32_e32 v13, v13, v15
	v_dual_add_f32 v101, v17, v13 :: v_dual_add_f32 v100, v99, v98
	s_delay_alu instid0(VALU_DEP_1) | instskip(NEXT) | instid1(VALU_DEP_2)
	v_sub_f32_e32 v17, v17, v101
	v_rcp_f32_e32 v15, v100
	v_sub_f32_e32 v99, v99, v100
	s_delay_alu instid0(VALU_DEP_1) | instskip(SKIP_2) | instid1(VALU_DEP_1)
	v_dual_add_f32 v98, v98, v99 :: v_dual_add_f32 v13, v13, v17
	s_waitcnt_depctr 0xfff
	v_mul_f32_e32 v102, v101, v15
	v_mul_f32_e32 v103, v100, v102
	s_delay_alu instid0(VALU_DEP_1) | instskip(NEXT) | instid1(VALU_DEP_1)
	v_fma_f32 v99, v102, v100, -v103
	v_fmac_f32_e32 v99, v102, v98
	s_delay_alu instid0(VALU_DEP_1) | instskip(NEXT) | instid1(VALU_DEP_1)
	v_add_f32_e32 v104, v103, v99
	v_sub_f32_e32 v105, v101, v104
	s_delay_alu instid0(VALU_DEP_1) | instskip(SKIP_1) | instid1(VALU_DEP_2)
	v_sub_f32_e32 v101, v101, v105
	v_sub_f32_e32 v17, v104, v103
	;; [unrolled: 1-line block ×3, first 2 shown]
	s_delay_alu instid0(VALU_DEP_2) | instskip(NEXT) | instid1(VALU_DEP_2)
	v_sub_f32_e32 v17, v17, v99
	v_add_f32_e32 v13, v13, v101
	s_delay_alu instid0(VALU_DEP_1) | instskip(NEXT) | instid1(VALU_DEP_1)
	v_add_f32_e32 v13, v17, v13
	v_add_f32_e32 v17, v105, v13
	s_delay_alu instid0(VALU_DEP_1) | instskip(NEXT) | instid1(VALU_DEP_1)
	v_mul_f32_e32 v99, v15, v17
	v_dual_sub_f32 v104, v105, v17 :: v_dual_mul_f32 v101, v100, v99
	s_delay_alu instid0(VALU_DEP_1) | instskip(NEXT) | instid1(VALU_DEP_2)
	v_add_f32_e32 v13, v13, v104
	v_fma_f32 v100, v99, v100, -v101
	s_delay_alu instid0(VALU_DEP_1) | instskip(NEXT) | instid1(VALU_DEP_1)
	v_fmac_f32_e32 v100, v99, v98
	v_add_f32_e32 v98, v101, v100
	s_delay_alu instid0(VALU_DEP_1) | instskip(NEXT) | instid1(VALU_DEP_1)
	v_sub_f32_e32 v103, v17, v98
	v_sub_f32_e32 v17, v17, v103
	s_delay_alu instid0(VALU_DEP_1) | instskip(NEXT) | instid1(VALU_DEP_1)
	v_sub_f32_e32 v17, v17, v98
	v_add_f32_e32 v13, v13, v17
	v_add_f32_e32 v17, v102, v99
	v_sub_f32_e32 v101, v98, v101
	s_delay_alu instid0(VALU_DEP_1) | instskip(NEXT) | instid1(VALU_DEP_1)
	v_sub_f32_e32 v98, v101, v100
	v_dual_add_f32 v13, v98, v13 :: v_dual_sub_f32 v98, v17, v102
	s_delay_alu instid0(VALU_DEP_1) | instskip(NEXT) | instid1(VALU_DEP_2)
	v_add_f32_e32 v13, v103, v13
	v_sub_f32_e32 v98, v99, v98
	s_delay_alu instid0(VALU_DEP_2) | instskip(NEXT) | instid1(VALU_DEP_1)
	v_mul_f32_e32 v13, v15, v13
	v_add_f32_e32 v13, v98, v13
	s_delay_alu instid0(VALU_DEP_1) | instskip(NEXT) | instid1(VALU_DEP_1)
	v_add_f32_e32 v15, v17, v13
	v_mul_f32_e32 v98, v15, v15
	s_delay_alu instid0(VALU_DEP_1) | instskip(SKIP_1) | instid1(VALU_DEP_2)
	v_fmaak_f32 v99, s84, v98, 0x3ecc95a3
	v_mul_f32_e32 v100, v15, v98
	v_fmaak_f32 v98, v98, v99, 0x3f2aaada
	v_ldexp_f32 v99, v15, 1
	s_delay_alu instid0(VALU_DEP_2) | instskip(NEXT) | instid1(VALU_DEP_1)
	v_dual_sub_f32 v15, v15, v17 :: v_dual_mul_f32 v98, v100, v98
	v_dual_mul_f32 v100, 0x3f317218, v12 :: v_dual_sub_f32 v13, v13, v15
	s_delay_alu instid0(VALU_DEP_2) | instskip(NEXT) | instid1(VALU_DEP_2)
	v_add_f32_e32 v17, v99, v98
	v_ldexp_f32 v13, v13, 1
	s_delay_alu instid0(VALU_DEP_2) | instskip(NEXT) | instid1(VALU_DEP_4)
	v_sub_f32_e32 v15, v17, v99
	v_fma_f32 v99, 0x3f317218, v12, -v100
	s_delay_alu instid0(VALU_DEP_2) | instskip(NEXT) | instid1(VALU_DEP_1)
	v_sub_f32_e32 v15, v98, v15
	v_dual_fmac_f32 v99, 0xb102e308, v12 :: v_dual_add_f32 v12, v13, v15
	s_delay_alu instid0(VALU_DEP_1) | instskip(NEXT) | instid1(VALU_DEP_2)
	v_add_f32_e32 v13, v100, v99
	v_add_f32_e32 v15, v17, v12
	s_delay_alu instid0(VALU_DEP_2) | instskip(NEXT) | instid1(VALU_DEP_2)
	v_sub_f32_e32 v100, v13, v100
	v_dual_add_f32 v98, v13, v15 :: v_dual_sub_f32 v17, v15, v17
	s_delay_alu instid0(VALU_DEP_2) | instskip(NEXT) | instid1(VALU_DEP_2)
	v_sub_f32_e32 v99, v99, v100
	v_sub_f32_e32 v101, v98, v13
	s_delay_alu instid0(VALU_DEP_3) | instskip(NEXT) | instid1(VALU_DEP_2)
	v_sub_f32_e32 v12, v12, v17
	v_sub_f32_e32 v102, v98, v101
	;; [unrolled: 1-line block ×3, first 2 shown]
	s_delay_alu instid0(VALU_DEP_3) | instskip(NEXT) | instid1(VALU_DEP_3)
	v_add_f32_e32 v17, v99, v12
	v_sub_f32_e32 v13, v13, v102
	s_delay_alu instid0(VALU_DEP_1) | instskip(NEXT) | instid1(VALU_DEP_3)
	v_add_f32_e32 v13, v15, v13
	v_sub_f32_e32 v15, v17, v99
	s_delay_alu instid0(VALU_DEP_2) | instskip(NEXT) | instid1(VALU_DEP_2)
	v_add_f32_e32 v13, v17, v13
	v_sub_f32_e32 v17, v17, v15
	v_sub_f32_e32 v12, v12, v15
	s_delay_alu instid0(VALU_DEP_3) | instskip(NEXT) | instid1(VALU_DEP_3)
	v_add_f32_e32 v100, v98, v13
	v_sub_f32_e32 v17, v99, v17
	s_delay_alu instid0(VALU_DEP_2) | instskip(NEXT) | instid1(VALU_DEP_1)
	v_sub_f32_e32 v15, v100, v98
	v_dual_add_f32 v12, v12, v17 :: v_dual_sub_f32 v13, v13, v15
	s_delay_alu instid0(VALU_DEP_1) | instskip(NEXT) | instid1(VALU_DEP_1)
	v_add_f32_e32 v12, v12, v13
	v_add_f32_e32 v12, v100, v12
	s_delay_alu instid0(VALU_DEP_1)
	v_cndmask_b32_e32 v98, v12, v14, vcc_lo
.LBB62_92:                              ;   in Loop: Header=BB62_12 Depth=1
	s_or_b32 exec_lo, exec_lo, s30
	v_and_b32_e32 v8, 0xffff0000, v8
	s_delay_alu instid0(VALU_DEP_1) | instskip(NEXT) | instid1(VALU_DEP_1)
	v_add_f32_e32 v99, s67, v8
	v_cmp_ge_f32_e32 vcc_lo, 0x41a00000, v99
	s_and_b32 s29, s80, vcc_lo
	s_delay_alu instid0(SALU_CYCLE_1)
	s_and_saveexec_b32 s30, s29
	s_cbranch_execz .LBB62_94
; %bb.93:                               ;   in Loop: Header=BB62_12 Depth=1
	v_mul_f32_e32 v8, 0x3fb8aa3b, v99
	v_cmp_ngt_f32_e32 vcc_lo, 0xc2ce8ed0, v99
	s_delay_alu instid0(VALU_DEP_2) | instskip(SKIP_1) | instid1(VALU_DEP_1)
	v_rndne_f32_e32 v12, v8
	v_fma_f32 v13, 0x3fb8aa3b, v99, -v8
	v_dual_sub_f32 v8, v8, v12 :: v_dual_fmac_f32 v13, 0x32a5705f, v99
	v_cvt_i32_f32_e32 v12, v12
	s_delay_alu instid0(VALU_DEP_2) | instskip(NEXT) | instid1(VALU_DEP_1)
	v_add_f32_e32 v8, v8, v13
	v_exp_f32_e32 v8, v8
	s_waitcnt_depctr 0xfff
	v_ldexp_f32 v8, v8, v12
	s_delay_alu instid0(VALU_DEP_1) | instskip(SKIP_1) | instid1(VALU_DEP_2)
	v_cndmask_b32_e32 v8, 0, v8, vcc_lo
	v_cmp_nlt_f32_e32 vcc_lo, 0x42b17218, v99
	v_cndmask_b32_e32 v8, 0x7f800000, v8, vcc_lo
	s_delay_alu instid0(VALU_DEP_1) | instskip(NEXT) | instid1(VALU_DEP_1)
	v_add_f32_e32 v14, 1.0, v8
	v_cvt_f64_f32_e32 v[12:13], v14
	s_delay_alu instid0(VALU_DEP_1) | instskip(SKIP_1) | instid1(VALU_DEP_1)
	v_frexp_exp_i32_f64_e32 v12, v[12:13]
	v_frexp_mant_f32_e32 v13, v14
	v_cmp_gt_f32_e32 vcc_lo, 0x3f2aaaab, v13
	v_add_f32_e32 v13, -1.0, v14
	s_delay_alu instid0(VALU_DEP_1) | instskip(NEXT) | instid1(VALU_DEP_1)
	v_sub_f32_e32 v17, v13, v14
	v_add_f32_e32 v17, 1.0, v17
	v_subrev_co_ci_u32_e32 v12, vcc_lo, 0, v12, vcc_lo
	s_delay_alu instid0(VALU_DEP_1) | instskip(SKIP_1) | instid1(VALU_DEP_2)
	v_sub_nc_u32_e32 v15, 0, v12
	v_cvt_f32_i32_e32 v12, v12
	v_ldexp_f32 v14, v14, v15
	s_delay_alu instid0(VALU_DEP_1) | instskip(SKIP_3) | instid1(VALU_DEP_3)
	v_add_f32_e32 v99, 1.0, v14
	v_sub_f32_e32 v13, v8, v13
	v_cmp_eq_f32_e32 vcc_lo, 0x7f800000, v8
	v_cmp_gt_f32_e64 s29, 0x33800000, v8
	v_add_f32_e32 v13, v13, v17
	s_delay_alu instid0(VALU_DEP_2) | instskip(NEXT) | instid1(VALU_DEP_1)
	s_or_b32 vcc_lo, s29, vcc_lo
	v_ldexp_f32 v13, v13, v15
	v_add_f32_e32 v15, -1.0, v14
	s_delay_alu instid0(VALU_DEP_1) | instskip(SKIP_1) | instid1(VALU_DEP_1)
	v_add_f32_e32 v100, 1.0, v15
	v_add_f32_e32 v17, -1.0, v99
	v_sub_f32_e32 v17, v14, v17
	s_delay_alu instid0(VALU_DEP_1) | instskip(NEXT) | instid1(VALU_DEP_1)
	v_dual_sub_f32 v14, v14, v100 :: v_dual_add_f32 v17, v13, v17
	v_add_f32_e32 v100, v99, v17
	s_delay_alu instid0(VALU_DEP_1) | instskip(NEXT) | instid1(VALU_DEP_1)
	v_sub_f32_e32 v99, v99, v100
	v_add_f32_e32 v17, v17, v99
	s_delay_alu instid0(VALU_DEP_4) | instskip(SKIP_1) | instid1(VALU_DEP_1)
	v_add_f32_e32 v13, v13, v14
	v_rcp_f32_e32 v14, v100
	v_add_f32_e32 v101, v15, v13
	s_waitcnt_depctr 0xfff
	v_dual_sub_f32 v15, v15, v101 :: v_dual_mul_f32 v102, v101, v14
	s_delay_alu instid0(VALU_DEP_1) | instskip(NEXT) | instid1(VALU_DEP_2)
	v_add_f32_e32 v13, v13, v15
	v_mul_f32_e32 v103, v100, v102
	s_delay_alu instid0(VALU_DEP_1) | instskip(NEXT) | instid1(VALU_DEP_1)
	v_fma_f32 v99, v102, v100, -v103
	v_fmac_f32_e32 v99, v102, v17
	s_delay_alu instid0(VALU_DEP_1) | instskip(NEXT) | instid1(VALU_DEP_1)
	v_add_f32_e32 v104, v103, v99
	v_sub_f32_e32 v105, v101, v104
	v_sub_f32_e32 v15, v104, v103
	s_delay_alu instid0(VALU_DEP_2) | instskip(NEXT) | instid1(VALU_DEP_2)
	v_sub_f32_e32 v101, v101, v105
	v_sub_f32_e32 v15, v15, v99
	s_delay_alu instid0(VALU_DEP_2) | instskip(NEXT) | instid1(VALU_DEP_1)
	v_sub_f32_e32 v101, v101, v104
	v_add_f32_e32 v13, v13, v101
	s_delay_alu instid0(VALU_DEP_1) | instskip(NEXT) | instid1(VALU_DEP_1)
	v_add_f32_e32 v13, v15, v13
	v_add_f32_e32 v15, v105, v13
	s_delay_alu instid0(VALU_DEP_1) | instskip(SKIP_1) | instid1(VALU_DEP_2)
	v_mul_f32_e32 v99, v14, v15
	v_sub_f32_e32 v104, v105, v15
	v_mul_f32_e32 v101, v100, v99
	s_delay_alu instid0(VALU_DEP_2) | instskip(NEXT) | instid1(VALU_DEP_2)
	v_add_f32_e32 v13, v13, v104
	v_fma_f32 v100, v99, v100, -v101
	s_delay_alu instid0(VALU_DEP_1) | instskip(NEXT) | instid1(VALU_DEP_1)
	v_fmac_f32_e32 v100, v99, v17
	v_add_f32_e32 v17, v101, v100
	s_delay_alu instid0(VALU_DEP_1) | instskip(SKIP_1) | instid1(VALU_DEP_2)
	v_sub_f32_e32 v103, v15, v17
	v_sub_f32_e32 v101, v17, v101
	;; [unrolled: 1-line block ×3, first 2 shown]
	s_delay_alu instid0(VALU_DEP_1) | instskip(NEXT) | instid1(VALU_DEP_3)
	v_sub_f32_e32 v15, v15, v17
	v_sub_f32_e32 v17, v101, v100
	s_delay_alu instid0(VALU_DEP_2) | instskip(SKIP_1) | instid1(VALU_DEP_2)
	v_add_f32_e32 v13, v13, v15
	v_add_f32_e32 v15, v102, v99
	;; [unrolled: 1-line block ×3, first 2 shown]
	s_delay_alu instid0(VALU_DEP_2) | instskip(NEXT) | instid1(VALU_DEP_2)
	v_sub_f32_e32 v17, v15, v102
	v_add_f32_e32 v13, v103, v13
	s_delay_alu instid0(VALU_DEP_2) | instskip(NEXT) | instid1(VALU_DEP_2)
	v_sub_f32_e32 v17, v99, v17
	v_mul_f32_e32 v13, v14, v13
	s_delay_alu instid0(VALU_DEP_1) | instskip(NEXT) | instid1(VALU_DEP_1)
	v_add_f32_e32 v13, v17, v13
	v_add_f32_e32 v14, v15, v13
	s_delay_alu instid0(VALU_DEP_1) | instskip(NEXT) | instid1(VALU_DEP_1)
	v_mul_f32_e32 v17, v14, v14
	v_fmaak_f32 v99, s84, v17, 0x3ecc95a3
	s_delay_alu instid0(VALU_DEP_1) | instskip(SKIP_1) | instid1(VALU_DEP_2)
	v_dual_mul_f32 v100, v14, v17 :: v_dual_fmaak_f32 v17, v17, v99, 0x3f2aaada
	v_ldexp_f32 v99, v14, 1
	v_dual_sub_f32 v14, v14, v15 :: v_dual_mul_f32 v17, v100, v17
	s_delay_alu instid0(VALU_DEP_1) | instskip(NEXT) | instid1(VALU_DEP_2)
	v_dual_mul_f32 v100, 0x3f317218, v12 :: v_dual_sub_f32 v13, v13, v14
	v_add_f32_e32 v15, v99, v17
	s_delay_alu instid0(VALU_DEP_2) | instskip(NEXT) | instid1(VALU_DEP_2)
	v_ldexp_f32 v13, v13, 1
	v_sub_f32_e32 v14, v15, v99
	s_delay_alu instid0(VALU_DEP_4) | instskip(NEXT) | instid1(VALU_DEP_1)
	v_fma_f32 v99, 0x3f317218, v12, -v100
	v_dual_sub_f32 v14, v17, v14 :: v_dual_fmac_f32 v99, 0xb102e308, v12
	s_delay_alu instid0(VALU_DEP_1) | instskip(NEXT) | instid1(VALU_DEP_1)
	v_dual_add_f32 v12, v13, v14 :: v_dual_add_f32 v13, v100, v99
	v_add_f32_e32 v14, v15, v12
	s_delay_alu instid0(VALU_DEP_2) | instskip(NEXT) | instid1(VALU_DEP_2)
	v_sub_f32_e32 v100, v13, v100
	v_add_f32_e32 v17, v13, v14
	v_sub_f32_e32 v15, v14, v15
	s_delay_alu instid0(VALU_DEP_3) | instskip(NEXT) | instid1(VALU_DEP_2)
	v_sub_f32_e32 v99, v99, v100
	v_dual_sub_f32 v101, v17, v13 :: v_dual_sub_f32 v12, v12, v15
	s_delay_alu instid0(VALU_DEP_1) | instskip(NEXT) | instid1(VALU_DEP_2)
	v_sub_f32_e32 v102, v17, v101
	v_dual_sub_f32 v14, v14, v101 :: v_dual_add_f32 v15, v99, v12
	s_delay_alu instid0(VALU_DEP_2) | instskip(NEXT) | instid1(VALU_DEP_1)
	v_sub_f32_e32 v13, v13, v102
	v_dual_add_f32 v13, v14, v13 :: v_dual_sub_f32 v14, v15, v99
	s_delay_alu instid0(VALU_DEP_1) | instskip(NEXT) | instid1(VALU_DEP_2)
	v_add_f32_e32 v13, v15, v13
	v_sub_f32_e32 v15, v15, v14
	v_sub_f32_e32 v12, v12, v14
	s_delay_alu instid0(VALU_DEP_2) | instskip(NEXT) | instid1(VALU_DEP_1)
	v_dual_add_f32 v100, v17, v13 :: v_dual_sub_f32 v15, v99, v15
	v_sub_f32_e32 v14, v100, v17
	s_delay_alu instid0(VALU_DEP_1) | instskip(NEXT) | instid1(VALU_DEP_1)
	v_dual_add_f32 v12, v12, v15 :: v_dual_sub_f32 v13, v13, v14
	v_add_f32_e32 v12, v12, v13
	s_delay_alu instid0(VALU_DEP_1) | instskip(NEXT) | instid1(VALU_DEP_1)
	v_add_f32_e32 v12, v100, v12
	v_cndmask_b32_e32 v99, v12, v8, vcc_lo
.LBB62_94:                              ;   in Loop: Header=BB62_12 Depth=1
	s_or_b32 exec_lo, exec_lo, s30
	v_lshlrev_b32_e32 v8, 16, v9
	s_delay_alu instid0(VALU_DEP_1) | instskip(NEXT) | instid1(VALU_DEP_1)
	v_add_f32_e32 v100, s67, v8
	v_cmp_ge_f32_e32 vcc_lo, 0x41a00000, v100
	s_and_b32 s29, s80, vcc_lo
	s_delay_alu instid0(SALU_CYCLE_1)
	s_and_saveexec_b32 s30, s29
	s_cbranch_execz .LBB62_96
; %bb.95:                               ;   in Loop: Header=BB62_12 Depth=1
	v_mul_f32_e32 v8, 0x3fb8aa3b, v100
	v_cmp_ngt_f32_e32 vcc_lo, 0xc2ce8ed0, v100
	s_delay_alu instid0(VALU_DEP_2) | instskip(SKIP_1) | instid1(VALU_DEP_2)
	v_rndne_f32_e32 v12, v8
	v_fma_f32 v13, 0x3fb8aa3b, v100, -v8
	v_sub_f32_e32 v8, v8, v12
	s_delay_alu instid0(VALU_DEP_2) | instskip(SKIP_1) | instid1(VALU_DEP_2)
	v_fmac_f32_e32 v13, 0x32a5705f, v100
	v_cvt_i32_f32_e32 v12, v12
	v_add_f32_e32 v8, v8, v13
	s_delay_alu instid0(VALU_DEP_1) | instskip(SKIP_2) | instid1(VALU_DEP_1)
	v_exp_f32_e32 v8, v8
	s_waitcnt_depctr 0xfff
	v_ldexp_f32 v8, v8, v12
	v_cndmask_b32_e32 v8, 0, v8, vcc_lo
	v_cmp_nlt_f32_e32 vcc_lo, 0x42b17218, v100
	s_delay_alu instid0(VALU_DEP_2) | instskip(NEXT) | instid1(VALU_DEP_1)
	v_cndmask_b32_e32 v8, 0x7f800000, v8, vcc_lo
	v_add_f32_e32 v14, 1.0, v8
	s_delay_alu instid0(VALU_DEP_1) | instskip(NEXT) | instid1(VALU_DEP_1)
	v_cvt_f64_f32_e32 v[12:13], v14
	v_frexp_exp_i32_f64_e32 v12, v[12:13]
	v_frexp_mant_f32_e32 v13, v14
	s_delay_alu instid0(VALU_DEP_1) | instskip(SKIP_1) | instid1(VALU_DEP_1)
	v_cmp_gt_f32_e32 vcc_lo, 0x3f2aaaab, v13
	v_add_f32_e32 v13, -1.0, v14
	v_sub_f32_e32 v17, v13, v14
	v_sub_f32_e32 v13, v8, v13
	s_delay_alu instid0(VALU_DEP_2) | instskip(NEXT) | instid1(VALU_DEP_1)
	v_add_f32_e32 v17, 1.0, v17
	v_add_f32_e32 v13, v13, v17
	v_cmp_gt_f32_e64 s29, 0x33800000, v8
	v_subrev_co_ci_u32_e32 v12, vcc_lo, 0, v12, vcc_lo
	v_cmp_eq_f32_e32 vcc_lo, 0x7f800000, v8
	s_delay_alu instid0(VALU_DEP_2) | instskip(SKIP_2) | instid1(VALU_DEP_2)
	v_sub_nc_u32_e32 v15, 0, v12
	v_cvt_f32_i32_e32 v12, v12
	s_or_b32 vcc_lo, s29, vcc_lo
	v_ldexp_f32 v14, v14, v15
	v_ldexp_f32 v13, v13, v15
	s_delay_alu instid0(VALU_DEP_2) | instskip(SKIP_1) | instid1(VALU_DEP_2)
	v_add_f32_e32 v100, 1.0, v14
	v_add_f32_e32 v15, -1.0, v14
	v_add_f32_e32 v17, -1.0, v100
	s_delay_alu instid0(VALU_DEP_2) | instskip(NEXT) | instid1(VALU_DEP_2)
	v_add_f32_e32 v101, 1.0, v15
	v_sub_f32_e32 v17, v14, v17
	s_delay_alu instid0(VALU_DEP_2) | instskip(NEXT) | instid1(VALU_DEP_2)
	v_sub_f32_e32 v14, v14, v101
	v_add_f32_e32 v17, v13, v17
	s_delay_alu instid0(VALU_DEP_1) | instskip(NEXT) | instid1(VALU_DEP_1)
	v_add_f32_e32 v101, v100, v17
	v_dual_add_f32 v13, v13, v14 :: v_dual_sub_f32 v100, v100, v101
	v_rcp_f32_e32 v14, v101
	s_delay_alu instid0(VALU_DEP_1) | instskip(NEXT) | instid1(VALU_DEP_1)
	v_dual_add_f32 v102, v15, v13 :: v_dual_add_f32 v17, v17, v100
	v_sub_f32_e32 v15, v15, v102
	s_waitcnt_depctr 0xfff
	v_mul_f32_e32 v103, v102, v14
	v_add_f32_e32 v13, v13, v15
	s_delay_alu instid0(VALU_DEP_2) | instskip(NEXT) | instid1(VALU_DEP_1)
	v_mul_f32_e32 v104, v101, v103
	v_fma_f32 v100, v103, v101, -v104
	s_delay_alu instid0(VALU_DEP_1) | instskip(NEXT) | instid1(VALU_DEP_1)
	v_fmac_f32_e32 v100, v103, v17
	v_add_f32_e32 v105, v104, v100
	s_delay_alu instid0(VALU_DEP_1) | instskip(NEXT) | instid1(VALU_DEP_1)
	v_dual_sub_f32 v106, v102, v105 :: v_dual_sub_f32 v15, v105, v104
	v_dual_sub_f32 v102, v102, v106 :: v_dual_sub_f32 v15, v15, v100
	s_delay_alu instid0(VALU_DEP_1) | instskip(NEXT) | instid1(VALU_DEP_1)
	v_sub_f32_e32 v102, v102, v105
	v_add_f32_e32 v13, v13, v102
	s_delay_alu instid0(VALU_DEP_1) | instskip(NEXT) | instid1(VALU_DEP_1)
	v_add_f32_e32 v13, v15, v13
	v_add_f32_e32 v15, v106, v13
	s_delay_alu instid0(VALU_DEP_1) | instskip(NEXT) | instid1(VALU_DEP_1)
	v_mul_f32_e32 v100, v14, v15
	v_dual_sub_f32 v105, v106, v15 :: v_dual_mul_f32 v102, v101, v100
	s_delay_alu instid0(VALU_DEP_1) | instskip(NEXT) | instid1(VALU_DEP_2)
	v_add_f32_e32 v13, v13, v105
	v_fma_f32 v101, v100, v101, -v102
	s_delay_alu instid0(VALU_DEP_1) | instskip(NEXT) | instid1(VALU_DEP_1)
	v_fmac_f32_e32 v101, v100, v17
	v_add_f32_e32 v17, v102, v101
	s_delay_alu instid0(VALU_DEP_1) | instskip(NEXT) | instid1(VALU_DEP_1)
	v_sub_f32_e32 v104, v15, v17
	v_dual_sub_f32 v102, v17, v102 :: v_dual_sub_f32 v15, v15, v104
	s_delay_alu instid0(VALU_DEP_1) | instskip(NEXT) | instid1(VALU_DEP_2)
	v_sub_f32_e32 v15, v15, v17
	v_sub_f32_e32 v17, v102, v101
	s_delay_alu instid0(VALU_DEP_2) | instskip(SKIP_1) | instid1(VALU_DEP_2)
	v_add_f32_e32 v13, v13, v15
	v_add_f32_e32 v15, v103, v100
	v_add_f32_e32 v13, v17, v13
	s_delay_alu instid0(VALU_DEP_2) | instskip(NEXT) | instid1(VALU_DEP_2)
	v_sub_f32_e32 v17, v15, v103
	v_add_f32_e32 v13, v104, v13
	s_delay_alu instid0(VALU_DEP_2) | instskip(NEXT) | instid1(VALU_DEP_2)
	v_sub_f32_e32 v17, v100, v17
	v_mul_f32_e32 v13, v14, v13
	s_delay_alu instid0(VALU_DEP_1) | instskip(NEXT) | instid1(VALU_DEP_1)
	v_add_f32_e32 v13, v17, v13
	v_add_f32_e32 v14, v15, v13
	s_delay_alu instid0(VALU_DEP_1) | instskip(NEXT) | instid1(VALU_DEP_1)
	v_mul_f32_e32 v17, v14, v14
	v_fmaak_f32 v100, s84, v17, 0x3ecc95a3
	v_mul_f32_e32 v101, v14, v17
	s_delay_alu instid0(VALU_DEP_2) | instskip(SKIP_1) | instid1(VALU_DEP_2)
	v_fmaak_f32 v17, v17, v100, 0x3f2aaada
	v_ldexp_f32 v100, v14, 1
	v_dual_sub_f32 v14, v14, v15 :: v_dual_mul_f32 v17, v101, v17
	v_mul_f32_e32 v101, 0x3f317218, v12
	s_delay_alu instid0(VALU_DEP_2) | instskip(NEXT) | instid1(VALU_DEP_3)
	v_sub_f32_e32 v13, v13, v14
	v_add_f32_e32 v15, v100, v17
	s_delay_alu instid0(VALU_DEP_2) | instskip(NEXT) | instid1(VALU_DEP_2)
	v_ldexp_f32 v13, v13, 1
	v_sub_f32_e32 v14, v15, v100
	v_fma_f32 v100, 0x3f317218, v12, -v101
	s_delay_alu instid0(VALU_DEP_2) | instskip(NEXT) | instid1(VALU_DEP_2)
	v_sub_f32_e32 v14, v17, v14
	v_fmac_f32_e32 v100, 0xb102e308, v12
	s_delay_alu instid0(VALU_DEP_2) | instskip(NEXT) | instid1(VALU_DEP_2)
	v_add_f32_e32 v12, v13, v14
	v_add_f32_e32 v13, v101, v100
	s_delay_alu instid0(VALU_DEP_1) | instskip(NEXT) | instid1(VALU_DEP_1)
	v_dual_add_f32 v14, v15, v12 :: v_dual_sub_f32 v101, v13, v101
	v_add_f32_e32 v17, v13, v14
	s_delay_alu instid0(VALU_DEP_2) | instskip(NEXT) | instid1(VALU_DEP_2)
	v_dual_sub_f32 v15, v14, v15 :: v_dual_sub_f32 v100, v100, v101
	v_sub_f32_e32 v102, v17, v13
	s_delay_alu instid0(VALU_DEP_1) | instskip(NEXT) | instid1(VALU_DEP_1)
	v_dual_sub_f32 v12, v12, v15 :: v_dual_sub_f32 v103, v17, v102
	v_dual_sub_f32 v14, v14, v102 :: v_dual_add_f32 v15, v100, v12
	s_delay_alu instid0(VALU_DEP_2) | instskip(NEXT) | instid1(VALU_DEP_1)
	v_sub_f32_e32 v13, v13, v103
	v_dual_add_f32 v13, v14, v13 :: v_dual_sub_f32 v14, v15, v100
	s_delay_alu instid0(VALU_DEP_1) | instskip(NEXT) | instid1(VALU_DEP_2)
	v_add_f32_e32 v13, v15, v13
	v_sub_f32_e32 v15, v15, v14
	s_delay_alu instid0(VALU_DEP_2) | instskip(NEXT) | instid1(VALU_DEP_1)
	v_dual_sub_f32 v12, v12, v14 :: v_dual_add_f32 v101, v17, v13
	v_dual_sub_f32 v15, v100, v15 :: v_dual_sub_f32 v14, v101, v17
	s_delay_alu instid0(VALU_DEP_1) | instskip(NEXT) | instid1(VALU_DEP_1)
	v_dual_add_f32 v12, v12, v15 :: v_dual_sub_f32 v13, v13, v14
	v_add_f32_e32 v12, v12, v13
	s_delay_alu instid0(VALU_DEP_1) | instskip(NEXT) | instid1(VALU_DEP_1)
	v_add_f32_e32 v12, v101, v12
	v_cndmask_b32_e32 v100, v12, v8, vcc_lo
.LBB62_96:                              ;   in Loop: Header=BB62_12 Depth=1
	s_or_b32 exec_lo, exec_lo, s30
	v_and_b32_e32 v8, 0xffff0000, v9
	s_delay_alu instid0(VALU_DEP_1) | instskip(NEXT) | instid1(VALU_DEP_1)
	v_add_f32_e32 v101, s67, v8
	v_cmp_ge_f32_e32 vcc_lo, 0x41a00000, v101
	s_and_b32 s29, s80, vcc_lo
	s_delay_alu instid0(SALU_CYCLE_1)
	s_and_saveexec_b32 s30, s29
	s_cbranch_execz .LBB62_98
; %bb.97:                               ;   in Loop: Header=BB62_12 Depth=1
	v_mul_f32_e32 v8, 0x3fb8aa3b, v101
	v_cmp_ngt_f32_e32 vcc_lo, 0xc2ce8ed0, v101
	s_delay_alu instid0(VALU_DEP_2) | instskip(SKIP_1) | instid1(VALU_DEP_2)
	v_rndne_f32_e32 v9, v8
	v_fma_f32 v12, 0x3fb8aa3b, v101, -v8
	v_sub_f32_e32 v8, v8, v9
	s_delay_alu instid0(VALU_DEP_2) | instskip(SKIP_1) | instid1(VALU_DEP_2)
	v_fmac_f32_e32 v12, 0x32a5705f, v101
	v_cvt_i32_f32_e32 v9, v9
	v_add_f32_e32 v8, v8, v12
	s_delay_alu instid0(VALU_DEP_1) | instskip(SKIP_2) | instid1(VALU_DEP_1)
	v_exp_f32_e32 v8, v8
	s_waitcnt_depctr 0xfff
	v_ldexp_f32 v8, v8, v9
	v_cndmask_b32_e32 v8, 0, v8, vcc_lo
	v_cmp_nlt_f32_e32 vcc_lo, 0x42b17218, v101
	s_delay_alu instid0(VALU_DEP_2) | instskip(NEXT) | instid1(VALU_DEP_1)
	v_cndmask_b32_e32 v12, 0x7f800000, v8, vcc_lo
	v_add_f32_e32 v13, 1.0, v12
	s_delay_alu instid0(VALU_DEP_1) | instskip(NEXT) | instid1(VALU_DEP_1)
	v_cvt_f64_f32_e32 v[8:9], v13
	v_frexp_exp_i32_f64_e32 v8, v[8:9]
	v_frexp_mant_f32_e32 v9, v13
	s_delay_alu instid0(VALU_DEP_1) | instskip(SKIP_1) | instid1(VALU_DEP_1)
	v_cmp_gt_f32_e32 vcc_lo, 0x3f2aaaab, v9
	v_add_f32_e32 v9, -1.0, v13
	v_sub_f32_e32 v15, v9, v13
	s_delay_alu instid0(VALU_DEP_1) | instskip(SKIP_1) | instid1(VALU_DEP_1)
	v_add_f32_e32 v15, 1.0, v15
	v_subrev_co_ci_u32_e32 v8, vcc_lo, 0, v8, vcc_lo
	v_sub_nc_u32_e32 v14, 0, v8
	v_cvt_f32_i32_e32 v8, v8
	s_delay_alu instid0(VALU_DEP_2) | instskip(NEXT) | instid1(VALU_DEP_1)
	v_ldexp_f32 v13, v13, v14
	v_add_f32_e32 v17, 1.0, v13
	v_sub_f32_e32 v9, v12, v9
	v_cmp_eq_f32_e32 vcc_lo, 0x7f800000, v12
	v_cmp_gt_f32_e64 s29, 0x33800000, v12
	s_delay_alu instid0(VALU_DEP_3) | instskip(NEXT) | instid1(VALU_DEP_2)
	v_add_f32_e32 v9, v9, v15
	s_or_b32 vcc_lo, s29, vcc_lo
	s_delay_alu instid0(VALU_DEP_1) | instskip(SKIP_2) | instid1(VALU_DEP_1)
	v_ldexp_f32 v9, v9, v14
	v_add_f32_e32 v14, -1.0, v13
	v_add_f32_e32 v15, -1.0, v17
	v_sub_f32_e32 v15, v13, v15
	s_delay_alu instid0(VALU_DEP_3) | instskip(NEXT) | instid1(VALU_DEP_2)
	v_add_f32_e32 v101, 1.0, v14
	v_add_f32_e32 v15, v9, v15
	s_delay_alu instid0(VALU_DEP_2) | instskip(NEXT) | instid1(VALU_DEP_2)
	v_sub_f32_e32 v13, v13, v101
	v_add_f32_e32 v101, v17, v15
	s_delay_alu instid0(VALU_DEP_2) | instskip(NEXT) | instid1(VALU_DEP_2)
	v_add_f32_e32 v9, v9, v13
	v_rcp_f32_e32 v13, v101
	s_delay_alu instid0(VALU_DEP_1) | instskip(NEXT) | instid1(VALU_DEP_1)
	v_add_f32_e32 v102, v14, v9
	v_dual_sub_f32 v17, v17, v101 :: v_dual_sub_f32 v14, v14, v102
	s_delay_alu instid0(VALU_DEP_1) | instskip(SKIP_2) | instid1(VALU_DEP_1)
	v_add_f32_e32 v15, v15, v17
	s_waitcnt_depctr 0xfff
	v_mul_f32_e32 v103, v102, v13
	v_mul_f32_e32 v104, v101, v103
	s_delay_alu instid0(VALU_DEP_1) | instskip(NEXT) | instid1(VALU_DEP_1)
	v_fma_f32 v17, v103, v101, -v104
	v_fmac_f32_e32 v17, v103, v15
	v_add_f32_e32 v9, v9, v14
	s_delay_alu instid0(VALU_DEP_2) | instskip(NEXT) | instid1(VALU_DEP_1)
	v_add_f32_e32 v105, v104, v17
	v_sub_f32_e32 v106, v102, v105
	v_sub_f32_e32 v14, v105, v104
	s_delay_alu instid0(VALU_DEP_2) | instskip(NEXT) | instid1(VALU_DEP_2)
	v_sub_f32_e32 v102, v102, v106
	v_sub_f32_e32 v14, v14, v17
	s_delay_alu instid0(VALU_DEP_2) | instskip(NEXT) | instid1(VALU_DEP_1)
	v_sub_f32_e32 v102, v102, v105
	v_add_f32_e32 v9, v9, v102
	s_delay_alu instid0(VALU_DEP_1) | instskip(NEXT) | instid1(VALU_DEP_1)
	v_add_f32_e32 v9, v14, v9
	v_add_f32_e32 v14, v106, v9
	s_delay_alu instid0(VALU_DEP_1) | instskip(NEXT) | instid1(VALU_DEP_1)
	v_mul_f32_e32 v17, v13, v14
	v_dual_sub_f32 v105, v106, v14 :: v_dual_mul_f32 v102, v101, v17
	s_delay_alu instid0(VALU_DEP_1) | instskip(NEXT) | instid1(VALU_DEP_2)
	v_add_f32_e32 v9, v9, v105
	v_fma_f32 v101, v17, v101, -v102
	s_delay_alu instid0(VALU_DEP_1) | instskip(NEXT) | instid1(VALU_DEP_1)
	v_fmac_f32_e32 v101, v17, v15
	v_add_f32_e32 v15, v102, v101
	s_delay_alu instid0(VALU_DEP_1) | instskip(SKIP_1) | instid1(VALU_DEP_2)
	v_sub_f32_e32 v104, v14, v15
	v_sub_f32_e32 v102, v15, v102
	;; [unrolled: 1-line block ×3, first 2 shown]
	s_delay_alu instid0(VALU_DEP_1) | instskip(NEXT) | instid1(VALU_DEP_1)
	v_sub_f32_e32 v14, v14, v15
	v_dual_add_f32 v9, v9, v14 :: v_dual_add_f32 v14, v103, v17
	s_delay_alu instid0(VALU_DEP_4) | instskip(NEXT) | instid1(VALU_DEP_1)
	v_sub_f32_e32 v15, v102, v101
	v_add_f32_e32 v9, v15, v9
	s_delay_alu instid0(VALU_DEP_3) | instskip(NEXT) | instid1(VALU_DEP_2)
	v_sub_f32_e32 v15, v14, v103
	v_add_f32_e32 v9, v104, v9
	s_delay_alu instid0(VALU_DEP_2) | instskip(NEXT) | instid1(VALU_DEP_2)
	v_sub_f32_e32 v15, v17, v15
	v_mul_f32_e32 v9, v13, v9
	s_delay_alu instid0(VALU_DEP_1) | instskip(NEXT) | instid1(VALU_DEP_1)
	v_add_f32_e32 v9, v15, v9
	v_add_f32_e32 v13, v14, v9
	s_delay_alu instid0(VALU_DEP_1) | instskip(NEXT) | instid1(VALU_DEP_1)
	v_mul_f32_e32 v15, v13, v13
	v_fmaak_f32 v17, s84, v15, 0x3ecc95a3
	v_mul_f32_e32 v101, v13, v15
	s_delay_alu instid0(VALU_DEP_2) | instskip(SKIP_2) | instid1(VALU_DEP_3)
	v_fmaak_f32 v15, v15, v17, 0x3f2aaada
	v_ldexp_f32 v17, v13, 1
	v_sub_f32_e32 v13, v13, v14
	v_mul_f32_e32 v15, v101, v15
	v_mul_f32_e32 v101, 0x3f317218, v8
	s_delay_alu instid0(VALU_DEP_3) | instskip(NEXT) | instid1(VALU_DEP_3)
	v_sub_f32_e32 v9, v9, v13
	v_add_f32_e32 v14, v17, v15
	s_delay_alu instid0(VALU_DEP_2) | instskip(NEXT) | instid1(VALU_DEP_2)
	v_ldexp_f32 v9, v9, 1
	v_sub_f32_e32 v13, v14, v17
	v_fma_f32 v17, 0x3f317218, v8, -v101
	s_delay_alu instid0(VALU_DEP_2) | instskip(NEXT) | instid1(VALU_DEP_1)
	v_sub_f32_e32 v13, v15, v13
	v_dual_fmac_f32 v17, 0xb102e308, v8 :: v_dual_add_f32 v8, v9, v13
	s_delay_alu instid0(VALU_DEP_1) | instskip(NEXT) | instid1(VALU_DEP_2)
	v_add_f32_e32 v9, v101, v17
	v_add_f32_e32 v13, v14, v8
	s_delay_alu instid0(VALU_DEP_2) | instskip(NEXT) | instid1(VALU_DEP_2)
	v_sub_f32_e32 v101, v9, v101
	v_add_f32_e32 v15, v9, v13
	v_sub_f32_e32 v14, v13, v14
	s_delay_alu instid0(VALU_DEP_3) | instskip(NEXT) | instid1(VALU_DEP_3)
	v_sub_f32_e32 v17, v17, v101
	v_sub_f32_e32 v102, v15, v9
	s_delay_alu instid0(VALU_DEP_3) | instskip(NEXT) | instid1(VALU_DEP_2)
	v_sub_f32_e32 v8, v8, v14
	v_sub_f32_e32 v103, v15, v102
	;; [unrolled: 1-line block ×3, first 2 shown]
	s_delay_alu instid0(VALU_DEP_3) | instskip(NEXT) | instid1(VALU_DEP_3)
	v_add_f32_e32 v14, v17, v8
	v_sub_f32_e32 v9, v9, v103
	s_delay_alu instid0(VALU_DEP_1) | instskip(NEXT) | instid1(VALU_DEP_3)
	v_add_f32_e32 v9, v13, v9
	v_sub_f32_e32 v13, v14, v17
	s_delay_alu instid0(VALU_DEP_2) | instskip(NEXT) | instid1(VALU_DEP_2)
	v_add_f32_e32 v9, v14, v9
	v_sub_f32_e32 v14, v14, v13
	v_sub_f32_e32 v8, v8, v13
	s_delay_alu instid0(VALU_DEP_2) | instskip(NEXT) | instid1(VALU_DEP_1)
	v_dual_add_f32 v101, v15, v9 :: v_dual_sub_f32 v14, v17, v14
	v_dual_sub_f32 v13, v101, v15 :: v_dual_add_f32 v8, v8, v14
	s_delay_alu instid0(VALU_DEP_1) | instskip(NEXT) | instid1(VALU_DEP_1)
	v_sub_f32_e32 v9, v9, v13
	v_add_f32_e32 v8, v8, v9
	s_delay_alu instid0(VALU_DEP_1) | instskip(NEXT) | instid1(VALU_DEP_1)
	v_add_f32_e32 v8, v101, v8
	v_cndmask_b32_e32 v101, v8, v12, vcc_lo
.LBB62_98:                              ;   in Loop: Header=BB62_12 Depth=1
	s_or_b32 exec_lo, exec_lo, s30
	v_lshlrev_b32_e32 v8, 16, v10
	s_delay_alu instid0(VALU_DEP_1) | instskip(NEXT) | instid1(VALU_DEP_1)
	v_add_f32_e32 v102, s67, v8
	v_cmp_ge_f32_e32 vcc_lo, 0x41a00000, v102
	s_and_b32 s29, s80, vcc_lo
	s_delay_alu instid0(SALU_CYCLE_1)
	s_and_saveexec_b32 s30, s29
	s_cbranch_execz .LBB62_100
; %bb.99:                               ;   in Loop: Header=BB62_12 Depth=1
	v_mul_f32_e32 v8, 0x3fb8aa3b, v102
	v_cmp_ngt_f32_e32 vcc_lo, 0xc2ce8ed0, v102
	s_delay_alu instid0(VALU_DEP_2) | instskip(SKIP_1) | instid1(VALU_DEP_2)
	v_rndne_f32_e32 v9, v8
	v_fma_f32 v12, 0x3fb8aa3b, v102, -v8
	v_sub_f32_e32 v8, v8, v9
	s_delay_alu instid0(VALU_DEP_2) | instskip(SKIP_1) | instid1(VALU_DEP_2)
	v_fmac_f32_e32 v12, 0x32a5705f, v102
	v_cvt_i32_f32_e32 v9, v9
	v_add_f32_e32 v8, v8, v12
	s_delay_alu instid0(VALU_DEP_1) | instskip(SKIP_2) | instid1(VALU_DEP_1)
	v_exp_f32_e32 v8, v8
	s_waitcnt_depctr 0xfff
	v_ldexp_f32 v8, v8, v9
	v_cndmask_b32_e32 v8, 0, v8, vcc_lo
	v_cmp_nlt_f32_e32 vcc_lo, 0x42b17218, v102
	s_delay_alu instid0(VALU_DEP_2) | instskip(NEXT) | instid1(VALU_DEP_1)
	v_cndmask_b32_e32 v12, 0x7f800000, v8, vcc_lo
	v_add_f32_e32 v13, 1.0, v12
	s_delay_alu instid0(VALU_DEP_1) | instskip(NEXT) | instid1(VALU_DEP_1)
	v_cvt_f64_f32_e32 v[8:9], v13
	v_frexp_exp_i32_f64_e32 v8, v[8:9]
	v_frexp_mant_f32_e32 v9, v13
	s_delay_alu instid0(VALU_DEP_1) | instskip(SKIP_1) | instid1(VALU_DEP_1)
	v_cmp_gt_f32_e32 vcc_lo, 0x3f2aaaab, v9
	v_add_f32_e32 v9, -1.0, v13
	v_sub_f32_e32 v15, v9, v13
	s_delay_alu instid0(VALU_DEP_1) | instskip(SKIP_1) | instid1(VALU_DEP_1)
	v_add_f32_e32 v15, 1.0, v15
	v_subrev_co_ci_u32_e32 v8, vcc_lo, 0, v8, vcc_lo
	v_sub_nc_u32_e32 v14, 0, v8
	v_cvt_f32_i32_e32 v8, v8
	s_delay_alu instid0(VALU_DEP_2) | instskip(NEXT) | instid1(VALU_DEP_1)
	v_ldexp_f32 v13, v13, v14
	v_add_f32_e32 v17, 1.0, v13
	v_sub_f32_e32 v9, v12, v9
	v_cmp_eq_f32_e32 vcc_lo, 0x7f800000, v12
	v_cmp_gt_f32_e64 s29, 0x33800000, v12
	s_delay_alu instid0(VALU_DEP_3) | instskip(NEXT) | instid1(VALU_DEP_2)
	v_add_f32_e32 v9, v9, v15
	s_or_b32 vcc_lo, s29, vcc_lo
	s_delay_alu instid0(VALU_DEP_1) | instskip(SKIP_1) | instid1(VALU_DEP_1)
	v_ldexp_f32 v9, v9, v14
	v_add_f32_e32 v14, -1.0, v13
	v_dual_add_f32 v15, -1.0, v17 :: v_dual_add_f32 v102, 1.0, v14
	s_delay_alu instid0(VALU_DEP_1) | instskip(NEXT) | instid1(VALU_DEP_2)
	v_sub_f32_e32 v15, v13, v15
	v_sub_f32_e32 v13, v13, v102
	s_delay_alu instid0(VALU_DEP_2) | instskip(NEXT) | instid1(VALU_DEP_2)
	v_add_f32_e32 v15, v9, v15
	v_add_f32_e32 v9, v9, v13
	s_delay_alu instid0(VALU_DEP_1) | instskip(NEXT) | instid1(VALU_DEP_1)
	v_dual_add_f32 v102, v17, v15 :: v_dual_add_f32 v103, v14, v9
	v_rcp_f32_e32 v13, v102
	s_delay_alu instid0(VALU_DEP_1) | instskip(NEXT) | instid1(VALU_DEP_1)
	v_dual_sub_f32 v17, v17, v102 :: v_dual_sub_f32 v14, v14, v103
	v_add_f32_e32 v15, v15, v17
	s_waitcnt_depctr 0xfff
	v_dual_add_f32 v9, v9, v14 :: v_dual_mul_f32 v104, v103, v13
	s_delay_alu instid0(VALU_DEP_1) | instskip(NEXT) | instid1(VALU_DEP_1)
	v_mul_f32_e32 v105, v102, v104
	v_fma_f32 v17, v104, v102, -v105
	s_delay_alu instid0(VALU_DEP_1) | instskip(NEXT) | instid1(VALU_DEP_1)
	v_fmac_f32_e32 v17, v104, v15
	v_add_f32_e32 v106, v105, v17
	s_delay_alu instid0(VALU_DEP_1) | instskip(NEXT) | instid1(VALU_DEP_1)
	v_sub_f32_e32 v107, v103, v106
	v_dual_sub_f32 v103, v103, v107 :: v_dual_sub_f32 v14, v106, v105
	s_delay_alu instid0(VALU_DEP_1) | instskip(NEXT) | instid1(VALU_DEP_1)
	v_dual_sub_f32 v103, v103, v106 :: v_dual_sub_f32 v14, v14, v17
	v_add_f32_e32 v9, v9, v103
	s_delay_alu instid0(VALU_DEP_1) | instskip(NEXT) | instid1(VALU_DEP_1)
	v_add_f32_e32 v9, v14, v9
	v_add_f32_e32 v14, v107, v9
	s_delay_alu instid0(VALU_DEP_1) | instskip(NEXT) | instid1(VALU_DEP_1)
	v_mul_f32_e32 v17, v13, v14
	v_dual_sub_f32 v106, v107, v14 :: v_dual_mul_f32 v103, v102, v17
	s_delay_alu instid0(VALU_DEP_1) | instskip(NEXT) | instid1(VALU_DEP_2)
	v_add_f32_e32 v9, v9, v106
	v_fma_f32 v102, v17, v102, -v103
	s_delay_alu instid0(VALU_DEP_1) | instskip(NEXT) | instid1(VALU_DEP_1)
	v_fmac_f32_e32 v102, v17, v15
	v_add_f32_e32 v15, v103, v102
	s_delay_alu instid0(VALU_DEP_1) | instskip(NEXT) | instid1(VALU_DEP_1)
	v_sub_f32_e32 v105, v14, v15
	v_dual_sub_f32 v103, v15, v103 :: v_dual_sub_f32 v14, v14, v105
	s_delay_alu instid0(VALU_DEP_1) | instskip(NEXT) | instid1(VALU_DEP_1)
	v_dual_sub_f32 v14, v14, v15 :: v_dual_sub_f32 v15, v103, v102
	v_dual_add_f32 v9, v9, v14 :: v_dual_add_f32 v14, v104, v17
	s_delay_alu instid0(VALU_DEP_1) | instskip(NEXT) | instid1(VALU_DEP_2)
	v_add_f32_e32 v9, v15, v9
	v_sub_f32_e32 v15, v14, v104
	s_delay_alu instid0(VALU_DEP_2) | instskip(NEXT) | instid1(VALU_DEP_2)
	v_add_f32_e32 v9, v105, v9
	v_sub_f32_e32 v15, v17, v15
	s_delay_alu instid0(VALU_DEP_2) | instskip(NEXT) | instid1(VALU_DEP_1)
	v_mul_f32_e32 v9, v13, v9
	v_add_f32_e32 v9, v15, v9
	s_delay_alu instid0(VALU_DEP_1) | instskip(NEXT) | instid1(VALU_DEP_1)
	v_add_f32_e32 v13, v14, v9
	v_mul_f32_e32 v15, v13, v13
	s_delay_alu instid0(VALU_DEP_1) | instskip(NEXT) | instid1(VALU_DEP_1)
	v_fmaak_f32 v17, s84, v15, 0x3ecc95a3
	v_dual_mul_f32 v102, v13, v15 :: v_dual_fmaak_f32 v15, v15, v17, 0x3f2aaada
	v_ldexp_f32 v17, v13, 1
	v_sub_f32_e32 v13, v13, v14
	s_delay_alu instid0(VALU_DEP_3) | instskip(NEXT) | instid1(VALU_DEP_2)
	v_dual_mul_f32 v15, v102, v15 :: v_dual_mul_f32 v102, 0x3f317218, v8
	v_sub_f32_e32 v9, v9, v13
	s_delay_alu instid0(VALU_DEP_2) | instskip(NEXT) | instid1(VALU_DEP_2)
	v_add_f32_e32 v14, v17, v15
	v_ldexp_f32 v9, v9, 1
	s_delay_alu instid0(VALU_DEP_2) | instskip(SKIP_1) | instid1(VALU_DEP_2)
	v_sub_f32_e32 v13, v14, v17
	v_fma_f32 v17, 0x3f317218, v8, -v102
	v_sub_f32_e32 v13, v15, v13
	s_delay_alu instid0(VALU_DEP_1) | instskip(NEXT) | instid1(VALU_DEP_1)
	v_dual_fmac_f32 v17, 0xb102e308, v8 :: v_dual_add_f32 v8, v9, v13
	v_add_f32_e32 v9, v102, v17
	s_delay_alu instid0(VALU_DEP_1) | instskip(NEXT) | instid1(VALU_DEP_1)
	v_dual_add_f32 v13, v14, v8 :: v_dual_sub_f32 v102, v9, v102
	v_add_f32_e32 v15, v9, v13
	v_sub_f32_e32 v14, v13, v14
	s_delay_alu instid0(VALU_DEP_3) | instskip(NEXT) | instid1(VALU_DEP_2)
	v_sub_f32_e32 v17, v17, v102
	v_dual_sub_f32 v103, v15, v9 :: v_dual_sub_f32 v8, v8, v14
	s_delay_alu instid0(VALU_DEP_1) | instskip(SKIP_1) | instid1(VALU_DEP_3)
	v_sub_f32_e32 v104, v15, v103
	v_sub_f32_e32 v13, v13, v103
	v_add_f32_e32 v14, v17, v8
	s_delay_alu instid0(VALU_DEP_3) | instskip(NEXT) | instid1(VALU_DEP_1)
	v_sub_f32_e32 v9, v9, v104
	v_add_f32_e32 v9, v13, v9
	s_delay_alu instid0(VALU_DEP_3) | instskip(NEXT) | instid1(VALU_DEP_2)
	v_sub_f32_e32 v13, v14, v17
	v_add_f32_e32 v9, v14, v9
	s_delay_alu instid0(VALU_DEP_2) | instskip(SKIP_1) | instid1(VALU_DEP_3)
	v_sub_f32_e32 v14, v14, v13
	v_sub_f32_e32 v8, v8, v13
	v_add_f32_e32 v102, v15, v9
	s_delay_alu instid0(VALU_DEP_1) | instskip(NEXT) | instid1(VALU_DEP_1)
	v_dual_sub_f32 v14, v17, v14 :: v_dual_sub_f32 v13, v102, v15
	v_dual_add_f32 v8, v8, v14 :: v_dual_sub_f32 v9, v9, v13
	s_delay_alu instid0(VALU_DEP_1) | instskip(NEXT) | instid1(VALU_DEP_1)
	v_add_f32_e32 v8, v8, v9
	v_add_f32_e32 v8, v102, v8
	s_delay_alu instid0(VALU_DEP_1)
	v_cndmask_b32_e32 v102, v8, v12, vcc_lo
.LBB62_100:                             ;   in Loop: Header=BB62_12 Depth=1
	s_or_b32 exec_lo, exec_lo, s30
	v_and_b32_e32 v8, 0xffff0000, v10
	s_delay_alu instid0(VALU_DEP_1) | instskip(NEXT) | instid1(VALU_DEP_1)
	v_add_f32_e32 v103, s67, v8
	v_cmp_ge_f32_e32 vcc_lo, 0x41a00000, v103
	s_and_b32 s29, s80, vcc_lo
	s_delay_alu instid0(SALU_CYCLE_1)
	s_and_saveexec_b32 s30, s29
	s_cbranch_execz .LBB62_102
; %bb.101:                              ;   in Loop: Header=BB62_12 Depth=1
	v_mul_f32_e32 v8, 0x3fb8aa3b, v103
	v_cmp_ngt_f32_e32 vcc_lo, 0xc2ce8ed0, v103
	s_delay_alu instid0(VALU_DEP_2) | instskip(SKIP_1) | instid1(VALU_DEP_2)
	v_rndne_f32_e32 v9, v8
	v_fma_f32 v10, 0x3fb8aa3b, v103, -v8
	v_sub_f32_e32 v8, v8, v9
	s_delay_alu instid0(VALU_DEP_2) | instskip(SKIP_1) | instid1(VALU_DEP_2)
	v_fmac_f32_e32 v10, 0x32a5705f, v103
	v_cvt_i32_f32_e32 v9, v9
	v_add_f32_e32 v8, v8, v10
	s_delay_alu instid0(VALU_DEP_1) | instskip(SKIP_2) | instid1(VALU_DEP_1)
	v_exp_f32_e32 v8, v8
	s_waitcnt_depctr 0xfff
	v_ldexp_f32 v8, v8, v9
	v_cndmask_b32_e32 v8, 0, v8, vcc_lo
	v_cmp_nlt_f32_e32 vcc_lo, 0x42b17218, v103
	s_delay_alu instid0(VALU_DEP_2) | instskip(NEXT) | instid1(VALU_DEP_1)
	v_cndmask_b32_e32 v10, 0x7f800000, v8, vcc_lo
	v_add_f32_e32 v12, 1.0, v10
	s_delay_alu instid0(VALU_DEP_1) | instskip(NEXT) | instid1(VALU_DEP_1)
	v_cvt_f64_f32_e32 v[8:9], v12
	v_frexp_exp_i32_f64_e32 v8, v[8:9]
	v_frexp_mant_f32_e32 v9, v12
	s_delay_alu instid0(VALU_DEP_1) | instskip(SKIP_1) | instid1(VALU_DEP_1)
	v_cmp_gt_f32_e32 vcc_lo, 0x3f2aaaab, v9
	v_add_f32_e32 v9, -1.0, v12
	v_dual_sub_f32 v14, v9, v12 :: v_dual_sub_f32 v9, v10, v9
	v_subrev_co_ci_u32_e32 v8, vcc_lo, 0, v8, vcc_lo
	s_delay_alu instid0(VALU_DEP_1) | instskip(SKIP_1) | instid1(VALU_DEP_2)
	v_sub_nc_u32_e32 v13, 0, v8
	v_cvt_f32_i32_e32 v8, v8
	v_ldexp_f32 v12, v12, v13
	s_delay_alu instid0(VALU_DEP_1) | instskip(NEXT) | instid1(VALU_DEP_1)
	v_dual_add_f32 v14, 1.0, v14 :: v_dual_add_f32 v15, 1.0, v12
	v_add_f32_e32 v9, v9, v14
	s_delay_alu instid0(VALU_DEP_1) | instskip(NEXT) | instid1(VALU_DEP_3)
	v_ldexp_f32 v9, v9, v13
	v_dual_add_f32 v13, -1.0, v12 :: v_dual_add_f32 v14, -1.0, v15
	s_delay_alu instid0(VALU_DEP_1) | instskip(NEXT) | instid1(VALU_DEP_1)
	v_dual_add_f32 v17, 1.0, v13 :: v_dual_sub_f32 v14, v12, v14
	v_sub_f32_e32 v12, v12, v17
	s_delay_alu instid0(VALU_DEP_2) | instskip(NEXT) | instid1(VALU_DEP_2)
	v_add_f32_e32 v14, v9, v14
	v_add_f32_e32 v9, v9, v12
	s_delay_alu instid0(VALU_DEP_2) | instskip(SKIP_2) | instid1(VALU_DEP_4)
	v_add_f32_e32 v17, v15, v14
	v_cmp_eq_f32_e32 vcc_lo, 0x7f800000, v10
	v_cmp_gt_f32_e64 s29, 0x33800000, v10
	v_add_f32_e32 v103, v13, v9
	s_delay_alu instid0(VALU_DEP_4) | instskip(SKIP_1) | instid1(VALU_DEP_3)
	v_rcp_f32_e32 v12, v17
	v_sub_f32_e32 v15, v15, v17
	s_or_b32 vcc_lo, s29, vcc_lo
	s_delay_alu instid0(VALU_DEP_2) | instskip(NEXT) | instid1(VALU_DEP_1)
	v_sub_f32_e32 v13, v13, v103
	v_dual_add_f32 v14, v14, v15 :: v_dual_add_f32 v9, v9, v13
	s_waitcnt_depctr 0xfff
	v_mul_f32_e32 v104, v103, v12
	s_delay_alu instid0(VALU_DEP_1) | instskip(NEXT) | instid1(VALU_DEP_1)
	v_mul_f32_e32 v105, v17, v104
	v_fma_f32 v15, v104, v17, -v105
	s_delay_alu instid0(VALU_DEP_1) | instskip(NEXT) | instid1(VALU_DEP_1)
	v_fmac_f32_e32 v15, v104, v14
	v_add_f32_e32 v106, v105, v15
	s_delay_alu instid0(VALU_DEP_1) | instskip(SKIP_1) | instid1(VALU_DEP_2)
	v_sub_f32_e32 v107, v103, v106
	v_sub_f32_e32 v13, v106, v105
	;; [unrolled: 1-line block ×3, first 2 shown]
	s_delay_alu instid0(VALU_DEP_2) | instskip(NEXT) | instid1(VALU_DEP_2)
	v_sub_f32_e32 v13, v13, v15
	v_sub_f32_e32 v103, v103, v106
	s_delay_alu instid0(VALU_DEP_1) | instskip(NEXT) | instid1(VALU_DEP_1)
	v_add_f32_e32 v9, v9, v103
	v_add_f32_e32 v9, v13, v9
	s_delay_alu instid0(VALU_DEP_1) | instskip(NEXT) | instid1(VALU_DEP_1)
	v_add_f32_e32 v13, v107, v9
	v_mul_f32_e32 v15, v12, v13
	s_delay_alu instid0(VALU_DEP_1) | instskip(NEXT) | instid1(VALU_DEP_1)
	v_dual_sub_f32 v106, v107, v13 :: v_dual_mul_f32 v103, v17, v15
	v_add_f32_e32 v9, v9, v106
	s_delay_alu instid0(VALU_DEP_2) | instskip(NEXT) | instid1(VALU_DEP_1)
	v_fma_f32 v17, v15, v17, -v103
	v_fmac_f32_e32 v17, v15, v14
	s_delay_alu instid0(VALU_DEP_1) | instskip(NEXT) | instid1(VALU_DEP_1)
	v_add_f32_e32 v14, v103, v17
	v_sub_f32_e32 v105, v13, v14
	v_sub_f32_e32 v103, v14, v103
	s_delay_alu instid0(VALU_DEP_2) | instskip(NEXT) | instid1(VALU_DEP_1)
	v_sub_f32_e32 v13, v13, v105
	v_dual_sub_f32 v13, v13, v14 :: v_dual_sub_f32 v14, v103, v17
	s_delay_alu instid0(VALU_DEP_1) | instskip(SKIP_1) | instid1(VALU_DEP_1)
	v_add_f32_e32 v9, v9, v13
	v_add_f32_e32 v13, v104, v15
	v_dual_add_f32 v9, v14, v9 :: v_dual_sub_f32 v14, v13, v104
	s_delay_alu instid0(VALU_DEP_1) | instskip(NEXT) | instid1(VALU_DEP_1)
	v_dual_add_f32 v9, v105, v9 :: v_dual_sub_f32 v14, v15, v14
	v_mul_f32_e32 v9, v12, v9
	s_delay_alu instid0(VALU_DEP_1) | instskip(NEXT) | instid1(VALU_DEP_1)
	v_add_f32_e32 v9, v14, v9
	v_add_f32_e32 v12, v13, v9
	s_delay_alu instid0(VALU_DEP_1) | instskip(NEXT) | instid1(VALU_DEP_1)
	v_mul_f32_e32 v14, v12, v12
	v_fmaak_f32 v15, s84, v14, 0x3ecc95a3
	s_delay_alu instid0(VALU_DEP_1) | instskip(SKIP_2) | instid1(VALU_DEP_3)
	v_dual_mul_f32 v17, v12, v14 :: v_dual_fmaak_f32 v14, v14, v15, 0x3f2aaada
	v_ldexp_f32 v15, v12, 1
	v_sub_f32_e32 v12, v12, v13
	v_dual_mul_f32 v14, v17, v14 :: v_dual_mul_f32 v17, 0x3f317218, v8
	s_delay_alu instid0(VALU_DEP_2) | instskip(NEXT) | instid1(VALU_DEP_2)
	v_sub_f32_e32 v9, v9, v12
	v_add_f32_e32 v13, v15, v14
	s_delay_alu instid0(VALU_DEP_2) | instskip(NEXT) | instid1(VALU_DEP_2)
	v_ldexp_f32 v9, v9, 1
	v_sub_f32_e32 v12, v13, v15
	v_fma_f32 v15, 0x3f317218, v8, -v17
	s_delay_alu instid0(VALU_DEP_2) | instskip(NEXT) | instid1(VALU_DEP_2)
	v_sub_f32_e32 v12, v14, v12
	v_fmac_f32_e32 v15, 0xb102e308, v8
	s_delay_alu instid0(VALU_DEP_2) | instskip(NEXT) | instid1(VALU_DEP_2)
	v_add_f32_e32 v8, v9, v12
	v_add_f32_e32 v9, v17, v15
	s_delay_alu instid0(VALU_DEP_2) | instskip(NEXT) | instid1(VALU_DEP_2)
	v_add_f32_e32 v12, v13, v8
	v_sub_f32_e32 v17, v9, v17
	s_delay_alu instid0(VALU_DEP_2) | instskip(NEXT) | instid1(VALU_DEP_2)
	v_dual_add_f32 v14, v9, v12 :: v_dual_sub_f32 v13, v12, v13
	v_sub_f32_e32 v15, v15, v17
	s_delay_alu instid0(VALU_DEP_2) | instskip(NEXT) | instid1(VALU_DEP_3)
	v_sub_f32_e32 v103, v14, v9
	v_sub_f32_e32 v8, v8, v13
	s_delay_alu instid0(VALU_DEP_2) | instskip(NEXT) | instid1(VALU_DEP_2)
	v_sub_f32_e32 v104, v14, v103
	v_dual_sub_f32 v12, v12, v103 :: v_dual_add_f32 v13, v15, v8
	s_delay_alu instid0(VALU_DEP_2) | instskip(NEXT) | instid1(VALU_DEP_1)
	v_sub_f32_e32 v9, v9, v104
	v_dual_add_f32 v9, v12, v9 :: v_dual_sub_f32 v12, v13, v15
	s_delay_alu instid0(VALU_DEP_1) | instskip(NEXT) | instid1(VALU_DEP_2)
	v_add_f32_e32 v9, v13, v9
	v_sub_f32_e32 v13, v13, v12
	s_delay_alu instid0(VALU_DEP_2) | instskip(NEXT) | instid1(VALU_DEP_1)
	v_dual_sub_f32 v8, v8, v12 :: v_dual_add_f32 v17, v14, v9
	v_dual_sub_f32 v13, v15, v13 :: v_dual_sub_f32 v12, v17, v14
	s_delay_alu instid0(VALU_DEP_1) | instskip(NEXT) | instid1(VALU_DEP_1)
	v_dual_add_f32 v8, v8, v13 :: v_dual_sub_f32 v9, v9, v12
	v_add_f32_e32 v8, v8, v9
	s_delay_alu instid0(VALU_DEP_1) | instskip(NEXT) | instid1(VALU_DEP_1)
	v_add_f32_e32 v8, v17, v8
	v_cndmask_b32_e32 v103, v8, v10, vcc_lo
.LBB62_102:                             ;   in Loop: Header=BB62_12 Depth=1
	s_or_b32 exec_lo, exec_lo, s30
	v_lshlrev_b32_e32 v8, 16, v11
	s_delay_alu instid0(VALU_DEP_1) | instskip(NEXT) | instid1(VALU_DEP_1)
	v_add_f32_e32 v104, s67, v8
	v_cmp_ge_f32_e32 vcc_lo, 0x41a00000, v104
	s_and_b32 s29, s80, vcc_lo
	s_delay_alu instid0(SALU_CYCLE_1)
	s_and_saveexec_b32 s30, s29
	s_cbranch_execz .LBB62_104
; %bb.103:                              ;   in Loop: Header=BB62_12 Depth=1
	v_mul_f32_e32 v8, 0x3fb8aa3b, v104
	v_cmp_ngt_f32_e32 vcc_lo, 0xc2ce8ed0, v104
	s_delay_alu instid0(VALU_DEP_2) | instskip(SKIP_1) | instid1(VALU_DEP_2)
	v_rndne_f32_e32 v9, v8
	v_fma_f32 v10, 0x3fb8aa3b, v104, -v8
	v_sub_f32_e32 v8, v8, v9
	s_delay_alu instid0(VALU_DEP_2) | instskip(SKIP_1) | instid1(VALU_DEP_2)
	v_fmac_f32_e32 v10, 0x32a5705f, v104
	v_cvt_i32_f32_e32 v9, v9
	v_add_f32_e32 v8, v8, v10
	s_delay_alu instid0(VALU_DEP_1) | instskip(SKIP_2) | instid1(VALU_DEP_1)
	v_exp_f32_e32 v8, v8
	s_waitcnt_depctr 0xfff
	v_ldexp_f32 v8, v8, v9
	v_cndmask_b32_e32 v8, 0, v8, vcc_lo
	v_cmp_nlt_f32_e32 vcc_lo, 0x42b17218, v104
	s_delay_alu instid0(VALU_DEP_2) | instskip(NEXT) | instid1(VALU_DEP_1)
	v_cndmask_b32_e32 v10, 0x7f800000, v8, vcc_lo
	v_add_f32_e32 v12, 1.0, v10
	s_delay_alu instid0(VALU_DEP_1) | instskip(NEXT) | instid1(VALU_DEP_1)
	v_cvt_f64_f32_e32 v[8:9], v12
	v_frexp_exp_i32_f64_e32 v8, v[8:9]
	v_frexp_mant_f32_e32 v9, v12
	s_delay_alu instid0(VALU_DEP_1) | instskip(SKIP_1) | instid1(VALU_DEP_1)
	v_cmp_gt_f32_e32 vcc_lo, 0x3f2aaaab, v9
	v_add_f32_e32 v9, -1.0, v12
	v_dual_sub_f32 v14, v9, v12 :: v_dual_sub_f32 v9, v10, v9
	v_subrev_co_ci_u32_e32 v8, vcc_lo, 0, v8, vcc_lo
	s_delay_alu instid0(VALU_DEP_1) | instskip(SKIP_1) | instid1(VALU_DEP_2)
	v_sub_nc_u32_e32 v13, 0, v8
	v_cvt_f32_i32_e32 v8, v8
	v_ldexp_f32 v12, v12, v13
	s_delay_alu instid0(VALU_DEP_1) | instskip(NEXT) | instid1(VALU_DEP_1)
	v_dual_add_f32 v14, 1.0, v14 :: v_dual_add_f32 v15, 1.0, v12
	v_add_f32_e32 v9, v9, v14
	s_delay_alu instid0(VALU_DEP_1) | instskip(NEXT) | instid1(VALU_DEP_3)
	v_ldexp_f32 v9, v9, v13
	v_dual_add_f32 v13, -1.0, v12 :: v_dual_add_f32 v14, -1.0, v15
	s_delay_alu instid0(VALU_DEP_1) | instskip(NEXT) | instid1(VALU_DEP_1)
	v_dual_add_f32 v17, 1.0, v13 :: v_dual_sub_f32 v14, v12, v14
	v_sub_f32_e32 v12, v12, v17
	s_delay_alu instid0(VALU_DEP_2) | instskip(NEXT) | instid1(VALU_DEP_2)
	v_add_f32_e32 v14, v9, v14
	v_add_f32_e32 v9, v9, v12
	s_delay_alu instid0(VALU_DEP_2) | instskip(SKIP_2) | instid1(VALU_DEP_4)
	v_add_f32_e32 v17, v15, v14
	v_cmp_eq_f32_e32 vcc_lo, 0x7f800000, v10
	v_cmp_gt_f32_e64 s29, 0x33800000, v10
	v_add_f32_e32 v104, v13, v9
	s_delay_alu instid0(VALU_DEP_4) | instskip(SKIP_1) | instid1(VALU_DEP_3)
	v_rcp_f32_e32 v12, v17
	v_sub_f32_e32 v15, v15, v17
	s_or_b32 vcc_lo, s29, vcc_lo
	s_delay_alu instid0(VALU_DEP_2) | instskip(NEXT) | instid1(VALU_DEP_1)
	v_sub_f32_e32 v13, v13, v104
	v_add_f32_e32 v9, v9, v13
	s_waitcnt_depctr 0xfff
	v_dual_mul_f32 v105, v104, v12 :: v_dual_add_f32 v14, v14, v15
	s_delay_alu instid0(VALU_DEP_1) | instskip(NEXT) | instid1(VALU_DEP_1)
	v_mul_f32_e32 v106, v17, v105
	v_fma_f32 v15, v105, v17, -v106
	s_delay_alu instid0(VALU_DEP_1) | instskip(NEXT) | instid1(VALU_DEP_1)
	v_fmac_f32_e32 v15, v105, v14
	v_add_f32_e32 v107, v106, v15
	s_delay_alu instid0(VALU_DEP_1) | instskip(NEXT) | instid1(VALU_DEP_1)
	v_dual_sub_f32 v13, v107, v106 :: v_dual_sub_f32 v108, v104, v107
	v_dual_sub_f32 v13, v13, v15 :: v_dual_sub_f32 v104, v104, v108
	s_delay_alu instid0(VALU_DEP_1) | instskip(NEXT) | instid1(VALU_DEP_1)
	v_sub_f32_e32 v104, v104, v107
	v_add_f32_e32 v9, v9, v104
	s_delay_alu instid0(VALU_DEP_1) | instskip(NEXT) | instid1(VALU_DEP_1)
	v_add_f32_e32 v9, v13, v9
	v_add_f32_e32 v13, v108, v9
	s_delay_alu instid0(VALU_DEP_1) | instskip(NEXT) | instid1(VALU_DEP_1)
	v_mul_f32_e32 v15, v12, v13
	v_mul_f32_e32 v104, v17, v15
	s_delay_alu instid0(VALU_DEP_1) | instskip(NEXT) | instid1(VALU_DEP_1)
	v_fma_f32 v17, v15, v17, -v104
	v_fmac_f32_e32 v17, v15, v14
	s_delay_alu instid0(VALU_DEP_1) | instskip(NEXT) | instid1(VALU_DEP_1)
	v_add_f32_e32 v14, v104, v17
	v_dual_sub_f32 v107, v108, v13 :: v_dual_sub_f32 v106, v13, v14
	s_delay_alu instid0(VALU_DEP_1) | instskip(NEXT) | instid1(VALU_DEP_2)
	v_dual_sub_f32 v13, v13, v106 :: v_dual_sub_f32 v104, v14, v104
	v_add_f32_e32 v9, v9, v107
	s_delay_alu instid0(VALU_DEP_2) | instskip(NEXT) | instid1(VALU_DEP_1)
	v_dual_sub_f32 v13, v13, v14 :: v_dual_sub_f32 v14, v104, v17
	v_add_f32_e32 v9, v9, v13
	v_add_f32_e32 v13, v105, v15
	s_delay_alu instid0(VALU_DEP_2) | instskip(NEXT) | instid1(VALU_DEP_2)
	v_add_f32_e32 v9, v14, v9
	v_sub_f32_e32 v14, v13, v105
	s_delay_alu instid0(VALU_DEP_1) | instskip(NEXT) | instid1(VALU_DEP_1)
	v_dual_add_f32 v9, v106, v9 :: v_dual_sub_f32 v14, v15, v14
	v_mul_f32_e32 v9, v12, v9
	s_delay_alu instid0(VALU_DEP_1) | instskip(NEXT) | instid1(VALU_DEP_1)
	v_add_f32_e32 v9, v14, v9
	v_add_f32_e32 v12, v13, v9
	s_delay_alu instid0(VALU_DEP_1) | instskip(NEXT) | instid1(VALU_DEP_1)
	v_mul_f32_e32 v14, v12, v12
	v_fmaak_f32 v15, s84, v14, 0x3ecc95a3
	s_delay_alu instid0(VALU_DEP_1) | instskip(SKIP_1) | instid1(VALU_DEP_2)
	v_dual_mul_f32 v17, v12, v14 :: v_dual_fmaak_f32 v14, v14, v15, 0x3f2aaada
	v_ldexp_f32 v15, v12, 1
	v_mul_f32_e32 v14, v17, v14
	v_dual_sub_f32 v12, v12, v13 :: v_dual_mul_f32 v17, 0x3f317218, v8
	s_delay_alu instid0(VALU_DEP_2) | instskip(NEXT) | instid1(VALU_DEP_2)
	v_add_f32_e32 v13, v15, v14
	v_sub_f32_e32 v9, v9, v12
	s_delay_alu instid0(VALU_DEP_2) | instskip(NEXT) | instid1(VALU_DEP_4)
	v_sub_f32_e32 v12, v13, v15
	v_fma_f32 v15, 0x3f317218, v8, -v17
	s_delay_alu instid0(VALU_DEP_3) | instskip(NEXT) | instid1(VALU_DEP_3)
	v_ldexp_f32 v9, v9, 1
	v_sub_f32_e32 v12, v14, v12
	s_delay_alu instid0(VALU_DEP_3) | instskip(NEXT) | instid1(VALU_DEP_2)
	v_fmac_f32_e32 v15, 0xb102e308, v8
	v_add_f32_e32 v8, v9, v12
	s_delay_alu instid0(VALU_DEP_1) | instskip(NEXT) | instid1(VALU_DEP_3)
	v_add_f32_e32 v12, v13, v8
	v_add_f32_e32 v9, v17, v15
	s_delay_alu instid0(VALU_DEP_1) | instskip(NEXT) | instid1(VALU_DEP_1)
	v_dual_sub_f32 v13, v12, v13 :: v_dual_add_f32 v14, v9, v12
	v_sub_f32_e32 v8, v8, v13
	s_delay_alu instid0(VALU_DEP_2) | instskip(NEXT) | instid1(VALU_DEP_1)
	v_sub_f32_e32 v104, v14, v9
	v_dual_sub_f32 v12, v12, v104 :: v_dual_sub_f32 v17, v9, v17
	s_delay_alu instid0(VALU_DEP_1) | instskip(NEXT) | instid1(VALU_DEP_1)
	v_sub_f32_e32 v15, v15, v17
	v_add_f32_e32 v13, v15, v8
	v_sub_f32_e32 v105, v14, v104
	s_delay_alu instid0(VALU_DEP_1) | instskip(NEXT) | instid1(VALU_DEP_1)
	v_sub_f32_e32 v9, v9, v105
	v_dual_add_f32 v9, v12, v9 :: v_dual_sub_f32 v12, v13, v15
	s_delay_alu instid0(VALU_DEP_1) | instskip(NEXT) | instid1(VALU_DEP_2)
	v_add_f32_e32 v9, v13, v9
	v_sub_f32_e32 v13, v13, v12
	s_delay_alu instid0(VALU_DEP_2) | instskip(NEXT) | instid1(VALU_DEP_1)
	v_dual_sub_f32 v8, v8, v12 :: v_dual_add_f32 v17, v14, v9
	v_dual_sub_f32 v12, v17, v14 :: v_dual_sub_f32 v13, v15, v13
	s_delay_alu instid0(VALU_DEP_1) | instskip(NEXT) | instid1(VALU_DEP_1)
	v_dual_sub_f32 v9, v9, v12 :: v_dual_add_f32 v8, v8, v13
	v_add_f32_e32 v8, v8, v9
	s_delay_alu instid0(VALU_DEP_1) | instskip(NEXT) | instid1(VALU_DEP_1)
	v_add_f32_e32 v8, v17, v8
	v_cndmask_b32_e32 v104, v8, v10, vcc_lo
.LBB62_104:                             ;   in Loop: Header=BB62_12 Depth=1
	s_or_b32 exec_lo, exec_lo, s30
	v_and_b32_e32 v8, 0xffff0000, v11
	s_delay_alu instid0(VALU_DEP_1) | instskip(NEXT) | instid1(VALU_DEP_1)
	v_add_f32_e32 v121, s67, v8
	v_cmp_ge_f32_e32 vcc_lo, 0x41a00000, v121
	s_and_b32 s29, s80, vcc_lo
	s_delay_alu instid0(SALU_CYCLE_1)
	s_and_saveexec_b32 s30, s29
	s_cbranch_execz .LBB62_106
; %bb.105:                              ;   in Loop: Header=BB62_12 Depth=1
	v_mul_f32_e32 v8, 0x3fb8aa3b, v121
	v_cmp_ngt_f32_e32 vcc_lo, 0xc2ce8ed0, v121
	s_delay_alu instid0(VALU_DEP_2) | instskip(SKIP_1) | instid1(VALU_DEP_2)
	v_rndne_f32_e32 v9, v8
	v_fma_f32 v10, 0x3fb8aa3b, v121, -v8
	v_sub_f32_e32 v8, v8, v9
	s_delay_alu instid0(VALU_DEP_2) | instskip(SKIP_1) | instid1(VALU_DEP_2)
	v_fmac_f32_e32 v10, 0x32a5705f, v121
	v_cvt_i32_f32_e32 v9, v9
	v_add_f32_e32 v8, v8, v10
	s_delay_alu instid0(VALU_DEP_1) | instskip(SKIP_2) | instid1(VALU_DEP_1)
	v_exp_f32_e32 v8, v8
	s_waitcnt_depctr 0xfff
	v_ldexp_f32 v8, v8, v9
	v_cndmask_b32_e32 v8, 0, v8, vcc_lo
	v_cmp_nlt_f32_e32 vcc_lo, 0x42b17218, v121
	s_delay_alu instid0(VALU_DEP_2) | instskip(NEXT) | instid1(VALU_DEP_1)
	v_cndmask_b32_e32 v10, 0x7f800000, v8, vcc_lo
	v_add_f32_e32 v11, 1.0, v10
	s_delay_alu instid0(VALU_DEP_1) | instskip(NEXT) | instid1(VALU_DEP_1)
	v_cvt_f64_f32_e32 v[8:9], v11
	v_frexp_exp_i32_f64_e32 v8, v[8:9]
	v_frexp_mant_f32_e32 v9, v11
	s_delay_alu instid0(VALU_DEP_1) | instskip(SKIP_1) | instid1(VALU_DEP_1)
	v_cmp_gt_f32_e32 vcc_lo, 0x3f2aaaab, v9
	v_add_f32_e32 v9, -1.0, v11
	v_sub_f32_e32 v13, v9, v11
	v_sub_f32_e32 v9, v10, v9
	s_delay_alu instid0(VALU_DEP_2) | instskip(NEXT) | instid1(VALU_DEP_1)
	v_add_f32_e32 v13, 1.0, v13
	v_add_f32_e32 v9, v9, v13
	v_cmp_gt_f32_e64 s29, 0x33800000, v10
	v_subrev_co_ci_u32_e32 v8, vcc_lo, 0, v8, vcc_lo
	v_cmp_eq_f32_e32 vcc_lo, 0x7f800000, v10
	s_delay_alu instid0(VALU_DEP_2) | instskip(SKIP_2) | instid1(VALU_DEP_2)
	v_sub_nc_u32_e32 v12, 0, v8
	v_cvt_f32_i32_e32 v8, v8
	s_or_b32 vcc_lo, s29, vcc_lo
	v_ldexp_f32 v11, v11, v12
	v_ldexp_f32 v9, v9, v12
	s_delay_alu instid0(VALU_DEP_2) | instskip(NEXT) | instid1(VALU_DEP_1)
	v_add_f32_e32 v14, 1.0, v11
	v_dual_add_f32 v12, -1.0, v11 :: v_dual_add_f32 v13, -1.0, v14
	s_delay_alu instid0(VALU_DEP_1) | instskip(NEXT) | instid1(VALU_DEP_2)
	v_add_f32_e32 v15, 1.0, v12
	v_sub_f32_e32 v13, v11, v13
	s_delay_alu instid0(VALU_DEP_2) | instskip(NEXT) | instid1(VALU_DEP_2)
	v_sub_f32_e32 v11, v11, v15
	v_add_f32_e32 v13, v9, v13
	s_delay_alu instid0(VALU_DEP_2) | instskip(NEXT) | instid1(VALU_DEP_1)
	v_add_f32_e32 v9, v9, v11
	v_add_f32_e32 v17, v12, v9
	s_delay_alu instid0(VALU_DEP_3) | instskip(NEXT) | instid1(VALU_DEP_2)
	v_add_f32_e32 v15, v14, v13
	v_sub_f32_e32 v12, v12, v17
	s_delay_alu instid0(VALU_DEP_2) | instskip(SKIP_1) | instid1(VALU_DEP_1)
	v_rcp_f32_e32 v11, v15
	v_sub_f32_e32 v14, v14, v15
	v_add_f32_e32 v13, v13, v14
	s_waitcnt_depctr 0xfff
	v_mul_f32_e32 v105, v17, v11
	s_delay_alu instid0(VALU_DEP_1) | instskip(NEXT) | instid1(VALU_DEP_1)
	v_dual_mul_f32 v106, v15, v105 :: v_dual_add_f32 v9, v9, v12
	v_fma_f32 v14, v105, v15, -v106
	s_delay_alu instid0(VALU_DEP_1) | instskip(NEXT) | instid1(VALU_DEP_1)
	v_fmac_f32_e32 v14, v105, v13
	v_add_f32_e32 v107, v106, v14
	s_delay_alu instid0(VALU_DEP_1) | instskip(SKIP_1) | instid1(VALU_DEP_1)
	v_sub_f32_e32 v12, v107, v106
	v_sub_f32_e32 v108, v17, v107
	v_dual_sub_f32 v12, v12, v14 :: v_dual_sub_f32 v17, v17, v108
	s_delay_alu instid0(VALU_DEP_1) | instskip(NEXT) | instid1(VALU_DEP_1)
	v_sub_f32_e32 v17, v17, v107
	v_add_f32_e32 v9, v9, v17
	s_delay_alu instid0(VALU_DEP_1) | instskip(NEXT) | instid1(VALU_DEP_1)
	v_add_f32_e32 v9, v12, v9
	v_add_f32_e32 v12, v108, v9
	s_delay_alu instid0(VALU_DEP_1) | instskip(SKIP_1) | instid1(VALU_DEP_2)
	v_mul_f32_e32 v14, v11, v12
	v_sub_f32_e32 v107, v108, v12
	v_mul_f32_e32 v17, v15, v14
	s_delay_alu instid0(VALU_DEP_2) | instskip(NEXT) | instid1(VALU_DEP_2)
	v_add_f32_e32 v9, v9, v107
	v_fma_f32 v15, v14, v15, -v17
	s_delay_alu instid0(VALU_DEP_1) | instskip(NEXT) | instid1(VALU_DEP_1)
	v_fmac_f32_e32 v15, v14, v13
	v_add_f32_e32 v13, v17, v15
	s_delay_alu instid0(VALU_DEP_1) | instskip(NEXT) | instid1(VALU_DEP_1)
	v_sub_f32_e32 v106, v12, v13
	v_dual_sub_f32 v17, v13, v17 :: v_dual_sub_f32 v12, v12, v106
	s_delay_alu instid0(VALU_DEP_1) | instskip(NEXT) | instid1(VALU_DEP_1)
	v_dual_sub_f32 v12, v12, v13 :: v_dual_sub_f32 v13, v17, v15
	v_add_f32_e32 v9, v9, v12
	v_add_f32_e32 v12, v105, v14
	s_delay_alu instid0(VALU_DEP_2) | instskip(NEXT) | instid1(VALU_DEP_2)
	v_add_f32_e32 v9, v13, v9
	v_sub_f32_e32 v13, v12, v105
	s_delay_alu instid0(VALU_DEP_2) | instskip(NEXT) | instid1(VALU_DEP_2)
	v_add_f32_e32 v9, v106, v9
	v_sub_f32_e32 v13, v14, v13
	s_delay_alu instid0(VALU_DEP_2) | instskip(NEXT) | instid1(VALU_DEP_1)
	v_mul_f32_e32 v9, v11, v9
	v_add_f32_e32 v9, v13, v9
	s_delay_alu instid0(VALU_DEP_1) | instskip(NEXT) | instid1(VALU_DEP_1)
	v_add_f32_e32 v11, v12, v9
	v_mul_f32_e32 v13, v11, v11
	s_delay_alu instid0(VALU_DEP_1) | instskip(SKIP_1) | instid1(VALU_DEP_2)
	v_fmaak_f32 v14, s84, v13, 0x3ecc95a3
	v_mul_f32_e32 v15, v11, v13
	v_fmaak_f32 v13, v13, v14, 0x3f2aaada
	v_ldexp_f32 v14, v11, 1
	v_sub_f32_e32 v11, v11, v12
	s_delay_alu instid0(VALU_DEP_3) | instskip(SKIP_1) | instid1(VALU_DEP_2)
	v_mul_f32_e32 v13, v15, v13
	v_mul_f32_e32 v15, 0x3f317218, v8
	v_dual_sub_f32 v9, v9, v11 :: v_dual_add_f32 v12, v14, v13
	s_delay_alu instid0(VALU_DEP_1) | instskip(NEXT) | instid1(VALU_DEP_2)
	v_ldexp_f32 v9, v9, 1
	v_sub_f32_e32 v11, v12, v14
	s_delay_alu instid0(VALU_DEP_4) | instskip(NEXT) | instid1(VALU_DEP_1)
	v_fma_f32 v14, 0x3f317218, v8, -v15
	v_dual_sub_f32 v11, v13, v11 :: v_dual_fmac_f32 v14, 0xb102e308, v8
	s_delay_alu instid0(VALU_DEP_1) | instskip(NEXT) | instid1(VALU_DEP_1)
	v_dual_add_f32 v8, v9, v11 :: v_dual_add_f32 v9, v15, v14
	v_add_f32_e32 v11, v12, v8
	s_delay_alu instid0(VALU_DEP_2) | instskip(NEXT) | instid1(VALU_DEP_2)
	v_sub_f32_e32 v15, v9, v15
	v_dual_add_f32 v13, v9, v11 :: v_dual_sub_f32 v12, v11, v12
	s_delay_alu instid0(VALU_DEP_1) | instskip(NEXT) | instid1(VALU_DEP_1)
	v_dual_sub_f32 v14, v14, v15 :: v_dual_sub_f32 v17, v13, v9
	v_dual_sub_f32 v8, v8, v12 :: v_dual_sub_f32 v105, v13, v17
	s_delay_alu instid0(VALU_DEP_1) | instskip(NEXT) | instid1(VALU_DEP_2)
	v_dual_sub_f32 v11, v11, v17 :: v_dual_add_f32 v12, v14, v8
	v_sub_f32_e32 v9, v9, v105
	s_delay_alu instid0(VALU_DEP_1) | instskip(NEXT) | instid1(VALU_DEP_3)
	v_add_f32_e32 v9, v11, v9
	v_sub_f32_e32 v11, v12, v14
	s_delay_alu instid0(VALU_DEP_2) | instskip(NEXT) | instid1(VALU_DEP_2)
	v_add_f32_e32 v9, v12, v9
	v_sub_f32_e32 v12, v12, v11
	s_delay_alu instid0(VALU_DEP_2) | instskip(NEXT) | instid1(VALU_DEP_1)
	v_dual_sub_f32 v8, v8, v11 :: v_dual_add_f32 v15, v13, v9
	v_dual_sub_f32 v12, v14, v12 :: v_dual_sub_f32 v11, v15, v13
	s_delay_alu instid0(VALU_DEP_1) | instskip(NEXT) | instid1(VALU_DEP_1)
	v_dual_add_f32 v8, v8, v12 :: v_dual_sub_f32 v9, v9, v11
	v_add_f32_e32 v8, v8, v9
	s_delay_alu instid0(VALU_DEP_1) | instskip(NEXT) | instid1(VALU_DEP_1)
	v_add_f32_e32 v8, v15, v8
	v_cndmask_b32_e32 v121, v8, v10, vcc_lo
.LBB62_106:                             ;   in Loop: Header=BB62_12 Depth=1
	s_or_b32 exec_lo, exec_lo, s30
	v_and_b32_e32 v11, 0xffff0000, v3
	v_and_b32_e32 v9, 0xffff0000, v6
	v_lshlrev_b32_e32 v6, 16, v6
	v_and_b32_e32 v15, 0xffff0000, v0
	v_lshlrev_b32_e32 v8, 16, v7
	v_mul_f32_e32 v115, s68, v11
	v_mul_f32_e32 v105, s68, v9
	v_dual_mul_f32 v107, s68, v6 :: v_dual_and_b32 v10, 0xffff0000, v5
	v_and_b32_e32 v14, 0xffff0000, v7
	v_and_b32_e32 v7, 0xffff0000, v4
	v_lshlrev_b32_e32 v5, 16, v5
	s_delay_alu instid0(VALU_DEP_4) | instskip(NEXT) | instid1(VALU_DEP_4)
	v_dual_mul_f32 v109, s68, v10 :: v_dual_lshlrev_b32 v0, 16, v0
	v_mul_f32_e32 v111, s68, v14
	v_and_b32_e32 v13, 0xffff0000, v1
	v_lshlrev_b32_e32 v3, 16, v3
	v_mul_f32_e32 v108, s68, v7
	v_mul_f32_e32 v120, s68, v0
	s_delay_alu instid0(VALU_DEP_4) | instskip(SKIP_3) | instid1(VALU_DEP_4)
	v_dual_mul_f32 v113, s68, v13 :: v_dual_and_b32 v12, 0xffff0000, v2
	v_lshlrev_b32_e32 v1, 16, v1
	v_mul_f32_e32 v110, s68, v5
	v_mul_f32_e32 v106, s68, v8
	;; [unrolled: 1-line block ×5, first 2 shown]
	v_dual_mul_f32 v119, s68, v15 :: v_dual_lshlrev_b32 v2, 16, v2
	v_lshlrev_b32_e32 v4, 16, v4
	s_and_b32 vcc_lo, exec_lo, s81
	s_delay_alu instid0(VALU_DEP_2) | instskip(SKIP_1) | instid1(VALU_DEP_2)
	v_mul_f32_e32 v117, s68, v2
	s_barrier
	v_mul_f32_e32 v112, s68, v4
	buffer_gl0_inv
	s_cbranch_vccz .LBB62_204
; %bb.107:                              ;   in Loop: Header=BB62_12 Depth=1
	v_dual_mul_f32 v122, v121, v14 :: v_dual_mul_f32 v127, v104, v8
	v_add_co_u32 v14, s29, s53, v16
	s_delay_alu instid0(VALU_DEP_1) | instskip(SKIP_1) | instid1(VALU_DEP_1)
	v_add_co_ci_u32_e64 v17, null, s74, 0, s29
	v_add_co_u32 v16, s29, s57, v16
	v_add_co_ci_u32_e64 v126, null, s75, 0, s29
	s_delay_alu instid0(VALU_DEP_4) | instskip(NEXT) | instid1(VALU_DEP_4)
	v_add_co_u32 v123, vcc_lo, v14, v89
	v_add_co_ci_u32_e32 v124, vcc_lo, 0, v17, vcc_lo
	s_delay_alu instid0(VALU_DEP_4) | instskip(NEXT) | instid1(VALU_DEP_4)
	v_add_co_u32 v125, vcc_lo, v16, v89
	v_add_co_ci_u32_e32 v126, vcc_lo, 0, v126, vcc_lo
	v_cmp_gt_u32_e32 vcc_lo, s41, v18
	s_cmp_lg_u32 s86, 0
	v_cmp_gt_u32_e64 s31, s41, v75
	s_cselect_b32 s51, -1, 0
	s_cmp_eq_u32 s86, s83
	v_cmp_gt_u32_e64 s33, s41, v76
	s_cselect_b32 s87, -1, 0
	s_or_b32 s29, s82, vcc_lo
	v_cmp_gt_u32_e32 vcc_lo, s41, v74
	v_cmp_gt_u32_e64 s34, s41, v77
	v_cmp_gt_u32_e64 s35, s41, v78
	;; [unrolled: 1-line block ×4, first 2 shown]
	s_or_b32 s30, s82, vcc_lo
	v_cmp_gt_u32_e32 vcc_lo, s41, v79
	v_cmp_gt_u32_e64 s39, s41, v82
	v_cmp_gt_u32_e64 s40, s41, v83
	;; [unrolled: 1-line block ×4, first 2 shown]
	s_or_b32 s36, s82, vcc_lo
	v_cmp_gt_u32_e32 vcc_lo, s41, v84
	v_cmp_gt_u32_e64 s44, s41, v87
	v_cmp_gt_u32_e64 s45, s41, v88
	v_dual_mul_f32 v128, v103, v9 :: v_dual_mul_f32 v129, v102, v6
	v_dual_mul_f32 v130, v101, v10 :: v_dual_mul_f32 v131, v100, v5
	;; [unrolled: 1-line block ×7, first 2 shown]
	s_mov_b32 s64, 0
	s_or_b32 s31, s82, s31
	s_or_b32 s33, s82, s33
	;; [unrolled: 1-line block ×8, first 2 shown]
	s_or_b32 s41, s82, vcc_lo
	s_or_b32 s42, s82, s42
	s_or_b32 s43, s82, s43
	s_or_b32 s44, s82, s44
	s_or_b32 s45, s82, s45
	s_mov_b32 s54, s64
	s_mov_b32 s58, s64
	;; [unrolled: 1-line block ×5, first 2 shown]
	s_branch .LBB62_109
.LBB62_108:                             ;   in Loop: Header=BB62_109 Depth=2
	s_or_b32 exec_lo, exec_lo, s46
	v_cndmask_b32_e64 v9, v171, v11, s12
	v_cndmask_b32_e64 v10, v170, v10, s12
	s_add_i32 s88, s88, -1
	s_add_i32 s89, s89, 8
	s_add_i32 s60, s60, s62
	v_fma_f32 v9, v9, v145, v144
	v_mul_f32_e32 v10, v10, v145
	s_add_i32 s58, s58, s56
	s_add_i32 s54, s54, s52
	;; [unrolled: 1-line block ×3, first 2 shown]
	v_cndmask_b32_e64 v9, v9, v144, s11
	v_cndmask_b32_e64 v10, v10, v145, s11
	s_cmp_eq_u32 s88, 0
	s_waitcnt lgkmcnt(0)
	s_delay_alu instid0(VALU_DEP_1) | instskip(NEXT) | instid1(VALU_DEP_1)
	v_dual_fmac_f32 v9, v8, v10 :: v_dual_and_b32 v10, 0xffff0000, v5
	v_dual_fmac_f32 v12, v9, v147 :: v_dual_lshlrev_b32 v5, 16, v5
	s_delay_alu instid0(VALU_DEP_1) | instskip(NEXT) | instid1(VALU_DEP_1)
	v_fmac_f32_e32 v13, v12, v148
	v_dual_fmac_f32 v118, v13, v5 :: v_dual_and_b32 v17, 0xffff0000, v0
	v_fmac_f32_e32 v14, v13, v150
	s_delay_alu instid0(VALU_DEP_1) | instskip(NEXT) | instid1(VALU_DEP_1)
	v_fmac_f32_e32 v15, v14, v153
	v_fmac_f32_e32 v142, v15, v154
	s_delay_alu instid0(VALU_DEP_1) | instskip(NEXT) | instid1(VALU_DEP_1)
	v_fmac_f32_e32 v143, v142, v155
	v_fmac_f32_e32 v146, v143, v156
	s_delay_alu instid0(VALU_DEP_1) | instskip(SKIP_1) | instid1(VALU_DEP_2)
	v_dual_fmac_f32 v149, v146, v158 :: v_dual_and_b32 v8, 0xffff0000, v4
	v_lshlrev_b32_e32 v4, 16, v4
	v_dual_fmac_f32 v119, v12, v8 :: v_dual_and_b32 v16, 0xffff0000, v7
	s_delay_alu instid0(VALU_DEP_3) | instskip(SKIP_1) | instid1(VALU_DEP_4)
	v_fmac_f32_e32 v151, v149, v159
	v_and_b32_e32 v11, 0xffff0000, v6
	v_dual_fmac_f32 v120, v9, v4 :: v_dual_lshlrev_b32 v7, 16, v7
	s_delay_alu instid0(VALU_DEP_4) | instskip(NEXT) | instid1(VALU_DEP_4)
	v_fmac_f32_e32 v115, v146, v16
	v_fmac_f32_e32 v152, v151, v160
	s_delay_alu instid0(VALU_DEP_4) | instskip(NEXT) | instid1(VALU_DEP_2)
	v_fmac_f32_e32 v114, v142, v11
	v_dual_fmac_f32 v108, v151, v17 :: v_dual_fmac_f32 v157, v152, v168
	v_lshlrev_b32_e32 v6, 16, v6
	v_dual_fmac_f32 v113, v14, v10 :: v_dual_lshlrev_b32 v0, 16, v0
	v_and_b32_e32 v147, 0xffff0000, v3
	s_delay_alu instid0(VALU_DEP_4) | instskip(SKIP_3) | instid1(VALU_DEP_4)
	v_fmac_f32_e32 v161, v157, v163
	v_and_b32_e32 v145, 0xffff0000, v2
	v_lshlrev_b32_e32 v2, 16, v2
	v_dual_fmac_f32 v117, v15, v6 :: v_dual_and_b32 v144, 0xffff0000, v1
	v_fmac_f32_e32 v162, v161, v165
	v_lshlrev_b32_e32 v1, 16, v1
	v_lshlrev_b32_e32 v3, 16, v3
	v_dual_fmac_f32 v107, v161, v2 :: v_dual_fmac_f32 v116, v143, v7
	s_delay_alu instid0(VALU_DEP_4) | instskip(SKIP_1) | instid1(VALU_DEP_2)
	v_dual_fmac_f32 v109, v157, v144 :: v_dual_fmac_f32 v164, v162, v167
	v_dual_fmac_f32 v112, v149, v0 :: v_dual_fmac_f32 v105, v162, v145
	v_fmac_f32_e32 v106, v164, v3
	v_fmac_f32_e32 v166, v164, v169
	s_delay_alu instid0(VALU_DEP_1)
	v_dual_fmac_f32 v110, v152, v1 :: v_dual_fmac_f32 v111, v166, v147
	s_cbranch_scc1 .LBB62_204
.LBB62_109:                             ;   Parent Loop BB62_12 Depth=1
                                        ; =>  This Inner Loop Header: Depth=2
	s_lshl_b64 s[46:47], s[64:65], 2
	s_mov_b32 s55, s65
	s_add_u32 s46, s73, s46
	s_addc_u32 s47, s63, s47
	v_dual_mov_b32 v2, 0 :: v_dual_mov_b32 v3, 0
	global_load_b32 v142, v21, s[46:47]
	s_lshl_b64 s[46:47], s[54:55], 1
	s_delay_alu instid0(SALU_CYCLE_1)
	v_add_co_u32 v0, vcc_lo, v123, s46
	v_add_co_ci_u32_e32 v1, vcc_lo, s47, v124, vcc_lo
	s_and_saveexec_b32 s46, s13
	s_cbranch_execz .LBB62_111
; %bb.110:                              ;   in Loop: Header=BB62_109 Depth=2
	global_load_u16 v3, v[0:1], off
.LBB62_111:                             ;   in Loop: Header=BB62_109 Depth=2
	s_or_b32 exec_lo, exec_lo, s46
	s_and_saveexec_b32 s46, s14
	s_cbranch_execz .LBB62_113
; %bb.112:                              ;   in Loop: Header=BB62_109 Depth=2
	global_load_u16 v2, v[0:1], off offset:64
.LBB62_113:                             ;   in Loop: Header=BB62_109 Depth=2
	s_or_b32 exec_lo, exec_lo, s46
	v_dual_mov_b32 v4, 0 :: v_dual_mov_b32 v5, 0
	s_and_saveexec_b32 s46, s15
	s_cbranch_execz .LBB62_115
; %bb.114:                              ;   in Loop: Header=BB62_109 Depth=2
	global_load_u16 v5, v[0:1], off offset:128
.LBB62_115:                             ;   in Loop: Header=BB62_109 Depth=2
	s_or_b32 exec_lo, exec_lo, s46
	s_and_saveexec_b32 s46, s16
	s_cbranch_execz .LBB62_117
; %bb.116:                              ;   in Loop: Header=BB62_109 Depth=2
	global_load_u16 v4, v[0:1], off offset:192
.LBB62_117:                             ;   in Loop: Header=BB62_109 Depth=2
	s_or_b32 exec_lo, exec_lo, s46
	v_dual_mov_b32 v6, 0 :: v_dual_mov_b32 v7, 0
	s_and_saveexec_b32 s46, s17
	s_cbranch_execz .LBB62_119
; %bb.118:                              ;   in Loop: Header=BB62_109 Depth=2
	global_load_u16 v7, v[0:1], off offset:256
.LBB62_119:                             ;   in Loop: Header=BB62_109 Depth=2
	;; [unrolled: 13-line block ×7, first 2 shown]
	s_or_b32 exec_lo, exec_lo, s46
	s_and_saveexec_b32 s46, s28
	s_cbranch_execz .LBB62_141
; %bb.140:                              ;   in Loop: Header=BB62_109 Depth=2
	global_load_u16 v16, v[0:1], off offset:960
.LBB62_141:                             ;   in Loop: Header=BB62_109 Depth=2
	s_or_b32 exec_lo, exec_lo, s46
	s_waitcnt vmcnt(0)
	ds_store_b16 v37, v3
	ds_store_b16 v37, v2 offset:64
	ds_store_b16 v38, v5 offset:128
	;; [unrolled: 1-line block ×15, first 2 shown]
	; wave barrier
	ds_load_b128 v[12:15], v52
	ds_load_b128 v[8:11], v52 offset:16
	s_mov_b32 s59, s65
	v_dual_mov_b32 v2, 0 :: v_dual_mov_b32 v3, 0
	s_lshl_b64 s[46:47], s[58:59], 1
	s_delay_alu instid0(SALU_CYCLE_1)
	v_add_co_u32 v0, vcc_lo, v125, s46
	v_add_co_ci_u32_e32 v1, vcc_lo, s47, v126, vcc_lo
	s_and_saveexec_b32 s46, s13
	s_cbranch_execz .LBB62_143
; %bb.142:                              ;   in Loop: Header=BB62_109 Depth=2
	global_load_u16 v3, v[0:1], off
.LBB62_143:                             ;   in Loop: Header=BB62_109 Depth=2
	s_or_b32 exec_lo, exec_lo, s46
	s_and_saveexec_b32 s46, s14
	s_cbranch_execz .LBB62_145
; %bb.144:                              ;   in Loop: Header=BB62_109 Depth=2
	global_load_u16 v2, v[0:1], off offset:64
.LBB62_145:                             ;   in Loop: Header=BB62_109 Depth=2
	s_or_b32 exec_lo, exec_lo, s46
	v_dual_mov_b32 v4, 0 :: v_dual_mov_b32 v5, 0
	s_and_saveexec_b32 s46, s15
	s_cbranch_execz .LBB62_147
; %bb.146:                              ;   in Loop: Header=BB62_109 Depth=2
	global_load_u16 v5, v[0:1], off offset:128
.LBB62_147:                             ;   in Loop: Header=BB62_109 Depth=2
	s_or_b32 exec_lo, exec_lo, s46
	s_and_saveexec_b32 s46, s16
	s_cbranch_execz .LBB62_149
; %bb.148:                              ;   in Loop: Header=BB62_109 Depth=2
	global_load_u16 v4, v[0:1], off offset:192
.LBB62_149:                             ;   in Loop: Header=BB62_109 Depth=2
	s_or_b32 exec_lo, exec_lo, s46
	v_dual_mov_b32 v6, 0 :: v_dual_mov_b32 v7, 0
	s_and_saveexec_b32 s46, s17
	s_cbranch_execz .LBB62_151
; %bb.150:                              ;   in Loop: Header=BB62_109 Depth=2
	global_load_u16 v7, v[0:1], off offset:256
.LBB62_151:                             ;   in Loop: Header=BB62_109 Depth=2
	;; [unrolled: 13-line block ×7, first 2 shown]
	s_or_b32 exec_lo, exec_lo, s46
	s_and_saveexec_b32 s46, s28
	s_cbranch_execz .LBB62_173
; %bb.172:                              ;   in Loop: Header=BB62_109 Depth=2
	global_load_u16 v149, v[0:1], off offset:960
.LBB62_173:                             ;   in Loop: Header=BB62_109 Depth=2
	s_or_b32 exec_lo, exec_lo, s46
	s_waitcnt vmcnt(0)
	ds_store_b16 v37, v3 offset:4224
	ds_store_b16 v53, v2 offset:64
	;; [unrolled: 1-line block ×16, first 2 shown]
	; wave barrier
	ds_load_b128 v[4:7], v52 offset:4224
	ds_load_b128 v[0:3], v68 offset:16
	s_and_not1_b32 vcc_lo, exec_lo, s51
	s_cbranch_vccnz .LBB62_175
; %bb.174:                              ;   in Loop: Header=BB62_109 Depth=2
	v_mov_b32_e32 v16, s89
	ds_load_b64 v[16:17], v16
	s_cbranch_execz .LBB62_176
	s_branch .LBB62_179
.LBB62_175:                             ;   in Loop: Header=BB62_109 Depth=2
                                        ; implicit-def: $vgpr16
.LBB62_176:                             ;   in Loop: Header=BB62_109 Depth=2
	s_waitcnt lgkmcnt(0)
	v_mov_b32_e32 v17, 0
	s_and_not1_b32 vcc_lo, exec_lo, s66
	s_cbranch_vccnz .LBB62_178
; %bb.177:                              ;   in Loop: Header=BB62_109 Depth=2
	s_mov_b32 s61, s65
	s_delay_alu instid0(SALU_CYCLE_1) | instskip(NEXT) | instid1(SALU_CYCLE_1)
	s_lshl_b64 s[46:47], s[60:61], 2
	s_add_u32 s46, s76, s46
	s_addc_u32 s47, s77, s47
	global_load_b32 v17, v21, s[46:47]
.LBB62_178:                             ;   in Loop: Header=BB62_109 Depth=2
	v_mov_b32_e32 v16, 1.0
.LBB62_179:                             ;   in Loop: Header=BB62_109 Depth=2
	s_waitcnt lgkmcnt(19)
	v_dual_mul_f32 v164, 0x3fb8aa3b, v142 :: v_dual_lshlrev_b32 v143, 16, v12
	v_and_b32_e32 v12, 0xffff0000, v12
	v_lshlrev_b32_e32 v142, 16, v13
	v_and_b32_e32 v146, 0xffff0000, v13
	v_lshlrev_b32_e32 v149, 16, v14
	v_mul_f32_e32 v13, v164, v90
	v_dual_mul_f32 v14, v164, v91 :: v_dual_and_b32 v151, 0xffff0000, v14
	v_dual_mul_f32 v145, v164, v93 :: v_dual_lshlrev_b32 v152, 16, v15
	s_delay_alu instid0(VALU_DEP_3) | instskip(SKIP_1) | instid1(VALU_DEP_4)
	v_cmp_gt_f32_e32 vcc_lo, 0xc2fc0000, v13
	v_dual_mul_f32 v12, v140, v12 :: v_dual_and_b32 v155, 0xffff0000, v15
	v_cmp_gt_f32_e64 s46, 0xc2fc0000, v14
	v_mul_f32_e32 v15, v164, v92
	v_cndmask_b32_e64 v13, 0, 0x42800000, vcc_lo
	v_cndmask_b32_e64 v144, 1.0, 0x1f800000, vcc_lo
	s_waitcnt lgkmcnt(18)
	v_lshlrev_b32_e32 v161, 16, v10
	v_cndmask_b32_e64 v14, 0, 0x42800000, s46
	v_mul_f32_e32 v143, v141, v143
	v_fmac_f32_e32 v13, v164, v90
	v_dual_mul_f32 v142, v139, v142 :: v_dual_lshlrev_b32 v157, 16, v8
	v_and_b32_e32 v8, 0xffff0000, v8
	v_fmac_f32_e32 v14, v164, v91
	s_delay_alu instid0(VALU_DEP_4) | instskip(SKIP_2) | instid1(VALU_DEP_3)
	v_exp_f32_e32 v13, v13
	v_cmp_gt_f32_e32 vcc_lo, 0xc2fc0000, v15
	v_dual_mul_f32 v151, v136, v151 :: v_dual_and_b32 v10, 0xffff0000, v10
	v_exp_f32_e32 v14, v14
	v_dual_mul_f32 v157, v133, v157 :: v_dual_mul_f32 v8, v132, v8
	v_cndmask_b32_e64 v15, 0, 0x42800000, vcc_lo
	v_lshlrev_b32_e32 v166, 16, v11
	v_and_b32_e32 v11, 0xffff0000, v11
	s_delay_alu instid0(TRANS32_DEP_2)
	v_mul_f32_e32 v13, v13, v144
	v_cndmask_b32_e64 v144, 0, v143, s29
	v_cndmask_b32_e64 v143, 1.0, 0x1f800000, s46
	v_cmp_gt_f32_e64 s46, 0xc2fc0000, v145
	v_fmac_f32_e32 v15, v164, v92
	v_cndmask_b32_e64 v145, 1.0, v13, s29
	v_cndmask_b32_e64 v12, 0, v12, s30
	v_mul_f32_e32 v13, v14, v143
	v_cndmask_b32_e64 v147, 0, 0x42800000, s46
	v_exp_f32_e32 v14, v15
	v_cndmask_b32_e64 v143, 1.0, 0x1f800000, vcc_lo
	v_lshlrev_b32_e32 v159, 16, v9
	v_mul_f32_e32 v15, v164, v94
	v_fmac_f32_e32 v147, v164, v93
	v_and_b32_e32 v9, 0xffff0000, v9
	v_mul_f32_e32 v167, v164, v103
	v_mul_f32_e32 v169, v164, v121
	v_cmp_gt_f32_e32 vcc_lo, 0xc2fc0000, v15
	v_exp_f32_e32 v150, v147
	v_mul_f32_e32 v14, v14, v143
	v_cndmask_b32_e64 v143, 1.0, 0x1f800000, s46
	v_mul_f32_e32 v153, v164, v97
	v_cndmask_b32_e64 v15, 0, 0x42800000, vcc_lo
	v_mul_f32_e32 v156, v164, v98
	v_cndmask_b32_e64 v148, 1.0, v14, s31
	v_mul_f32_e32 v14, v138, v146
	v_mul_f32_e32 v146, v164, v96
	v_fmac_f32_e32 v15, v164, v94
	v_mul_f32_e32 v143, v150, v143
	v_cmp_gt_f32_e64 s47, 0xc2fc0000, v153
	v_cndmask_b32_e64 v14, 0, v14, s33
	v_mul_f32_e32 v158, v164, v100
	v_exp_f32_e32 v15, v15
	v_cndmask_b32_e64 v150, 1.0, v143, s33
	v_cndmask_b32_e64 v143, 1.0, 0x1f800000, vcc_lo
	v_cmp_gt_f32_e32 vcc_lo, 0xc2fc0000, v146
	v_mul_f32_e32 v166, v127, v166
	v_dual_mul_f32 v10, v128, v10 :: v_dual_mul_f32 v11, v122, v11
	v_cndmask_b32_e64 v146, 0, 0x42800000, vcc_lo
	s_delay_alu instid0(TRANS32_DEP_1) | instskip(SKIP_2) | instid1(VALU_DEP_4)
	v_mul_f32_e32 v143, v15, v143
	v_mul_f32_e32 v15, v137, v149
	v_cndmask_b32_e64 v149, 0, 0x42800000, s47
	v_fmac_f32_e32 v146, v164, v96
	v_cndmask_b32_e64 v147, 1.0, v13, s30
	v_cndmask_b32_e64 v13, 0, v142, s31
	v_mul_f32_e32 v142, v164, v95
	v_cndmask_b32_e64 v153, 1.0, v143, s34
	v_exp_f32_e32 v146, v146
	v_fma_f32 v165, v147, v144, v12
	v_cndmask_b32_e64 v15, 0, v15, s34
	v_cmp_gt_f32_e64 s46, 0xc2fc0000, v142
	s_delay_alu instid0(VALU_DEP_1) | instskip(SKIP_1) | instid1(VALU_DEP_2)
	v_cndmask_b32_e64 v142, 0, 0x42800000, s46
	v_cndmask_b32_e64 v154, 1.0, 0x1f800000, s46
	v_fmac_f32_e32 v142, v164, v95
	s_delay_alu instid0(VALU_DEP_1)
	v_exp_f32_e32 v142, v142
	s_waitcnt_depctr 0xfff
	v_mul_f32_e32 v143, v142, v154
	v_cndmask_b32_e64 v142, 0, v151, s35
	v_cndmask_b32_e64 v151, 1.0, 0x1f800000, vcc_lo
	v_cmp_gt_f32_e32 vcc_lo, 0xc2fc0000, v156
	v_mul_f32_e32 v156, v134, v155
	v_cndmask_b32_e64 v154, 1.0, v143, s35
	s_delay_alu instid0(VALU_DEP_4)
	v_dual_mul_f32 v143, v135, v152 :: v_dual_mul_f32 v146, v146, v151
	v_cndmask_b32_e64 v151, 1.0, 0x1f800000, s47
	v_cmp_gt_f32_e64 s47, 0xc2fc0000, v158
	v_mul_f32_e32 v158, v164, v101
	v_cndmask_b32_e64 v152, 0, 0x42800000, vcc_lo
	v_cndmask_b32_e64 v160, 1.0, 0x1f800000, vcc_lo
	v_cndmask_b32_e64 v155, 1.0, v146, s36
	v_cndmask_b32_e64 v146, 0, v156, s37
	v_cmp_gt_f32_e32 vcc_lo, 0xc2fc0000, v158
	v_fmac_f32_e32 v152, v164, v98
	v_cndmask_b32_e64 v143, 0, v143, s36
	v_cndmask_b32_e64 v162, 0, 0x42800000, vcc_lo
	v_cndmask_b32_e64 v163, 1.0, 0x1f800000, vcc_lo
	s_delay_alu instid0(VALU_DEP_2) | instskip(NEXT) | instid1(VALU_DEP_1)
	v_fmac_f32_e32 v162, v164, v101
	v_exp_f32_e32 v162, v162
	v_fmac_f32_e32 v149, v164, v97
	s_delay_alu instid0(VALU_DEP_1) | instskip(SKIP_3) | instid1(VALU_DEP_2)
	v_exp_f32_e32 v149, v149
	s_waitcnt_depctr 0xfff
	v_mul_f32_e32 v149, v149, v151
	v_mul_f32_e32 v151, v164, v99
	v_cndmask_b32_e64 v156, 1.0, v149, s37
	s_delay_alu instid0(VALU_DEP_2) | instskip(SKIP_2) | instid1(VALU_DEP_2)
	v_cmp_gt_f32_e64 s46, 0xc2fc0000, v151
	v_exp_f32_e32 v149, v152
	v_cndmask_b32_e64 v152, 0, 0x42800000, s47
	v_cndmask_b32_e64 v151, 0, 0x42800000, s46
	s_delay_alu instid0(VALU_DEP_2)
	v_fmac_f32_e32 v152, v164, v100
	s_waitcnt_depctr 0xfff
	v_dual_fmac_f32 v151, v164, v99 :: v_dual_mul_f32 v158, v149, v160
	v_cndmask_b32_e64 v149, 0, v157, s38
	v_exp_f32_e32 v152, v152
	v_cndmask_b32_e64 v157, 1.0, 0x1f800000, s46
	s_delay_alu instid0(VALU_DEP_3) | instskip(SKIP_3) | instid1(VALU_DEP_2)
	v_exp_f32_e32 v151, v151
	v_cndmask_b32_e64 v160, 1.0, 0x1f800000, s47
	v_cmp_gt_f32_e64 s46, 0xc2fc0000, v167
	v_cndmask_b32_e64 v158, 1.0, v158, s38
	v_cndmask_b32_e64 v167, 1.0, 0x1f800000, s46
	s_waitcnt_depctr 0xfff
	v_dual_mul_f32 v160, v152, v160 :: v_dual_mul_f32 v157, v151, v157
	v_cndmask_b32_e64 v151, 0, v8, s39
	v_mul_f32_e32 v8, v131, v159
	s_delay_alu instid0(VALU_DEP_3) | instskip(NEXT) | instid1(VALU_DEP_4)
	v_cndmask_b32_e64 v160, 1.0, v160, s40
	v_cndmask_b32_e64 v159, 1.0, v157, s39
	v_mul_f32_e32 v157, v164, v102
	s_delay_alu instid0(VALU_DEP_4) | instskip(SKIP_1) | instid1(VALU_DEP_3)
	v_cndmask_b32_e64 v152, 0, v8, s40
	v_dual_mul_f32 v8, v162, v163 :: v_dual_mul_f32 v163, v147, v145
	v_cmp_gt_f32_e32 vcc_lo, 0xc2fc0000, v157
	s_delay_alu instid0(VALU_DEP_2) | instskip(SKIP_3) | instid1(VALU_DEP_3)
	v_cndmask_b32_e64 v168, 1.0, v8, s41
	v_cndmask_b32_e64 v162, 0, 0x42800000, vcc_lo
	v_mul_f32_e32 v9, v130, v9
	v_cndmask_b32_e64 v8, 1.0, 0x1f800000, vcc_lo
	v_fmac_f32_e32 v162, v164, v102
	s_delay_alu instid0(VALU_DEP_3)
	v_cndmask_b32_e64 v157, 0, v9, s41
	v_mul_f32_e32 v9, v163, v148
	v_fma_f32 v163, v165, v148, v13
	v_cndmask_b32_e64 v165, 0, 0x42800000, s46
	v_exp_f32_e32 v162, v162
	v_cmp_gt_f32_e64 s46, 0xc2fc0000, v169
	v_mul_f32_e32 v9, v9, v150
	v_fma_f32 v163, v163, v150, v14
	v_fmac_f32_e32 v165, v164, v103
	s_delay_alu instid0(VALU_DEP_3) | instskip(NEXT) | instid1(VALU_DEP_3)
	v_mul_f32_e32 v9, v9, v153
	v_fma_f32 v163, v163, v153, v15
	s_delay_alu instid0(VALU_DEP_3)
	v_exp_f32_e32 v165, v165
	s_delay_alu instid0(TRANS32_DEP_2) | instid1(VALU_DEP_2)
	v_dual_mul_f32 v8, v162, v8 :: v_dual_mul_f32 v9, v9, v154
	s_delay_alu instid0(VALU_DEP_2) | instskip(NEXT) | instid1(VALU_DEP_2)
	v_fma_f32 v162, v163, v154, v142
	v_cndmask_b32_e64 v163, 1.0, v8, s42
	s_delay_alu instid0(VALU_DEP_3) | instskip(NEXT) | instid1(VALU_DEP_3)
	v_mul_f32_e32 v8, v9, v155
	v_fma_f32 v9, v162, v155, v143
	v_mul_f32_e32 v162, v164, v104
	s_delay_alu instid0(VALU_DEP_3) | instskip(NEXT) | instid1(VALU_DEP_3)
	v_mul_f32_e32 v8, v8, v156
	v_fma_f32 v9, v9, v156, v146
	s_delay_alu instid0(VALU_DEP_3)
	v_cmp_gt_f32_e32 vcc_lo, 0xc2fc0000, v162
	v_mul_f32_e32 v161, v129, v161
	v_cndmask_b32_e64 v162, 0, v10, s43
	v_mul_f32_e32 v8, v8, v158
	v_fma_f32 v9, v9, v158, v149
	v_cndmask_b32_e64 v10, 0, 0x42800000, s46
	v_mul_f32_e32 v165, v165, v167
	v_cndmask_b32_e64 v167, 0, 0x42800000, vcc_lo
	v_mul_f32_e32 v8, v8, v159
	v_fma_f32 v9, v9, v159, v151
	v_fmac_f32_e32 v10, v164, v121
	v_cndmask_b32_e64 v161, 0, v161, s42
	v_fmac_f32_e32 v167, v164, v104
	v_mul_f32_e32 v8, v8, v160
	v_fma_f32 v9, v9, v160, v152
	v_cndmask_b32_e64 v164, 1.0, 0x1f800000, vcc_lo
	v_exp_f32_e32 v10, v10
	v_exp_f32_e32 v167, v167
	v_mul_f32_e32 v8, v8, v168
	v_fma_f32 v9, v9, v168, v157
	v_cndmask_b32_e64 v165, 1.0, v165, s43
	s_delay_alu instid0(VALU_DEP_3) | instskip(NEXT) | instid1(VALU_DEP_3)
	v_mul_f32_e32 v8, v8, v163
	v_fma_f32 v9, v9, v163, v161
	s_waitcnt_depctr 0xfff
	v_mul_f32_e32 v167, v167, v164
	v_cndmask_b32_e64 v164, 0, v166, s44
	v_cndmask_b32_e64 v166, 1.0, 0x1f800000, s46
	v_mul_f32_e32 v8, v8, v165
	v_fma_f32 v9, v9, v165, v162
	v_cndmask_b32_e64 v167, 1.0, v167, s44
	s_delay_alu instid0(VALU_DEP_4) | instskip(SKIP_1) | instid1(VALU_DEP_3)
	v_mul_f32_e32 v10, v10, v166
	v_cndmask_b32_e64 v166, 0, v11, s45
	v_mul_f32_e32 v8, v8, v167
	v_fma_f32 v9, v9, v167, v164
	s_delay_alu instid0(VALU_DEP_4) | instskip(NEXT) | instid1(VALU_DEP_1)
	v_cndmask_b32_e64 v169, 1.0, v10, s45
	v_mul_f32_e32 v8, v8, v169
	s_delay_alu instid0(VALU_DEP_3) | instskip(NEXT) | instid1(VALU_DEP_2)
	v_fma_f32 v9, v9, v169, v166
	v_mov_b32_dpp v11, v8 row_shr:1 row_mask:0xf bank_mask:0xf
	s_delay_alu instid0(VALU_DEP_2)
	v_mov_b32_dpp v10, v9 row_shr:1 row_mask:0xf bank_mask:0xf
	s_and_saveexec_b32 s46, s0
; %bb.180:                              ;   in Loop: Header=BB62_109 Depth=2
	s_delay_alu instid0(VALU_DEP_2) | instskip(NEXT) | instid1(VALU_DEP_1)
	v_mul_f32_e32 v11, v8, v11
	v_dual_fmac_f32 v9, v8, v10 :: v_dual_mov_b32 v8, v11
; %bb.181:                              ;   in Loop: Header=BB62_109 Depth=2
	s_or_b32 exec_lo, exec_lo, s46
	s_delay_alu instid0(VALU_DEP_1) | instskip(NEXT) | instid1(VALU_DEP_2)
	v_mov_b32_dpp v10, v8 row_shr:2 row_mask:0xf bank_mask:0xf
	v_mov_b32_dpp v11, v9 row_shr:2 row_mask:0xf bank_mask:0xf
	s_and_saveexec_b32 s46, s1
; %bb.182:                              ;   in Loop: Header=BB62_109 Depth=2
	s_delay_alu instid0(VALU_DEP_1) | instskip(NEXT) | instid1(VALU_DEP_3)
	v_fmac_f32_e32 v9, v8, v11
	v_mul_f32_e32 v8, v8, v10
; %bb.183:                              ;   in Loop: Header=BB62_109 Depth=2
	s_or_b32 exec_lo, exec_lo, s46
	s_delay_alu instid0(VALU_DEP_1) | instskip(NEXT) | instid1(VALU_DEP_3)
	v_mov_b32_dpp v10, v8 row_shr:4 row_mask:0xf bank_mask:0xf
	v_mov_b32_dpp v11, v9 row_shr:4 row_mask:0xf bank_mask:0xf
	s_and_saveexec_b32 s46, s2
; %bb.184:                              ;   in Loop: Header=BB62_109 Depth=2
	s_delay_alu instid0(VALU_DEP_1) | instskip(NEXT) | instid1(VALU_DEP_3)
	v_fmac_f32_e32 v9, v8, v11
	v_mul_f32_e32 v8, v8, v10
; %bb.185:                              ;   in Loop: Header=BB62_109 Depth=2
	s_or_b32 exec_lo, exec_lo, s46
	s_delay_alu instid0(VALU_DEP_1) | instskip(NEXT) | instid1(VALU_DEP_3)
	v_mov_b32_dpp v10, v8 row_shr:8 row_mask:0xf bank_mask:0xf
	v_mov_b32_dpp v11, v9 row_shr:8 row_mask:0xf bank_mask:0xf
	s_and_saveexec_b32 s46, s3
; %bb.186:                              ;   in Loop: Header=BB62_109 Depth=2
	s_delay_alu instid0(VALU_DEP_1) | instskip(NEXT) | instid1(VALU_DEP_3)
	v_fmac_f32_e32 v9, v8, v11
	v_mul_f32_e32 v8, v8, v10
; %bb.187:                              ;   in Loop: Header=BB62_109 Depth=2
	s_or_b32 exec_lo, exec_lo, s46
	ds_swizzle_b32 v11, v8 offset:swizzle(BROADCAST,32,15)
	ds_swizzle_b32 v10, v9 offset:swizzle(BROADCAST,32,15)
	s_and_saveexec_b32 s46, s4
	s_cbranch_execz .LBB62_189
; %bb.188:                              ;   in Loop: Header=BB62_109 Depth=2
	s_waitcnt lgkmcnt(1)
	v_mul_f32_e32 v11, v8, v11
	s_waitcnt lgkmcnt(0)
	s_delay_alu instid0(VALU_DEP_1)
	v_dual_fmac_f32 v9, v8, v10 :: v_dual_mov_b32 v8, v11
.LBB62_189:                             ;   in Loop: Header=BB62_109 Depth=2
	s_or_b32 exec_lo, exec_lo, s46
	s_and_saveexec_b32 s46, s5
	s_cbranch_execz .LBB62_191
; %bb.190:                              ;   in Loop: Header=BB62_109 Depth=2
	ds_store_b64 v69, v[8:9] offset:8448
.LBB62_191:                             ;   in Loop: Header=BB62_109 Depth=2
	s_or_b32 exec_lo, exec_lo, s46
	s_waitcnt vmcnt(0) lgkmcnt(0)
	s_waitcnt_vscnt null, 0x0
	s_barrier
	buffer_gl0_inv
	s_and_saveexec_b32 s46, s6
	s_cbranch_execz .LBB62_195
; %bb.192:                              ;   in Loop: Header=BB62_109 Depth=2
	ds_load_b64 v[10:11], v70 offset:8448
	s_waitcnt lgkmcnt(0)
	v_mov_b32_dpp v172, v10 row_shr:1 row_mask:0xf bank_mask:0xf
	v_mov_b32_dpp v171, v11 row_shr:1 row_mask:0xf bank_mask:0xf
	v_mov_b32_e32 v170, v10
	s_and_saveexec_b32 s47, s7
; %bb.193:                              ;   in Loop: Header=BB62_109 Depth=2
	s_delay_alu instid0(VALU_DEP_3) | instskip(NEXT) | instid1(VALU_DEP_3)
	v_mul_f32_e32 v170, v10, v172
	v_fmac_f32_e32 v11, v10, v171
	s_delay_alu instid0(VALU_DEP_2)
	v_mov_b32_e32 v10, v170
; %bb.194:                              ;   in Loop: Header=BB62_109 Depth=2
	s_or_b32 exec_lo, exec_lo, s47
	v_mov_b32_dpp v170, v170 row_shr:2 row_mask:0xf bank_mask:0xf
	s_delay_alu instid0(VALU_DEP_3) | instskip(NEXT) | instid1(VALU_DEP_2)
	v_mov_b32_dpp v171, v11 row_shr:2 row_mask:0xf bank_mask:0xf
	v_mul_f32_e32 v170, v10, v170
	s_delay_alu instid0(VALU_DEP_2) | instskip(NEXT) | instid1(VALU_DEP_2)
	v_fma_f32 v171, v10, v171, v11
	v_cndmask_b32_e64 v10, v10, v170, s8
	s_delay_alu instid0(VALU_DEP_2)
	v_cndmask_b32_e64 v11, v11, v171, s8
	ds_store_b64 v70, v[10:11] offset:8448
.LBB62_195:                             ;   in Loop: Header=BB62_109 Depth=2
	s_or_b32 exec_lo, exec_lo, s46
	s_waitcnt lgkmcnt(0)
	s_barrier
	buffer_gl0_inv
                                        ; implicit-def: $vgpr11
	s_and_saveexec_b32 s46, s10
	s_cbranch_execz .LBB62_197
; %bb.196:                              ;   in Loop: Header=BB62_109 Depth=2
	ds_load_b64 v[10:11], v69 offset:8440
	s_waitcnt lgkmcnt(0)
	v_mul_f32_e32 v170, v8, v10
	s_delay_alu instid0(VALU_DEP_1)
	v_dual_fmac_f32 v9, v8, v11 :: v_dual_mov_b32 v8, v170
.LBB62_197:                             ;   in Loop: Header=BB62_109 Depth=2
	s_or_b32 exec_lo, exec_lo, s46
	ds_bpermute_b32 v170, v71, v8
	ds_bpermute_b32 v171, v71, v9
	s_and_saveexec_b32 s46, s9
	s_cbranch_execz .LBB62_201
; %bb.198:                              ;   in Loop: Header=BB62_109 Depth=2
	ds_load_b64 v[8:9], v21 offset:8472
	s_and_saveexec_b32 s47, s11
	s_cbranch_execz .LBB62_200
; %bb.199:                              ;   in Loop: Header=BB62_109 Depth=2
	ds_store_b64 v21, v[16:17] offset:8472
.LBB62_200:                             ;   in Loop: Header=BB62_109 Depth=2
	s_or_b32 exec_lo, exec_lo, s47
	s_waitcnt lgkmcnt(0)
	v_fmac_f32_e32 v9, v17, v8
	s_delay_alu instid0(VALU_DEP_1)
	v_dual_mul_f32 v16, v16, v8 :: v_dual_mov_b32 v17, v9
.LBB62_201:                             ;   in Loop: Header=BB62_109 Depth=2
	s_or_b32 exec_lo, exec_lo, s46
	s_waitcnt lgkmcnt(0)
	s_barrier
	buffer_gl0_inv
	ds_load_b32 v8, v21 offset:8476
	s_and_saveexec_b32 s46, s11
	s_cbranch_execz .LBB62_108
; %bb.202:                              ;   in Loop: Header=BB62_109 Depth=2
	v_mov_b32_e32 v9, s89
	s_and_not1_b32 vcc_lo, exec_lo, s87
	ds_store_b64 v9, v[16:17]
	s_cbranch_vccnz .LBB62_108
; %bb.203:                              ;   in Loop: Header=BB62_109 Depth=2
	s_mov_b32 s61, s65
	s_delay_alu instid0(SALU_CYCLE_1) | instskip(NEXT) | instid1(SALU_CYCLE_1)
	s_lshl_b64 s[90:91], s[60:61], 2
	s_add_u32 s90, s76, s90
	s_addc_u32 s91, s77, s91
	global_store_b32 v21, v17, s[90:91]
	s_branch .LBB62_108
.LBB62_204:                             ;   in Loop: Header=BB62_12 Depth=1
	v_bfe_u32 v0, v120, 16, 1
	v_bfe_u32 v1, v119, 16, 1
	v_cmp_o_f32_e32 vcc_lo, v120, v120
	v_bfe_u32 v2, v118, 16, 1
	v_bfe_u32 v4, v114, 16, 1
	v_add3_u32 v0, v120, v0, 0x7fff
	v_add3_u32 v1, v119, v1, 0x7fff
	v_bfe_u32 v7, v116, 16, 1
	v_add3_u32 v2, v118, v2, 0x7fff
	v_bfe_u32 v6, v115, 16, 1
	v_lshrrev_b32_e32 v0, 16, v0
	v_lshrrev_b32_e32 v1, 16, v1
	v_add3_u32 v4, v114, v4, 0x7fff
	v_lshrrev_b32_e32 v2, 16, v2
	v_add3_u32 v7, v116, v7, 0x7fff
	v_cndmask_b32_e32 v0, 0x7fc0, v0, vcc_lo
	v_cmp_o_f32_e32 vcc_lo, v119, v119
	v_add3_u32 v6, v115, v6, 0x7fff
	v_bfe_u32 v3, v113, 16, 1
	v_bfe_u32 v10, v109, 16, 1
	;; [unrolled: 1-line block ×3, first 2 shown]
	v_cndmask_b32_e32 v5, 0x7fc0, v1, vcc_lo
	v_bfe_u32 v1, v117, 16, 1
	v_cmp_o_f32_e32 vcc_lo, v118, v118
	v_lshrrev_b32_e32 v6, 16, v6
	v_add3_u32 v3, v113, v3, 0x7fff
	v_bfe_u32 v12, v111, 16, 1
	v_add3_u32 v1, v117, v1, 0x7fff
	v_cndmask_b32_e32 v8, 0x7fc0, v2, vcc_lo
	v_cmp_o_f32_e32 vcc_lo, v117, v117
	v_lshrrev_b32_e32 v2, 16, v4
	v_lshrrev_b32_e32 v4, 16, v7
	;; [unrolled: 1-line block ×4, first 2 shown]
	v_bfe_u32 v7, v112, 16, 1
	v_add3_u32 v11, v106, v11, 0x7fff
	v_perm_b32 v0, v5, v0, 0x5040100
	v_cndmask_b32_e32 v1, 0x7fc0, v1, vcc_lo
	v_cmp_o_f32_e32 vcc_lo, v116, v116
	s_waitcnt_vscnt null, 0x0
	s_barrier
	buffer_gl0_inv
	s_mov_b32 s51, s65
	v_cndmask_b32_e32 v4, 0x7fc0, v4, vcc_lo
	v_cmp_o_f32_e32 vcc_lo, v115, v115
	s_lshl_b64 s[30:31], s[50:51], 1
	v_cndmask_b32_e32 v6, 0x7fc0, v6, vcc_lo
	v_cmp_o_f32_e32 vcc_lo, v114, v114
	v_cndmask_b32_e32 v2, 0x7fc0, v2, vcc_lo
	v_cmp_o_f32_e32 vcc_lo, v113, v113
	s_delay_alu instid0(VALU_DEP_2)
	v_perm_b32 v2, v2, v1, 0x5040100
	v_cndmask_b32_e32 v9, 0x7fc0, v3, vcc_lo
	v_perm_b32 v3, v6, v4, 0x5040100
	v_add3_u32 v6, v112, v7, 0x7fff
	v_bfe_u32 v7, v110, 16, 1
	v_cmp_o_f32_e32 vcc_lo, v112, v112
	v_perm_b32 v1, v9, v8, 0x5040100
	v_add3_u32 v8, v109, v10, 0x7fff
	v_lshrrev_b32_e32 v6, 16, v6
	v_add3_u32 v7, v110, v7, 0x7fff
	v_bfe_u32 v10, v105, 16, 1
	v_bfe_u32 v4, v108, 16, 1
	s_delay_alu instid0(VALU_DEP_4) | instskip(NEXT) | instid1(VALU_DEP_4)
	v_cndmask_b32_e32 v9, 0x7fc0, v6, vcc_lo
	v_lshrrev_b32_e32 v6, 16, v7
	v_lshrrev_b32_e32 v7, 16, v8
	v_bfe_u32 v8, v107, 16, 1
	v_cmp_o_f32_e32 vcc_lo, v110, v110
	v_add3_u32 v4, v108, v4, 0x7fff
	s_delay_alu instid0(VALU_DEP_3)
	v_add3_u32 v8, v107, v8, 0x7fff
	v_cndmask_b32_e32 v13, 0x7fc0, v6, vcc_lo
	v_cmp_o_f32_e32 vcc_lo, v109, v109
	v_add3_u32 v6, v105, v10, 0x7fff
	v_add3_u32 v10, v111, v12, 0x7fff
	v_lshrrev_b32_e32 v4, 16, v4
	v_cndmask_b32_e32 v12, 0x7fc0, v7, vcc_lo
	v_lshrrev_b32_e32 v7, 16, v8
	v_cmp_o_f32_e32 vcc_lo, v107, v107
	v_lshrrev_b32_e32 v8, 16, v11
	v_lshrrev_b32_e32 v10, 16, v10
	;; [unrolled: 1-line block ×3, first 2 shown]
	v_perm_b32 v5, v12, v13, 0x5040100
	v_cndmask_b32_e32 v11, 0x7fc0, v7, vcc_lo
	v_cmp_o_f32_e32 vcc_lo, v106, v106
	v_cndmask_b32_e32 v7, 0x7fc0, v8, vcc_lo
	v_cmp_o_f32_e32 vcc_lo, v111, v111
	;; [unrolled: 2-line block ×3, first 2 shown]
	s_delay_alu instid0(VALU_DEP_2) | instskip(SKIP_2) | instid1(VALU_DEP_2)
	v_perm_b32 v7, v8, v7, 0x5040100
	v_cndmask_b32_e32 v6, 0x7fc0, v6, vcc_lo
	v_cmp_o_f32_e32 vcc_lo, v108, v108
	v_perm_b32 v6, v6, v11, 0x5040100
	v_cndmask_b32_e32 v4, 0x7fc0, v4, vcc_lo
	s_delay_alu instid0(VALU_DEP_1)
	v_perm_b32 v4, v4, v9, 0x5040100
	ds_store_b128 v52, v[0:3]
	ds_store_b128 v52, v[4:7] offset:16
	; wave barrier
	ds_load_u16 v16, v37 offset:64
	ds_load_u16 v15, v38 offset:128
	;; [unrolled: 1-line block ×15, first 2 shown]
	v_add_co_u32 v0, vcc_lo, v72, s30
	v_add_co_ci_u32_e32 v1, vcc_lo, s31, v73, vcc_lo
	s_and_saveexec_b32 s29, s13
	s_cbranch_execnz .LBB62_222
; %bb.205:                              ;   in Loop: Header=BB62_12 Depth=1
	s_or_b32 exec_lo, exec_lo, s29
	s_and_saveexec_b32 s13, s14
	s_cbranch_execnz .LBB62_223
.LBB62_206:                             ;   in Loop: Header=BB62_12 Depth=1
	s_or_b32 exec_lo, exec_lo, s13
	s_and_saveexec_b32 s13, s15
	s_cbranch_execnz .LBB62_224
.LBB62_207:                             ;   in Loop: Header=BB62_12 Depth=1
	s_or_b32 exec_lo, exec_lo, s13
	s_and_saveexec_b32 s13, s16
	s_cbranch_execnz .LBB62_225
.LBB62_208:                             ;   in Loop: Header=BB62_12 Depth=1
	s_or_b32 exec_lo, exec_lo, s13
	s_and_saveexec_b32 s13, s17
	s_cbranch_execnz .LBB62_226
.LBB62_209:                             ;   in Loop: Header=BB62_12 Depth=1
	s_or_b32 exec_lo, exec_lo, s13
	s_and_saveexec_b32 s13, s18
	s_cbranch_execnz .LBB62_227
.LBB62_210:                             ;   in Loop: Header=BB62_12 Depth=1
	s_or_b32 exec_lo, exec_lo, s13
	s_and_saveexec_b32 s13, s19
	s_cbranch_execnz .LBB62_228
.LBB62_211:                             ;   in Loop: Header=BB62_12 Depth=1
	s_or_b32 exec_lo, exec_lo, s13
	s_and_saveexec_b32 s13, s20
	s_cbranch_execnz .LBB62_229
.LBB62_212:                             ;   in Loop: Header=BB62_12 Depth=1
	s_or_b32 exec_lo, exec_lo, s13
	s_and_saveexec_b32 s13, s21
	s_cbranch_execnz .LBB62_230
.LBB62_213:                             ;   in Loop: Header=BB62_12 Depth=1
	s_or_b32 exec_lo, exec_lo, s13
	s_and_saveexec_b32 s13, s22
	s_cbranch_execnz .LBB62_231
.LBB62_214:                             ;   in Loop: Header=BB62_12 Depth=1
	s_or_b32 exec_lo, exec_lo, s13
	s_and_saveexec_b32 s13, s23
	s_cbranch_execnz .LBB62_232
.LBB62_215:                             ;   in Loop: Header=BB62_12 Depth=1
	s_or_b32 exec_lo, exec_lo, s13
	s_and_saveexec_b32 s13, s24
	s_cbranch_execnz .LBB62_233
.LBB62_216:                             ;   in Loop: Header=BB62_12 Depth=1
	s_or_b32 exec_lo, exec_lo, s13
	s_and_saveexec_b32 s13, s25
	s_cbranch_execnz .LBB62_234
.LBB62_217:                             ;   in Loop: Header=BB62_12 Depth=1
	s_or_b32 exec_lo, exec_lo, s13
	s_and_saveexec_b32 s13, s26
	s_cbranch_execnz .LBB62_235
.LBB62_218:                             ;   in Loop: Header=BB62_12 Depth=1
	s_or_b32 exec_lo, exec_lo, s13
	s_and_saveexec_b32 s13, s27
	s_cbranch_execnz .LBB62_236
.LBB62_219:                             ;   in Loop: Header=BB62_12 Depth=1
	s_or_b32 exec_lo, exec_lo, s13
	s_and_saveexec_b32 s13, s28
	s_cbranch_execz .LBB62_11
	s_branch .LBB62_237
.LBB62_220:                             ;   in Loop: Header=BB62_12 Depth=1
	global_load_u16 v97, v[8:9], off offset:832
	s_or_b32 exec_lo, exec_lo, s29
	s_and_saveexec_b32 s29, s27
	s_cbranch_execz .LBB62_72
.LBB62_221:                             ;   in Loop: Header=BB62_12 Depth=1
	global_load_u16 v96, v[8:9], off offset:896
	s_or_b32 exec_lo, exec_lo, s29
	v_mov_b32_e32 v98, 0
	s_and_saveexec_b32 s29, s28
	s_cbranch_execnz .LBB62_73
	s_branch .LBB62_74
.LBB62_222:                             ;   in Loop: Header=BB62_12 Depth=1
	ds_load_u16 v17, v37
	s_waitcnt lgkmcnt(0)
	global_store_b16 v[0:1], v17, off
	s_or_b32 exec_lo, exec_lo, s29
	s_and_saveexec_b32 s13, s14
	s_cbranch_execz .LBB62_206
.LBB62_223:                             ;   in Loop: Header=BB62_12 Depth=1
	s_waitcnt lgkmcnt(14)
	global_store_b16 v[0:1], v16, off offset:64
	s_or_b32 exec_lo, exec_lo, s13
	s_and_saveexec_b32 s13, s15
	s_cbranch_execz .LBB62_207
.LBB62_224:                             ;   in Loop: Header=BB62_12 Depth=1
	s_waitcnt lgkmcnt(13)
	global_store_b16 v[0:1], v15, off offset:128
	s_or_b32 exec_lo, exec_lo, s13
	s_and_saveexec_b32 s13, s16
	s_cbranch_execz .LBB62_208
.LBB62_225:                             ;   in Loop: Header=BB62_12 Depth=1
	s_waitcnt lgkmcnt(12)
	global_store_b16 v[0:1], v14, off offset:192
	s_or_b32 exec_lo, exec_lo, s13
	s_and_saveexec_b32 s13, s17
	s_cbranch_execz .LBB62_209
.LBB62_226:                             ;   in Loop: Header=BB62_12 Depth=1
	s_waitcnt lgkmcnt(11)
	global_store_b16 v[0:1], v13, off offset:256
	s_or_b32 exec_lo, exec_lo, s13
	s_and_saveexec_b32 s13, s18
	s_cbranch_execz .LBB62_210
.LBB62_227:                             ;   in Loop: Header=BB62_12 Depth=1
	s_waitcnt lgkmcnt(10)
	global_store_b16 v[0:1], v12, off offset:320
	s_or_b32 exec_lo, exec_lo, s13
	s_and_saveexec_b32 s13, s19
	s_cbranch_execz .LBB62_211
.LBB62_228:                             ;   in Loop: Header=BB62_12 Depth=1
	s_waitcnt lgkmcnt(9)
	global_store_b16 v[0:1], v11, off offset:384
	s_or_b32 exec_lo, exec_lo, s13
	s_and_saveexec_b32 s13, s20
	s_cbranch_execz .LBB62_212
.LBB62_229:                             ;   in Loop: Header=BB62_12 Depth=1
	s_waitcnt lgkmcnt(8)
	global_store_b16 v[0:1], v10, off offset:448
	s_or_b32 exec_lo, exec_lo, s13
	s_and_saveexec_b32 s13, s21
	s_cbranch_execz .LBB62_213
.LBB62_230:                             ;   in Loop: Header=BB62_12 Depth=1
	s_waitcnt lgkmcnt(7)
	global_store_b16 v[0:1], v9, off offset:512
	s_or_b32 exec_lo, exec_lo, s13
	s_and_saveexec_b32 s13, s22
	s_cbranch_execz .LBB62_214
.LBB62_231:                             ;   in Loop: Header=BB62_12 Depth=1
	s_waitcnt lgkmcnt(6)
	global_store_b16 v[0:1], v8, off offset:576
	s_or_b32 exec_lo, exec_lo, s13
	s_and_saveexec_b32 s13, s23
	s_cbranch_execz .LBB62_215
.LBB62_232:                             ;   in Loop: Header=BB62_12 Depth=1
	s_waitcnt lgkmcnt(5)
	global_store_b16 v[0:1], v7, off offset:640
	s_or_b32 exec_lo, exec_lo, s13
	s_and_saveexec_b32 s13, s24
	s_cbranch_execz .LBB62_216
.LBB62_233:                             ;   in Loop: Header=BB62_12 Depth=1
	s_waitcnt lgkmcnt(4)
	global_store_b16 v[0:1], v6, off offset:704
	s_or_b32 exec_lo, exec_lo, s13
	s_and_saveexec_b32 s13, s25
	s_cbranch_execz .LBB62_217
.LBB62_234:                             ;   in Loop: Header=BB62_12 Depth=1
	s_waitcnt lgkmcnt(3)
	global_store_b16 v[0:1], v5, off offset:768
	s_or_b32 exec_lo, exec_lo, s13
	s_and_saveexec_b32 s13, s26
	s_cbranch_execz .LBB62_218
.LBB62_235:                             ;   in Loop: Header=BB62_12 Depth=1
	s_waitcnt lgkmcnt(2)
	global_store_b16 v[0:1], v4, off offset:832
	s_or_b32 exec_lo, exec_lo, s13
	s_and_saveexec_b32 s13, s27
	s_cbranch_execz .LBB62_219
.LBB62_236:                             ;   in Loop: Header=BB62_12 Depth=1
	s_waitcnt lgkmcnt(1)
	global_store_b16 v[0:1], v3, off offset:896
	s_or_b32 exec_lo, exec_lo, s13
	s_and_saveexec_b32 s13, s28
	s_cbranch_execz .LBB62_11
.LBB62_237:                             ;   in Loop: Header=BB62_12 Depth=1
	s_waitcnt lgkmcnt(0)
	global_store_b16 v[0:1], v2, off offset:960
	s_branch .LBB62_11
.LBB62_238:
	s_nop 0
	s_sendmsg sendmsg(MSG_DEALLOC_VGPRS)
	s_endpgm
	.section	.rodata,"a",@progbits
	.p2align	6, 0x0
	.amdhsa_kernel _Z25selective_scan_fwd_kernelI32Selective_Scan_fwd_kernel_traitsILi128ELi16ELi1ELb0ELb1ELb1ELb0ELb1EN3c108BFloat16EffEEv13SSMParamsBase
		.amdhsa_group_segment_fixed_size 0
		.amdhsa_private_segment_fixed_size 0
		.amdhsa_kernarg_size 248
		.amdhsa_user_sgpr_count 14
		.amdhsa_user_sgpr_dispatch_ptr 0
		.amdhsa_user_sgpr_queue_ptr 0
		.amdhsa_user_sgpr_kernarg_segment_ptr 1
		.amdhsa_user_sgpr_dispatch_id 0
		.amdhsa_user_sgpr_private_segment_size 0
		.amdhsa_wavefront_size32 1
		.amdhsa_uses_dynamic_stack 0
		.amdhsa_enable_private_segment 0
		.amdhsa_system_sgpr_workgroup_id_x 1
		.amdhsa_system_sgpr_workgroup_id_y 1
		.amdhsa_system_sgpr_workgroup_id_z 0
		.amdhsa_system_sgpr_workgroup_info 0
		.amdhsa_system_vgpr_workitem_id 0
		.amdhsa_next_free_vgpr 173
		.amdhsa_next_free_sgpr 92
		.amdhsa_reserve_vcc 1
		.amdhsa_float_round_mode_32 0
		.amdhsa_float_round_mode_16_64 0
		.amdhsa_float_denorm_mode_32 3
		.amdhsa_float_denorm_mode_16_64 3
		.amdhsa_dx10_clamp 1
		.amdhsa_ieee_mode 1
		.amdhsa_fp16_overflow 0
		.amdhsa_workgroup_processor_mode 1
		.amdhsa_memory_ordered 1
		.amdhsa_forward_progress 0
		.amdhsa_shared_vgpr_count 0
		.amdhsa_exception_fp_ieee_invalid_op 0
		.amdhsa_exception_fp_denorm_src 0
		.amdhsa_exception_fp_ieee_div_zero 0
		.amdhsa_exception_fp_ieee_overflow 0
		.amdhsa_exception_fp_ieee_underflow 0
		.amdhsa_exception_fp_ieee_inexact 0
		.amdhsa_exception_int_div_zero 0
	.end_amdhsa_kernel
	.section	.text._Z25selective_scan_fwd_kernelI32Selective_Scan_fwd_kernel_traitsILi128ELi16ELi1ELb0ELb1ELb1ELb0ELb1EN3c108BFloat16EffEEv13SSMParamsBase,"axG",@progbits,_Z25selective_scan_fwd_kernelI32Selective_Scan_fwd_kernel_traitsILi128ELi16ELi1ELb0ELb1ELb1ELb0ELb1EN3c108BFloat16EffEEv13SSMParamsBase,comdat
.Lfunc_end62:
	.size	_Z25selective_scan_fwd_kernelI32Selective_Scan_fwd_kernel_traitsILi128ELi16ELi1ELb0ELb1ELb1ELb0ELb1EN3c108BFloat16EffEEv13SSMParamsBase, .Lfunc_end62-_Z25selective_scan_fwd_kernelI32Selective_Scan_fwd_kernel_traitsILi128ELi16ELi1ELb0ELb1ELb1ELb0ELb1EN3c108BFloat16EffEEv13SSMParamsBase
                                        ; -- End function
	.section	.AMDGPU.csdata,"",@progbits
; Kernel info:
; codeLenInByte = 21508
; NumSgprs: 94
; NumVgprs: 173
; ScratchSize: 0
; MemoryBound: 0
; FloatMode: 240
; IeeeMode: 1
; LDSByteSize: 0 bytes/workgroup (compile time only)
; SGPRBlocks: 11
; VGPRBlocks: 21
; NumSGPRsForWavesPerEU: 94
; NumVGPRsForWavesPerEU: 173
; Occupancy: 8
; WaveLimiterHint : 1
; COMPUTE_PGM_RSRC2:SCRATCH_EN: 0
; COMPUTE_PGM_RSRC2:USER_SGPR: 14
; COMPUTE_PGM_RSRC2:TRAP_HANDLER: 0
; COMPUTE_PGM_RSRC2:TGID_X_EN: 1
; COMPUTE_PGM_RSRC2:TGID_Y_EN: 1
; COMPUTE_PGM_RSRC2:TGID_Z_EN: 0
; COMPUTE_PGM_RSRC2:TIDIG_COMP_CNT: 0
	.section	.text._Z25selective_scan_fwd_kernelI32Selective_Scan_fwd_kernel_traitsILi128ELi16ELi1ELb0ELb1ELb1ELb0ELb0EN3c108BFloat16EffEEv13SSMParamsBase,"axG",@progbits,_Z25selective_scan_fwd_kernelI32Selective_Scan_fwd_kernel_traitsILi128ELi16ELi1ELb0ELb1ELb1ELb0ELb0EN3c108BFloat16EffEEv13SSMParamsBase,comdat
	.protected	_Z25selective_scan_fwd_kernelI32Selective_Scan_fwd_kernel_traitsILi128ELi16ELi1ELb0ELb1ELb1ELb0ELb0EN3c108BFloat16EffEEv13SSMParamsBase ; -- Begin function _Z25selective_scan_fwd_kernelI32Selective_Scan_fwd_kernel_traitsILi128ELi16ELi1ELb0ELb1ELb1ELb0ELb0EN3c108BFloat16EffEEv13SSMParamsBase
	.globl	_Z25selective_scan_fwd_kernelI32Selective_Scan_fwd_kernel_traitsILi128ELi16ELi1ELb0ELb1ELb1ELb0ELb0EN3c108BFloat16EffEEv13SSMParamsBase
	.p2align	8
	.type	_Z25selective_scan_fwd_kernelI32Selective_Scan_fwd_kernel_traitsILi128ELi16ELi1ELb0ELb1ELb1ELb0ELb0EN3c108BFloat16EffEEv13SSMParamsBase,@function
_Z25selective_scan_fwd_kernelI32Selective_Scan_fwd_kernel_traitsILi128ELi16ELi1ELb0ELb1ELb1ELb0ELb0EN3c108BFloat16EffEEv13SSMParamsBase: ; @_Z25selective_scan_fwd_kernelI32Selective_Scan_fwd_kernel_traitsILi128ELi16ELi1ELb0ELb1ELb1ELb0ELb0EN3c108BFloat16EffEEv13SSMParamsBase
; %bb.0:
	s_clause 0x1
	s_load_b32 s9, s[0:1], 0x18
	s_load_b128 s[4:7], s[0:1], 0xe8
	s_mov_b32 s12, s15
	s_mov_b32 s68, 0
	s_waitcnt lgkmcnt(0)
	s_abs_i32 s8, s9
	s_cmp_eq_u64 s[6:7], 0
	v_cvt_f32_u32_e32 v1, s8
	s_delay_alu instid0(VALU_DEP_1) | instskip(SKIP_2) | instid1(VALU_DEP_1)
	v_rcp_iflag_f32_e32 v1, v1
	s_waitcnt_depctr 0xfff
	v_mul_f32_e32 v1, 0x4f7ffffe, v1
	v_cvt_u32_f32_e32 v1, v1
	s_delay_alu instid0(VALU_DEP_1)
	v_readfirstlane_b32 s10, v1
	s_cbranch_scc1 .LBB63_2
; %bb.1:
	v_mov_b32_e32 v1, 0
	s_ashr_i32 s3, s14, 31
	s_add_u32 s2, s6, s14
	s_addc_u32 s3, s7, s3
	global_load_u8 v1, v1, s[2:3]
	s_waitcnt vmcnt(0)
	v_and_b32_e32 v1, 1, v1
	s_delay_alu instid0(VALU_DEP_1)
	v_cmp_eq_u32_e64 s68, 1, v1
.LBB63_2:
	s_load_b64 s[6:7], s[0:1], 0x20
	s_cmp_eq_u64 s[4:5], 0
	s_cbranch_scc1 .LBB63_4
; %bb.3:
	s_ashr_i32 s15, s14, 31
	s_delay_alu instid0(SALU_CYCLE_1) | instskip(NEXT) | instid1(SALU_CYCLE_1)
	s_lshl_b64 s[2:3], s[14:15], 2
	s_add_u32 s2, s4, s2
	s_addc_u32 s3, s5, s3
	s_load_b32 s2, s[2:3], 0x0
	s_waitcnt lgkmcnt(0)
	s_ashr_i32 s3, s2, 31
	s_delay_alu instid0(SALU_CYCLE_1)
	s_cmp_eq_u64 s[6:7], s[2:3]
	s_cbranch_scc0 .LBB63_5
	s_branch .LBB63_238
.LBB63_4:
	s_mov_b32 s2, s14
	s_delay_alu instid0(SALU_CYCLE_1)
	s_ashr_i32 s3, s2, 31
	s_waitcnt lgkmcnt(0)
	s_cmp_eq_u64 s[6:7], s[2:3]
	s_cbranch_scc1 .LBB63_238
.LBB63_5:
	s_clause 0x1
	s_load_b512 s[16:31], s[0:1], 0x88
	s_load_b64 s[64:65], s[0:1], 0x8
	s_mov_b32 s69, 0
	s_mov_b32 s70, 0
	s_waitcnt lgkmcnt(0)
	s_cmp_eq_u64 s[22:23], 0
	s_cbranch_scc1 .LBB63_7
; %bb.6:
	s_ashr_i32 s13, s12, 31
	s_delay_alu instid0(SALU_CYCLE_1) | instskip(NEXT) | instid1(SALU_CYCLE_1)
	s_lshl_b64 s[4:5], s[12:13], 2
	s_add_u32 s4, s22, s4
	s_addc_u32 s5, s23, s5
	s_load_b32 s70, s[4:5], 0x0
.LBB63_7:
	s_cmp_eq_u64 s[28:29], 0
	s_cbranch_scc1 .LBB63_9
; %bb.8:
	s_ashr_i32 s13, s12, 31
	s_delay_alu instid0(SALU_CYCLE_1) | instskip(NEXT) | instid1(SALU_CYCLE_1)
	s_lshl_b64 s[4:5], s[12:13], 2
	s_add_u32 s4, s28, s4
	s_addc_u32 s5, s29, s5
	s_load_b32 s69, s[4:5], 0x0
.LBB63_9:
	s_cmp_lt_i32 s64, 1
	s_cbranch_scc1 .LBB63_238
; %bb.10:
	s_sub_i32 s3, 0, s8
	s_clause 0x1
	s_load_b64 s[4:5], s[0:1], 0x5c
	s_load_b128 s[56:59], s[0:1], 0x4c
	s_mul_i32 s3, s3, s10
	s_abs_i32 s6, s12
	s_mul_hi_u32 s3, s10, s3
	s_ashr_i32 s9, s9, 31
	s_add_i32 s10, s10, s3
	s_ashr_i32 s3, s12, 31
	s_mul_hi_u32 s7, s6, s10
	s_xor_b32 s3, s3, s9
	s_mul_i32 s10, s7, s8
	s_add_i32 s9, s7, 1
	s_sub_i32 s6, s6, s10
	s_load_b256 s[48:55], s[0:1], 0x2c
	s_sub_i32 s10, s6, s8
	s_cmp_ge_u32 s6, s8
	s_mov_b32 s67, 0
	s_cselect_b32 s7, s9, s7
	s_cselect_b32 s6, s10, s6
	s_add_i32 s9, s7, 1
	s_cmp_ge_u32 s6, s8
	s_waitcnt lgkmcnt(0)
	s_mul_i32 s66, s58, s14
	s_cselect_b32 s6, s9, s7
	s_load_b128 s[60:63], s[0:1], 0x7c
	s_xor_b32 s8, s6, s3
	s_lshl_b64 s[6:7], s[66:67], 1
	s_sub_i32 s3, s8, s3
	s_mul_i32 s66, s59, s12
	s_add_u32 s8, s24, s6
	s_addc_u32 s9, s25, s7
	s_lshl_b64 s[6:7], s[66:67], 1
	s_mul_i32 s66, s4, s14
	s_add_u32 s71, s8, s6
	s_addc_u32 s72, s9, s7
	s_lshl_b64 s[6:7], s[66:67], 1
	;; [unrolled: 4-line block ×3, first 2 shown]
	v_dual_mov_b32 v21, 0 :: v_dual_lshlrev_b32 v18, 4, v0
	s_add_u32 s73, s6, s4
	s_mul_i32 s66, s48, s12
	s_addc_u32 s48, s7, s5
	s_load_b64 s[6:7], s[0:1], 0xc8
	s_lshl_b64 s[4:5], s[66:67], 2
	v_mbcnt_lo_u32_b32 v19, -1, 0
	v_and_b32_e32 v1, 0x600, v18
	s_mul_i32 s66, s50, s14
	s_add_u32 s74, s16, s4
	s_waitcnt lgkmcnt(0)
	s_addc_u32 s63, s17, s5
	s_lshl_b64 s[4:5], s[66:67], 1
	s_mul_i32 s66, s3, s53
	s_clause 0x1
	s_load_b64 s[16:17], s[0:1], 0x6c
	s_load_b32 s0, s[0:1], 0x28
	s_add_u32 s8, s18, s4
	v_or_b32_e32 v20, v19, v1
	s_addc_u32 s9, s19, s5
	s_lshl_b64 s[4:5], s[66:67], 1
	s_mul_i32 s66, s54, s14
	s_add_u32 s53, s8, s4
	s_addc_u32 s75, s9, s5
	s_lshl_b64 s[4:5], s[66:67], 1
	s_mul_i32 s66, s3, s57
	v_or_b32_e32 v24, 0x60, v20
	v_and_b32_e32 v14, 0x60, v0
	s_add_u32 s8, s20, s4
	s_addc_u32 s3, s21, s5
	s_lshl_b64 s[4:5], s[66:67], 1
	s_mul_i32 s66, s2, s60
	s_add_u32 s57, s8, s4
	s_addc_u32 s76, s3, s5
	s_lshl_b64 s[2:3], s[66:67], 2
	v_or_b32_e32 v26, 0xa0, v20
	v_or_b32_e32 v28, 0xe0, v20
	;; [unrolled: 1-line block ×5, first 2 shown]
	v_lshrrev_b32_e32 v2, 5, v24
	v_or_b32_e32 v36, 0x1e0, v20
	v_or_b32_e32 v16, v19, v14
	s_mul_i32 s66, s61, s12
	s_add_u32 s4, s6, s2
	s_addc_u32 s5, s7, s3
	s_lshl_b64 s[2:3], s[66:67], 2
	v_or_b32_e32 v23, 64, v20
	s_add_u32 s77, s4, s2
	v_or_b32_e32 v25, 0x80, v20
	v_or_b32_e32 v27, 0xc0, v20
	;; [unrolled: 1-line block ×6, first 2 shown]
	v_and_b32_e32 v2, 50, v2
	v_lshrrev_b32_e32 v5, 5, v26
	v_lshrrev_b32_e32 v8, 5, v28
	;; [unrolled: 1-line block ×6, first 2 shown]
	v_lshrrev_b16 v50, 1, v16
	s_addc_u32 s78, s5, s3
	s_add_i32 s2, s64, 0x7ff
	v_lshrrev_b32_e32 v3, 5, v1
	s_lshr_b32 s79, s2, 11
	s_waitcnt lgkmcnt(0)
	s_bitcmp1_b32 s0, 0
	v_lshrrev_b32_e32 v4, 5, v23
	v_lshrrev_b32_e32 v6, 5, v25
	v_add_lshl_u32 v2, v2, v20, 1
	v_and_b32_e32 v5, 52, v5
	v_lshrrev_b32_e32 v7, 5, v27
	v_and_b32_e32 v8, 54, v8
	v_lshrrev_b32_e32 v10, 5, v29
	;; [unrolled: 2-line block ×5, first 2 shown]
	v_and_b32_e32 v51, 62, v49
	v_lshlrev_b32_e32 v16, 4, v16
	v_and_b32_e32 v52, 62, v50
	s_cselect_b32 s80, -1, 0
	s_cmp_gt_i32 s65, 0
	v_add_lshl_u32 v3, v3, v20, 1
	s_cselect_b32 s81, -1, 0
	s_add_i32 s0, 0, 0x1080
	v_add_lshl_u32 v4, v4, v20, 1
	v_add_lshl_u32 v6, v6, v20, 1
	v_add_nc_u32_e32 v39, 0, v2
	v_add_lshl_u32 v5, v5, v20, 1
	v_add_lshl_u32 v7, v7, v20, 1
	;; [unrolled: 1-line block ×12, first 2 shown]
	v_add_nc_u32_e32 v55, s0, v2
	v_and_b32_e32 v2, 15, v19
	s_and_b32 s1, s64, 0x7ff
	v_add_nc_u32_e32 v51, 0, v67
	v_add_nc_u32_e32 v53, s0, v3
	;; [unrolled: 1-line block ×15, first 2 shown]
	s_cmp_eq_u32 s1, 0
	v_add_nc_u32_e32 v68, s0, v16
	v_cmp_ne_u32_e64 s0, 0, v2
	v_cmp_lt_u32_e64 s1, 1, v2
	v_cmp_lt_u32_e64 s2, 3, v2
	;; [unrolled: 1-line block ×3, first 2 shown]
	v_add_nc_u32_e32 v2, -1, v19
	v_add_nc_u32_e32 v37, 0, v3
	v_lshrrev_b32_e32 v3, 2, v0
	v_add_nc_u32_e32 v41, 0, v5
	v_or_b32_e32 v5, 31, v14
	v_cmp_gt_i32_e32 vcc_lo, 0, v2
	s_mul_i32 s66, s16, s14
	v_and_b32_e32 v3, 24, v3
	s_cselect_b32 s82, -1, 0
	s_lshl_b64 s[14:15], s[66:67], 1
	v_cndmask_b32_e32 v2, v2, v19, vcc_lo
	s_add_i32 s83, s79, -1
	s_mul_i32 s66, s17, s12
	v_cmp_eq_u32_e64 s5, v5, v0
	v_cmp_gt_u32_e64 s6, 4, v0
	v_lshl_add_u32 v70, v0, 3, 0
	v_cmp_gt_u32_e64 s9, 32, v0
	v_cmp_lt_u32_e64 s10, 31, v0
	v_cmp_eq_u32_e64 s11, 0, v0
	s_add_u32 s14, s30, s14
	v_lshlrev_b32_e32 v0, 1, v19
	s_addc_u32 s15, s31, s15
	s_lshl_b64 s[12:13], s[66:67], 1
	v_add_nc_u32_e32 v69, 0, v3
	v_and_b32_e32 v3, 3, v19
	s_add_u32 s12, s14, s12
	v_lshlrev_b32_e32 v71, 2, v2
	s_addc_u32 s13, s15, s13
	v_lshlrev_b32_e32 v2, 1, v1
	v_add_co_u32 v0, s12, s12, v0
	v_add_nc_u32_e32 v38, 0, v4
	v_and_b32_e32 v4, 16, v19
	v_cmp_ne_u32_e64 s7, 0, v3
	v_cmp_lt_u32_e64 s8, 1, v3
	v_add_co_ci_u32_e64 v3, null, s13, 0, s12
	v_add_co_u32 v72, vcc_lo, v0, v2
	v_or_b32_e32 v22, 32, v20
	v_add_nc_u32_e32 v40, 0, v6
	v_add_nc_u32_e32 v42, 0, v7
	;; [unrolled: 1-line block ×11, first 2 shown]
	v_cmp_ne_u32_e64 s4, 0, v4
	v_cmp_eq_u32_e64 s12, 0, v19
	v_add_co_ci_u32_e32 v73, vcc_lo, 0, v3, vcc_lo
	v_or_b32_e32 v74, 1, v18
	v_or_b32_e32 v75, 2, v18
	;; [unrolled: 1-line block ×15, first 2 shown]
	v_lshlrev_b32_e32 v89, 1, v1
	s_mov_b32 s84, 0x3e9b6dac
	s_add_i32 s85, 0, 0x2120
	s_mov_b32 s86, 0
	s_branch .LBB63_12
.LBB63_11:                              ;   in Loop: Header=BB63_12 Depth=1
	s_or_b32 exec_lo, exec_lo, s13
	s_add_u32 s73, s73, 0x1000
	s_addc_u32 s48, s48, 0
	s_add_u32 s71, s71, 0x1000
	s_addc_u32 s72, s72, 0
	s_add_u32 s53, s53, 0x1000
	s_addc_u32 s75, s75, 0
	s_add_u32 s57, s57, 0x1000
	s_addc_u32 s76, s76, 0
	s_add_i32 s86, s86, 1
	s_delay_alu instid0(SALU_CYCLE_1)
	s_cmp_eq_u32 s86, s79
	s_cbranch_scc1 .LBB63_238
.LBB63_12:                              ; =>This Loop Header: Depth=1
                                        ;     Child Loop BB63_109 Depth 2
	s_waitcnt lgkmcnt(14)
	v_lshlrev_b32_e32 v16, 1, v19
	s_lshl_b32 s50, s86, 11
	s_waitcnt lgkmcnt(0)
	v_mov_b32_e32 v2, 0
	s_sub_i32 s41, s64, s50
	v_add_co_u32 v0, s13, s71, v16
	s_delay_alu instid0(VALU_DEP_1) | instskip(SKIP_1) | instid1(VALU_DEP_3)
	v_add_co_ci_u32_e64 v1, null, s72, 0, s13
	v_cmp_gt_u32_e64 s13, s41, v20
	v_add_co_u32 v0, vcc_lo, v0, v89
	s_delay_alu instid0(VALU_DEP_3)
	v_add_co_ci_u32_e32 v1, vcc_lo, 0, v1, vcc_lo
	s_waitcnt_vscnt null, 0x0
	s_barrier
	buffer_gl0_inv
	s_and_saveexec_b32 s14, s13
	s_cbranch_execz .LBB63_14
; %bb.13:                               ;   in Loop: Header=BB63_12 Depth=1
	global_load_u16 v2, v[0:1], off
.LBB63_14:                              ;   in Loop: Header=BB63_12 Depth=1
	s_or_b32 exec_lo, exec_lo, s14
	v_cmp_gt_u32_e64 s14, s41, v22
	v_dual_mov_b32 v3, 0 :: v_dual_mov_b32 v4, 0
	s_delay_alu instid0(VALU_DEP_2)
	s_and_saveexec_b32 s15, s14
	s_cbranch_execz .LBB63_16
; %bb.15:                               ;   in Loop: Header=BB63_12 Depth=1
	global_load_u16 v4, v[0:1], off offset:64
.LBB63_16:                              ;   in Loop: Header=BB63_12 Depth=1
	s_or_b32 exec_lo, exec_lo, s15
	v_cmp_gt_u32_e64 s15, s41, v23
	s_delay_alu instid0(VALU_DEP_1)
	s_and_saveexec_b32 s16, s15
	s_cbranch_execz .LBB63_18
; %bb.17:                               ;   in Loop: Header=BB63_12 Depth=1
	global_load_u16 v3, v[0:1], off offset:128
.LBB63_18:                              ;   in Loop: Header=BB63_12 Depth=1
	s_or_b32 exec_lo, exec_lo, s16
	v_cmp_gt_u32_e64 s16, s41, v24
	v_dual_mov_b32 v5, 0 :: v_dual_mov_b32 v6, 0
	s_delay_alu instid0(VALU_DEP_2)
	s_and_saveexec_b32 s17, s16
	s_cbranch_execz .LBB63_20
; %bb.19:                               ;   in Loop: Header=BB63_12 Depth=1
	global_load_u16 v6, v[0:1], off offset:192
.LBB63_20:                              ;   in Loop: Header=BB63_12 Depth=1
	s_or_b32 exec_lo, exec_lo, s17
	v_cmp_gt_u32_e64 s17, s41, v25
	s_delay_alu instid0(VALU_DEP_1)
	s_and_saveexec_b32 s18, s17
	s_cbranch_execz .LBB63_22
; %bb.21:                               ;   in Loop: Header=BB63_12 Depth=1
	global_load_u16 v5, v[0:1], off offset:256
.LBB63_22:                              ;   in Loop: Header=BB63_12 Depth=1
	s_or_b32 exec_lo, exec_lo, s18
	v_cmp_gt_u32_e64 s18, s41, v26
	v_dual_mov_b32 v7, 0 :: v_dual_mov_b32 v8, 0
	s_delay_alu instid0(VALU_DEP_2)
	s_and_saveexec_b32 s19, s18
	s_cbranch_execz .LBB63_24
; %bb.23:                               ;   in Loop: Header=BB63_12 Depth=1
	global_load_u16 v8, v[0:1], off offset:320
.LBB63_24:                              ;   in Loop: Header=BB63_12 Depth=1
	s_or_b32 exec_lo, exec_lo, s19
	v_cmp_gt_u32_e64 s19, s41, v27
	s_delay_alu instid0(VALU_DEP_1)
	s_and_saveexec_b32 s20, s19
	s_cbranch_execz .LBB63_26
; %bb.25:                               ;   in Loop: Header=BB63_12 Depth=1
	global_load_u16 v7, v[0:1], off offset:384
.LBB63_26:                              ;   in Loop: Header=BB63_12 Depth=1
	s_or_b32 exec_lo, exec_lo, s20
	v_cmp_gt_u32_e64 s20, s41, v28
	v_mov_b32_e32 v9, 0
	v_mov_b32_e32 v11, 0
	s_delay_alu instid0(VALU_DEP_3)
	s_and_saveexec_b32 s21, s20
	s_cbranch_execz .LBB63_28
; %bb.27:                               ;   in Loop: Header=BB63_12 Depth=1
	global_load_u16 v11, v[0:1], off offset:448
.LBB63_28:                              ;   in Loop: Header=BB63_12 Depth=1
	s_or_b32 exec_lo, exec_lo, s21
	v_cmp_gt_u32_e64 s21, s41, v29
	s_delay_alu instid0(VALU_DEP_1)
	s_and_saveexec_b32 s22, s21
	s_cbranch_execz .LBB63_30
; %bb.29:                               ;   in Loop: Header=BB63_12 Depth=1
	global_load_u16 v9, v[0:1], off offset:512
.LBB63_30:                              ;   in Loop: Header=BB63_12 Depth=1
	s_or_b32 exec_lo, exec_lo, s22
	v_cmp_gt_u32_e64 s22, s41, v30
	v_dual_mov_b32 v12, 0 :: v_dual_mov_b32 v13, 0
	s_delay_alu instid0(VALU_DEP_2)
	s_and_saveexec_b32 s23, s22
	s_cbranch_execz .LBB63_32
; %bb.31:                               ;   in Loop: Header=BB63_12 Depth=1
	global_load_u16 v13, v[0:1], off offset:576
.LBB63_32:                              ;   in Loop: Header=BB63_12 Depth=1
	s_or_b32 exec_lo, exec_lo, s23
	v_cmp_gt_u32_e64 s23, s41, v31
	s_delay_alu instid0(VALU_DEP_1)
	s_and_saveexec_b32 s24, s23
	s_cbranch_execz .LBB63_34
; %bb.33:                               ;   in Loop: Header=BB63_12 Depth=1
	global_load_u16 v12, v[0:1], off offset:640
.LBB63_34:                              ;   in Loop: Header=BB63_12 Depth=1
	s_or_b32 exec_lo, exec_lo, s24
	v_cmp_gt_u32_e64 s24, s41, v32
	v_dual_mov_b32 v14, 0 :: v_dual_mov_b32 v15, 0
	s_delay_alu instid0(VALU_DEP_2)
	;; [unrolled: 17-line block ×4, first 2 shown]
	s_and_saveexec_b32 s29, s28
	s_cbranch_execz .LBB63_44
; %bb.43:                               ;   in Loop: Header=BB63_12 Depth=1
	global_load_u16 v91, v[0:1], off offset:960
.LBB63_44:                              ;   in Loop: Header=BB63_12 Depth=1
	s_or_b32 exec_lo, exec_lo, s29
	s_waitcnt vmcnt(0)
	ds_store_b16 v37, v2
	ds_store_b16 v37, v4 offset:64
	ds_store_b16 v38, v3 offset:128
	ds_store_b16 v39, v6 offset:192
	ds_store_b16 v40, v5 offset:256
	ds_store_b16 v41, v8 offset:320
	ds_store_b16 v42, v7 offset:384
	ds_store_b16 v43, v11 offset:448
	ds_store_b16 v44, v9 offset:512
	ds_store_b16 v45, v13 offset:576
	ds_store_b16 v46, v12 offset:640
	ds_store_b16 v47, v15 offset:704
	ds_store_b16 v48, v14 offset:768
	ds_store_b16 v49, v90 offset:832
	ds_store_b16 v50, v17 offset:896
	ds_store_b16 v51, v91 offset:960
	; wave barrier
	ds_load_b128 v[0:3], v52
	ds_load_b128 v[4:7], v52 offset:16
	v_add_co_u32 v8, s29, s73, v16
	s_delay_alu instid0(VALU_DEP_1) | instskip(SKIP_1) | instid1(VALU_DEP_2)
	v_add_co_ci_u32_e64 v9, null, s48, 0, s29
	s_waitcnt lgkmcnt(0)
	v_add_co_u32 v8, vcc_lo, v8, v89
	s_delay_alu instid0(VALU_DEP_2)
	v_add_co_ci_u32_e32 v9, vcc_lo, 0, v9, vcc_lo
	s_barrier
	buffer_gl0_inv
	s_and_saveexec_b32 s29, s13
	s_cbranch_execz .LBB63_46
; %bb.45:                               ;   in Loop: Header=BB63_12 Depth=1
	global_load_u16 v10, v[8:9], off
.LBB63_46:                              ;   in Loop: Header=BB63_12 Depth=1
	s_or_b32 exec_lo, exec_lo, s29
	v_dual_mov_b32 v11, 0 :: v_dual_mov_b32 v12, 0
	s_and_saveexec_b32 s29, s14
	s_cbranch_execz .LBB63_48
; %bb.47:                               ;   in Loop: Header=BB63_12 Depth=1
	global_load_u16 v12, v[8:9], off offset:64
.LBB63_48:                              ;   in Loop: Header=BB63_12 Depth=1
	s_or_b32 exec_lo, exec_lo, s29
	s_and_saveexec_b32 s29, s15
	s_cbranch_execz .LBB63_50
; %bb.49:                               ;   in Loop: Header=BB63_12 Depth=1
	global_load_u16 v11, v[8:9], off offset:128
.LBB63_50:                              ;   in Loop: Header=BB63_12 Depth=1
	s_or_b32 exec_lo, exec_lo, s29
	v_dual_mov_b32 v13, 0 :: v_dual_mov_b32 v14, 0
	s_and_saveexec_b32 s29, s16
	s_cbranch_execz .LBB63_52
; %bb.51:                               ;   in Loop: Header=BB63_12 Depth=1
	global_load_u16 v14, v[8:9], off offset:192
.LBB63_52:                              ;   in Loop: Header=BB63_12 Depth=1
	s_or_b32 exec_lo, exec_lo, s29
	s_and_saveexec_b32 s29, s17
	s_cbranch_execz .LBB63_54
; %bb.53:                               ;   in Loop: Header=BB63_12 Depth=1
	global_load_u16 v13, v[8:9], off offset:256
.LBB63_54:                              ;   in Loop: Header=BB63_12 Depth=1
	s_or_b32 exec_lo, exec_lo, s29
	v_mov_b32_e32 v15, 0
	v_mov_b32_e32 v17, 0
	s_and_saveexec_b32 s29, s18
	s_cbranch_execz .LBB63_56
; %bb.55:                               ;   in Loop: Header=BB63_12 Depth=1
	global_load_u16 v17, v[8:9], off offset:320
.LBB63_56:                              ;   in Loop: Header=BB63_12 Depth=1
	s_or_b32 exec_lo, exec_lo, s29
	s_and_saveexec_b32 s29, s19
	s_cbranch_execz .LBB63_58
; %bb.57:                               ;   in Loop: Header=BB63_12 Depth=1
	global_load_u16 v15, v[8:9], off offset:384
.LBB63_58:                              ;   in Loop: Header=BB63_12 Depth=1
	s_or_b32 exec_lo, exec_lo, s29
	v_dual_mov_b32 v90, 0 :: v_dual_mov_b32 v91, 0
	s_and_saveexec_b32 s29, s20
	s_cbranch_execz .LBB63_60
; %bb.59:                               ;   in Loop: Header=BB63_12 Depth=1
	global_load_u16 v91, v[8:9], off offset:448
.LBB63_60:                              ;   in Loop: Header=BB63_12 Depth=1
	s_or_b32 exec_lo, exec_lo, s29
	s_and_saveexec_b32 s29, s21
	s_cbranch_execz .LBB63_62
; %bb.61:                               ;   in Loop: Header=BB63_12 Depth=1
	global_load_u16 v90, v[8:9], off offset:512
.LBB63_62:                              ;   in Loop: Header=BB63_12 Depth=1
	s_or_b32 exec_lo, exec_lo, s29
	v_dual_mov_b32 v92, 0 :: v_dual_mov_b32 v93, 0
	;; [unrolled: 13-line block ×4, first 2 shown]
	s_and_saveexec_b32 s29, s26
	s_cbranch_execnz .LBB63_220
; %bb.71:                               ;   in Loop: Header=BB63_12 Depth=1
	s_or_b32 exec_lo, exec_lo, s29
	s_and_saveexec_b32 s29, s27
	s_cbranch_execnz .LBB63_221
.LBB63_72:                              ;   in Loop: Header=BB63_12 Depth=1
	s_or_b32 exec_lo, exec_lo, s29
	v_mov_b32_e32 v98, 0
	s_and_saveexec_b32 s29, s28
	s_cbranch_execz .LBB63_74
.LBB63_73:                              ;   in Loop: Header=BB63_12 Depth=1
	global_load_u16 v98, v[8:9], off offset:960
.LBB63_74:                              ;   in Loop: Header=BB63_12 Depth=1
	s_or_b32 exec_lo, exec_lo, s29
	s_waitcnt vmcnt(0)
	ds_store_b16 v37, v10
	ds_store_b16 v37, v12 offset:64
	ds_store_b16 v38, v11 offset:128
	;; [unrolled: 1-line block ×15, first 2 shown]
	; wave barrier
	ds_load_b128 v[12:15], v52
	ds_load_b128 v[8:11], v52 offset:16
	s_waitcnt lgkmcnt(1)
	v_lshlrev_b32_e32 v17, 16, v12
	s_delay_alu instid0(VALU_DEP_1) | instskip(NEXT) | instid1(VALU_DEP_1)
	v_add_f32_e32 v90, s69, v17
	v_cmp_ge_f32_e32 vcc_lo, 0x41a00000, v90
	s_and_b32 s29, s80, vcc_lo
	s_delay_alu instid0(SALU_CYCLE_1)
	s_and_saveexec_b32 s30, s29
	s_cbranch_execz .LBB63_76
; %bb.75:                               ;   in Loop: Header=BB63_12 Depth=1
	v_mul_f32_e32 v17, 0x3fb8aa3b, v90
	v_cmp_ngt_f32_e32 vcc_lo, 0xc2ce8ed0, v90
	s_delay_alu instid0(VALU_DEP_2) | instskip(SKIP_1) | instid1(VALU_DEP_1)
	v_rndne_f32_e32 v91, v17
	v_fma_f32 v92, 0x3fb8aa3b, v90, -v17
	v_dual_sub_f32 v17, v17, v91 :: v_dual_fmac_f32 v92, 0x32a5705f, v90
	v_cvt_i32_f32_e32 v91, v91
	s_delay_alu instid0(VALU_DEP_2) | instskip(NEXT) | instid1(VALU_DEP_1)
	v_add_f32_e32 v17, v17, v92
	v_exp_f32_e32 v17, v17
	s_waitcnt_depctr 0xfff
	v_ldexp_f32 v17, v17, v91
	s_delay_alu instid0(VALU_DEP_1) | instskip(SKIP_1) | instid1(VALU_DEP_2)
	v_cndmask_b32_e32 v17, 0, v17, vcc_lo
	v_cmp_nlt_f32_e32 vcc_lo, 0x42b17218, v90
	v_cndmask_b32_e32 v17, 0x7f800000, v17, vcc_lo
	s_delay_alu instid0(VALU_DEP_1) | instskip(NEXT) | instid1(VALU_DEP_1)
	v_add_f32_e32 v92, 1.0, v17
	v_cvt_f64_f32_e32 v[90:91], v92
	s_delay_alu instid0(VALU_DEP_1) | instskip(SKIP_1) | instid1(VALU_DEP_1)
	v_frexp_exp_i32_f64_e32 v90, v[90:91]
	v_frexp_mant_f32_e32 v91, v92
	v_cmp_gt_f32_e32 vcc_lo, 0x3f2aaaab, v91
	v_add_f32_e32 v91, -1.0, v92
	s_delay_alu instid0(VALU_DEP_1) | instskip(NEXT) | instid1(VALU_DEP_1)
	v_dual_sub_f32 v94, v91, v92 :: v_dual_sub_f32 v91, v17, v91
	v_add_f32_e32 v94, 1.0, v94
	v_subrev_co_ci_u32_e32 v90, vcc_lo, 0, v90, vcc_lo
	s_delay_alu instid0(VALU_DEP_1) | instskip(SKIP_1) | instid1(VALU_DEP_2)
	v_sub_nc_u32_e32 v93, 0, v90
	v_cvt_f32_i32_e32 v90, v90
	v_ldexp_f32 v92, v92, v93
	v_add_f32_e32 v91, v91, v94
	s_delay_alu instid0(VALU_DEP_1) | instskip(NEXT) | instid1(VALU_DEP_3)
	v_ldexp_f32 v91, v91, v93
	v_add_f32_e32 v95, 1.0, v92
	s_delay_alu instid0(VALU_DEP_1) | instskip(NEXT) | instid1(VALU_DEP_1)
	v_add_f32_e32 v94, -1.0, v95
	v_sub_f32_e32 v94, v92, v94
	v_cmp_eq_f32_e32 vcc_lo, 0x7f800000, v17
	v_cmp_gt_f32_e64 s29, 0x33800000, v17
	s_delay_alu instid0(VALU_DEP_3) | instskip(NEXT) | instid1(VALU_DEP_2)
	v_dual_add_f32 v94, v91, v94 :: v_dual_add_f32 v93, -1.0, v92
	s_or_b32 vcc_lo, s29, vcc_lo
	s_delay_alu instid0(VALU_DEP_1) | instskip(NEXT) | instid1(VALU_DEP_1)
	v_add_f32_e32 v96, 1.0, v93
	v_sub_f32_e32 v92, v92, v96
	s_delay_alu instid0(VALU_DEP_3) | instskip(NEXT) | instid1(VALU_DEP_1)
	v_add_f32_e32 v96, v95, v94
	v_sub_f32_e32 v95, v95, v96
	s_delay_alu instid0(VALU_DEP_3) | instskip(SKIP_1) | instid1(VALU_DEP_2)
	v_add_f32_e32 v91, v91, v92
	v_rcp_f32_e32 v92, v96
	v_add_f32_e32 v94, v94, v95
	s_delay_alu instid0(VALU_DEP_2) | instskip(NEXT) | instid1(VALU_DEP_1)
	v_add_f32_e32 v97, v93, v91
	v_sub_f32_e32 v93, v93, v97
	s_waitcnt_depctr 0xfff
	v_dual_mul_f32 v98, v97, v92 :: v_dual_add_f32 v91, v91, v93
	s_delay_alu instid0(VALU_DEP_1) | instskip(NEXT) | instid1(VALU_DEP_1)
	v_mul_f32_e32 v99, v96, v98
	v_fma_f32 v95, v98, v96, -v99
	s_delay_alu instid0(VALU_DEP_1) | instskip(NEXT) | instid1(VALU_DEP_1)
	v_fmac_f32_e32 v95, v98, v94
	v_add_f32_e32 v100, v99, v95
	s_delay_alu instid0(VALU_DEP_1) | instskip(NEXT) | instid1(VALU_DEP_1)
	v_sub_f32_e32 v101, v97, v100
	v_sub_f32_e32 v97, v97, v101
	;; [unrolled: 1-line block ×3, first 2 shown]
	s_delay_alu instid0(VALU_DEP_2) | instskip(NEXT) | instid1(VALU_DEP_2)
	v_sub_f32_e32 v97, v97, v100
	v_sub_f32_e32 v93, v93, v95
	s_delay_alu instid0(VALU_DEP_2) | instskip(NEXT) | instid1(VALU_DEP_1)
	v_add_f32_e32 v91, v91, v97
	v_add_f32_e32 v91, v93, v91
	s_delay_alu instid0(VALU_DEP_1) | instskip(NEXT) | instid1(VALU_DEP_1)
	v_add_f32_e32 v93, v101, v91
	v_mul_f32_e32 v95, v92, v93
	s_delay_alu instid0(VALU_DEP_1) | instskip(NEXT) | instid1(VALU_DEP_1)
	v_dual_sub_f32 v100, v101, v93 :: v_dual_mul_f32 v97, v96, v95
	v_add_f32_e32 v91, v91, v100
	s_delay_alu instid0(VALU_DEP_2) | instskip(NEXT) | instid1(VALU_DEP_1)
	v_fma_f32 v96, v95, v96, -v97
	v_fmac_f32_e32 v96, v95, v94
	s_delay_alu instid0(VALU_DEP_1) | instskip(NEXT) | instid1(VALU_DEP_1)
	v_add_f32_e32 v94, v97, v96
	v_sub_f32_e32 v99, v93, v94
	v_sub_f32_e32 v97, v94, v97
	s_delay_alu instid0(VALU_DEP_2) | instskip(NEXT) | instid1(VALU_DEP_1)
	v_sub_f32_e32 v93, v93, v99
	v_sub_f32_e32 v93, v93, v94
	s_delay_alu instid0(VALU_DEP_1) | instskip(SKIP_1) | instid1(VALU_DEP_1)
	v_dual_sub_f32 v94, v97, v96 :: v_dual_add_f32 v91, v91, v93
	v_add_f32_e32 v93, v98, v95
	v_dual_add_f32 v91, v94, v91 :: v_dual_sub_f32 v94, v93, v98
	s_delay_alu instid0(VALU_DEP_1) | instskip(NEXT) | instid1(VALU_DEP_1)
	v_add_f32_e32 v91, v99, v91
	v_dual_sub_f32 v94, v95, v94 :: v_dual_mul_f32 v91, v92, v91
	s_delay_alu instid0(VALU_DEP_1) | instskip(NEXT) | instid1(VALU_DEP_1)
	v_add_f32_e32 v91, v94, v91
	v_add_f32_e32 v92, v93, v91
	s_delay_alu instid0(VALU_DEP_1) | instskip(NEXT) | instid1(VALU_DEP_1)
	v_mul_f32_e32 v94, v92, v92
	v_fmaak_f32 v95, s84, v94, 0x3ecc95a3
	v_mul_f32_e32 v96, v92, v94
	s_delay_alu instid0(VALU_DEP_2) | instskip(SKIP_2) | instid1(VALU_DEP_3)
	v_fmaak_f32 v94, v94, v95, 0x3f2aaada
	v_ldexp_f32 v95, v92, 1
	v_sub_f32_e32 v92, v92, v93
	v_mul_f32_e32 v94, v96, v94
	s_delay_alu instid0(VALU_DEP_2) | instskip(NEXT) | instid1(VALU_DEP_2)
	v_dual_mul_f32 v96, 0x3f317218, v90 :: v_dual_sub_f32 v91, v91, v92
	v_add_f32_e32 v93, v95, v94
	s_delay_alu instid0(VALU_DEP_2) | instskip(NEXT) | instid1(VALU_DEP_2)
	v_ldexp_f32 v91, v91, 1
	v_sub_f32_e32 v92, v93, v95
	s_delay_alu instid0(VALU_DEP_4) | instskip(NEXT) | instid1(VALU_DEP_1)
	v_fma_f32 v95, 0x3f317218, v90, -v96
	v_dual_sub_f32 v92, v94, v92 :: v_dual_fmac_f32 v95, 0xb102e308, v90
	s_delay_alu instid0(VALU_DEP_1) | instskip(NEXT) | instid1(VALU_DEP_1)
	v_dual_add_f32 v90, v91, v92 :: v_dual_add_f32 v91, v96, v95
	v_add_f32_e32 v92, v93, v90
	s_delay_alu instid0(VALU_DEP_2) | instskip(NEXT) | instid1(VALU_DEP_2)
	v_sub_f32_e32 v96, v91, v96
	v_dual_add_f32 v94, v91, v92 :: v_dual_sub_f32 v93, v92, v93
	s_delay_alu instid0(VALU_DEP_2) | instskip(NEXT) | instid1(VALU_DEP_2)
	v_sub_f32_e32 v95, v95, v96
	v_sub_f32_e32 v97, v94, v91
	s_delay_alu instid0(VALU_DEP_3) | instskip(NEXT) | instid1(VALU_DEP_2)
	v_sub_f32_e32 v90, v90, v93
	v_sub_f32_e32 v98, v94, v97
	s_delay_alu instid0(VALU_DEP_2) | instskip(NEXT) | instid1(VALU_DEP_2)
	v_dual_sub_f32 v92, v92, v97 :: v_dual_add_f32 v93, v95, v90
	v_sub_f32_e32 v91, v91, v98
	s_delay_alu instid0(VALU_DEP_1) | instskip(NEXT) | instid1(VALU_DEP_3)
	v_add_f32_e32 v91, v92, v91
	v_sub_f32_e32 v92, v93, v95
	s_delay_alu instid0(VALU_DEP_2) | instskip(NEXT) | instid1(VALU_DEP_2)
	v_add_f32_e32 v91, v93, v91
	v_sub_f32_e32 v93, v93, v92
	v_sub_f32_e32 v90, v90, v92
	s_delay_alu instid0(VALU_DEP_2) | instskip(NEXT) | instid1(VALU_DEP_1)
	v_dual_add_f32 v96, v94, v91 :: v_dual_sub_f32 v93, v95, v93
	v_sub_f32_e32 v92, v96, v94
	s_delay_alu instid0(VALU_DEP_1) | instskip(NEXT) | instid1(VALU_DEP_1)
	v_dual_add_f32 v90, v90, v93 :: v_dual_sub_f32 v91, v91, v92
	v_add_f32_e32 v90, v90, v91
	s_delay_alu instid0(VALU_DEP_1) | instskip(NEXT) | instid1(VALU_DEP_1)
	v_add_f32_e32 v90, v96, v90
	v_cndmask_b32_e32 v90, v90, v17, vcc_lo
.LBB63_76:                              ;   in Loop: Header=BB63_12 Depth=1
	s_or_b32 exec_lo, exec_lo, s30
	v_and_b32_e32 v12, 0xffff0000, v12
	s_delay_alu instid0(VALU_DEP_1) | instskip(NEXT) | instid1(VALU_DEP_1)
	v_add_f32_e32 v91, s69, v12
	v_cmp_ge_f32_e32 vcc_lo, 0x41a00000, v91
	s_and_b32 s29, s80, vcc_lo
	s_delay_alu instid0(SALU_CYCLE_1)
	s_and_saveexec_b32 s30, s29
	s_cbranch_execz .LBB63_78
; %bb.77:                               ;   in Loop: Header=BB63_12 Depth=1
	v_mul_f32_e32 v12, 0x3fb8aa3b, v91
	v_cmp_ngt_f32_e32 vcc_lo, 0xc2ce8ed0, v91
	s_delay_alu instid0(VALU_DEP_2) | instskip(SKIP_1) | instid1(VALU_DEP_2)
	v_rndne_f32_e32 v17, v12
	v_fma_f32 v92, 0x3fb8aa3b, v91, -v12
	v_sub_f32_e32 v12, v12, v17
	s_delay_alu instid0(VALU_DEP_2) | instskip(SKIP_1) | instid1(VALU_DEP_2)
	v_fmac_f32_e32 v92, 0x32a5705f, v91
	v_cvt_i32_f32_e32 v17, v17
	v_add_f32_e32 v12, v12, v92
	s_delay_alu instid0(VALU_DEP_1) | instskip(SKIP_2) | instid1(VALU_DEP_1)
	v_exp_f32_e32 v12, v12
	s_waitcnt_depctr 0xfff
	v_ldexp_f32 v12, v12, v17
	v_cndmask_b32_e32 v12, 0, v12, vcc_lo
	v_cmp_nlt_f32_e32 vcc_lo, 0x42b17218, v91
	s_delay_alu instid0(VALU_DEP_2) | instskip(NEXT) | instid1(VALU_DEP_1)
	v_cndmask_b32_e32 v12, 0x7f800000, v12, vcc_lo
	v_add_f32_e32 v17, 1.0, v12
	s_delay_alu instid0(VALU_DEP_1) | instskip(NEXT) | instid1(VALU_DEP_1)
	v_cvt_f64_f32_e32 v[91:92], v17
	v_frexp_exp_i32_f64_e32 v91, v[91:92]
	v_frexp_mant_f32_e32 v92, v17
	s_delay_alu instid0(VALU_DEP_1) | instskip(SKIP_1) | instid1(VALU_DEP_1)
	v_cmp_gt_f32_e32 vcc_lo, 0x3f2aaaab, v92
	v_add_f32_e32 v92, -1.0, v17
	v_sub_f32_e32 v94, v92, v17
	v_sub_f32_e32 v92, v12, v92
	s_delay_alu instid0(VALU_DEP_2) | instskip(NEXT) | instid1(VALU_DEP_1)
	v_add_f32_e32 v94, 1.0, v94
	v_add_f32_e32 v92, v92, v94
	v_subrev_co_ci_u32_e32 v91, vcc_lo, 0, v91, vcc_lo
	s_delay_alu instid0(VALU_DEP_1) | instskip(SKIP_1) | instid1(VALU_DEP_2)
	v_sub_nc_u32_e32 v93, 0, v91
	v_cvt_f32_i32_e32 v91, v91
	v_ldexp_f32 v17, v17, v93
	v_ldexp_f32 v92, v92, v93
	s_delay_alu instid0(VALU_DEP_2) | instskip(NEXT) | instid1(VALU_DEP_1)
	v_add_f32_e32 v95, 1.0, v17
	v_dual_add_f32 v93, -1.0, v17 :: v_dual_add_f32 v94, -1.0, v95
	s_delay_alu instid0(VALU_DEP_1) | instskip(NEXT) | instid1(VALU_DEP_2)
	v_add_f32_e32 v96, 1.0, v93
	v_sub_f32_e32 v94, v17, v94
	s_delay_alu instid0(VALU_DEP_2) | instskip(NEXT) | instid1(VALU_DEP_1)
	v_sub_f32_e32 v17, v17, v96
	v_add_f32_e32 v17, v92, v17
	s_delay_alu instid0(VALU_DEP_1) | instskip(SKIP_2) | instid1(VALU_DEP_3)
	v_add_f32_e32 v97, v93, v17
	v_cmp_eq_f32_e32 vcc_lo, 0x7f800000, v12
	v_cmp_gt_f32_e64 s29, 0x33800000, v12
	v_dual_sub_f32 v93, v93, v97 :: v_dual_add_f32 v94, v92, v94
	s_delay_alu instid0(VALU_DEP_2) | instskip(NEXT) | instid1(VALU_DEP_1)
	s_or_b32 vcc_lo, s29, vcc_lo
	v_dual_add_f32 v17, v17, v93 :: v_dual_add_f32 v96, v95, v94
	s_delay_alu instid0(VALU_DEP_1) | instskip(SKIP_1) | instid1(VALU_DEP_1)
	v_rcp_f32_e32 v92, v96
	v_sub_f32_e32 v95, v95, v96
	v_add_f32_e32 v94, v94, v95
	s_waitcnt_depctr 0xfff
	v_mul_f32_e32 v98, v97, v92
	s_delay_alu instid0(VALU_DEP_1) | instskip(NEXT) | instid1(VALU_DEP_1)
	v_mul_f32_e32 v99, v96, v98
	v_fma_f32 v95, v98, v96, -v99
	s_delay_alu instid0(VALU_DEP_1) | instskip(NEXT) | instid1(VALU_DEP_1)
	v_fmac_f32_e32 v95, v98, v94
	v_add_f32_e32 v100, v99, v95
	s_delay_alu instid0(VALU_DEP_1) | instskip(SKIP_1) | instid1(VALU_DEP_2)
	v_sub_f32_e32 v101, v97, v100
	v_sub_f32_e32 v93, v100, v99
	v_sub_f32_e32 v97, v97, v101
	s_delay_alu instid0(VALU_DEP_2) | instskip(NEXT) | instid1(VALU_DEP_2)
	v_sub_f32_e32 v93, v93, v95
	v_sub_f32_e32 v97, v97, v100
	s_delay_alu instid0(VALU_DEP_1) | instskip(NEXT) | instid1(VALU_DEP_1)
	v_add_f32_e32 v17, v17, v97
	v_add_f32_e32 v17, v93, v17
	s_delay_alu instid0(VALU_DEP_1) | instskip(NEXT) | instid1(VALU_DEP_1)
	v_add_f32_e32 v93, v101, v17
	v_mul_f32_e32 v95, v92, v93
	s_delay_alu instid0(VALU_DEP_1) | instskip(NEXT) | instid1(VALU_DEP_1)
	v_mul_f32_e32 v97, v96, v95
	v_fma_f32 v96, v95, v96, -v97
	s_delay_alu instid0(VALU_DEP_1) | instskip(SKIP_1) | instid1(VALU_DEP_2)
	v_fmac_f32_e32 v96, v95, v94
	v_sub_f32_e32 v100, v101, v93
	v_add_f32_e32 v94, v97, v96
	s_delay_alu instid0(VALU_DEP_2) | instskip(NEXT) | instid1(VALU_DEP_2)
	v_add_f32_e32 v17, v17, v100
	v_sub_f32_e32 v99, v93, v94
	s_delay_alu instid0(VALU_DEP_1) | instskip(NEXT) | instid1(VALU_DEP_1)
	v_sub_f32_e32 v93, v93, v99
	v_sub_f32_e32 v93, v93, v94
	s_delay_alu instid0(VALU_DEP_1) | instskip(SKIP_2) | instid1(VALU_DEP_1)
	v_add_f32_e32 v17, v17, v93
	v_add_f32_e32 v93, v98, v95
	v_sub_f32_e32 v97, v94, v97
	v_sub_f32_e32 v94, v97, v96
	s_delay_alu instid0(VALU_DEP_1) | instskip(NEXT) | instid1(VALU_DEP_1)
	v_dual_add_f32 v17, v94, v17 :: v_dual_sub_f32 v94, v93, v98
	v_add_f32_e32 v17, v99, v17
	s_delay_alu instid0(VALU_DEP_1) | instskip(NEXT) | instid1(VALU_DEP_1)
	v_dual_sub_f32 v94, v95, v94 :: v_dual_mul_f32 v17, v92, v17
	v_add_f32_e32 v17, v94, v17
	s_delay_alu instid0(VALU_DEP_1) | instskip(NEXT) | instid1(VALU_DEP_1)
	v_add_f32_e32 v92, v93, v17
	v_mul_f32_e32 v94, v92, v92
	s_delay_alu instid0(VALU_DEP_1) | instskip(SKIP_1) | instid1(VALU_DEP_2)
	v_fmaak_f32 v95, s84, v94, 0x3ecc95a3
	v_mul_f32_e32 v96, v92, v94
	v_fmaak_f32 v94, v94, v95, 0x3f2aaada
	v_ldexp_f32 v95, v92, 1
	s_delay_alu instid0(VALU_DEP_2) | instskip(SKIP_1) | instid1(VALU_DEP_2)
	v_mul_f32_e32 v94, v96, v94
	v_sub_f32_e32 v92, v92, v93
	v_dual_mul_f32 v96, 0x3f317218, v91 :: v_dual_add_f32 v93, v95, v94
	s_delay_alu instid0(VALU_DEP_2) | instskip(NEXT) | instid1(VALU_DEP_2)
	v_sub_f32_e32 v17, v17, v92
	v_sub_f32_e32 v92, v93, v95
	s_delay_alu instid0(VALU_DEP_3) | instskip(NEXT) | instid1(VALU_DEP_3)
	v_fma_f32 v95, 0x3f317218, v91, -v96
	v_ldexp_f32 v17, v17, 1
	s_delay_alu instid0(VALU_DEP_2) | instskip(NEXT) | instid1(VALU_DEP_1)
	v_dual_sub_f32 v92, v94, v92 :: v_dual_fmac_f32 v95, 0xb102e308, v91
	v_add_f32_e32 v17, v17, v92
	s_delay_alu instid0(VALU_DEP_1) | instskip(NEXT) | instid1(VALU_DEP_1)
	v_dual_add_f32 v91, v96, v95 :: v_dual_add_f32 v92, v93, v17
	v_sub_f32_e32 v96, v91, v96
	s_delay_alu instid0(VALU_DEP_2) | instskip(NEXT) | instid1(VALU_DEP_2)
	v_dual_add_f32 v94, v91, v92 :: v_dual_sub_f32 v93, v92, v93
	v_sub_f32_e32 v95, v95, v96
	s_delay_alu instid0(VALU_DEP_2) | instskip(NEXT) | instid1(VALU_DEP_1)
	v_sub_f32_e32 v97, v94, v91
	v_sub_f32_e32 v98, v94, v97
	;; [unrolled: 1-line block ×4, first 2 shown]
	s_delay_alu instid0(VALU_DEP_1) | instskip(NEXT) | instid1(VALU_DEP_4)
	v_add_f32_e32 v93, v95, v17
	v_sub_f32_e32 v91, v91, v98
	s_delay_alu instid0(VALU_DEP_1) | instskip(NEXT) | instid1(VALU_DEP_3)
	v_add_f32_e32 v91, v92, v91
	v_sub_f32_e32 v92, v93, v95
	s_delay_alu instid0(VALU_DEP_2) | instskip(NEXT) | instid1(VALU_DEP_2)
	v_add_f32_e32 v91, v93, v91
	v_sub_f32_e32 v93, v93, v92
	s_delay_alu instid0(VALU_DEP_2) | instskip(NEXT) | instid1(VALU_DEP_1)
	v_dual_sub_f32 v17, v17, v92 :: v_dual_add_f32 v96, v94, v91
	v_dual_sub_f32 v92, v96, v94 :: v_dual_sub_f32 v93, v95, v93
	s_delay_alu instid0(VALU_DEP_1) | instskip(NEXT) | instid1(VALU_DEP_2)
	v_sub_f32_e32 v91, v91, v92
	v_add_f32_e32 v17, v17, v93
	s_delay_alu instid0(VALU_DEP_1) | instskip(NEXT) | instid1(VALU_DEP_1)
	v_add_f32_e32 v17, v17, v91
	v_add_f32_e32 v17, v96, v17
	s_delay_alu instid0(VALU_DEP_1)
	v_cndmask_b32_e32 v91, v17, v12, vcc_lo
.LBB63_78:                              ;   in Loop: Header=BB63_12 Depth=1
	s_or_b32 exec_lo, exec_lo, s30
	v_lshlrev_b32_e32 v12, 16, v13
	s_delay_alu instid0(VALU_DEP_1) | instskip(NEXT) | instid1(VALU_DEP_1)
	v_add_f32_e32 v92, s69, v12
	v_cmp_ge_f32_e32 vcc_lo, 0x41a00000, v92
	s_and_b32 s29, s80, vcc_lo
	s_delay_alu instid0(SALU_CYCLE_1)
	s_and_saveexec_b32 s30, s29
	s_cbranch_execz .LBB63_80
; %bb.79:                               ;   in Loop: Header=BB63_12 Depth=1
	v_mul_f32_e32 v12, 0x3fb8aa3b, v92
	v_cmp_ngt_f32_e32 vcc_lo, 0xc2ce8ed0, v92
	s_delay_alu instid0(VALU_DEP_2) | instskip(SKIP_1) | instid1(VALU_DEP_1)
	v_rndne_f32_e32 v17, v12
	v_fma_f32 v93, 0x3fb8aa3b, v92, -v12
	v_dual_sub_f32 v12, v12, v17 :: v_dual_fmac_f32 v93, 0x32a5705f, v92
	v_cvt_i32_f32_e32 v17, v17
	s_delay_alu instid0(VALU_DEP_2) | instskip(NEXT) | instid1(VALU_DEP_1)
	v_add_f32_e32 v12, v12, v93
	v_exp_f32_e32 v12, v12
	s_waitcnt_depctr 0xfff
	v_ldexp_f32 v12, v12, v17
	s_delay_alu instid0(VALU_DEP_1) | instskip(SKIP_1) | instid1(VALU_DEP_2)
	v_cndmask_b32_e32 v12, 0, v12, vcc_lo
	v_cmp_nlt_f32_e32 vcc_lo, 0x42b17218, v92
	v_cndmask_b32_e32 v12, 0x7f800000, v12, vcc_lo
	s_delay_alu instid0(VALU_DEP_1) | instskip(NEXT) | instid1(VALU_DEP_1)
	v_add_f32_e32 v17, 1.0, v12
	v_cvt_f64_f32_e32 v[92:93], v17
	s_delay_alu instid0(VALU_DEP_1) | instskip(SKIP_1) | instid1(VALU_DEP_1)
	v_frexp_exp_i32_f64_e32 v92, v[92:93]
	v_frexp_mant_f32_e32 v93, v17
	v_cmp_gt_f32_e32 vcc_lo, 0x3f2aaaab, v93
	v_add_f32_e32 v93, -1.0, v17
	s_delay_alu instid0(VALU_DEP_1) | instskip(SKIP_1) | instid1(VALU_DEP_2)
	v_sub_f32_e32 v95, v93, v17
	v_sub_f32_e32 v93, v12, v93
	v_add_f32_e32 v95, 1.0, v95
	s_delay_alu instid0(VALU_DEP_1) | instskip(SKIP_3) | instid1(VALU_DEP_2)
	v_add_f32_e32 v93, v93, v95
	v_cmp_gt_f32_e64 s29, 0x33800000, v12
	v_subrev_co_ci_u32_e32 v92, vcc_lo, 0, v92, vcc_lo
	v_cmp_eq_f32_e32 vcc_lo, 0x7f800000, v12
	v_sub_nc_u32_e32 v94, 0, v92
	v_cvt_f32_i32_e32 v92, v92
	s_or_b32 vcc_lo, s29, vcc_lo
	s_delay_alu instid0(VALU_DEP_2) | instskip(SKIP_1) | instid1(VALU_DEP_2)
	v_ldexp_f32 v17, v17, v94
	v_ldexp_f32 v93, v93, v94
	v_add_f32_e32 v96, 1.0, v17
	s_delay_alu instid0(VALU_DEP_1) | instskip(NEXT) | instid1(VALU_DEP_1)
	v_dual_add_f32 v94, -1.0, v17 :: v_dual_add_f32 v95, -1.0, v96
	v_add_f32_e32 v97, 1.0, v94
	s_delay_alu instid0(VALU_DEP_2) | instskip(NEXT) | instid1(VALU_DEP_2)
	v_sub_f32_e32 v95, v17, v95
	v_sub_f32_e32 v17, v17, v97
	s_delay_alu instid0(VALU_DEP_1) | instskip(NEXT) | instid1(VALU_DEP_1)
	v_add_f32_e32 v17, v93, v17
	v_dual_add_f32 v98, v94, v17 :: v_dual_add_f32 v95, v93, v95
	s_delay_alu instid0(VALU_DEP_1) | instskip(NEXT) | instid1(VALU_DEP_1)
	v_dual_sub_f32 v94, v94, v98 :: v_dual_add_f32 v97, v96, v95
	v_rcp_f32_e32 v93, v97
	v_sub_f32_e32 v96, v96, v97
	s_delay_alu instid0(VALU_DEP_1) | instskip(SKIP_2) | instid1(VALU_DEP_1)
	v_add_f32_e32 v95, v95, v96
	s_waitcnt_depctr 0xfff
	v_mul_f32_e32 v99, v98, v93
	v_mul_f32_e32 v100, v97, v99
	s_delay_alu instid0(VALU_DEP_1) | instskip(NEXT) | instid1(VALU_DEP_1)
	v_fma_f32 v96, v99, v97, -v100
	v_fmac_f32_e32 v96, v99, v95
	s_delay_alu instid0(VALU_DEP_1) | instskip(NEXT) | instid1(VALU_DEP_1)
	v_add_f32_e32 v101, v100, v96
	v_sub_f32_e32 v102, v98, v101
	s_delay_alu instid0(VALU_DEP_1) | instskip(SKIP_2) | instid1(VALU_DEP_3)
	v_sub_f32_e32 v98, v98, v102
	v_add_f32_e32 v17, v17, v94
	v_sub_f32_e32 v94, v101, v100
	v_sub_f32_e32 v98, v98, v101
	s_delay_alu instid0(VALU_DEP_1) | instskip(NEXT) | instid1(VALU_DEP_1)
	v_dual_sub_f32 v94, v94, v96 :: v_dual_add_f32 v17, v17, v98
	v_add_f32_e32 v17, v94, v17
	s_delay_alu instid0(VALU_DEP_1) | instskip(NEXT) | instid1(VALU_DEP_1)
	v_add_f32_e32 v94, v102, v17
	v_mul_f32_e32 v96, v93, v94
	s_delay_alu instid0(VALU_DEP_1) | instskip(NEXT) | instid1(VALU_DEP_1)
	v_dual_sub_f32 v101, v102, v94 :: v_dual_mul_f32 v98, v97, v96
	v_add_f32_e32 v17, v17, v101
	s_delay_alu instid0(VALU_DEP_2) | instskip(NEXT) | instid1(VALU_DEP_1)
	v_fma_f32 v97, v96, v97, -v98
	v_fmac_f32_e32 v97, v96, v95
	s_delay_alu instid0(VALU_DEP_1) | instskip(NEXT) | instid1(VALU_DEP_1)
	v_add_f32_e32 v95, v98, v97
	v_sub_f32_e32 v100, v94, v95
	s_delay_alu instid0(VALU_DEP_1) | instskip(NEXT) | instid1(VALU_DEP_1)
	v_sub_f32_e32 v94, v94, v100
	v_sub_f32_e32 v94, v94, v95
	s_delay_alu instid0(VALU_DEP_1) | instskip(SKIP_1) | instid1(VALU_DEP_1)
	v_dual_add_f32 v17, v17, v94 :: v_dual_add_f32 v94, v99, v96
	v_sub_f32_e32 v98, v95, v98
	v_sub_f32_e32 v95, v98, v97
	s_delay_alu instid0(VALU_DEP_1) | instskip(NEXT) | instid1(VALU_DEP_4)
	v_add_f32_e32 v17, v95, v17
	v_sub_f32_e32 v95, v94, v99
	s_delay_alu instid0(VALU_DEP_2) | instskip(NEXT) | instid1(VALU_DEP_2)
	v_add_f32_e32 v17, v100, v17
	v_sub_f32_e32 v95, v96, v95
	s_delay_alu instid0(VALU_DEP_2) | instskip(NEXT) | instid1(VALU_DEP_1)
	v_mul_f32_e32 v17, v93, v17
	v_add_f32_e32 v17, v95, v17
	s_delay_alu instid0(VALU_DEP_1) | instskip(NEXT) | instid1(VALU_DEP_1)
	v_add_f32_e32 v93, v94, v17
	v_mul_f32_e32 v95, v93, v93
	s_delay_alu instid0(VALU_DEP_1) | instskip(SKIP_1) | instid1(VALU_DEP_2)
	v_fmaak_f32 v96, s84, v95, 0x3ecc95a3
	v_mul_f32_e32 v97, v93, v95
	v_fmaak_f32 v95, v95, v96, 0x3f2aaada
	v_ldexp_f32 v96, v93, 1
	v_sub_f32_e32 v93, v93, v94
	s_delay_alu instid0(VALU_DEP_3) | instskip(SKIP_1) | instid1(VALU_DEP_2)
	v_mul_f32_e32 v95, v97, v95
	v_mul_f32_e32 v97, 0x3f317218, v92
	v_dual_sub_f32 v17, v17, v93 :: v_dual_add_f32 v94, v96, v95
	s_delay_alu instid0(VALU_DEP_1) | instskip(NEXT) | instid1(VALU_DEP_2)
	v_ldexp_f32 v17, v17, 1
	v_sub_f32_e32 v93, v94, v96
	s_delay_alu instid0(VALU_DEP_4) | instskip(NEXT) | instid1(VALU_DEP_1)
	v_fma_f32 v96, 0x3f317218, v92, -v97
	v_dual_sub_f32 v93, v95, v93 :: v_dual_fmac_f32 v96, 0xb102e308, v92
	s_delay_alu instid0(VALU_DEP_1) | instskip(NEXT) | instid1(VALU_DEP_1)
	v_add_f32_e32 v17, v17, v93
	v_dual_add_f32 v92, v97, v96 :: v_dual_add_f32 v93, v94, v17
	s_delay_alu instid0(VALU_DEP_1) | instskip(NEXT) | instid1(VALU_DEP_2)
	v_sub_f32_e32 v97, v92, v97
	v_dual_add_f32 v95, v92, v93 :: v_dual_sub_f32 v94, v93, v94
	s_delay_alu instid0(VALU_DEP_2) | instskip(NEXT) | instid1(VALU_DEP_2)
	v_sub_f32_e32 v96, v96, v97
	v_dual_sub_f32 v98, v95, v92 :: v_dual_sub_f32 v17, v17, v94
	s_delay_alu instid0(VALU_DEP_1) | instskip(NEXT) | instid1(VALU_DEP_2)
	v_sub_f32_e32 v99, v95, v98
	v_dual_sub_f32 v93, v93, v98 :: v_dual_add_f32 v94, v96, v17
	s_delay_alu instid0(VALU_DEP_2) | instskip(NEXT) | instid1(VALU_DEP_1)
	v_sub_f32_e32 v92, v92, v99
	v_add_f32_e32 v92, v93, v92
	s_delay_alu instid0(VALU_DEP_3) | instskip(NEXT) | instid1(VALU_DEP_2)
	v_sub_f32_e32 v93, v94, v96
	v_add_f32_e32 v92, v94, v92
	s_delay_alu instid0(VALU_DEP_2) | instskip(SKIP_1) | instid1(VALU_DEP_2)
	v_sub_f32_e32 v94, v94, v93
	v_sub_f32_e32 v17, v17, v93
	v_dual_add_f32 v97, v95, v92 :: v_dual_sub_f32 v94, v96, v94
	s_delay_alu instid0(VALU_DEP_1) | instskip(NEXT) | instid1(VALU_DEP_1)
	v_sub_f32_e32 v93, v97, v95
	v_dual_add_f32 v17, v17, v94 :: v_dual_sub_f32 v92, v92, v93
	s_delay_alu instid0(VALU_DEP_1) | instskip(NEXT) | instid1(VALU_DEP_1)
	v_add_f32_e32 v17, v17, v92
	v_add_f32_e32 v17, v97, v17
	s_delay_alu instid0(VALU_DEP_1)
	v_cndmask_b32_e32 v92, v17, v12, vcc_lo
.LBB63_80:                              ;   in Loop: Header=BB63_12 Depth=1
	s_or_b32 exec_lo, exec_lo, s30
	v_and_b32_e32 v12, 0xffff0000, v13
	s_delay_alu instid0(VALU_DEP_1) | instskip(NEXT) | instid1(VALU_DEP_1)
	v_add_f32_e32 v93, s69, v12
	v_cmp_ge_f32_e32 vcc_lo, 0x41a00000, v93
	s_and_b32 s29, s80, vcc_lo
	s_delay_alu instid0(SALU_CYCLE_1)
	s_and_saveexec_b32 s30, s29
	s_cbranch_execz .LBB63_82
; %bb.81:                               ;   in Loop: Header=BB63_12 Depth=1
	v_mul_f32_e32 v12, 0x3fb8aa3b, v93
	v_cmp_ngt_f32_e32 vcc_lo, 0xc2ce8ed0, v93
	s_delay_alu instid0(VALU_DEP_2) | instskip(SKIP_1) | instid1(VALU_DEP_2)
	v_rndne_f32_e32 v13, v12
	v_fma_f32 v17, 0x3fb8aa3b, v93, -v12
	v_sub_f32_e32 v12, v12, v13
	s_delay_alu instid0(VALU_DEP_2) | instskip(SKIP_1) | instid1(VALU_DEP_2)
	v_fmac_f32_e32 v17, 0x32a5705f, v93
	v_cvt_i32_f32_e32 v13, v13
	v_add_f32_e32 v12, v12, v17
	s_delay_alu instid0(VALU_DEP_1) | instskip(SKIP_2) | instid1(VALU_DEP_1)
	v_exp_f32_e32 v12, v12
	s_waitcnt_depctr 0xfff
	v_ldexp_f32 v12, v12, v13
	v_cndmask_b32_e32 v12, 0, v12, vcc_lo
	v_cmp_nlt_f32_e32 vcc_lo, 0x42b17218, v93
	s_delay_alu instid0(VALU_DEP_2) | instskip(NEXT) | instid1(VALU_DEP_1)
	v_cndmask_b32_e32 v17, 0x7f800000, v12, vcc_lo
	v_add_f32_e32 v93, 1.0, v17
	s_delay_alu instid0(VALU_DEP_1) | instskip(NEXT) | instid1(VALU_DEP_1)
	v_cvt_f64_f32_e32 v[12:13], v93
	v_frexp_exp_i32_f64_e32 v12, v[12:13]
	v_frexp_mant_f32_e32 v13, v93
	s_delay_alu instid0(VALU_DEP_1) | instskip(SKIP_1) | instid1(VALU_DEP_1)
	v_cmp_gt_f32_e32 vcc_lo, 0x3f2aaaab, v13
	v_add_f32_e32 v13, -1.0, v93
	v_sub_f32_e32 v95, v13, v93
	s_delay_alu instid0(VALU_DEP_1) | instskip(SKIP_1) | instid1(VALU_DEP_1)
	v_add_f32_e32 v95, 1.0, v95
	v_subrev_co_ci_u32_e32 v12, vcc_lo, 0, v12, vcc_lo
	v_sub_nc_u32_e32 v94, 0, v12
	v_cvt_f32_i32_e32 v12, v12
	s_delay_alu instid0(VALU_DEP_2) | instskip(NEXT) | instid1(VALU_DEP_1)
	v_ldexp_f32 v93, v93, v94
	v_add_f32_e32 v96, 1.0, v93
	v_sub_f32_e32 v13, v17, v13
	v_cmp_eq_f32_e32 vcc_lo, 0x7f800000, v17
	v_cmp_gt_f32_e64 s29, 0x33800000, v17
	s_delay_alu instid0(VALU_DEP_3) | instskip(SKIP_1) | instid1(VALU_DEP_3)
	v_add_f32_e32 v13, v13, v95
	v_add_f32_e32 v95, -1.0, v96
	s_or_b32 vcc_lo, s29, vcc_lo
	s_delay_alu instid0(VALU_DEP_2) | instskip(NEXT) | instid1(VALU_DEP_2)
	v_ldexp_f32 v13, v13, v94
	v_dual_add_f32 v94, -1.0, v93 :: v_dual_sub_f32 v95, v93, v95
	s_delay_alu instid0(VALU_DEP_1) | instskip(NEXT) | instid1(VALU_DEP_2)
	v_add_f32_e32 v97, 1.0, v94
	v_add_f32_e32 v95, v13, v95
	s_delay_alu instid0(VALU_DEP_2) | instskip(NEXT) | instid1(VALU_DEP_1)
	v_sub_f32_e32 v93, v93, v97
	v_add_f32_e32 v13, v13, v93
	s_delay_alu instid0(VALU_DEP_1) | instskip(NEXT) | instid1(VALU_DEP_1)
	v_dual_add_f32 v98, v94, v13 :: v_dual_add_f32 v97, v96, v95
	v_sub_f32_e32 v94, v94, v98
	s_delay_alu instid0(VALU_DEP_2) | instskip(NEXT) | instid1(VALU_DEP_1)
	v_rcp_f32_e32 v93, v97
	v_dual_sub_f32 v96, v96, v97 :: v_dual_add_f32 v13, v13, v94
	s_delay_alu instid0(VALU_DEP_1) | instskip(SKIP_2) | instid1(VALU_DEP_1)
	v_add_f32_e32 v95, v95, v96
	s_waitcnt_depctr 0xfff
	v_mul_f32_e32 v99, v98, v93
	v_mul_f32_e32 v100, v97, v99
	s_delay_alu instid0(VALU_DEP_1) | instskip(NEXT) | instid1(VALU_DEP_1)
	v_fma_f32 v96, v99, v97, -v100
	v_fmac_f32_e32 v96, v99, v95
	s_delay_alu instid0(VALU_DEP_1) | instskip(NEXT) | instid1(VALU_DEP_1)
	v_add_f32_e32 v101, v100, v96
	v_sub_f32_e32 v102, v98, v101
	v_sub_f32_e32 v94, v101, v100
	s_delay_alu instid0(VALU_DEP_2) | instskip(NEXT) | instid1(VALU_DEP_2)
	v_sub_f32_e32 v98, v98, v102
	v_sub_f32_e32 v94, v94, v96
	s_delay_alu instid0(VALU_DEP_2) | instskip(NEXT) | instid1(VALU_DEP_1)
	v_sub_f32_e32 v98, v98, v101
	v_add_f32_e32 v13, v13, v98
	s_delay_alu instid0(VALU_DEP_1) | instskip(NEXT) | instid1(VALU_DEP_1)
	v_add_f32_e32 v13, v94, v13
	v_add_f32_e32 v94, v102, v13
	s_delay_alu instid0(VALU_DEP_1) | instskip(NEXT) | instid1(VALU_DEP_1)
	v_mul_f32_e32 v96, v93, v94
	v_dual_sub_f32 v101, v102, v94 :: v_dual_mul_f32 v98, v97, v96
	s_delay_alu instid0(VALU_DEP_1) | instskip(NEXT) | instid1(VALU_DEP_1)
	v_fma_f32 v97, v96, v97, -v98
	v_fmac_f32_e32 v97, v96, v95
	s_delay_alu instid0(VALU_DEP_1) | instskip(NEXT) | instid1(VALU_DEP_1)
	v_add_f32_e32 v95, v98, v97
	v_dual_add_f32 v13, v13, v101 :: v_dual_sub_f32 v100, v94, v95
	s_delay_alu instid0(VALU_DEP_1) | instskip(NEXT) | instid1(VALU_DEP_1)
	v_sub_f32_e32 v94, v94, v100
	v_sub_f32_e32 v94, v94, v95
	s_delay_alu instid0(VALU_DEP_1) | instskip(SKIP_1) | instid1(VALU_DEP_1)
	v_dual_add_f32 v13, v13, v94 :: v_dual_add_f32 v94, v99, v96
	v_sub_f32_e32 v98, v95, v98
	v_sub_f32_e32 v95, v98, v97
	s_delay_alu instid0(VALU_DEP_1) | instskip(NEXT) | instid1(VALU_DEP_4)
	v_add_f32_e32 v13, v95, v13
	v_sub_f32_e32 v95, v94, v99
	s_delay_alu instid0(VALU_DEP_2) | instskip(NEXT) | instid1(VALU_DEP_2)
	v_add_f32_e32 v13, v100, v13
	v_sub_f32_e32 v95, v96, v95
	s_delay_alu instid0(VALU_DEP_2) | instskip(NEXT) | instid1(VALU_DEP_1)
	v_mul_f32_e32 v13, v93, v13
	v_add_f32_e32 v13, v95, v13
	s_delay_alu instid0(VALU_DEP_1) | instskip(NEXT) | instid1(VALU_DEP_1)
	v_add_f32_e32 v93, v94, v13
	v_mul_f32_e32 v95, v93, v93
	s_delay_alu instid0(VALU_DEP_1) | instskip(SKIP_1) | instid1(VALU_DEP_2)
	v_fmaak_f32 v96, s84, v95, 0x3ecc95a3
	v_mul_f32_e32 v97, v93, v95
	v_fmaak_f32 v95, v95, v96, 0x3f2aaada
	v_ldexp_f32 v96, v93, 1
	v_sub_f32_e32 v93, v93, v94
	s_delay_alu instid0(VALU_DEP_3) | instskip(SKIP_1) | instid1(VALU_DEP_2)
	v_mul_f32_e32 v95, v97, v95
	v_mul_f32_e32 v97, 0x3f317218, v12
	v_dual_sub_f32 v13, v13, v93 :: v_dual_add_f32 v94, v96, v95
	s_delay_alu instid0(VALU_DEP_1) | instskip(NEXT) | instid1(VALU_DEP_2)
	v_ldexp_f32 v13, v13, 1
	v_sub_f32_e32 v93, v94, v96
	s_delay_alu instid0(VALU_DEP_4) | instskip(NEXT) | instid1(VALU_DEP_1)
	v_fma_f32 v96, 0x3f317218, v12, -v97
	v_dual_sub_f32 v93, v95, v93 :: v_dual_fmac_f32 v96, 0xb102e308, v12
	s_delay_alu instid0(VALU_DEP_1) | instskip(NEXT) | instid1(VALU_DEP_2)
	v_add_f32_e32 v12, v13, v93
	v_add_f32_e32 v13, v97, v96
	s_delay_alu instid0(VALU_DEP_2) | instskip(NEXT) | instid1(VALU_DEP_2)
	v_add_f32_e32 v93, v94, v12
	v_sub_f32_e32 v97, v13, v97
	s_delay_alu instid0(VALU_DEP_2) | instskip(SKIP_1) | instid1(VALU_DEP_3)
	v_add_f32_e32 v95, v13, v93
	v_sub_f32_e32 v94, v93, v94
	v_sub_f32_e32 v96, v96, v97
	s_delay_alu instid0(VALU_DEP_3) | instskip(NEXT) | instid1(VALU_DEP_3)
	v_sub_f32_e32 v98, v95, v13
	v_sub_f32_e32 v12, v12, v94
	s_delay_alu instid0(VALU_DEP_2) | instskip(NEXT) | instid1(VALU_DEP_2)
	v_sub_f32_e32 v99, v95, v98
	v_dual_sub_f32 v93, v93, v98 :: v_dual_add_f32 v94, v96, v12
	s_delay_alu instid0(VALU_DEP_2) | instskip(NEXT) | instid1(VALU_DEP_1)
	v_sub_f32_e32 v13, v13, v99
	v_add_f32_e32 v13, v93, v13
	s_delay_alu instid0(VALU_DEP_3) | instskip(NEXT) | instid1(VALU_DEP_2)
	v_sub_f32_e32 v93, v94, v96
	v_add_f32_e32 v13, v94, v13
	s_delay_alu instid0(VALU_DEP_2) | instskip(SKIP_1) | instid1(VALU_DEP_1)
	v_sub_f32_e32 v12, v12, v93
	v_sub_f32_e32 v94, v94, v93
	v_dual_add_f32 v97, v95, v13 :: v_dual_sub_f32 v94, v96, v94
	s_delay_alu instid0(VALU_DEP_1) | instskip(NEXT) | instid1(VALU_DEP_1)
	v_dual_sub_f32 v93, v97, v95 :: v_dual_add_f32 v12, v12, v94
	v_sub_f32_e32 v13, v13, v93
	s_delay_alu instid0(VALU_DEP_1) | instskip(NEXT) | instid1(VALU_DEP_1)
	v_add_f32_e32 v12, v12, v13
	v_add_f32_e32 v12, v97, v12
	s_delay_alu instid0(VALU_DEP_1)
	v_cndmask_b32_e32 v93, v12, v17, vcc_lo
.LBB63_82:                              ;   in Loop: Header=BB63_12 Depth=1
	s_or_b32 exec_lo, exec_lo, s30
	v_lshlrev_b32_e32 v12, 16, v14
	s_delay_alu instid0(VALU_DEP_1) | instskip(NEXT) | instid1(VALU_DEP_1)
	v_add_f32_e32 v94, s69, v12
	v_cmp_ge_f32_e32 vcc_lo, 0x41a00000, v94
	s_and_b32 s29, s80, vcc_lo
	s_delay_alu instid0(SALU_CYCLE_1)
	s_and_saveexec_b32 s30, s29
	s_cbranch_execz .LBB63_84
; %bb.83:                               ;   in Loop: Header=BB63_12 Depth=1
	v_mul_f32_e32 v12, 0x3fb8aa3b, v94
	v_cmp_ngt_f32_e32 vcc_lo, 0xc2ce8ed0, v94
	s_delay_alu instid0(VALU_DEP_2) | instskip(SKIP_1) | instid1(VALU_DEP_1)
	v_rndne_f32_e32 v13, v12
	v_fma_f32 v17, 0x3fb8aa3b, v94, -v12
	v_dual_sub_f32 v12, v12, v13 :: v_dual_fmac_f32 v17, 0x32a5705f, v94
	v_cvt_i32_f32_e32 v13, v13
	s_delay_alu instid0(VALU_DEP_2) | instskip(NEXT) | instid1(VALU_DEP_1)
	v_add_f32_e32 v12, v12, v17
	v_exp_f32_e32 v12, v12
	s_waitcnt_depctr 0xfff
	v_ldexp_f32 v12, v12, v13
	s_delay_alu instid0(VALU_DEP_1) | instskip(SKIP_1) | instid1(VALU_DEP_2)
	v_cndmask_b32_e32 v12, 0, v12, vcc_lo
	v_cmp_nlt_f32_e32 vcc_lo, 0x42b17218, v94
	v_cndmask_b32_e32 v17, 0x7f800000, v12, vcc_lo
	s_delay_alu instid0(VALU_DEP_1) | instskip(NEXT) | instid1(VALU_DEP_1)
	v_add_f32_e32 v94, 1.0, v17
	v_cvt_f64_f32_e32 v[12:13], v94
	s_delay_alu instid0(VALU_DEP_1) | instskip(SKIP_1) | instid1(VALU_DEP_1)
	v_frexp_exp_i32_f64_e32 v12, v[12:13]
	v_frexp_mant_f32_e32 v13, v94
	v_cmp_gt_f32_e32 vcc_lo, 0x3f2aaaab, v13
	v_add_f32_e32 v13, -1.0, v94
	s_delay_alu instid0(VALU_DEP_1) | instskip(SKIP_2) | instid1(VALU_DEP_3)
	v_sub_f32_e32 v96, v13, v94
	v_sub_f32_e32 v13, v17, v13
	v_cmp_gt_f32_e64 s29, 0x33800000, v17
	v_add_f32_e32 v96, 1.0, v96
	s_delay_alu instid0(VALU_DEP_1) | instskip(SKIP_2) | instid1(VALU_DEP_2)
	v_add_f32_e32 v13, v13, v96
	v_subrev_co_ci_u32_e32 v12, vcc_lo, 0, v12, vcc_lo
	v_cmp_eq_f32_e32 vcc_lo, 0x7f800000, v17
	v_sub_nc_u32_e32 v95, 0, v12
	v_cvt_f32_i32_e32 v12, v12
	s_or_b32 vcc_lo, s29, vcc_lo
	s_delay_alu instid0(VALU_DEP_2) | instskip(SKIP_1) | instid1(VALU_DEP_2)
	v_ldexp_f32 v94, v94, v95
	v_ldexp_f32 v13, v13, v95
	v_add_f32_e32 v95, -1.0, v94
	s_delay_alu instid0(VALU_DEP_1) | instskip(NEXT) | instid1(VALU_DEP_1)
	v_dual_add_f32 v97, 1.0, v94 :: v_dual_add_f32 v98, 1.0, v95
	v_add_f32_e32 v96, -1.0, v97
	s_delay_alu instid0(VALU_DEP_1) | instskip(NEXT) | instid1(VALU_DEP_3)
	v_sub_f32_e32 v96, v94, v96
	v_sub_f32_e32 v94, v94, v98
	s_delay_alu instid0(VALU_DEP_2) | instskip(NEXT) | instid1(VALU_DEP_2)
	v_add_f32_e32 v96, v13, v96
	v_add_f32_e32 v13, v13, v94
	s_delay_alu instid0(VALU_DEP_1) | instskip(NEXT) | instid1(VALU_DEP_1)
	v_dual_add_f32 v99, v95, v13 :: v_dual_add_f32 v98, v97, v96
	v_sub_f32_e32 v95, v95, v99
	s_delay_alu instid0(VALU_DEP_2) | instskip(SKIP_1) | instid1(VALU_DEP_1)
	v_rcp_f32_e32 v94, v98
	v_sub_f32_e32 v97, v97, v98
	v_dual_add_f32 v13, v13, v95 :: v_dual_add_f32 v96, v96, v97
	s_waitcnt_depctr 0xfff
	v_mul_f32_e32 v100, v99, v94
	s_delay_alu instid0(VALU_DEP_1) | instskip(NEXT) | instid1(VALU_DEP_1)
	v_mul_f32_e32 v101, v98, v100
	v_fma_f32 v97, v100, v98, -v101
	s_delay_alu instid0(VALU_DEP_1) | instskip(NEXT) | instid1(VALU_DEP_1)
	v_fmac_f32_e32 v97, v100, v96
	v_add_f32_e32 v102, v101, v97
	s_delay_alu instid0(VALU_DEP_1) | instskip(SKIP_1) | instid1(VALU_DEP_2)
	v_sub_f32_e32 v103, v99, v102
	v_sub_f32_e32 v95, v102, v101
	;; [unrolled: 1-line block ×3, first 2 shown]
	s_delay_alu instid0(VALU_DEP_2) | instskip(NEXT) | instid1(VALU_DEP_2)
	v_sub_f32_e32 v95, v95, v97
	v_sub_f32_e32 v99, v99, v102
	s_delay_alu instid0(VALU_DEP_1) | instskip(NEXT) | instid1(VALU_DEP_1)
	v_add_f32_e32 v13, v13, v99
	v_add_f32_e32 v13, v95, v13
	s_delay_alu instid0(VALU_DEP_1) | instskip(NEXT) | instid1(VALU_DEP_1)
	v_add_f32_e32 v95, v103, v13
	v_mul_f32_e32 v97, v94, v95
	s_delay_alu instid0(VALU_DEP_1) | instskip(NEXT) | instid1(VALU_DEP_1)
	v_dual_sub_f32 v102, v103, v95 :: v_dual_mul_f32 v99, v98, v97
	v_add_f32_e32 v13, v13, v102
	s_delay_alu instid0(VALU_DEP_2) | instskip(NEXT) | instid1(VALU_DEP_1)
	v_fma_f32 v98, v97, v98, -v99
	v_fmac_f32_e32 v98, v97, v96
	s_delay_alu instid0(VALU_DEP_1) | instskip(NEXT) | instid1(VALU_DEP_1)
	v_add_f32_e32 v96, v99, v98
	v_sub_f32_e32 v101, v95, v96
	s_delay_alu instid0(VALU_DEP_1) | instskip(NEXT) | instid1(VALU_DEP_1)
	v_sub_f32_e32 v95, v95, v101
	v_sub_f32_e32 v95, v95, v96
	s_delay_alu instid0(VALU_DEP_1) | instskip(SKIP_2) | instid1(VALU_DEP_1)
	v_add_f32_e32 v13, v13, v95
	v_add_f32_e32 v95, v100, v97
	v_sub_f32_e32 v99, v96, v99
	v_sub_f32_e32 v96, v99, v98
	s_delay_alu instid0(VALU_DEP_1) | instskip(NEXT) | instid1(VALU_DEP_1)
	v_dual_add_f32 v13, v96, v13 :: v_dual_sub_f32 v96, v95, v100
	v_add_f32_e32 v13, v101, v13
	s_delay_alu instid0(VALU_DEP_1) | instskip(NEXT) | instid1(VALU_DEP_1)
	v_dual_sub_f32 v96, v97, v96 :: v_dual_mul_f32 v13, v94, v13
	v_add_f32_e32 v13, v96, v13
	s_delay_alu instid0(VALU_DEP_1) | instskip(NEXT) | instid1(VALU_DEP_1)
	v_add_f32_e32 v94, v95, v13
	v_mul_f32_e32 v96, v94, v94
	s_delay_alu instid0(VALU_DEP_1) | instskip(SKIP_1) | instid1(VALU_DEP_2)
	v_fmaak_f32 v97, s84, v96, 0x3ecc95a3
	v_mul_f32_e32 v98, v94, v96
	v_fmaak_f32 v96, v96, v97, 0x3f2aaada
	v_ldexp_f32 v97, v94, 1
	v_sub_f32_e32 v94, v94, v95
	s_delay_alu instid0(VALU_DEP_3) | instskip(NEXT) | instid1(VALU_DEP_2)
	v_mul_f32_e32 v96, v98, v96
	v_dual_mul_f32 v98, 0x3f317218, v12 :: v_dual_sub_f32 v13, v13, v94
	s_delay_alu instid0(VALU_DEP_2) | instskip(NEXT) | instid1(VALU_DEP_2)
	v_add_f32_e32 v95, v97, v96
	v_ldexp_f32 v13, v13, 1
	s_delay_alu instid0(VALU_DEP_2) | instskip(NEXT) | instid1(VALU_DEP_4)
	v_sub_f32_e32 v94, v95, v97
	v_fma_f32 v97, 0x3f317218, v12, -v98
	s_delay_alu instid0(VALU_DEP_1) | instskip(NEXT) | instid1(VALU_DEP_1)
	v_dual_sub_f32 v94, v96, v94 :: v_dual_fmac_f32 v97, 0xb102e308, v12
	v_add_f32_e32 v12, v13, v94
	s_delay_alu instid0(VALU_DEP_1) | instskip(NEXT) | instid1(VALU_DEP_1)
	v_add_f32_e32 v94, v95, v12
	v_sub_f32_e32 v95, v94, v95
	s_delay_alu instid0(VALU_DEP_1) | instskip(NEXT) | instid1(VALU_DEP_1)
	v_dual_sub_f32 v12, v12, v95 :: v_dual_add_f32 v13, v98, v97
	v_add_f32_e32 v96, v13, v94
	s_delay_alu instid0(VALU_DEP_1) | instskip(NEXT) | instid1(VALU_DEP_1)
	v_dual_sub_f32 v98, v13, v98 :: v_dual_sub_f32 v99, v96, v13
	v_dual_sub_f32 v97, v97, v98 :: v_dual_sub_f32 v100, v96, v99
	s_delay_alu instid0(VALU_DEP_1) | instskip(NEXT) | instid1(VALU_DEP_2)
	v_dual_sub_f32 v94, v94, v99 :: v_dual_add_f32 v95, v97, v12
	v_sub_f32_e32 v13, v13, v100
	s_delay_alu instid0(VALU_DEP_1) | instskip(NEXT) | instid1(VALU_DEP_3)
	v_add_f32_e32 v13, v94, v13
	v_sub_f32_e32 v94, v95, v97
	s_delay_alu instid0(VALU_DEP_2) | instskip(NEXT) | instid1(VALU_DEP_2)
	v_add_f32_e32 v13, v95, v13
	v_sub_f32_e32 v95, v95, v94
	v_sub_f32_e32 v12, v12, v94
	s_delay_alu instid0(VALU_DEP_2) | instskip(NEXT) | instid1(VALU_DEP_1)
	v_dual_add_f32 v98, v96, v13 :: v_dual_sub_f32 v95, v97, v95
	v_sub_f32_e32 v94, v98, v96
	s_delay_alu instid0(VALU_DEP_1) | instskip(NEXT) | instid1(VALU_DEP_1)
	v_dual_add_f32 v12, v12, v95 :: v_dual_sub_f32 v13, v13, v94
	v_add_f32_e32 v12, v12, v13
	s_delay_alu instid0(VALU_DEP_1) | instskip(NEXT) | instid1(VALU_DEP_1)
	v_add_f32_e32 v12, v98, v12
	v_cndmask_b32_e32 v94, v12, v17, vcc_lo
.LBB63_84:                              ;   in Loop: Header=BB63_12 Depth=1
	s_or_b32 exec_lo, exec_lo, s30
	v_and_b32_e32 v12, 0xffff0000, v14
	s_delay_alu instid0(VALU_DEP_1) | instskip(NEXT) | instid1(VALU_DEP_1)
	v_add_f32_e32 v95, s69, v12
	v_cmp_ge_f32_e32 vcc_lo, 0x41a00000, v95
	s_and_b32 s29, s80, vcc_lo
	s_delay_alu instid0(SALU_CYCLE_1)
	s_and_saveexec_b32 s30, s29
	s_cbranch_execz .LBB63_86
; %bb.85:                               ;   in Loop: Header=BB63_12 Depth=1
	v_mul_f32_e32 v12, 0x3fb8aa3b, v95
	v_cmp_ngt_f32_e32 vcc_lo, 0xc2ce8ed0, v95
	s_delay_alu instid0(VALU_DEP_2) | instskip(SKIP_1) | instid1(VALU_DEP_2)
	v_rndne_f32_e32 v13, v12
	v_fma_f32 v14, 0x3fb8aa3b, v95, -v12
	v_sub_f32_e32 v12, v12, v13
	s_delay_alu instid0(VALU_DEP_2) | instskip(SKIP_1) | instid1(VALU_DEP_2)
	v_fmac_f32_e32 v14, 0x32a5705f, v95
	v_cvt_i32_f32_e32 v13, v13
	v_add_f32_e32 v12, v12, v14
	s_delay_alu instid0(VALU_DEP_1) | instskip(SKIP_2) | instid1(VALU_DEP_1)
	v_exp_f32_e32 v12, v12
	s_waitcnt_depctr 0xfff
	v_ldexp_f32 v12, v12, v13
	v_cndmask_b32_e32 v12, 0, v12, vcc_lo
	v_cmp_nlt_f32_e32 vcc_lo, 0x42b17218, v95
	s_delay_alu instid0(VALU_DEP_2) | instskip(NEXT) | instid1(VALU_DEP_1)
	v_cndmask_b32_e32 v14, 0x7f800000, v12, vcc_lo
	v_add_f32_e32 v17, 1.0, v14
	s_delay_alu instid0(VALU_DEP_1) | instskip(NEXT) | instid1(VALU_DEP_1)
	v_cvt_f64_f32_e32 v[12:13], v17
	v_frexp_exp_i32_f64_e32 v12, v[12:13]
	v_frexp_mant_f32_e32 v13, v17
	s_delay_alu instid0(VALU_DEP_1) | instskip(SKIP_1) | instid1(VALU_DEP_1)
	v_cmp_gt_f32_e32 vcc_lo, 0x3f2aaaab, v13
	v_add_f32_e32 v13, -1.0, v17
	v_sub_f32_e32 v96, v13, v17
	v_sub_f32_e32 v13, v14, v13
	v_subrev_co_ci_u32_e32 v12, vcc_lo, 0, v12, vcc_lo
	s_delay_alu instid0(VALU_DEP_1) | instskip(SKIP_1) | instid1(VALU_DEP_2)
	v_sub_nc_u32_e32 v95, 0, v12
	v_cvt_f32_i32_e32 v12, v12
	v_ldexp_f32 v17, v17, v95
	s_delay_alu instid0(VALU_DEP_1) | instskip(NEXT) | instid1(VALU_DEP_1)
	v_dual_add_f32 v96, 1.0, v96 :: v_dual_add_f32 v97, 1.0, v17
	v_dual_add_f32 v13, v13, v96 :: v_dual_add_f32 v96, -1.0, v97
	s_delay_alu instid0(VALU_DEP_1) | instskip(SKIP_4) | instid1(VALU_DEP_4)
	v_ldexp_f32 v13, v13, v95
	v_add_f32_e32 v95, -1.0, v17
	v_cmp_eq_f32_e32 vcc_lo, 0x7f800000, v14
	v_cmp_gt_f32_e64 s29, 0x33800000, v14
	v_sub_f32_e32 v96, v17, v96
	v_add_f32_e32 v98, 1.0, v95
	s_delay_alu instid0(VALU_DEP_3) | instskip(NEXT) | instid1(VALU_DEP_2)
	s_or_b32 vcc_lo, s29, vcc_lo
	v_add_f32_e32 v96, v13, v96
	s_delay_alu instid0(VALU_DEP_2) | instskip(NEXT) | instid1(VALU_DEP_1)
	v_sub_f32_e32 v17, v17, v98
	v_add_f32_e32 v13, v13, v17
	s_delay_alu instid0(VALU_DEP_1) | instskip(NEXT) | instid1(VALU_DEP_1)
	v_dual_add_f32 v99, v95, v13 :: v_dual_add_f32 v98, v97, v96
	v_sub_f32_e32 v95, v95, v99
	s_delay_alu instid0(VALU_DEP_2) | instskip(SKIP_1) | instid1(VALU_DEP_1)
	v_rcp_f32_e32 v17, v98
	v_sub_f32_e32 v97, v97, v98
	v_dual_add_f32 v13, v13, v95 :: v_dual_add_f32 v96, v96, v97
	s_waitcnt_depctr 0xfff
	v_mul_f32_e32 v100, v99, v17
	s_delay_alu instid0(VALU_DEP_1) | instskip(NEXT) | instid1(VALU_DEP_1)
	v_mul_f32_e32 v101, v98, v100
	v_fma_f32 v97, v100, v98, -v101
	s_delay_alu instid0(VALU_DEP_1) | instskip(NEXT) | instid1(VALU_DEP_1)
	v_fmac_f32_e32 v97, v100, v96
	v_add_f32_e32 v102, v101, v97
	s_delay_alu instid0(VALU_DEP_1) | instskip(NEXT) | instid1(VALU_DEP_1)
	v_sub_f32_e32 v103, v99, v102
	v_sub_f32_e32 v99, v99, v103
	;; [unrolled: 1-line block ×3, first 2 shown]
	s_delay_alu instid0(VALU_DEP_2) | instskip(NEXT) | instid1(VALU_DEP_2)
	v_sub_f32_e32 v99, v99, v102
	v_sub_f32_e32 v95, v95, v97
	s_delay_alu instid0(VALU_DEP_2) | instskip(NEXT) | instid1(VALU_DEP_1)
	v_add_f32_e32 v13, v13, v99
	v_add_f32_e32 v13, v95, v13
	s_delay_alu instid0(VALU_DEP_1) | instskip(NEXT) | instid1(VALU_DEP_1)
	v_add_f32_e32 v95, v103, v13
	v_mul_f32_e32 v97, v17, v95
	s_delay_alu instid0(VALU_DEP_1) | instskip(NEXT) | instid1(VALU_DEP_1)
	v_dual_sub_f32 v102, v103, v95 :: v_dual_mul_f32 v99, v98, v97
	v_add_f32_e32 v13, v13, v102
	s_delay_alu instid0(VALU_DEP_2) | instskip(NEXT) | instid1(VALU_DEP_1)
	v_fma_f32 v98, v97, v98, -v99
	v_fmac_f32_e32 v98, v97, v96
	s_delay_alu instid0(VALU_DEP_1) | instskip(NEXT) | instid1(VALU_DEP_1)
	v_add_f32_e32 v96, v99, v98
	v_sub_f32_e32 v101, v95, v96
	v_sub_f32_e32 v99, v96, v99
	s_delay_alu instid0(VALU_DEP_2) | instskip(NEXT) | instid1(VALU_DEP_1)
	v_sub_f32_e32 v95, v95, v101
	v_sub_f32_e32 v95, v95, v96
	s_delay_alu instid0(VALU_DEP_1) | instskip(SKIP_1) | instid1(VALU_DEP_1)
	v_dual_sub_f32 v96, v99, v98 :: v_dual_add_f32 v13, v13, v95
	v_add_f32_e32 v95, v100, v97
	v_dual_add_f32 v13, v96, v13 :: v_dual_sub_f32 v96, v95, v100
	s_delay_alu instid0(VALU_DEP_1) | instskip(NEXT) | instid1(VALU_DEP_2)
	v_add_f32_e32 v13, v101, v13
	v_sub_f32_e32 v96, v97, v96
	s_delay_alu instid0(VALU_DEP_2) | instskip(NEXT) | instid1(VALU_DEP_1)
	v_mul_f32_e32 v13, v17, v13
	v_add_f32_e32 v13, v96, v13
	s_delay_alu instid0(VALU_DEP_1) | instskip(NEXT) | instid1(VALU_DEP_1)
	v_add_f32_e32 v17, v95, v13
	v_mul_f32_e32 v96, v17, v17
	s_delay_alu instid0(VALU_DEP_1) | instskip(SKIP_1) | instid1(VALU_DEP_2)
	v_fmaak_f32 v97, s84, v96, 0x3ecc95a3
	v_mul_f32_e32 v98, v17, v96
	v_fmaak_f32 v96, v96, v97, 0x3f2aaada
	v_ldexp_f32 v97, v17, 1
	s_delay_alu instid0(VALU_DEP_2) | instskip(NEXT) | instid1(VALU_DEP_1)
	v_dual_sub_f32 v17, v17, v95 :: v_dual_mul_f32 v96, v98, v96
	v_dual_mul_f32 v98, 0x3f317218, v12 :: v_dual_sub_f32 v13, v13, v17
	s_delay_alu instid0(VALU_DEP_2) | instskip(NEXT) | instid1(VALU_DEP_2)
	v_add_f32_e32 v95, v97, v96
	v_ldexp_f32 v13, v13, 1
	s_delay_alu instid0(VALU_DEP_2) | instskip(NEXT) | instid1(VALU_DEP_4)
	v_sub_f32_e32 v17, v95, v97
	v_fma_f32 v97, 0x3f317218, v12, -v98
	s_delay_alu instid0(VALU_DEP_2) | instskip(NEXT) | instid1(VALU_DEP_1)
	v_sub_f32_e32 v17, v96, v17
	v_dual_fmac_f32 v97, 0xb102e308, v12 :: v_dual_add_f32 v12, v13, v17
	s_delay_alu instid0(VALU_DEP_1) | instskip(NEXT) | instid1(VALU_DEP_1)
	v_add_f32_e32 v13, v98, v97
	v_dual_add_f32 v17, v95, v12 :: v_dual_sub_f32 v98, v13, v98
	s_delay_alu instid0(VALU_DEP_1) | instskip(SKIP_1) | instid1(VALU_DEP_3)
	v_add_f32_e32 v96, v13, v17
	v_sub_f32_e32 v95, v17, v95
	v_sub_f32_e32 v97, v97, v98
	s_delay_alu instid0(VALU_DEP_3) | instskip(NEXT) | instid1(VALU_DEP_3)
	v_sub_f32_e32 v99, v96, v13
	v_sub_f32_e32 v12, v12, v95
	s_delay_alu instid0(VALU_DEP_2) | instskip(SKIP_1) | instid1(VALU_DEP_3)
	v_sub_f32_e32 v100, v96, v99
	v_sub_f32_e32 v17, v17, v99
	v_add_f32_e32 v95, v97, v12
	s_delay_alu instid0(VALU_DEP_3) | instskip(NEXT) | instid1(VALU_DEP_1)
	v_sub_f32_e32 v13, v13, v100
	v_add_f32_e32 v13, v17, v13
	s_delay_alu instid0(VALU_DEP_3) | instskip(NEXT) | instid1(VALU_DEP_2)
	v_sub_f32_e32 v17, v95, v97
	v_add_f32_e32 v13, v95, v13
	s_delay_alu instid0(VALU_DEP_2) | instskip(SKIP_1) | instid1(VALU_DEP_2)
	v_sub_f32_e32 v95, v95, v17
	v_sub_f32_e32 v12, v12, v17
	v_dual_add_f32 v98, v96, v13 :: v_dual_sub_f32 v95, v97, v95
	s_delay_alu instid0(VALU_DEP_1) | instskip(NEXT) | instid1(VALU_DEP_1)
	v_dual_sub_f32 v17, v98, v96 :: v_dual_add_f32 v12, v12, v95
	v_sub_f32_e32 v13, v13, v17
	s_delay_alu instid0(VALU_DEP_1) | instskip(NEXT) | instid1(VALU_DEP_1)
	v_add_f32_e32 v12, v12, v13
	v_add_f32_e32 v12, v98, v12
	s_delay_alu instid0(VALU_DEP_1)
	v_cndmask_b32_e32 v95, v12, v14, vcc_lo
.LBB63_86:                              ;   in Loop: Header=BB63_12 Depth=1
	s_or_b32 exec_lo, exec_lo, s30
	v_lshlrev_b32_e32 v12, 16, v15
	s_delay_alu instid0(VALU_DEP_1) | instskip(NEXT) | instid1(VALU_DEP_1)
	v_add_f32_e32 v96, s69, v12
	v_cmp_ge_f32_e32 vcc_lo, 0x41a00000, v96
	s_and_b32 s29, s80, vcc_lo
	s_delay_alu instid0(SALU_CYCLE_1)
	s_and_saveexec_b32 s30, s29
	s_cbranch_execz .LBB63_88
; %bb.87:                               ;   in Loop: Header=BB63_12 Depth=1
	v_mul_f32_e32 v12, 0x3fb8aa3b, v96
	v_cmp_ngt_f32_e32 vcc_lo, 0xc2ce8ed0, v96
	s_delay_alu instid0(VALU_DEP_2) | instskip(SKIP_1) | instid1(VALU_DEP_2)
	v_rndne_f32_e32 v13, v12
	v_fma_f32 v14, 0x3fb8aa3b, v96, -v12
	v_sub_f32_e32 v12, v12, v13
	s_delay_alu instid0(VALU_DEP_2) | instskip(SKIP_1) | instid1(VALU_DEP_2)
	v_fmac_f32_e32 v14, 0x32a5705f, v96
	v_cvt_i32_f32_e32 v13, v13
	v_add_f32_e32 v12, v12, v14
	s_delay_alu instid0(VALU_DEP_1) | instskip(SKIP_2) | instid1(VALU_DEP_1)
	v_exp_f32_e32 v12, v12
	s_waitcnt_depctr 0xfff
	v_ldexp_f32 v12, v12, v13
	v_cndmask_b32_e32 v12, 0, v12, vcc_lo
	v_cmp_nlt_f32_e32 vcc_lo, 0x42b17218, v96
	s_delay_alu instid0(VALU_DEP_2) | instskip(NEXT) | instid1(VALU_DEP_1)
	v_cndmask_b32_e32 v14, 0x7f800000, v12, vcc_lo
	v_add_f32_e32 v17, 1.0, v14
	s_delay_alu instid0(VALU_DEP_1) | instskip(NEXT) | instid1(VALU_DEP_1)
	v_cvt_f64_f32_e32 v[12:13], v17
	v_frexp_exp_i32_f64_e32 v12, v[12:13]
	v_frexp_mant_f32_e32 v13, v17
	s_delay_alu instid0(VALU_DEP_1) | instskip(SKIP_1) | instid1(VALU_DEP_1)
	v_cmp_gt_f32_e32 vcc_lo, 0x3f2aaaab, v13
	v_add_f32_e32 v13, -1.0, v17
	v_sub_f32_e32 v97, v13, v17
	s_delay_alu instid0(VALU_DEP_1) | instskip(SKIP_2) | instid1(VALU_DEP_2)
	v_add_f32_e32 v97, 1.0, v97
	v_sub_f32_e32 v13, v14, v13
	v_cmp_gt_f32_e64 s29, 0x33800000, v14
	v_add_f32_e32 v13, v13, v97
	v_subrev_co_ci_u32_e32 v12, vcc_lo, 0, v12, vcc_lo
	v_cmp_eq_f32_e32 vcc_lo, 0x7f800000, v14
	s_delay_alu instid0(VALU_DEP_2) | instskip(SKIP_2) | instid1(VALU_DEP_2)
	v_sub_nc_u32_e32 v96, 0, v12
	v_cvt_f32_i32_e32 v12, v12
	s_or_b32 vcc_lo, s29, vcc_lo
	v_ldexp_f32 v17, v17, v96
	v_ldexp_f32 v13, v13, v96
	s_delay_alu instid0(VALU_DEP_2) | instskip(NEXT) | instid1(VALU_DEP_1)
	v_add_f32_e32 v96, -1.0, v17
	v_dual_add_f32 v98, 1.0, v17 :: v_dual_add_f32 v99, 1.0, v96
	s_delay_alu instid0(VALU_DEP_1) | instskip(NEXT) | instid1(VALU_DEP_1)
	v_add_f32_e32 v97, -1.0, v98
	v_sub_f32_e32 v97, v17, v97
	s_delay_alu instid0(VALU_DEP_3) | instskip(NEXT) | instid1(VALU_DEP_2)
	v_sub_f32_e32 v17, v17, v99
	v_add_f32_e32 v97, v13, v97
	s_delay_alu instid0(VALU_DEP_2) | instskip(NEXT) | instid1(VALU_DEP_1)
	v_add_f32_e32 v13, v13, v17
	v_add_f32_e32 v100, v96, v13
	s_delay_alu instid0(VALU_DEP_1) | instskip(NEXT) | instid1(VALU_DEP_1)
	v_dual_sub_f32 v96, v96, v100 :: v_dual_add_f32 v99, v98, v97
	v_add_f32_e32 v13, v13, v96
	s_delay_alu instid0(VALU_DEP_2) | instskip(SKIP_1) | instid1(VALU_DEP_1)
	v_rcp_f32_e32 v17, v99
	v_sub_f32_e32 v98, v98, v99
	v_add_f32_e32 v97, v97, v98
	s_waitcnt_depctr 0xfff
	v_mul_f32_e32 v101, v100, v17
	s_delay_alu instid0(VALU_DEP_1) | instskip(NEXT) | instid1(VALU_DEP_1)
	v_mul_f32_e32 v102, v99, v101
	v_fma_f32 v98, v101, v99, -v102
	s_delay_alu instid0(VALU_DEP_1) | instskip(NEXT) | instid1(VALU_DEP_1)
	v_fmac_f32_e32 v98, v101, v97
	v_add_f32_e32 v103, v102, v98
	s_delay_alu instid0(VALU_DEP_1) | instskip(SKIP_1) | instid1(VALU_DEP_2)
	v_sub_f32_e32 v104, v100, v103
	v_sub_f32_e32 v96, v103, v102
	;; [unrolled: 1-line block ×3, first 2 shown]
	s_delay_alu instid0(VALU_DEP_1) | instskip(NEXT) | instid1(VALU_DEP_1)
	v_sub_f32_e32 v100, v100, v103
	v_dual_sub_f32 v96, v96, v98 :: v_dual_add_f32 v13, v13, v100
	s_delay_alu instid0(VALU_DEP_1) | instskip(NEXT) | instid1(VALU_DEP_1)
	v_add_f32_e32 v13, v96, v13
	v_add_f32_e32 v96, v104, v13
	s_delay_alu instid0(VALU_DEP_1) | instskip(NEXT) | instid1(VALU_DEP_1)
	v_mul_f32_e32 v98, v17, v96
	v_dual_sub_f32 v103, v104, v96 :: v_dual_mul_f32 v100, v99, v98
	s_delay_alu instid0(VALU_DEP_1) | instskip(NEXT) | instid1(VALU_DEP_2)
	v_add_f32_e32 v13, v13, v103
	v_fma_f32 v99, v98, v99, -v100
	s_delay_alu instid0(VALU_DEP_1) | instskip(NEXT) | instid1(VALU_DEP_1)
	v_fmac_f32_e32 v99, v98, v97
	v_add_f32_e32 v97, v100, v99
	s_delay_alu instid0(VALU_DEP_1) | instskip(NEXT) | instid1(VALU_DEP_1)
	v_sub_f32_e32 v102, v96, v97
	v_sub_f32_e32 v96, v96, v102
	s_delay_alu instid0(VALU_DEP_1) | instskip(NEXT) | instid1(VALU_DEP_1)
	v_sub_f32_e32 v96, v96, v97
	v_add_f32_e32 v13, v13, v96
	v_add_f32_e32 v96, v101, v98
	v_sub_f32_e32 v100, v97, v100
	s_delay_alu instid0(VALU_DEP_1) | instskip(NEXT) | instid1(VALU_DEP_1)
	v_sub_f32_e32 v97, v100, v99
	v_add_f32_e32 v13, v97, v13
	s_delay_alu instid0(VALU_DEP_4) | instskip(NEXT) | instid1(VALU_DEP_2)
	v_sub_f32_e32 v97, v96, v101
	v_add_f32_e32 v13, v102, v13
	s_delay_alu instid0(VALU_DEP_2) | instskip(NEXT) | instid1(VALU_DEP_2)
	v_sub_f32_e32 v97, v98, v97
	v_mul_f32_e32 v13, v17, v13
	s_delay_alu instid0(VALU_DEP_1) | instskip(NEXT) | instid1(VALU_DEP_1)
	v_add_f32_e32 v13, v97, v13
	v_add_f32_e32 v17, v96, v13
	s_delay_alu instid0(VALU_DEP_1) | instskip(NEXT) | instid1(VALU_DEP_1)
	v_mul_f32_e32 v97, v17, v17
	v_fmaak_f32 v98, s84, v97, 0x3ecc95a3
	v_mul_f32_e32 v99, v17, v97
	s_delay_alu instid0(VALU_DEP_2) | instskip(SKIP_1) | instid1(VALU_DEP_2)
	v_fmaak_f32 v97, v97, v98, 0x3f2aaada
	v_ldexp_f32 v98, v17, 1
	v_mul_f32_e32 v97, v99, v97
	s_delay_alu instid0(VALU_DEP_1) | instskip(NEXT) | instid1(VALU_DEP_1)
	v_dual_sub_f32 v17, v17, v96 :: v_dual_add_f32 v96, v98, v97
	v_sub_f32_e32 v13, v13, v17
	s_delay_alu instid0(VALU_DEP_2) | instskip(NEXT) | instid1(VALU_DEP_2)
	v_sub_f32_e32 v17, v96, v98
	v_ldexp_f32 v13, v13, 1
	s_delay_alu instid0(VALU_DEP_2) | instskip(SKIP_1) | instid1(VALU_DEP_1)
	v_sub_f32_e32 v17, v97, v17
	v_mul_f32_e32 v99, 0x3f317218, v12
	v_fma_f32 v98, 0x3f317218, v12, -v99
	s_delay_alu instid0(VALU_DEP_1) | instskip(NEXT) | instid1(VALU_DEP_1)
	v_fmac_f32_e32 v98, 0xb102e308, v12
	v_dual_add_f32 v12, v13, v17 :: v_dual_add_f32 v13, v99, v98
	s_delay_alu instid0(VALU_DEP_1) | instskip(NEXT) | instid1(VALU_DEP_1)
	v_add_f32_e32 v17, v96, v12
	v_add_f32_e32 v97, v13, v17
	v_sub_f32_e32 v96, v17, v96
	s_delay_alu instid0(VALU_DEP_2) | instskip(NEXT) | instid1(VALU_DEP_2)
	v_sub_f32_e32 v100, v97, v13
	v_dual_sub_f32 v12, v12, v96 :: v_dual_sub_f32 v99, v13, v99
	s_delay_alu instid0(VALU_DEP_2) | instskip(NEXT) | instid1(VALU_DEP_2)
	v_sub_f32_e32 v101, v97, v100
	v_dual_sub_f32 v17, v17, v100 :: v_dual_sub_f32 v98, v98, v99
	s_delay_alu instid0(VALU_DEP_1) | instskip(NEXT) | instid1(VALU_DEP_1)
	v_dual_sub_f32 v13, v13, v101 :: v_dual_add_f32 v96, v98, v12
	v_add_f32_e32 v13, v17, v13
	s_delay_alu instid0(VALU_DEP_2) | instskip(NEXT) | instid1(VALU_DEP_2)
	v_sub_f32_e32 v17, v96, v98
	v_add_f32_e32 v13, v96, v13
	s_delay_alu instid0(VALU_DEP_2) | instskip(SKIP_1) | instid1(VALU_DEP_2)
	v_sub_f32_e32 v96, v96, v17
	v_sub_f32_e32 v12, v12, v17
	v_dual_add_f32 v99, v97, v13 :: v_dual_sub_f32 v96, v98, v96
	s_delay_alu instid0(VALU_DEP_1) | instskip(NEXT) | instid1(VALU_DEP_1)
	v_dual_sub_f32 v17, v99, v97 :: v_dual_add_f32 v12, v12, v96
	v_sub_f32_e32 v13, v13, v17
	s_delay_alu instid0(VALU_DEP_1) | instskip(NEXT) | instid1(VALU_DEP_1)
	v_add_f32_e32 v12, v12, v13
	v_add_f32_e32 v12, v99, v12
	s_delay_alu instid0(VALU_DEP_1)
	v_cndmask_b32_e32 v96, v12, v14, vcc_lo
.LBB63_88:                              ;   in Loop: Header=BB63_12 Depth=1
	s_or_b32 exec_lo, exec_lo, s30
	v_and_b32_e32 v12, 0xffff0000, v15
	s_delay_alu instid0(VALU_DEP_1) | instskip(NEXT) | instid1(VALU_DEP_1)
	v_add_f32_e32 v97, s69, v12
	v_cmp_ge_f32_e32 vcc_lo, 0x41a00000, v97
	s_and_b32 s29, s80, vcc_lo
	s_delay_alu instid0(SALU_CYCLE_1)
	s_and_saveexec_b32 s30, s29
	s_cbranch_execz .LBB63_90
; %bb.89:                               ;   in Loop: Header=BB63_12 Depth=1
	v_mul_f32_e32 v12, 0x3fb8aa3b, v97
	v_cmp_ngt_f32_e32 vcc_lo, 0xc2ce8ed0, v97
	s_delay_alu instid0(VALU_DEP_2) | instskip(SKIP_1) | instid1(VALU_DEP_2)
	v_rndne_f32_e32 v13, v12
	v_fma_f32 v14, 0x3fb8aa3b, v97, -v12
	v_sub_f32_e32 v12, v12, v13
	s_delay_alu instid0(VALU_DEP_2) | instskip(SKIP_1) | instid1(VALU_DEP_2)
	v_fmac_f32_e32 v14, 0x32a5705f, v97
	v_cvt_i32_f32_e32 v13, v13
	v_add_f32_e32 v12, v12, v14
	s_delay_alu instid0(VALU_DEP_1) | instskip(SKIP_2) | instid1(VALU_DEP_1)
	v_exp_f32_e32 v12, v12
	s_waitcnt_depctr 0xfff
	v_ldexp_f32 v12, v12, v13
	v_cndmask_b32_e32 v12, 0, v12, vcc_lo
	v_cmp_nlt_f32_e32 vcc_lo, 0x42b17218, v97
	s_delay_alu instid0(VALU_DEP_2) | instskip(NEXT) | instid1(VALU_DEP_1)
	v_cndmask_b32_e32 v14, 0x7f800000, v12, vcc_lo
	v_add_f32_e32 v15, 1.0, v14
	s_delay_alu instid0(VALU_DEP_1) | instskip(NEXT) | instid1(VALU_DEP_1)
	v_cvt_f64_f32_e32 v[12:13], v15
	v_frexp_exp_i32_f64_e32 v12, v[12:13]
	v_frexp_mant_f32_e32 v13, v15
	s_delay_alu instid0(VALU_DEP_1) | instskip(SKIP_1) | instid1(VALU_DEP_1)
	v_cmp_gt_f32_e32 vcc_lo, 0x3f2aaaab, v13
	v_add_f32_e32 v13, -1.0, v15
	v_sub_f32_e32 v97, v13, v15
	v_sub_f32_e32 v13, v14, v13
	s_delay_alu instid0(VALU_DEP_2) | instskip(NEXT) | instid1(VALU_DEP_1)
	v_add_f32_e32 v97, 1.0, v97
	v_add_f32_e32 v13, v13, v97
	v_cmp_gt_f32_e64 s29, 0x33800000, v14
	v_subrev_co_ci_u32_e32 v12, vcc_lo, 0, v12, vcc_lo
	v_cmp_eq_f32_e32 vcc_lo, 0x7f800000, v14
	s_delay_alu instid0(VALU_DEP_2) | instskip(SKIP_2) | instid1(VALU_DEP_2)
	v_sub_nc_u32_e32 v17, 0, v12
	v_cvt_f32_i32_e32 v12, v12
	s_or_b32 vcc_lo, s29, vcc_lo
	v_ldexp_f32 v15, v15, v17
	v_ldexp_f32 v13, v13, v17
	s_delay_alu instid0(VALU_DEP_2) | instskip(SKIP_1) | instid1(VALU_DEP_2)
	v_add_f32_e32 v98, 1.0, v15
	v_add_f32_e32 v17, -1.0, v15
	v_add_f32_e32 v97, -1.0, v98
	s_delay_alu instid0(VALU_DEP_2) | instskip(NEXT) | instid1(VALU_DEP_2)
	v_add_f32_e32 v99, 1.0, v17
	v_sub_f32_e32 v97, v15, v97
	s_delay_alu instid0(VALU_DEP_2) | instskip(NEXT) | instid1(VALU_DEP_2)
	v_sub_f32_e32 v15, v15, v99
	v_add_f32_e32 v97, v13, v97
	s_delay_alu instid0(VALU_DEP_2) | instskip(NEXT) | instid1(VALU_DEP_1)
	v_add_f32_e32 v13, v13, v15
	v_add_f32_e32 v100, v17, v13
	s_delay_alu instid0(VALU_DEP_3) | instskip(NEXT) | instid1(VALU_DEP_1)
	v_add_f32_e32 v99, v98, v97
	v_rcp_f32_e32 v15, v99
	v_sub_f32_e32 v98, v98, v99
	s_delay_alu instid0(VALU_DEP_1) | instskip(SKIP_2) | instid1(VALU_DEP_1)
	v_add_f32_e32 v97, v97, v98
	s_waitcnt_depctr 0xfff
	v_mul_f32_e32 v101, v100, v15
	v_dual_mul_f32 v102, v99, v101 :: v_dual_sub_f32 v17, v17, v100
	s_delay_alu instid0(VALU_DEP_1) | instskip(NEXT) | instid1(VALU_DEP_2)
	v_fma_f32 v98, v101, v99, -v102
	v_add_f32_e32 v13, v13, v17
	s_delay_alu instid0(VALU_DEP_2) | instskip(NEXT) | instid1(VALU_DEP_1)
	v_fmac_f32_e32 v98, v101, v97
	v_add_f32_e32 v103, v102, v98
	s_delay_alu instid0(VALU_DEP_1) | instskip(NEXT) | instid1(VALU_DEP_1)
	v_dual_sub_f32 v104, v100, v103 :: v_dual_sub_f32 v17, v103, v102
	v_dual_sub_f32 v100, v100, v104 :: v_dual_sub_f32 v17, v17, v98
	s_delay_alu instid0(VALU_DEP_1) | instskip(NEXT) | instid1(VALU_DEP_1)
	v_sub_f32_e32 v100, v100, v103
	v_add_f32_e32 v13, v13, v100
	s_delay_alu instid0(VALU_DEP_1) | instskip(NEXT) | instid1(VALU_DEP_1)
	v_add_f32_e32 v13, v17, v13
	v_add_f32_e32 v17, v104, v13
	s_delay_alu instid0(VALU_DEP_1) | instskip(NEXT) | instid1(VALU_DEP_1)
	v_mul_f32_e32 v98, v15, v17
	v_dual_sub_f32 v103, v104, v17 :: v_dual_mul_f32 v100, v99, v98
	s_delay_alu instid0(VALU_DEP_1) | instskip(NEXT) | instid1(VALU_DEP_2)
	v_add_f32_e32 v13, v13, v103
	v_fma_f32 v99, v98, v99, -v100
	s_delay_alu instid0(VALU_DEP_1) | instskip(NEXT) | instid1(VALU_DEP_1)
	v_fmac_f32_e32 v99, v98, v97
	v_add_f32_e32 v97, v100, v99
	s_delay_alu instid0(VALU_DEP_1) | instskip(SKIP_1) | instid1(VALU_DEP_2)
	v_sub_f32_e32 v102, v17, v97
	v_sub_f32_e32 v100, v97, v100
	;; [unrolled: 1-line block ×3, first 2 shown]
	s_delay_alu instid0(VALU_DEP_1) | instskip(NEXT) | instid1(VALU_DEP_3)
	v_sub_f32_e32 v17, v17, v97
	v_sub_f32_e32 v97, v100, v99
	s_delay_alu instid0(VALU_DEP_2) | instskip(SKIP_1) | instid1(VALU_DEP_2)
	v_add_f32_e32 v13, v13, v17
	v_add_f32_e32 v17, v101, v98
	;; [unrolled: 1-line block ×3, first 2 shown]
	s_delay_alu instid0(VALU_DEP_2) | instskip(NEXT) | instid1(VALU_DEP_2)
	v_sub_f32_e32 v97, v17, v101
	v_add_f32_e32 v13, v102, v13
	s_delay_alu instid0(VALU_DEP_2) | instskip(NEXT) | instid1(VALU_DEP_2)
	v_sub_f32_e32 v97, v98, v97
	v_mul_f32_e32 v13, v15, v13
	s_delay_alu instid0(VALU_DEP_1) | instskip(NEXT) | instid1(VALU_DEP_1)
	v_add_f32_e32 v13, v97, v13
	v_add_f32_e32 v15, v17, v13
	s_delay_alu instid0(VALU_DEP_1) | instskip(NEXT) | instid1(VALU_DEP_1)
	v_mul_f32_e32 v97, v15, v15
	v_fmaak_f32 v98, s84, v97, 0x3ecc95a3
	v_mul_f32_e32 v99, v15, v97
	s_delay_alu instid0(VALU_DEP_2) | instskip(SKIP_2) | instid1(VALU_DEP_3)
	v_fmaak_f32 v97, v97, v98, 0x3f2aaada
	v_ldexp_f32 v98, v15, 1
	v_sub_f32_e32 v15, v15, v17
	v_mul_f32_e32 v97, v99, v97
	v_mul_f32_e32 v99, 0x3f317218, v12
	s_delay_alu instid0(VALU_DEP_3) | instskip(NEXT) | instid1(VALU_DEP_3)
	v_sub_f32_e32 v13, v13, v15
	v_add_f32_e32 v17, v98, v97
	s_delay_alu instid0(VALU_DEP_2) | instskip(NEXT) | instid1(VALU_DEP_2)
	v_ldexp_f32 v13, v13, 1
	v_sub_f32_e32 v15, v17, v98
	v_fma_f32 v98, 0x3f317218, v12, -v99
	s_delay_alu instid0(VALU_DEP_1) | instskip(NEXT) | instid1(VALU_DEP_1)
	v_dual_sub_f32 v15, v97, v15 :: v_dual_fmac_f32 v98, 0xb102e308, v12
	v_dual_add_f32 v12, v13, v15 :: v_dual_add_f32 v13, v99, v98
	s_delay_alu instid0(VALU_DEP_1) | instskip(NEXT) | instid1(VALU_DEP_1)
	v_add_f32_e32 v15, v17, v12
	v_add_f32_e32 v97, v13, v15
	v_sub_f32_e32 v17, v15, v17
	s_delay_alu instid0(VALU_DEP_2) | instskip(NEXT) | instid1(VALU_DEP_2)
	v_sub_f32_e32 v100, v97, v13
	v_dual_sub_f32 v99, v13, v99 :: v_dual_sub_f32 v12, v12, v17
	s_delay_alu instid0(VALU_DEP_1) | instskip(SKIP_1) | instid1(VALU_DEP_2)
	v_dual_sub_f32 v101, v97, v100 :: v_dual_sub_f32 v98, v98, v99
	v_sub_f32_e32 v15, v15, v100
	v_sub_f32_e32 v13, v13, v101
	s_delay_alu instid0(VALU_DEP_3) | instskip(NEXT) | instid1(VALU_DEP_2)
	v_add_f32_e32 v17, v98, v12
	v_add_f32_e32 v13, v15, v13
	s_delay_alu instid0(VALU_DEP_2) | instskip(NEXT) | instid1(VALU_DEP_2)
	v_sub_f32_e32 v15, v17, v98
	v_add_f32_e32 v13, v17, v13
	s_delay_alu instid0(VALU_DEP_2) | instskip(NEXT) | instid1(VALU_DEP_2)
	v_sub_f32_e32 v17, v17, v15
	v_dual_sub_f32 v12, v12, v15 :: v_dual_add_f32 v99, v97, v13
	s_delay_alu instid0(VALU_DEP_2) | instskip(NEXT) | instid1(VALU_DEP_2)
	v_sub_f32_e32 v17, v98, v17
	v_sub_f32_e32 v15, v99, v97
	s_delay_alu instid0(VALU_DEP_1) | instskip(NEXT) | instid1(VALU_DEP_1)
	v_dual_add_f32 v12, v12, v17 :: v_dual_sub_f32 v13, v13, v15
	v_add_f32_e32 v12, v12, v13
	s_delay_alu instid0(VALU_DEP_1) | instskip(NEXT) | instid1(VALU_DEP_1)
	v_add_f32_e32 v12, v99, v12
	v_cndmask_b32_e32 v97, v12, v14, vcc_lo
.LBB63_90:                              ;   in Loop: Header=BB63_12 Depth=1
	s_or_b32 exec_lo, exec_lo, s30
	s_waitcnt lgkmcnt(0)
	v_lshlrev_b32_e32 v12, 16, v8
	s_delay_alu instid0(VALU_DEP_1) | instskip(NEXT) | instid1(VALU_DEP_1)
	v_add_f32_e32 v98, s69, v12
	v_cmp_ge_f32_e32 vcc_lo, 0x41a00000, v98
	s_and_b32 s29, s80, vcc_lo
	s_delay_alu instid0(SALU_CYCLE_1)
	s_and_saveexec_b32 s30, s29
	s_cbranch_execz .LBB63_92
; %bb.91:                               ;   in Loop: Header=BB63_12 Depth=1
	v_mul_f32_e32 v12, 0x3fb8aa3b, v98
	v_cmp_ngt_f32_e32 vcc_lo, 0xc2ce8ed0, v98
	s_delay_alu instid0(VALU_DEP_2) | instskip(SKIP_1) | instid1(VALU_DEP_2)
	v_rndne_f32_e32 v13, v12
	v_fma_f32 v14, 0x3fb8aa3b, v98, -v12
	v_sub_f32_e32 v12, v12, v13
	s_delay_alu instid0(VALU_DEP_2) | instskip(SKIP_1) | instid1(VALU_DEP_2)
	v_fmac_f32_e32 v14, 0x32a5705f, v98
	v_cvt_i32_f32_e32 v13, v13
	v_add_f32_e32 v12, v12, v14
	s_delay_alu instid0(VALU_DEP_1) | instskip(SKIP_2) | instid1(VALU_DEP_1)
	v_exp_f32_e32 v12, v12
	s_waitcnt_depctr 0xfff
	v_ldexp_f32 v12, v12, v13
	v_cndmask_b32_e32 v12, 0, v12, vcc_lo
	v_cmp_nlt_f32_e32 vcc_lo, 0x42b17218, v98
	s_delay_alu instid0(VALU_DEP_2) | instskip(NEXT) | instid1(VALU_DEP_1)
	v_cndmask_b32_e32 v14, 0x7f800000, v12, vcc_lo
	v_add_f32_e32 v15, 1.0, v14
	s_delay_alu instid0(VALU_DEP_1) | instskip(NEXT) | instid1(VALU_DEP_1)
	v_cvt_f64_f32_e32 v[12:13], v15
	v_frexp_exp_i32_f64_e32 v12, v[12:13]
	v_frexp_mant_f32_e32 v13, v15
	s_delay_alu instid0(VALU_DEP_1) | instskip(SKIP_1) | instid1(VALU_DEP_1)
	v_cmp_gt_f32_e32 vcc_lo, 0x3f2aaaab, v13
	v_add_f32_e32 v13, -1.0, v15
	v_dual_sub_f32 v98, v13, v15 :: v_dual_sub_f32 v13, v14, v13
	s_delay_alu instid0(VALU_DEP_1) | instskip(NEXT) | instid1(VALU_DEP_1)
	v_add_f32_e32 v98, 1.0, v98
	v_add_f32_e32 v13, v13, v98
	v_subrev_co_ci_u32_e32 v12, vcc_lo, 0, v12, vcc_lo
	s_delay_alu instid0(VALU_DEP_1) | instskip(SKIP_1) | instid1(VALU_DEP_2)
	v_sub_nc_u32_e32 v17, 0, v12
	v_cvt_f32_i32_e32 v12, v12
	v_ldexp_f32 v15, v15, v17
	v_ldexp_f32 v13, v13, v17
	s_delay_alu instid0(VALU_DEP_2) | instskip(SKIP_3) | instid1(VALU_DEP_4)
	v_add_f32_e32 v99, 1.0, v15
	v_add_f32_e32 v17, -1.0, v15
	v_cmp_eq_f32_e32 vcc_lo, 0x7f800000, v14
	v_cmp_gt_f32_e64 s29, 0x33800000, v14
	v_add_f32_e32 v98, -1.0, v99
	s_delay_alu instid0(VALU_DEP_4) | instskip(NEXT) | instid1(VALU_DEP_3)
	v_add_f32_e32 v100, 1.0, v17
	s_or_b32 vcc_lo, s29, vcc_lo
	s_delay_alu instid0(VALU_DEP_2) | instskip(NEXT) | instid1(VALU_DEP_1)
	v_sub_f32_e32 v98, v15, v98
	v_dual_sub_f32 v15, v15, v100 :: v_dual_add_f32 v98, v13, v98
	s_delay_alu instid0(VALU_DEP_1) | instskip(NEXT) | instid1(VALU_DEP_1)
	v_add_f32_e32 v13, v13, v15
	v_dual_add_f32 v101, v17, v13 :: v_dual_add_f32 v100, v99, v98
	s_delay_alu instid0(VALU_DEP_1) | instskip(NEXT) | instid1(VALU_DEP_2)
	v_sub_f32_e32 v17, v17, v101
	v_rcp_f32_e32 v15, v100
	v_sub_f32_e32 v99, v99, v100
	s_delay_alu instid0(VALU_DEP_1) | instskip(SKIP_2) | instid1(VALU_DEP_1)
	v_dual_add_f32 v98, v98, v99 :: v_dual_add_f32 v13, v13, v17
	s_waitcnt_depctr 0xfff
	v_mul_f32_e32 v102, v101, v15
	v_mul_f32_e32 v103, v100, v102
	s_delay_alu instid0(VALU_DEP_1) | instskip(NEXT) | instid1(VALU_DEP_1)
	v_fma_f32 v99, v102, v100, -v103
	v_fmac_f32_e32 v99, v102, v98
	s_delay_alu instid0(VALU_DEP_1) | instskip(NEXT) | instid1(VALU_DEP_1)
	v_add_f32_e32 v104, v103, v99
	v_sub_f32_e32 v105, v101, v104
	s_delay_alu instid0(VALU_DEP_1) | instskip(SKIP_1) | instid1(VALU_DEP_2)
	v_sub_f32_e32 v101, v101, v105
	v_sub_f32_e32 v17, v104, v103
	;; [unrolled: 1-line block ×3, first 2 shown]
	s_delay_alu instid0(VALU_DEP_2) | instskip(NEXT) | instid1(VALU_DEP_2)
	v_sub_f32_e32 v17, v17, v99
	v_add_f32_e32 v13, v13, v101
	s_delay_alu instid0(VALU_DEP_1) | instskip(NEXT) | instid1(VALU_DEP_1)
	v_add_f32_e32 v13, v17, v13
	v_add_f32_e32 v17, v105, v13
	s_delay_alu instid0(VALU_DEP_1) | instskip(NEXT) | instid1(VALU_DEP_1)
	v_mul_f32_e32 v99, v15, v17
	v_dual_sub_f32 v104, v105, v17 :: v_dual_mul_f32 v101, v100, v99
	s_delay_alu instid0(VALU_DEP_1) | instskip(NEXT) | instid1(VALU_DEP_2)
	v_add_f32_e32 v13, v13, v104
	v_fma_f32 v100, v99, v100, -v101
	s_delay_alu instid0(VALU_DEP_1) | instskip(NEXT) | instid1(VALU_DEP_1)
	v_fmac_f32_e32 v100, v99, v98
	v_add_f32_e32 v98, v101, v100
	s_delay_alu instid0(VALU_DEP_1) | instskip(NEXT) | instid1(VALU_DEP_1)
	v_sub_f32_e32 v103, v17, v98
	v_sub_f32_e32 v17, v17, v103
	s_delay_alu instid0(VALU_DEP_1) | instskip(NEXT) | instid1(VALU_DEP_1)
	v_sub_f32_e32 v17, v17, v98
	v_add_f32_e32 v13, v13, v17
	v_add_f32_e32 v17, v102, v99
	v_sub_f32_e32 v101, v98, v101
	s_delay_alu instid0(VALU_DEP_1) | instskip(NEXT) | instid1(VALU_DEP_1)
	v_sub_f32_e32 v98, v101, v100
	v_dual_add_f32 v13, v98, v13 :: v_dual_sub_f32 v98, v17, v102
	s_delay_alu instid0(VALU_DEP_1) | instskip(NEXT) | instid1(VALU_DEP_2)
	v_add_f32_e32 v13, v103, v13
	v_sub_f32_e32 v98, v99, v98
	s_delay_alu instid0(VALU_DEP_2) | instskip(NEXT) | instid1(VALU_DEP_1)
	v_mul_f32_e32 v13, v15, v13
	v_add_f32_e32 v13, v98, v13
	s_delay_alu instid0(VALU_DEP_1) | instskip(NEXT) | instid1(VALU_DEP_1)
	v_add_f32_e32 v15, v17, v13
	v_mul_f32_e32 v98, v15, v15
	s_delay_alu instid0(VALU_DEP_1) | instskip(SKIP_1) | instid1(VALU_DEP_2)
	v_fmaak_f32 v99, s84, v98, 0x3ecc95a3
	v_mul_f32_e32 v100, v15, v98
	v_fmaak_f32 v98, v98, v99, 0x3f2aaada
	v_ldexp_f32 v99, v15, 1
	s_delay_alu instid0(VALU_DEP_2) | instskip(NEXT) | instid1(VALU_DEP_1)
	v_dual_sub_f32 v15, v15, v17 :: v_dual_mul_f32 v98, v100, v98
	v_dual_mul_f32 v100, 0x3f317218, v12 :: v_dual_sub_f32 v13, v13, v15
	s_delay_alu instid0(VALU_DEP_2) | instskip(NEXT) | instid1(VALU_DEP_2)
	v_add_f32_e32 v17, v99, v98
	v_ldexp_f32 v13, v13, 1
	s_delay_alu instid0(VALU_DEP_2) | instskip(NEXT) | instid1(VALU_DEP_4)
	v_sub_f32_e32 v15, v17, v99
	v_fma_f32 v99, 0x3f317218, v12, -v100
	s_delay_alu instid0(VALU_DEP_2) | instskip(NEXT) | instid1(VALU_DEP_1)
	v_sub_f32_e32 v15, v98, v15
	v_dual_fmac_f32 v99, 0xb102e308, v12 :: v_dual_add_f32 v12, v13, v15
	s_delay_alu instid0(VALU_DEP_1) | instskip(NEXT) | instid1(VALU_DEP_2)
	v_add_f32_e32 v13, v100, v99
	v_add_f32_e32 v15, v17, v12
	s_delay_alu instid0(VALU_DEP_2) | instskip(NEXT) | instid1(VALU_DEP_2)
	v_sub_f32_e32 v100, v13, v100
	v_dual_add_f32 v98, v13, v15 :: v_dual_sub_f32 v17, v15, v17
	s_delay_alu instid0(VALU_DEP_2) | instskip(NEXT) | instid1(VALU_DEP_2)
	v_sub_f32_e32 v99, v99, v100
	v_sub_f32_e32 v101, v98, v13
	s_delay_alu instid0(VALU_DEP_3) | instskip(NEXT) | instid1(VALU_DEP_2)
	v_sub_f32_e32 v12, v12, v17
	v_sub_f32_e32 v102, v98, v101
	v_sub_f32_e32 v15, v15, v101
	s_delay_alu instid0(VALU_DEP_3) | instskip(NEXT) | instid1(VALU_DEP_3)
	v_add_f32_e32 v17, v99, v12
	v_sub_f32_e32 v13, v13, v102
	s_delay_alu instid0(VALU_DEP_1) | instskip(NEXT) | instid1(VALU_DEP_3)
	v_add_f32_e32 v13, v15, v13
	v_sub_f32_e32 v15, v17, v99
	s_delay_alu instid0(VALU_DEP_2) | instskip(NEXT) | instid1(VALU_DEP_2)
	v_add_f32_e32 v13, v17, v13
	v_sub_f32_e32 v17, v17, v15
	v_sub_f32_e32 v12, v12, v15
	s_delay_alu instid0(VALU_DEP_3) | instskip(NEXT) | instid1(VALU_DEP_3)
	v_add_f32_e32 v100, v98, v13
	v_sub_f32_e32 v17, v99, v17
	s_delay_alu instid0(VALU_DEP_2) | instskip(NEXT) | instid1(VALU_DEP_1)
	v_sub_f32_e32 v15, v100, v98
	v_dual_add_f32 v12, v12, v17 :: v_dual_sub_f32 v13, v13, v15
	s_delay_alu instid0(VALU_DEP_1) | instskip(NEXT) | instid1(VALU_DEP_1)
	v_add_f32_e32 v12, v12, v13
	v_add_f32_e32 v12, v100, v12
	s_delay_alu instid0(VALU_DEP_1)
	v_cndmask_b32_e32 v98, v12, v14, vcc_lo
.LBB63_92:                              ;   in Loop: Header=BB63_12 Depth=1
	s_or_b32 exec_lo, exec_lo, s30
	v_and_b32_e32 v8, 0xffff0000, v8
	s_delay_alu instid0(VALU_DEP_1) | instskip(NEXT) | instid1(VALU_DEP_1)
	v_add_f32_e32 v99, s69, v8
	v_cmp_ge_f32_e32 vcc_lo, 0x41a00000, v99
	s_and_b32 s29, s80, vcc_lo
	s_delay_alu instid0(SALU_CYCLE_1)
	s_and_saveexec_b32 s30, s29
	s_cbranch_execz .LBB63_94
; %bb.93:                               ;   in Loop: Header=BB63_12 Depth=1
	v_mul_f32_e32 v8, 0x3fb8aa3b, v99
	v_cmp_ngt_f32_e32 vcc_lo, 0xc2ce8ed0, v99
	s_delay_alu instid0(VALU_DEP_2) | instskip(SKIP_1) | instid1(VALU_DEP_1)
	v_rndne_f32_e32 v12, v8
	v_fma_f32 v13, 0x3fb8aa3b, v99, -v8
	v_dual_sub_f32 v8, v8, v12 :: v_dual_fmac_f32 v13, 0x32a5705f, v99
	v_cvt_i32_f32_e32 v12, v12
	s_delay_alu instid0(VALU_DEP_2) | instskip(NEXT) | instid1(VALU_DEP_1)
	v_add_f32_e32 v8, v8, v13
	v_exp_f32_e32 v8, v8
	s_waitcnt_depctr 0xfff
	v_ldexp_f32 v8, v8, v12
	s_delay_alu instid0(VALU_DEP_1) | instskip(SKIP_1) | instid1(VALU_DEP_2)
	v_cndmask_b32_e32 v8, 0, v8, vcc_lo
	v_cmp_nlt_f32_e32 vcc_lo, 0x42b17218, v99
	v_cndmask_b32_e32 v8, 0x7f800000, v8, vcc_lo
	s_delay_alu instid0(VALU_DEP_1) | instskip(NEXT) | instid1(VALU_DEP_1)
	v_add_f32_e32 v14, 1.0, v8
	v_cvt_f64_f32_e32 v[12:13], v14
	s_delay_alu instid0(VALU_DEP_1) | instskip(SKIP_1) | instid1(VALU_DEP_1)
	v_frexp_exp_i32_f64_e32 v12, v[12:13]
	v_frexp_mant_f32_e32 v13, v14
	v_cmp_gt_f32_e32 vcc_lo, 0x3f2aaaab, v13
	v_add_f32_e32 v13, -1.0, v14
	s_delay_alu instid0(VALU_DEP_1) | instskip(NEXT) | instid1(VALU_DEP_1)
	v_sub_f32_e32 v17, v13, v14
	v_add_f32_e32 v17, 1.0, v17
	v_subrev_co_ci_u32_e32 v12, vcc_lo, 0, v12, vcc_lo
	s_delay_alu instid0(VALU_DEP_1) | instskip(SKIP_1) | instid1(VALU_DEP_2)
	v_sub_nc_u32_e32 v15, 0, v12
	v_cvt_f32_i32_e32 v12, v12
	v_ldexp_f32 v14, v14, v15
	s_delay_alu instid0(VALU_DEP_1) | instskip(SKIP_3) | instid1(VALU_DEP_3)
	v_add_f32_e32 v99, 1.0, v14
	v_sub_f32_e32 v13, v8, v13
	v_cmp_eq_f32_e32 vcc_lo, 0x7f800000, v8
	v_cmp_gt_f32_e64 s29, 0x33800000, v8
	v_add_f32_e32 v13, v13, v17
	s_delay_alu instid0(VALU_DEP_2) | instskip(NEXT) | instid1(VALU_DEP_1)
	s_or_b32 vcc_lo, s29, vcc_lo
	v_ldexp_f32 v13, v13, v15
	v_add_f32_e32 v15, -1.0, v14
	s_delay_alu instid0(VALU_DEP_1) | instskip(SKIP_1) | instid1(VALU_DEP_1)
	v_add_f32_e32 v100, 1.0, v15
	v_add_f32_e32 v17, -1.0, v99
	v_sub_f32_e32 v17, v14, v17
	s_delay_alu instid0(VALU_DEP_1) | instskip(NEXT) | instid1(VALU_DEP_1)
	v_dual_sub_f32 v14, v14, v100 :: v_dual_add_f32 v17, v13, v17
	v_add_f32_e32 v100, v99, v17
	s_delay_alu instid0(VALU_DEP_1) | instskip(NEXT) | instid1(VALU_DEP_1)
	v_sub_f32_e32 v99, v99, v100
	v_add_f32_e32 v17, v17, v99
	s_delay_alu instid0(VALU_DEP_4) | instskip(SKIP_1) | instid1(VALU_DEP_1)
	v_add_f32_e32 v13, v13, v14
	v_rcp_f32_e32 v14, v100
	v_add_f32_e32 v101, v15, v13
	s_waitcnt_depctr 0xfff
	v_dual_sub_f32 v15, v15, v101 :: v_dual_mul_f32 v102, v101, v14
	s_delay_alu instid0(VALU_DEP_1) | instskip(NEXT) | instid1(VALU_DEP_2)
	v_add_f32_e32 v13, v13, v15
	v_mul_f32_e32 v103, v100, v102
	s_delay_alu instid0(VALU_DEP_1) | instskip(NEXT) | instid1(VALU_DEP_1)
	v_fma_f32 v99, v102, v100, -v103
	v_fmac_f32_e32 v99, v102, v17
	s_delay_alu instid0(VALU_DEP_1) | instskip(NEXT) | instid1(VALU_DEP_1)
	v_add_f32_e32 v104, v103, v99
	v_sub_f32_e32 v105, v101, v104
	v_sub_f32_e32 v15, v104, v103
	s_delay_alu instid0(VALU_DEP_2) | instskip(NEXT) | instid1(VALU_DEP_2)
	v_sub_f32_e32 v101, v101, v105
	v_sub_f32_e32 v15, v15, v99
	s_delay_alu instid0(VALU_DEP_2) | instskip(NEXT) | instid1(VALU_DEP_1)
	v_sub_f32_e32 v101, v101, v104
	v_add_f32_e32 v13, v13, v101
	s_delay_alu instid0(VALU_DEP_1) | instskip(NEXT) | instid1(VALU_DEP_1)
	v_add_f32_e32 v13, v15, v13
	v_add_f32_e32 v15, v105, v13
	s_delay_alu instid0(VALU_DEP_1) | instskip(SKIP_1) | instid1(VALU_DEP_2)
	v_mul_f32_e32 v99, v14, v15
	v_sub_f32_e32 v104, v105, v15
	v_mul_f32_e32 v101, v100, v99
	s_delay_alu instid0(VALU_DEP_2) | instskip(NEXT) | instid1(VALU_DEP_2)
	v_add_f32_e32 v13, v13, v104
	v_fma_f32 v100, v99, v100, -v101
	s_delay_alu instid0(VALU_DEP_1) | instskip(NEXT) | instid1(VALU_DEP_1)
	v_fmac_f32_e32 v100, v99, v17
	v_add_f32_e32 v17, v101, v100
	s_delay_alu instid0(VALU_DEP_1) | instskip(SKIP_1) | instid1(VALU_DEP_2)
	v_sub_f32_e32 v103, v15, v17
	v_sub_f32_e32 v101, v17, v101
	;; [unrolled: 1-line block ×3, first 2 shown]
	s_delay_alu instid0(VALU_DEP_1) | instskip(NEXT) | instid1(VALU_DEP_3)
	v_sub_f32_e32 v15, v15, v17
	v_sub_f32_e32 v17, v101, v100
	s_delay_alu instid0(VALU_DEP_2) | instskip(SKIP_1) | instid1(VALU_DEP_2)
	v_add_f32_e32 v13, v13, v15
	v_add_f32_e32 v15, v102, v99
	;; [unrolled: 1-line block ×3, first 2 shown]
	s_delay_alu instid0(VALU_DEP_2) | instskip(NEXT) | instid1(VALU_DEP_2)
	v_sub_f32_e32 v17, v15, v102
	v_add_f32_e32 v13, v103, v13
	s_delay_alu instid0(VALU_DEP_2) | instskip(NEXT) | instid1(VALU_DEP_2)
	v_sub_f32_e32 v17, v99, v17
	v_mul_f32_e32 v13, v14, v13
	s_delay_alu instid0(VALU_DEP_1) | instskip(NEXT) | instid1(VALU_DEP_1)
	v_add_f32_e32 v13, v17, v13
	v_add_f32_e32 v14, v15, v13
	s_delay_alu instid0(VALU_DEP_1) | instskip(NEXT) | instid1(VALU_DEP_1)
	v_mul_f32_e32 v17, v14, v14
	v_fmaak_f32 v99, s84, v17, 0x3ecc95a3
	s_delay_alu instid0(VALU_DEP_1) | instskip(SKIP_1) | instid1(VALU_DEP_2)
	v_dual_mul_f32 v100, v14, v17 :: v_dual_fmaak_f32 v17, v17, v99, 0x3f2aaada
	v_ldexp_f32 v99, v14, 1
	v_dual_sub_f32 v14, v14, v15 :: v_dual_mul_f32 v17, v100, v17
	s_delay_alu instid0(VALU_DEP_1) | instskip(NEXT) | instid1(VALU_DEP_2)
	v_dual_mul_f32 v100, 0x3f317218, v12 :: v_dual_sub_f32 v13, v13, v14
	v_add_f32_e32 v15, v99, v17
	s_delay_alu instid0(VALU_DEP_2) | instskip(NEXT) | instid1(VALU_DEP_2)
	v_ldexp_f32 v13, v13, 1
	v_sub_f32_e32 v14, v15, v99
	s_delay_alu instid0(VALU_DEP_4) | instskip(NEXT) | instid1(VALU_DEP_1)
	v_fma_f32 v99, 0x3f317218, v12, -v100
	v_dual_sub_f32 v14, v17, v14 :: v_dual_fmac_f32 v99, 0xb102e308, v12
	s_delay_alu instid0(VALU_DEP_1) | instskip(NEXT) | instid1(VALU_DEP_1)
	v_dual_add_f32 v12, v13, v14 :: v_dual_add_f32 v13, v100, v99
	v_add_f32_e32 v14, v15, v12
	s_delay_alu instid0(VALU_DEP_2) | instskip(NEXT) | instid1(VALU_DEP_2)
	v_sub_f32_e32 v100, v13, v100
	v_add_f32_e32 v17, v13, v14
	v_sub_f32_e32 v15, v14, v15
	s_delay_alu instid0(VALU_DEP_3) | instskip(NEXT) | instid1(VALU_DEP_2)
	v_sub_f32_e32 v99, v99, v100
	v_dual_sub_f32 v101, v17, v13 :: v_dual_sub_f32 v12, v12, v15
	s_delay_alu instid0(VALU_DEP_1) | instskip(NEXT) | instid1(VALU_DEP_2)
	v_sub_f32_e32 v102, v17, v101
	v_dual_sub_f32 v14, v14, v101 :: v_dual_add_f32 v15, v99, v12
	s_delay_alu instid0(VALU_DEP_2) | instskip(NEXT) | instid1(VALU_DEP_1)
	v_sub_f32_e32 v13, v13, v102
	v_dual_add_f32 v13, v14, v13 :: v_dual_sub_f32 v14, v15, v99
	s_delay_alu instid0(VALU_DEP_1) | instskip(NEXT) | instid1(VALU_DEP_2)
	v_add_f32_e32 v13, v15, v13
	v_sub_f32_e32 v15, v15, v14
	v_sub_f32_e32 v12, v12, v14
	s_delay_alu instid0(VALU_DEP_2) | instskip(NEXT) | instid1(VALU_DEP_1)
	v_dual_add_f32 v100, v17, v13 :: v_dual_sub_f32 v15, v99, v15
	v_sub_f32_e32 v14, v100, v17
	s_delay_alu instid0(VALU_DEP_1) | instskip(NEXT) | instid1(VALU_DEP_1)
	v_dual_add_f32 v12, v12, v15 :: v_dual_sub_f32 v13, v13, v14
	v_add_f32_e32 v12, v12, v13
	s_delay_alu instid0(VALU_DEP_1) | instskip(NEXT) | instid1(VALU_DEP_1)
	v_add_f32_e32 v12, v100, v12
	v_cndmask_b32_e32 v99, v12, v8, vcc_lo
.LBB63_94:                              ;   in Loop: Header=BB63_12 Depth=1
	s_or_b32 exec_lo, exec_lo, s30
	v_lshlrev_b32_e32 v8, 16, v9
	s_delay_alu instid0(VALU_DEP_1) | instskip(NEXT) | instid1(VALU_DEP_1)
	v_add_f32_e32 v100, s69, v8
	v_cmp_ge_f32_e32 vcc_lo, 0x41a00000, v100
	s_and_b32 s29, s80, vcc_lo
	s_delay_alu instid0(SALU_CYCLE_1)
	s_and_saveexec_b32 s30, s29
	s_cbranch_execz .LBB63_96
; %bb.95:                               ;   in Loop: Header=BB63_12 Depth=1
	v_mul_f32_e32 v8, 0x3fb8aa3b, v100
	v_cmp_ngt_f32_e32 vcc_lo, 0xc2ce8ed0, v100
	s_delay_alu instid0(VALU_DEP_2) | instskip(SKIP_1) | instid1(VALU_DEP_2)
	v_rndne_f32_e32 v12, v8
	v_fma_f32 v13, 0x3fb8aa3b, v100, -v8
	v_sub_f32_e32 v8, v8, v12
	s_delay_alu instid0(VALU_DEP_2) | instskip(SKIP_1) | instid1(VALU_DEP_2)
	v_fmac_f32_e32 v13, 0x32a5705f, v100
	v_cvt_i32_f32_e32 v12, v12
	v_add_f32_e32 v8, v8, v13
	s_delay_alu instid0(VALU_DEP_1) | instskip(SKIP_2) | instid1(VALU_DEP_1)
	v_exp_f32_e32 v8, v8
	s_waitcnt_depctr 0xfff
	v_ldexp_f32 v8, v8, v12
	v_cndmask_b32_e32 v8, 0, v8, vcc_lo
	v_cmp_nlt_f32_e32 vcc_lo, 0x42b17218, v100
	s_delay_alu instid0(VALU_DEP_2) | instskip(NEXT) | instid1(VALU_DEP_1)
	v_cndmask_b32_e32 v8, 0x7f800000, v8, vcc_lo
	v_add_f32_e32 v14, 1.0, v8
	s_delay_alu instid0(VALU_DEP_1) | instskip(NEXT) | instid1(VALU_DEP_1)
	v_cvt_f64_f32_e32 v[12:13], v14
	v_frexp_exp_i32_f64_e32 v12, v[12:13]
	v_frexp_mant_f32_e32 v13, v14
	s_delay_alu instid0(VALU_DEP_1) | instskip(SKIP_1) | instid1(VALU_DEP_1)
	v_cmp_gt_f32_e32 vcc_lo, 0x3f2aaaab, v13
	v_add_f32_e32 v13, -1.0, v14
	v_sub_f32_e32 v17, v13, v14
	v_sub_f32_e32 v13, v8, v13
	s_delay_alu instid0(VALU_DEP_2) | instskip(NEXT) | instid1(VALU_DEP_1)
	v_add_f32_e32 v17, 1.0, v17
	v_add_f32_e32 v13, v13, v17
	v_cmp_gt_f32_e64 s29, 0x33800000, v8
	v_subrev_co_ci_u32_e32 v12, vcc_lo, 0, v12, vcc_lo
	v_cmp_eq_f32_e32 vcc_lo, 0x7f800000, v8
	s_delay_alu instid0(VALU_DEP_2) | instskip(SKIP_2) | instid1(VALU_DEP_2)
	v_sub_nc_u32_e32 v15, 0, v12
	v_cvt_f32_i32_e32 v12, v12
	s_or_b32 vcc_lo, s29, vcc_lo
	v_ldexp_f32 v14, v14, v15
	v_ldexp_f32 v13, v13, v15
	s_delay_alu instid0(VALU_DEP_2) | instskip(SKIP_1) | instid1(VALU_DEP_2)
	v_add_f32_e32 v100, 1.0, v14
	v_add_f32_e32 v15, -1.0, v14
	v_add_f32_e32 v17, -1.0, v100
	s_delay_alu instid0(VALU_DEP_2) | instskip(NEXT) | instid1(VALU_DEP_2)
	v_add_f32_e32 v101, 1.0, v15
	v_sub_f32_e32 v17, v14, v17
	s_delay_alu instid0(VALU_DEP_2) | instskip(NEXT) | instid1(VALU_DEP_2)
	v_sub_f32_e32 v14, v14, v101
	v_add_f32_e32 v17, v13, v17
	s_delay_alu instid0(VALU_DEP_1) | instskip(NEXT) | instid1(VALU_DEP_1)
	v_add_f32_e32 v101, v100, v17
	v_dual_add_f32 v13, v13, v14 :: v_dual_sub_f32 v100, v100, v101
	v_rcp_f32_e32 v14, v101
	s_delay_alu instid0(VALU_DEP_1) | instskip(NEXT) | instid1(VALU_DEP_1)
	v_dual_add_f32 v102, v15, v13 :: v_dual_add_f32 v17, v17, v100
	v_sub_f32_e32 v15, v15, v102
	s_waitcnt_depctr 0xfff
	v_mul_f32_e32 v103, v102, v14
	v_add_f32_e32 v13, v13, v15
	s_delay_alu instid0(VALU_DEP_2) | instskip(NEXT) | instid1(VALU_DEP_1)
	v_mul_f32_e32 v104, v101, v103
	v_fma_f32 v100, v103, v101, -v104
	s_delay_alu instid0(VALU_DEP_1) | instskip(NEXT) | instid1(VALU_DEP_1)
	v_fmac_f32_e32 v100, v103, v17
	v_add_f32_e32 v105, v104, v100
	s_delay_alu instid0(VALU_DEP_1) | instskip(NEXT) | instid1(VALU_DEP_1)
	v_dual_sub_f32 v106, v102, v105 :: v_dual_sub_f32 v15, v105, v104
	v_dual_sub_f32 v102, v102, v106 :: v_dual_sub_f32 v15, v15, v100
	s_delay_alu instid0(VALU_DEP_1) | instskip(NEXT) | instid1(VALU_DEP_1)
	v_sub_f32_e32 v102, v102, v105
	v_add_f32_e32 v13, v13, v102
	s_delay_alu instid0(VALU_DEP_1) | instskip(NEXT) | instid1(VALU_DEP_1)
	v_add_f32_e32 v13, v15, v13
	v_add_f32_e32 v15, v106, v13
	s_delay_alu instid0(VALU_DEP_1) | instskip(NEXT) | instid1(VALU_DEP_1)
	v_mul_f32_e32 v100, v14, v15
	v_dual_sub_f32 v105, v106, v15 :: v_dual_mul_f32 v102, v101, v100
	s_delay_alu instid0(VALU_DEP_1) | instskip(NEXT) | instid1(VALU_DEP_2)
	v_add_f32_e32 v13, v13, v105
	v_fma_f32 v101, v100, v101, -v102
	s_delay_alu instid0(VALU_DEP_1) | instskip(NEXT) | instid1(VALU_DEP_1)
	v_fmac_f32_e32 v101, v100, v17
	v_add_f32_e32 v17, v102, v101
	s_delay_alu instid0(VALU_DEP_1) | instskip(NEXT) | instid1(VALU_DEP_1)
	v_sub_f32_e32 v104, v15, v17
	v_dual_sub_f32 v102, v17, v102 :: v_dual_sub_f32 v15, v15, v104
	s_delay_alu instid0(VALU_DEP_1) | instskip(NEXT) | instid1(VALU_DEP_2)
	v_sub_f32_e32 v15, v15, v17
	v_sub_f32_e32 v17, v102, v101
	s_delay_alu instid0(VALU_DEP_2) | instskip(SKIP_1) | instid1(VALU_DEP_2)
	v_add_f32_e32 v13, v13, v15
	v_add_f32_e32 v15, v103, v100
	;; [unrolled: 1-line block ×3, first 2 shown]
	s_delay_alu instid0(VALU_DEP_2) | instskip(NEXT) | instid1(VALU_DEP_2)
	v_sub_f32_e32 v17, v15, v103
	v_add_f32_e32 v13, v104, v13
	s_delay_alu instid0(VALU_DEP_2) | instskip(NEXT) | instid1(VALU_DEP_2)
	v_sub_f32_e32 v17, v100, v17
	v_mul_f32_e32 v13, v14, v13
	s_delay_alu instid0(VALU_DEP_1) | instskip(NEXT) | instid1(VALU_DEP_1)
	v_add_f32_e32 v13, v17, v13
	v_add_f32_e32 v14, v15, v13
	s_delay_alu instid0(VALU_DEP_1) | instskip(NEXT) | instid1(VALU_DEP_1)
	v_mul_f32_e32 v17, v14, v14
	v_fmaak_f32 v100, s84, v17, 0x3ecc95a3
	v_mul_f32_e32 v101, v14, v17
	s_delay_alu instid0(VALU_DEP_2) | instskip(SKIP_1) | instid1(VALU_DEP_2)
	v_fmaak_f32 v17, v17, v100, 0x3f2aaada
	v_ldexp_f32 v100, v14, 1
	v_dual_sub_f32 v14, v14, v15 :: v_dual_mul_f32 v17, v101, v17
	v_mul_f32_e32 v101, 0x3f317218, v12
	s_delay_alu instid0(VALU_DEP_2) | instskip(NEXT) | instid1(VALU_DEP_3)
	v_sub_f32_e32 v13, v13, v14
	v_add_f32_e32 v15, v100, v17
	s_delay_alu instid0(VALU_DEP_2) | instskip(NEXT) | instid1(VALU_DEP_2)
	v_ldexp_f32 v13, v13, 1
	v_sub_f32_e32 v14, v15, v100
	v_fma_f32 v100, 0x3f317218, v12, -v101
	s_delay_alu instid0(VALU_DEP_2) | instskip(NEXT) | instid1(VALU_DEP_2)
	v_sub_f32_e32 v14, v17, v14
	v_fmac_f32_e32 v100, 0xb102e308, v12
	s_delay_alu instid0(VALU_DEP_2) | instskip(NEXT) | instid1(VALU_DEP_2)
	v_add_f32_e32 v12, v13, v14
	v_add_f32_e32 v13, v101, v100
	s_delay_alu instid0(VALU_DEP_1) | instskip(NEXT) | instid1(VALU_DEP_1)
	v_dual_add_f32 v14, v15, v12 :: v_dual_sub_f32 v101, v13, v101
	v_add_f32_e32 v17, v13, v14
	s_delay_alu instid0(VALU_DEP_2) | instskip(NEXT) | instid1(VALU_DEP_2)
	v_dual_sub_f32 v15, v14, v15 :: v_dual_sub_f32 v100, v100, v101
	v_sub_f32_e32 v102, v17, v13
	s_delay_alu instid0(VALU_DEP_1) | instskip(NEXT) | instid1(VALU_DEP_1)
	v_dual_sub_f32 v12, v12, v15 :: v_dual_sub_f32 v103, v17, v102
	v_dual_sub_f32 v14, v14, v102 :: v_dual_add_f32 v15, v100, v12
	s_delay_alu instid0(VALU_DEP_2) | instskip(NEXT) | instid1(VALU_DEP_1)
	v_sub_f32_e32 v13, v13, v103
	v_dual_add_f32 v13, v14, v13 :: v_dual_sub_f32 v14, v15, v100
	s_delay_alu instid0(VALU_DEP_1) | instskip(NEXT) | instid1(VALU_DEP_2)
	v_add_f32_e32 v13, v15, v13
	v_sub_f32_e32 v15, v15, v14
	s_delay_alu instid0(VALU_DEP_2) | instskip(NEXT) | instid1(VALU_DEP_1)
	v_dual_sub_f32 v12, v12, v14 :: v_dual_add_f32 v101, v17, v13
	v_dual_sub_f32 v15, v100, v15 :: v_dual_sub_f32 v14, v101, v17
	s_delay_alu instid0(VALU_DEP_1) | instskip(NEXT) | instid1(VALU_DEP_1)
	v_dual_add_f32 v12, v12, v15 :: v_dual_sub_f32 v13, v13, v14
	v_add_f32_e32 v12, v12, v13
	s_delay_alu instid0(VALU_DEP_1) | instskip(NEXT) | instid1(VALU_DEP_1)
	v_add_f32_e32 v12, v101, v12
	v_cndmask_b32_e32 v100, v12, v8, vcc_lo
.LBB63_96:                              ;   in Loop: Header=BB63_12 Depth=1
	s_or_b32 exec_lo, exec_lo, s30
	v_and_b32_e32 v8, 0xffff0000, v9
	s_delay_alu instid0(VALU_DEP_1) | instskip(NEXT) | instid1(VALU_DEP_1)
	v_add_f32_e32 v101, s69, v8
	v_cmp_ge_f32_e32 vcc_lo, 0x41a00000, v101
	s_and_b32 s29, s80, vcc_lo
	s_delay_alu instid0(SALU_CYCLE_1)
	s_and_saveexec_b32 s30, s29
	s_cbranch_execz .LBB63_98
; %bb.97:                               ;   in Loop: Header=BB63_12 Depth=1
	v_mul_f32_e32 v8, 0x3fb8aa3b, v101
	v_cmp_ngt_f32_e32 vcc_lo, 0xc2ce8ed0, v101
	s_delay_alu instid0(VALU_DEP_2) | instskip(SKIP_1) | instid1(VALU_DEP_2)
	v_rndne_f32_e32 v9, v8
	v_fma_f32 v12, 0x3fb8aa3b, v101, -v8
	v_sub_f32_e32 v8, v8, v9
	s_delay_alu instid0(VALU_DEP_2) | instskip(SKIP_1) | instid1(VALU_DEP_2)
	v_fmac_f32_e32 v12, 0x32a5705f, v101
	v_cvt_i32_f32_e32 v9, v9
	v_add_f32_e32 v8, v8, v12
	s_delay_alu instid0(VALU_DEP_1) | instskip(SKIP_2) | instid1(VALU_DEP_1)
	v_exp_f32_e32 v8, v8
	s_waitcnt_depctr 0xfff
	v_ldexp_f32 v8, v8, v9
	v_cndmask_b32_e32 v8, 0, v8, vcc_lo
	v_cmp_nlt_f32_e32 vcc_lo, 0x42b17218, v101
	s_delay_alu instid0(VALU_DEP_2) | instskip(NEXT) | instid1(VALU_DEP_1)
	v_cndmask_b32_e32 v12, 0x7f800000, v8, vcc_lo
	v_add_f32_e32 v13, 1.0, v12
	s_delay_alu instid0(VALU_DEP_1) | instskip(NEXT) | instid1(VALU_DEP_1)
	v_cvt_f64_f32_e32 v[8:9], v13
	v_frexp_exp_i32_f64_e32 v8, v[8:9]
	v_frexp_mant_f32_e32 v9, v13
	s_delay_alu instid0(VALU_DEP_1) | instskip(SKIP_1) | instid1(VALU_DEP_1)
	v_cmp_gt_f32_e32 vcc_lo, 0x3f2aaaab, v9
	v_add_f32_e32 v9, -1.0, v13
	v_sub_f32_e32 v15, v9, v13
	s_delay_alu instid0(VALU_DEP_1) | instskip(SKIP_1) | instid1(VALU_DEP_1)
	v_add_f32_e32 v15, 1.0, v15
	v_subrev_co_ci_u32_e32 v8, vcc_lo, 0, v8, vcc_lo
	v_sub_nc_u32_e32 v14, 0, v8
	v_cvt_f32_i32_e32 v8, v8
	s_delay_alu instid0(VALU_DEP_2) | instskip(NEXT) | instid1(VALU_DEP_1)
	v_ldexp_f32 v13, v13, v14
	v_add_f32_e32 v17, 1.0, v13
	v_sub_f32_e32 v9, v12, v9
	v_cmp_eq_f32_e32 vcc_lo, 0x7f800000, v12
	v_cmp_gt_f32_e64 s29, 0x33800000, v12
	s_delay_alu instid0(VALU_DEP_3) | instskip(NEXT) | instid1(VALU_DEP_2)
	v_add_f32_e32 v9, v9, v15
	s_or_b32 vcc_lo, s29, vcc_lo
	s_delay_alu instid0(VALU_DEP_1) | instskip(SKIP_2) | instid1(VALU_DEP_1)
	v_ldexp_f32 v9, v9, v14
	v_add_f32_e32 v14, -1.0, v13
	v_add_f32_e32 v15, -1.0, v17
	v_sub_f32_e32 v15, v13, v15
	s_delay_alu instid0(VALU_DEP_3) | instskip(NEXT) | instid1(VALU_DEP_2)
	v_add_f32_e32 v101, 1.0, v14
	v_add_f32_e32 v15, v9, v15
	s_delay_alu instid0(VALU_DEP_2) | instskip(NEXT) | instid1(VALU_DEP_2)
	v_sub_f32_e32 v13, v13, v101
	v_add_f32_e32 v101, v17, v15
	s_delay_alu instid0(VALU_DEP_2) | instskip(NEXT) | instid1(VALU_DEP_2)
	v_add_f32_e32 v9, v9, v13
	v_rcp_f32_e32 v13, v101
	s_delay_alu instid0(VALU_DEP_1) | instskip(NEXT) | instid1(VALU_DEP_1)
	v_add_f32_e32 v102, v14, v9
	v_dual_sub_f32 v17, v17, v101 :: v_dual_sub_f32 v14, v14, v102
	s_delay_alu instid0(VALU_DEP_1) | instskip(SKIP_2) | instid1(VALU_DEP_1)
	v_add_f32_e32 v15, v15, v17
	s_waitcnt_depctr 0xfff
	v_mul_f32_e32 v103, v102, v13
	v_mul_f32_e32 v104, v101, v103
	s_delay_alu instid0(VALU_DEP_1) | instskip(NEXT) | instid1(VALU_DEP_1)
	v_fma_f32 v17, v103, v101, -v104
	v_fmac_f32_e32 v17, v103, v15
	v_add_f32_e32 v9, v9, v14
	s_delay_alu instid0(VALU_DEP_2) | instskip(NEXT) | instid1(VALU_DEP_1)
	v_add_f32_e32 v105, v104, v17
	v_sub_f32_e32 v106, v102, v105
	v_sub_f32_e32 v14, v105, v104
	s_delay_alu instid0(VALU_DEP_2) | instskip(NEXT) | instid1(VALU_DEP_2)
	v_sub_f32_e32 v102, v102, v106
	v_sub_f32_e32 v14, v14, v17
	s_delay_alu instid0(VALU_DEP_2) | instskip(NEXT) | instid1(VALU_DEP_1)
	v_sub_f32_e32 v102, v102, v105
	v_add_f32_e32 v9, v9, v102
	s_delay_alu instid0(VALU_DEP_1) | instskip(NEXT) | instid1(VALU_DEP_1)
	v_add_f32_e32 v9, v14, v9
	v_add_f32_e32 v14, v106, v9
	s_delay_alu instid0(VALU_DEP_1) | instskip(NEXT) | instid1(VALU_DEP_1)
	v_mul_f32_e32 v17, v13, v14
	v_dual_sub_f32 v105, v106, v14 :: v_dual_mul_f32 v102, v101, v17
	s_delay_alu instid0(VALU_DEP_1) | instskip(NEXT) | instid1(VALU_DEP_2)
	v_add_f32_e32 v9, v9, v105
	v_fma_f32 v101, v17, v101, -v102
	s_delay_alu instid0(VALU_DEP_1) | instskip(NEXT) | instid1(VALU_DEP_1)
	v_fmac_f32_e32 v101, v17, v15
	v_add_f32_e32 v15, v102, v101
	s_delay_alu instid0(VALU_DEP_1) | instskip(SKIP_1) | instid1(VALU_DEP_2)
	v_sub_f32_e32 v104, v14, v15
	v_sub_f32_e32 v102, v15, v102
	;; [unrolled: 1-line block ×3, first 2 shown]
	s_delay_alu instid0(VALU_DEP_1) | instskip(NEXT) | instid1(VALU_DEP_1)
	v_sub_f32_e32 v14, v14, v15
	v_dual_add_f32 v9, v9, v14 :: v_dual_add_f32 v14, v103, v17
	s_delay_alu instid0(VALU_DEP_4) | instskip(NEXT) | instid1(VALU_DEP_1)
	v_sub_f32_e32 v15, v102, v101
	v_add_f32_e32 v9, v15, v9
	s_delay_alu instid0(VALU_DEP_3) | instskip(NEXT) | instid1(VALU_DEP_2)
	v_sub_f32_e32 v15, v14, v103
	v_add_f32_e32 v9, v104, v9
	s_delay_alu instid0(VALU_DEP_2) | instskip(NEXT) | instid1(VALU_DEP_2)
	v_sub_f32_e32 v15, v17, v15
	v_mul_f32_e32 v9, v13, v9
	s_delay_alu instid0(VALU_DEP_1) | instskip(NEXT) | instid1(VALU_DEP_1)
	v_add_f32_e32 v9, v15, v9
	v_add_f32_e32 v13, v14, v9
	s_delay_alu instid0(VALU_DEP_1) | instskip(NEXT) | instid1(VALU_DEP_1)
	v_mul_f32_e32 v15, v13, v13
	v_fmaak_f32 v17, s84, v15, 0x3ecc95a3
	v_mul_f32_e32 v101, v13, v15
	s_delay_alu instid0(VALU_DEP_2) | instskip(SKIP_2) | instid1(VALU_DEP_3)
	v_fmaak_f32 v15, v15, v17, 0x3f2aaada
	v_ldexp_f32 v17, v13, 1
	v_sub_f32_e32 v13, v13, v14
	v_mul_f32_e32 v15, v101, v15
	v_mul_f32_e32 v101, 0x3f317218, v8
	s_delay_alu instid0(VALU_DEP_3) | instskip(NEXT) | instid1(VALU_DEP_3)
	v_sub_f32_e32 v9, v9, v13
	v_add_f32_e32 v14, v17, v15
	s_delay_alu instid0(VALU_DEP_2) | instskip(NEXT) | instid1(VALU_DEP_2)
	v_ldexp_f32 v9, v9, 1
	v_sub_f32_e32 v13, v14, v17
	v_fma_f32 v17, 0x3f317218, v8, -v101
	s_delay_alu instid0(VALU_DEP_2) | instskip(NEXT) | instid1(VALU_DEP_1)
	v_sub_f32_e32 v13, v15, v13
	v_dual_fmac_f32 v17, 0xb102e308, v8 :: v_dual_add_f32 v8, v9, v13
	s_delay_alu instid0(VALU_DEP_1) | instskip(NEXT) | instid1(VALU_DEP_2)
	v_add_f32_e32 v9, v101, v17
	v_add_f32_e32 v13, v14, v8
	s_delay_alu instid0(VALU_DEP_2) | instskip(NEXT) | instid1(VALU_DEP_2)
	v_sub_f32_e32 v101, v9, v101
	v_add_f32_e32 v15, v9, v13
	v_sub_f32_e32 v14, v13, v14
	s_delay_alu instid0(VALU_DEP_3) | instskip(NEXT) | instid1(VALU_DEP_3)
	v_sub_f32_e32 v17, v17, v101
	v_sub_f32_e32 v102, v15, v9
	s_delay_alu instid0(VALU_DEP_3) | instskip(NEXT) | instid1(VALU_DEP_2)
	v_sub_f32_e32 v8, v8, v14
	v_sub_f32_e32 v103, v15, v102
	;; [unrolled: 1-line block ×3, first 2 shown]
	s_delay_alu instid0(VALU_DEP_3) | instskip(NEXT) | instid1(VALU_DEP_3)
	v_add_f32_e32 v14, v17, v8
	v_sub_f32_e32 v9, v9, v103
	s_delay_alu instid0(VALU_DEP_1) | instskip(NEXT) | instid1(VALU_DEP_3)
	v_add_f32_e32 v9, v13, v9
	v_sub_f32_e32 v13, v14, v17
	s_delay_alu instid0(VALU_DEP_2) | instskip(NEXT) | instid1(VALU_DEP_2)
	v_add_f32_e32 v9, v14, v9
	v_sub_f32_e32 v14, v14, v13
	v_sub_f32_e32 v8, v8, v13
	s_delay_alu instid0(VALU_DEP_2) | instskip(NEXT) | instid1(VALU_DEP_1)
	v_dual_add_f32 v101, v15, v9 :: v_dual_sub_f32 v14, v17, v14
	v_dual_sub_f32 v13, v101, v15 :: v_dual_add_f32 v8, v8, v14
	s_delay_alu instid0(VALU_DEP_1) | instskip(NEXT) | instid1(VALU_DEP_1)
	v_sub_f32_e32 v9, v9, v13
	v_add_f32_e32 v8, v8, v9
	s_delay_alu instid0(VALU_DEP_1) | instskip(NEXT) | instid1(VALU_DEP_1)
	v_add_f32_e32 v8, v101, v8
	v_cndmask_b32_e32 v101, v8, v12, vcc_lo
.LBB63_98:                              ;   in Loop: Header=BB63_12 Depth=1
	s_or_b32 exec_lo, exec_lo, s30
	v_lshlrev_b32_e32 v8, 16, v10
	s_delay_alu instid0(VALU_DEP_1) | instskip(NEXT) | instid1(VALU_DEP_1)
	v_add_f32_e32 v102, s69, v8
	v_cmp_ge_f32_e32 vcc_lo, 0x41a00000, v102
	s_and_b32 s29, s80, vcc_lo
	s_delay_alu instid0(SALU_CYCLE_1)
	s_and_saveexec_b32 s30, s29
	s_cbranch_execz .LBB63_100
; %bb.99:                               ;   in Loop: Header=BB63_12 Depth=1
	v_mul_f32_e32 v8, 0x3fb8aa3b, v102
	v_cmp_ngt_f32_e32 vcc_lo, 0xc2ce8ed0, v102
	s_delay_alu instid0(VALU_DEP_2) | instskip(SKIP_1) | instid1(VALU_DEP_2)
	v_rndne_f32_e32 v9, v8
	v_fma_f32 v12, 0x3fb8aa3b, v102, -v8
	v_sub_f32_e32 v8, v8, v9
	s_delay_alu instid0(VALU_DEP_2) | instskip(SKIP_1) | instid1(VALU_DEP_2)
	v_fmac_f32_e32 v12, 0x32a5705f, v102
	v_cvt_i32_f32_e32 v9, v9
	v_add_f32_e32 v8, v8, v12
	s_delay_alu instid0(VALU_DEP_1) | instskip(SKIP_2) | instid1(VALU_DEP_1)
	v_exp_f32_e32 v8, v8
	s_waitcnt_depctr 0xfff
	v_ldexp_f32 v8, v8, v9
	v_cndmask_b32_e32 v8, 0, v8, vcc_lo
	v_cmp_nlt_f32_e32 vcc_lo, 0x42b17218, v102
	s_delay_alu instid0(VALU_DEP_2) | instskip(NEXT) | instid1(VALU_DEP_1)
	v_cndmask_b32_e32 v12, 0x7f800000, v8, vcc_lo
	v_add_f32_e32 v13, 1.0, v12
	s_delay_alu instid0(VALU_DEP_1) | instskip(NEXT) | instid1(VALU_DEP_1)
	v_cvt_f64_f32_e32 v[8:9], v13
	v_frexp_exp_i32_f64_e32 v8, v[8:9]
	v_frexp_mant_f32_e32 v9, v13
	s_delay_alu instid0(VALU_DEP_1) | instskip(SKIP_1) | instid1(VALU_DEP_1)
	v_cmp_gt_f32_e32 vcc_lo, 0x3f2aaaab, v9
	v_add_f32_e32 v9, -1.0, v13
	v_sub_f32_e32 v15, v9, v13
	s_delay_alu instid0(VALU_DEP_1) | instskip(SKIP_1) | instid1(VALU_DEP_1)
	v_add_f32_e32 v15, 1.0, v15
	v_subrev_co_ci_u32_e32 v8, vcc_lo, 0, v8, vcc_lo
	v_sub_nc_u32_e32 v14, 0, v8
	v_cvt_f32_i32_e32 v8, v8
	s_delay_alu instid0(VALU_DEP_2) | instskip(NEXT) | instid1(VALU_DEP_1)
	v_ldexp_f32 v13, v13, v14
	v_add_f32_e32 v17, 1.0, v13
	v_sub_f32_e32 v9, v12, v9
	v_cmp_eq_f32_e32 vcc_lo, 0x7f800000, v12
	v_cmp_gt_f32_e64 s29, 0x33800000, v12
	s_delay_alu instid0(VALU_DEP_3) | instskip(NEXT) | instid1(VALU_DEP_2)
	v_add_f32_e32 v9, v9, v15
	s_or_b32 vcc_lo, s29, vcc_lo
	s_delay_alu instid0(VALU_DEP_1) | instskip(SKIP_1) | instid1(VALU_DEP_1)
	v_ldexp_f32 v9, v9, v14
	v_add_f32_e32 v14, -1.0, v13
	v_dual_add_f32 v15, -1.0, v17 :: v_dual_add_f32 v102, 1.0, v14
	s_delay_alu instid0(VALU_DEP_1) | instskip(NEXT) | instid1(VALU_DEP_2)
	v_sub_f32_e32 v15, v13, v15
	v_sub_f32_e32 v13, v13, v102
	s_delay_alu instid0(VALU_DEP_2) | instskip(NEXT) | instid1(VALU_DEP_2)
	v_add_f32_e32 v15, v9, v15
	v_add_f32_e32 v9, v9, v13
	s_delay_alu instid0(VALU_DEP_1) | instskip(NEXT) | instid1(VALU_DEP_1)
	v_dual_add_f32 v102, v17, v15 :: v_dual_add_f32 v103, v14, v9
	v_rcp_f32_e32 v13, v102
	s_delay_alu instid0(VALU_DEP_1) | instskip(NEXT) | instid1(VALU_DEP_1)
	v_dual_sub_f32 v17, v17, v102 :: v_dual_sub_f32 v14, v14, v103
	v_add_f32_e32 v15, v15, v17
	s_waitcnt_depctr 0xfff
	v_dual_add_f32 v9, v9, v14 :: v_dual_mul_f32 v104, v103, v13
	s_delay_alu instid0(VALU_DEP_1) | instskip(NEXT) | instid1(VALU_DEP_1)
	v_mul_f32_e32 v105, v102, v104
	v_fma_f32 v17, v104, v102, -v105
	s_delay_alu instid0(VALU_DEP_1) | instskip(NEXT) | instid1(VALU_DEP_1)
	v_fmac_f32_e32 v17, v104, v15
	v_add_f32_e32 v106, v105, v17
	s_delay_alu instid0(VALU_DEP_1) | instskip(NEXT) | instid1(VALU_DEP_1)
	v_sub_f32_e32 v107, v103, v106
	v_dual_sub_f32 v103, v103, v107 :: v_dual_sub_f32 v14, v106, v105
	s_delay_alu instid0(VALU_DEP_1) | instskip(NEXT) | instid1(VALU_DEP_1)
	v_dual_sub_f32 v103, v103, v106 :: v_dual_sub_f32 v14, v14, v17
	v_add_f32_e32 v9, v9, v103
	s_delay_alu instid0(VALU_DEP_1) | instskip(NEXT) | instid1(VALU_DEP_1)
	v_add_f32_e32 v9, v14, v9
	v_add_f32_e32 v14, v107, v9
	s_delay_alu instid0(VALU_DEP_1) | instskip(NEXT) | instid1(VALU_DEP_1)
	v_mul_f32_e32 v17, v13, v14
	v_dual_sub_f32 v106, v107, v14 :: v_dual_mul_f32 v103, v102, v17
	s_delay_alu instid0(VALU_DEP_1) | instskip(NEXT) | instid1(VALU_DEP_2)
	v_add_f32_e32 v9, v9, v106
	v_fma_f32 v102, v17, v102, -v103
	s_delay_alu instid0(VALU_DEP_1) | instskip(NEXT) | instid1(VALU_DEP_1)
	v_fmac_f32_e32 v102, v17, v15
	v_add_f32_e32 v15, v103, v102
	s_delay_alu instid0(VALU_DEP_1) | instskip(NEXT) | instid1(VALU_DEP_1)
	v_sub_f32_e32 v105, v14, v15
	v_dual_sub_f32 v103, v15, v103 :: v_dual_sub_f32 v14, v14, v105
	s_delay_alu instid0(VALU_DEP_1) | instskip(NEXT) | instid1(VALU_DEP_1)
	v_dual_sub_f32 v14, v14, v15 :: v_dual_sub_f32 v15, v103, v102
	v_dual_add_f32 v9, v9, v14 :: v_dual_add_f32 v14, v104, v17
	s_delay_alu instid0(VALU_DEP_1) | instskip(NEXT) | instid1(VALU_DEP_2)
	v_add_f32_e32 v9, v15, v9
	v_sub_f32_e32 v15, v14, v104
	s_delay_alu instid0(VALU_DEP_2) | instskip(NEXT) | instid1(VALU_DEP_2)
	v_add_f32_e32 v9, v105, v9
	v_sub_f32_e32 v15, v17, v15
	s_delay_alu instid0(VALU_DEP_2) | instskip(NEXT) | instid1(VALU_DEP_1)
	v_mul_f32_e32 v9, v13, v9
	v_add_f32_e32 v9, v15, v9
	s_delay_alu instid0(VALU_DEP_1) | instskip(NEXT) | instid1(VALU_DEP_1)
	v_add_f32_e32 v13, v14, v9
	v_mul_f32_e32 v15, v13, v13
	s_delay_alu instid0(VALU_DEP_1) | instskip(NEXT) | instid1(VALU_DEP_1)
	v_fmaak_f32 v17, s84, v15, 0x3ecc95a3
	v_dual_mul_f32 v102, v13, v15 :: v_dual_fmaak_f32 v15, v15, v17, 0x3f2aaada
	v_ldexp_f32 v17, v13, 1
	v_sub_f32_e32 v13, v13, v14
	s_delay_alu instid0(VALU_DEP_3) | instskip(NEXT) | instid1(VALU_DEP_2)
	v_dual_mul_f32 v15, v102, v15 :: v_dual_mul_f32 v102, 0x3f317218, v8
	v_sub_f32_e32 v9, v9, v13
	s_delay_alu instid0(VALU_DEP_2) | instskip(NEXT) | instid1(VALU_DEP_2)
	v_add_f32_e32 v14, v17, v15
	v_ldexp_f32 v9, v9, 1
	s_delay_alu instid0(VALU_DEP_2) | instskip(SKIP_1) | instid1(VALU_DEP_2)
	v_sub_f32_e32 v13, v14, v17
	v_fma_f32 v17, 0x3f317218, v8, -v102
	v_sub_f32_e32 v13, v15, v13
	s_delay_alu instid0(VALU_DEP_1) | instskip(NEXT) | instid1(VALU_DEP_1)
	v_dual_fmac_f32 v17, 0xb102e308, v8 :: v_dual_add_f32 v8, v9, v13
	v_add_f32_e32 v9, v102, v17
	s_delay_alu instid0(VALU_DEP_1) | instskip(NEXT) | instid1(VALU_DEP_1)
	v_dual_add_f32 v13, v14, v8 :: v_dual_sub_f32 v102, v9, v102
	v_add_f32_e32 v15, v9, v13
	v_sub_f32_e32 v14, v13, v14
	s_delay_alu instid0(VALU_DEP_3) | instskip(NEXT) | instid1(VALU_DEP_2)
	v_sub_f32_e32 v17, v17, v102
	v_dual_sub_f32 v103, v15, v9 :: v_dual_sub_f32 v8, v8, v14
	s_delay_alu instid0(VALU_DEP_1) | instskip(SKIP_1) | instid1(VALU_DEP_3)
	v_sub_f32_e32 v104, v15, v103
	v_sub_f32_e32 v13, v13, v103
	v_add_f32_e32 v14, v17, v8
	s_delay_alu instid0(VALU_DEP_3) | instskip(NEXT) | instid1(VALU_DEP_1)
	v_sub_f32_e32 v9, v9, v104
	v_add_f32_e32 v9, v13, v9
	s_delay_alu instid0(VALU_DEP_3) | instskip(NEXT) | instid1(VALU_DEP_2)
	v_sub_f32_e32 v13, v14, v17
	v_add_f32_e32 v9, v14, v9
	s_delay_alu instid0(VALU_DEP_2) | instskip(SKIP_1) | instid1(VALU_DEP_3)
	v_sub_f32_e32 v14, v14, v13
	v_sub_f32_e32 v8, v8, v13
	v_add_f32_e32 v102, v15, v9
	s_delay_alu instid0(VALU_DEP_1) | instskip(NEXT) | instid1(VALU_DEP_1)
	v_dual_sub_f32 v14, v17, v14 :: v_dual_sub_f32 v13, v102, v15
	v_dual_add_f32 v8, v8, v14 :: v_dual_sub_f32 v9, v9, v13
	s_delay_alu instid0(VALU_DEP_1) | instskip(NEXT) | instid1(VALU_DEP_1)
	v_add_f32_e32 v8, v8, v9
	v_add_f32_e32 v8, v102, v8
	s_delay_alu instid0(VALU_DEP_1)
	v_cndmask_b32_e32 v102, v8, v12, vcc_lo
.LBB63_100:                             ;   in Loop: Header=BB63_12 Depth=1
	s_or_b32 exec_lo, exec_lo, s30
	v_and_b32_e32 v8, 0xffff0000, v10
	s_delay_alu instid0(VALU_DEP_1) | instskip(NEXT) | instid1(VALU_DEP_1)
	v_add_f32_e32 v103, s69, v8
	v_cmp_ge_f32_e32 vcc_lo, 0x41a00000, v103
	s_and_b32 s29, s80, vcc_lo
	s_delay_alu instid0(SALU_CYCLE_1)
	s_and_saveexec_b32 s30, s29
	s_cbranch_execz .LBB63_102
; %bb.101:                              ;   in Loop: Header=BB63_12 Depth=1
	v_mul_f32_e32 v8, 0x3fb8aa3b, v103
	v_cmp_ngt_f32_e32 vcc_lo, 0xc2ce8ed0, v103
	s_delay_alu instid0(VALU_DEP_2) | instskip(SKIP_1) | instid1(VALU_DEP_2)
	v_rndne_f32_e32 v9, v8
	v_fma_f32 v10, 0x3fb8aa3b, v103, -v8
	v_sub_f32_e32 v8, v8, v9
	s_delay_alu instid0(VALU_DEP_2) | instskip(SKIP_1) | instid1(VALU_DEP_2)
	v_fmac_f32_e32 v10, 0x32a5705f, v103
	v_cvt_i32_f32_e32 v9, v9
	v_add_f32_e32 v8, v8, v10
	s_delay_alu instid0(VALU_DEP_1) | instskip(SKIP_2) | instid1(VALU_DEP_1)
	v_exp_f32_e32 v8, v8
	s_waitcnt_depctr 0xfff
	v_ldexp_f32 v8, v8, v9
	v_cndmask_b32_e32 v8, 0, v8, vcc_lo
	v_cmp_nlt_f32_e32 vcc_lo, 0x42b17218, v103
	s_delay_alu instid0(VALU_DEP_2) | instskip(NEXT) | instid1(VALU_DEP_1)
	v_cndmask_b32_e32 v10, 0x7f800000, v8, vcc_lo
	v_add_f32_e32 v12, 1.0, v10
	s_delay_alu instid0(VALU_DEP_1) | instskip(NEXT) | instid1(VALU_DEP_1)
	v_cvt_f64_f32_e32 v[8:9], v12
	v_frexp_exp_i32_f64_e32 v8, v[8:9]
	v_frexp_mant_f32_e32 v9, v12
	s_delay_alu instid0(VALU_DEP_1) | instskip(SKIP_1) | instid1(VALU_DEP_1)
	v_cmp_gt_f32_e32 vcc_lo, 0x3f2aaaab, v9
	v_add_f32_e32 v9, -1.0, v12
	v_dual_sub_f32 v14, v9, v12 :: v_dual_sub_f32 v9, v10, v9
	v_subrev_co_ci_u32_e32 v8, vcc_lo, 0, v8, vcc_lo
	s_delay_alu instid0(VALU_DEP_1) | instskip(SKIP_1) | instid1(VALU_DEP_2)
	v_sub_nc_u32_e32 v13, 0, v8
	v_cvt_f32_i32_e32 v8, v8
	v_ldexp_f32 v12, v12, v13
	s_delay_alu instid0(VALU_DEP_1) | instskip(NEXT) | instid1(VALU_DEP_1)
	v_dual_add_f32 v14, 1.0, v14 :: v_dual_add_f32 v15, 1.0, v12
	v_add_f32_e32 v9, v9, v14
	s_delay_alu instid0(VALU_DEP_1) | instskip(NEXT) | instid1(VALU_DEP_3)
	v_ldexp_f32 v9, v9, v13
	v_dual_add_f32 v13, -1.0, v12 :: v_dual_add_f32 v14, -1.0, v15
	s_delay_alu instid0(VALU_DEP_1) | instskip(NEXT) | instid1(VALU_DEP_1)
	v_dual_add_f32 v17, 1.0, v13 :: v_dual_sub_f32 v14, v12, v14
	v_sub_f32_e32 v12, v12, v17
	s_delay_alu instid0(VALU_DEP_2) | instskip(NEXT) | instid1(VALU_DEP_2)
	v_add_f32_e32 v14, v9, v14
	v_add_f32_e32 v9, v9, v12
	s_delay_alu instid0(VALU_DEP_2) | instskip(SKIP_2) | instid1(VALU_DEP_4)
	v_add_f32_e32 v17, v15, v14
	v_cmp_eq_f32_e32 vcc_lo, 0x7f800000, v10
	v_cmp_gt_f32_e64 s29, 0x33800000, v10
	v_add_f32_e32 v103, v13, v9
	s_delay_alu instid0(VALU_DEP_4) | instskip(SKIP_1) | instid1(VALU_DEP_3)
	v_rcp_f32_e32 v12, v17
	v_sub_f32_e32 v15, v15, v17
	s_or_b32 vcc_lo, s29, vcc_lo
	s_delay_alu instid0(VALU_DEP_2) | instskip(NEXT) | instid1(VALU_DEP_1)
	v_sub_f32_e32 v13, v13, v103
	v_dual_add_f32 v14, v14, v15 :: v_dual_add_f32 v9, v9, v13
	s_waitcnt_depctr 0xfff
	v_mul_f32_e32 v104, v103, v12
	s_delay_alu instid0(VALU_DEP_1) | instskip(NEXT) | instid1(VALU_DEP_1)
	v_mul_f32_e32 v105, v17, v104
	v_fma_f32 v15, v104, v17, -v105
	s_delay_alu instid0(VALU_DEP_1) | instskip(NEXT) | instid1(VALU_DEP_1)
	v_fmac_f32_e32 v15, v104, v14
	v_add_f32_e32 v106, v105, v15
	s_delay_alu instid0(VALU_DEP_1) | instskip(SKIP_1) | instid1(VALU_DEP_2)
	v_sub_f32_e32 v107, v103, v106
	v_sub_f32_e32 v13, v106, v105
	;; [unrolled: 1-line block ×3, first 2 shown]
	s_delay_alu instid0(VALU_DEP_2) | instskip(NEXT) | instid1(VALU_DEP_2)
	v_sub_f32_e32 v13, v13, v15
	v_sub_f32_e32 v103, v103, v106
	s_delay_alu instid0(VALU_DEP_1) | instskip(NEXT) | instid1(VALU_DEP_1)
	v_add_f32_e32 v9, v9, v103
	v_add_f32_e32 v9, v13, v9
	s_delay_alu instid0(VALU_DEP_1) | instskip(NEXT) | instid1(VALU_DEP_1)
	v_add_f32_e32 v13, v107, v9
	v_mul_f32_e32 v15, v12, v13
	s_delay_alu instid0(VALU_DEP_1) | instskip(NEXT) | instid1(VALU_DEP_1)
	v_dual_sub_f32 v106, v107, v13 :: v_dual_mul_f32 v103, v17, v15
	v_add_f32_e32 v9, v9, v106
	s_delay_alu instid0(VALU_DEP_2) | instskip(NEXT) | instid1(VALU_DEP_1)
	v_fma_f32 v17, v15, v17, -v103
	v_fmac_f32_e32 v17, v15, v14
	s_delay_alu instid0(VALU_DEP_1) | instskip(NEXT) | instid1(VALU_DEP_1)
	v_add_f32_e32 v14, v103, v17
	v_sub_f32_e32 v105, v13, v14
	v_sub_f32_e32 v103, v14, v103
	s_delay_alu instid0(VALU_DEP_2) | instskip(NEXT) | instid1(VALU_DEP_1)
	v_sub_f32_e32 v13, v13, v105
	v_dual_sub_f32 v13, v13, v14 :: v_dual_sub_f32 v14, v103, v17
	s_delay_alu instid0(VALU_DEP_1) | instskip(SKIP_1) | instid1(VALU_DEP_1)
	v_add_f32_e32 v9, v9, v13
	v_add_f32_e32 v13, v104, v15
	v_dual_add_f32 v9, v14, v9 :: v_dual_sub_f32 v14, v13, v104
	s_delay_alu instid0(VALU_DEP_1) | instskip(NEXT) | instid1(VALU_DEP_1)
	v_dual_add_f32 v9, v105, v9 :: v_dual_sub_f32 v14, v15, v14
	v_mul_f32_e32 v9, v12, v9
	s_delay_alu instid0(VALU_DEP_1) | instskip(NEXT) | instid1(VALU_DEP_1)
	v_add_f32_e32 v9, v14, v9
	v_add_f32_e32 v12, v13, v9
	s_delay_alu instid0(VALU_DEP_1) | instskip(NEXT) | instid1(VALU_DEP_1)
	v_mul_f32_e32 v14, v12, v12
	v_fmaak_f32 v15, s84, v14, 0x3ecc95a3
	s_delay_alu instid0(VALU_DEP_1) | instskip(SKIP_2) | instid1(VALU_DEP_3)
	v_dual_mul_f32 v17, v12, v14 :: v_dual_fmaak_f32 v14, v14, v15, 0x3f2aaada
	v_ldexp_f32 v15, v12, 1
	v_sub_f32_e32 v12, v12, v13
	v_dual_mul_f32 v14, v17, v14 :: v_dual_mul_f32 v17, 0x3f317218, v8
	s_delay_alu instid0(VALU_DEP_2) | instskip(NEXT) | instid1(VALU_DEP_2)
	v_sub_f32_e32 v9, v9, v12
	v_add_f32_e32 v13, v15, v14
	s_delay_alu instid0(VALU_DEP_2) | instskip(NEXT) | instid1(VALU_DEP_2)
	v_ldexp_f32 v9, v9, 1
	v_sub_f32_e32 v12, v13, v15
	v_fma_f32 v15, 0x3f317218, v8, -v17
	s_delay_alu instid0(VALU_DEP_2) | instskip(NEXT) | instid1(VALU_DEP_2)
	v_sub_f32_e32 v12, v14, v12
	v_fmac_f32_e32 v15, 0xb102e308, v8
	s_delay_alu instid0(VALU_DEP_2) | instskip(NEXT) | instid1(VALU_DEP_2)
	v_add_f32_e32 v8, v9, v12
	v_add_f32_e32 v9, v17, v15
	s_delay_alu instid0(VALU_DEP_2) | instskip(NEXT) | instid1(VALU_DEP_2)
	v_add_f32_e32 v12, v13, v8
	v_sub_f32_e32 v17, v9, v17
	s_delay_alu instid0(VALU_DEP_2) | instskip(NEXT) | instid1(VALU_DEP_2)
	v_dual_add_f32 v14, v9, v12 :: v_dual_sub_f32 v13, v12, v13
	v_sub_f32_e32 v15, v15, v17
	s_delay_alu instid0(VALU_DEP_2) | instskip(NEXT) | instid1(VALU_DEP_3)
	v_sub_f32_e32 v103, v14, v9
	v_sub_f32_e32 v8, v8, v13
	s_delay_alu instid0(VALU_DEP_2) | instskip(NEXT) | instid1(VALU_DEP_2)
	v_sub_f32_e32 v104, v14, v103
	v_dual_sub_f32 v12, v12, v103 :: v_dual_add_f32 v13, v15, v8
	s_delay_alu instid0(VALU_DEP_2) | instskip(NEXT) | instid1(VALU_DEP_1)
	v_sub_f32_e32 v9, v9, v104
	v_dual_add_f32 v9, v12, v9 :: v_dual_sub_f32 v12, v13, v15
	s_delay_alu instid0(VALU_DEP_1) | instskip(NEXT) | instid1(VALU_DEP_2)
	v_add_f32_e32 v9, v13, v9
	v_sub_f32_e32 v13, v13, v12
	s_delay_alu instid0(VALU_DEP_2) | instskip(NEXT) | instid1(VALU_DEP_1)
	v_dual_sub_f32 v8, v8, v12 :: v_dual_add_f32 v17, v14, v9
	v_dual_sub_f32 v13, v15, v13 :: v_dual_sub_f32 v12, v17, v14
	s_delay_alu instid0(VALU_DEP_1) | instskip(NEXT) | instid1(VALU_DEP_1)
	v_dual_add_f32 v8, v8, v13 :: v_dual_sub_f32 v9, v9, v12
	v_add_f32_e32 v8, v8, v9
	s_delay_alu instid0(VALU_DEP_1) | instskip(NEXT) | instid1(VALU_DEP_1)
	v_add_f32_e32 v8, v17, v8
	v_cndmask_b32_e32 v103, v8, v10, vcc_lo
.LBB63_102:                             ;   in Loop: Header=BB63_12 Depth=1
	s_or_b32 exec_lo, exec_lo, s30
	v_lshlrev_b32_e32 v8, 16, v11
	s_delay_alu instid0(VALU_DEP_1) | instskip(NEXT) | instid1(VALU_DEP_1)
	v_add_f32_e32 v104, s69, v8
	v_cmp_ge_f32_e32 vcc_lo, 0x41a00000, v104
	s_and_b32 s29, s80, vcc_lo
	s_delay_alu instid0(SALU_CYCLE_1)
	s_and_saveexec_b32 s30, s29
	s_cbranch_execz .LBB63_104
; %bb.103:                              ;   in Loop: Header=BB63_12 Depth=1
	v_mul_f32_e32 v8, 0x3fb8aa3b, v104
	v_cmp_ngt_f32_e32 vcc_lo, 0xc2ce8ed0, v104
	s_delay_alu instid0(VALU_DEP_2) | instskip(SKIP_1) | instid1(VALU_DEP_2)
	v_rndne_f32_e32 v9, v8
	v_fma_f32 v10, 0x3fb8aa3b, v104, -v8
	v_sub_f32_e32 v8, v8, v9
	s_delay_alu instid0(VALU_DEP_2) | instskip(SKIP_1) | instid1(VALU_DEP_2)
	v_fmac_f32_e32 v10, 0x32a5705f, v104
	v_cvt_i32_f32_e32 v9, v9
	v_add_f32_e32 v8, v8, v10
	s_delay_alu instid0(VALU_DEP_1) | instskip(SKIP_2) | instid1(VALU_DEP_1)
	v_exp_f32_e32 v8, v8
	s_waitcnt_depctr 0xfff
	v_ldexp_f32 v8, v8, v9
	v_cndmask_b32_e32 v8, 0, v8, vcc_lo
	v_cmp_nlt_f32_e32 vcc_lo, 0x42b17218, v104
	s_delay_alu instid0(VALU_DEP_2) | instskip(NEXT) | instid1(VALU_DEP_1)
	v_cndmask_b32_e32 v10, 0x7f800000, v8, vcc_lo
	v_add_f32_e32 v12, 1.0, v10
	s_delay_alu instid0(VALU_DEP_1) | instskip(NEXT) | instid1(VALU_DEP_1)
	v_cvt_f64_f32_e32 v[8:9], v12
	v_frexp_exp_i32_f64_e32 v8, v[8:9]
	v_frexp_mant_f32_e32 v9, v12
	s_delay_alu instid0(VALU_DEP_1) | instskip(SKIP_1) | instid1(VALU_DEP_1)
	v_cmp_gt_f32_e32 vcc_lo, 0x3f2aaaab, v9
	v_add_f32_e32 v9, -1.0, v12
	v_dual_sub_f32 v14, v9, v12 :: v_dual_sub_f32 v9, v10, v9
	v_subrev_co_ci_u32_e32 v8, vcc_lo, 0, v8, vcc_lo
	s_delay_alu instid0(VALU_DEP_1) | instskip(SKIP_1) | instid1(VALU_DEP_2)
	v_sub_nc_u32_e32 v13, 0, v8
	v_cvt_f32_i32_e32 v8, v8
	v_ldexp_f32 v12, v12, v13
	s_delay_alu instid0(VALU_DEP_1) | instskip(NEXT) | instid1(VALU_DEP_1)
	v_dual_add_f32 v14, 1.0, v14 :: v_dual_add_f32 v15, 1.0, v12
	v_add_f32_e32 v9, v9, v14
	s_delay_alu instid0(VALU_DEP_1) | instskip(NEXT) | instid1(VALU_DEP_3)
	v_ldexp_f32 v9, v9, v13
	v_dual_add_f32 v13, -1.0, v12 :: v_dual_add_f32 v14, -1.0, v15
	s_delay_alu instid0(VALU_DEP_1) | instskip(NEXT) | instid1(VALU_DEP_1)
	v_dual_add_f32 v17, 1.0, v13 :: v_dual_sub_f32 v14, v12, v14
	v_sub_f32_e32 v12, v12, v17
	s_delay_alu instid0(VALU_DEP_2) | instskip(NEXT) | instid1(VALU_DEP_2)
	v_add_f32_e32 v14, v9, v14
	v_add_f32_e32 v9, v9, v12
	s_delay_alu instid0(VALU_DEP_2) | instskip(SKIP_2) | instid1(VALU_DEP_4)
	v_add_f32_e32 v17, v15, v14
	v_cmp_eq_f32_e32 vcc_lo, 0x7f800000, v10
	v_cmp_gt_f32_e64 s29, 0x33800000, v10
	v_add_f32_e32 v104, v13, v9
	s_delay_alu instid0(VALU_DEP_4) | instskip(SKIP_1) | instid1(VALU_DEP_3)
	v_rcp_f32_e32 v12, v17
	v_sub_f32_e32 v15, v15, v17
	s_or_b32 vcc_lo, s29, vcc_lo
	s_delay_alu instid0(VALU_DEP_2) | instskip(NEXT) | instid1(VALU_DEP_1)
	v_sub_f32_e32 v13, v13, v104
	v_add_f32_e32 v9, v9, v13
	s_waitcnt_depctr 0xfff
	v_dual_mul_f32 v105, v104, v12 :: v_dual_add_f32 v14, v14, v15
	s_delay_alu instid0(VALU_DEP_1) | instskip(NEXT) | instid1(VALU_DEP_1)
	v_mul_f32_e32 v106, v17, v105
	v_fma_f32 v15, v105, v17, -v106
	s_delay_alu instid0(VALU_DEP_1) | instskip(NEXT) | instid1(VALU_DEP_1)
	v_fmac_f32_e32 v15, v105, v14
	v_add_f32_e32 v107, v106, v15
	s_delay_alu instid0(VALU_DEP_1) | instskip(NEXT) | instid1(VALU_DEP_1)
	v_dual_sub_f32 v13, v107, v106 :: v_dual_sub_f32 v108, v104, v107
	v_dual_sub_f32 v13, v13, v15 :: v_dual_sub_f32 v104, v104, v108
	s_delay_alu instid0(VALU_DEP_1) | instskip(NEXT) | instid1(VALU_DEP_1)
	v_sub_f32_e32 v104, v104, v107
	v_add_f32_e32 v9, v9, v104
	s_delay_alu instid0(VALU_DEP_1) | instskip(NEXT) | instid1(VALU_DEP_1)
	v_add_f32_e32 v9, v13, v9
	v_add_f32_e32 v13, v108, v9
	s_delay_alu instid0(VALU_DEP_1) | instskip(NEXT) | instid1(VALU_DEP_1)
	v_mul_f32_e32 v15, v12, v13
	v_mul_f32_e32 v104, v17, v15
	s_delay_alu instid0(VALU_DEP_1) | instskip(NEXT) | instid1(VALU_DEP_1)
	v_fma_f32 v17, v15, v17, -v104
	v_fmac_f32_e32 v17, v15, v14
	s_delay_alu instid0(VALU_DEP_1) | instskip(NEXT) | instid1(VALU_DEP_1)
	v_add_f32_e32 v14, v104, v17
	v_dual_sub_f32 v107, v108, v13 :: v_dual_sub_f32 v106, v13, v14
	s_delay_alu instid0(VALU_DEP_1) | instskip(NEXT) | instid1(VALU_DEP_2)
	v_dual_sub_f32 v13, v13, v106 :: v_dual_sub_f32 v104, v14, v104
	v_add_f32_e32 v9, v9, v107
	s_delay_alu instid0(VALU_DEP_2) | instskip(NEXT) | instid1(VALU_DEP_1)
	v_dual_sub_f32 v13, v13, v14 :: v_dual_sub_f32 v14, v104, v17
	v_add_f32_e32 v9, v9, v13
	v_add_f32_e32 v13, v105, v15
	s_delay_alu instid0(VALU_DEP_2) | instskip(NEXT) | instid1(VALU_DEP_2)
	v_add_f32_e32 v9, v14, v9
	v_sub_f32_e32 v14, v13, v105
	s_delay_alu instid0(VALU_DEP_1) | instskip(NEXT) | instid1(VALU_DEP_1)
	v_dual_add_f32 v9, v106, v9 :: v_dual_sub_f32 v14, v15, v14
	v_mul_f32_e32 v9, v12, v9
	s_delay_alu instid0(VALU_DEP_1) | instskip(NEXT) | instid1(VALU_DEP_1)
	v_add_f32_e32 v9, v14, v9
	v_add_f32_e32 v12, v13, v9
	s_delay_alu instid0(VALU_DEP_1) | instskip(NEXT) | instid1(VALU_DEP_1)
	v_mul_f32_e32 v14, v12, v12
	v_fmaak_f32 v15, s84, v14, 0x3ecc95a3
	s_delay_alu instid0(VALU_DEP_1) | instskip(SKIP_1) | instid1(VALU_DEP_2)
	v_dual_mul_f32 v17, v12, v14 :: v_dual_fmaak_f32 v14, v14, v15, 0x3f2aaada
	v_ldexp_f32 v15, v12, 1
	v_mul_f32_e32 v14, v17, v14
	v_dual_sub_f32 v12, v12, v13 :: v_dual_mul_f32 v17, 0x3f317218, v8
	s_delay_alu instid0(VALU_DEP_2) | instskip(NEXT) | instid1(VALU_DEP_2)
	v_add_f32_e32 v13, v15, v14
	v_sub_f32_e32 v9, v9, v12
	s_delay_alu instid0(VALU_DEP_2) | instskip(NEXT) | instid1(VALU_DEP_4)
	v_sub_f32_e32 v12, v13, v15
	v_fma_f32 v15, 0x3f317218, v8, -v17
	s_delay_alu instid0(VALU_DEP_3) | instskip(NEXT) | instid1(VALU_DEP_3)
	v_ldexp_f32 v9, v9, 1
	v_sub_f32_e32 v12, v14, v12
	s_delay_alu instid0(VALU_DEP_3) | instskip(NEXT) | instid1(VALU_DEP_2)
	v_fmac_f32_e32 v15, 0xb102e308, v8
	v_add_f32_e32 v8, v9, v12
	s_delay_alu instid0(VALU_DEP_1) | instskip(NEXT) | instid1(VALU_DEP_3)
	v_add_f32_e32 v12, v13, v8
	v_add_f32_e32 v9, v17, v15
	s_delay_alu instid0(VALU_DEP_1) | instskip(NEXT) | instid1(VALU_DEP_1)
	v_dual_sub_f32 v13, v12, v13 :: v_dual_add_f32 v14, v9, v12
	v_sub_f32_e32 v8, v8, v13
	s_delay_alu instid0(VALU_DEP_2) | instskip(NEXT) | instid1(VALU_DEP_1)
	v_sub_f32_e32 v104, v14, v9
	v_dual_sub_f32 v12, v12, v104 :: v_dual_sub_f32 v17, v9, v17
	s_delay_alu instid0(VALU_DEP_1) | instskip(NEXT) | instid1(VALU_DEP_1)
	v_sub_f32_e32 v15, v15, v17
	v_add_f32_e32 v13, v15, v8
	v_sub_f32_e32 v105, v14, v104
	s_delay_alu instid0(VALU_DEP_1) | instskip(NEXT) | instid1(VALU_DEP_1)
	v_sub_f32_e32 v9, v9, v105
	v_dual_add_f32 v9, v12, v9 :: v_dual_sub_f32 v12, v13, v15
	s_delay_alu instid0(VALU_DEP_1) | instskip(NEXT) | instid1(VALU_DEP_2)
	v_add_f32_e32 v9, v13, v9
	v_sub_f32_e32 v13, v13, v12
	s_delay_alu instid0(VALU_DEP_2) | instskip(NEXT) | instid1(VALU_DEP_1)
	v_dual_sub_f32 v8, v8, v12 :: v_dual_add_f32 v17, v14, v9
	v_dual_sub_f32 v12, v17, v14 :: v_dual_sub_f32 v13, v15, v13
	s_delay_alu instid0(VALU_DEP_1) | instskip(NEXT) | instid1(VALU_DEP_1)
	v_dual_sub_f32 v9, v9, v12 :: v_dual_add_f32 v8, v8, v13
	v_add_f32_e32 v8, v8, v9
	s_delay_alu instid0(VALU_DEP_1) | instskip(NEXT) | instid1(VALU_DEP_1)
	v_add_f32_e32 v8, v17, v8
	v_cndmask_b32_e32 v104, v8, v10, vcc_lo
.LBB63_104:                             ;   in Loop: Header=BB63_12 Depth=1
	s_or_b32 exec_lo, exec_lo, s30
	v_and_b32_e32 v8, 0xffff0000, v11
	s_delay_alu instid0(VALU_DEP_1) | instskip(NEXT) | instid1(VALU_DEP_1)
	v_add_f32_e32 v121, s69, v8
	v_cmp_ge_f32_e32 vcc_lo, 0x41a00000, v121
	s_and_b32 s29, s80, vcc_lo
	s_delay_alu instid0(SALU_CYCLE_1)
	s_and_saveexec_b32 s30, s29
	s_cbranch_execz .LBB63_106
; %bb.105:                              ;   in Loop: Header=BB63_12 Depth=1
	v_mul_f32_e32 v8, 0x3fb8aa3b, v121
	v_cmp_ngt_f32_e32 vcc_lo, 0xc2ce8ed0, v121
	s_delay_alu instid0(VALU_DEP_2) | instskip(SKIP_1) | instid1(VALU_DEP_2)
	v_rndne_f32_e32 v9, v8
	v_fma_f32 v10, 0x3fb8aa3b, v121, -v8
	v_sub_f32_e32 v8, v8, v9
	s_delay_alu instid0(VALU_DEP_2) | instskip(SKIP_1) | instid1(VALU_DEP_2)
	v_fmac_f32_e32 v10, 0x32a5705f, v121
	v_cvt_i32_f32_e32 v9, v9
	v_add_f32_e32 v8, v8, v10
	s_delay_alu instid0(VALU_DEP_1) | instskip(SKIP_2) | instid1(VALU_DEP_1)
	v_exp_f32_e32 v8, v8
	s_waitcnt_depctr 0xfff
	v_ldexp_f32 v8, v8, v9
	v_cndmask_b32_e32 v8, 0, v8, vcc_lo
	v_cmp_nlt_f32_e32 vcc_lo, 0x42b17218, v121
	s_delay_alu instid0(VALU_DEP_2) | instskip(NEXT) | instid1(VALU_DEP_1)
	v_cndmask_b32_e32 v10, 0x7f800000, v8, vcc_lo
	v_add_f32_e32 v11, 1.0, v10
	s_delay_alu instid0(VALU_DEP_1) | instskip(NEXT) | instid1(VALU_DEP_1)
	v_cvt_f64_f32_e32 v[8:9], v11
	v_frexp_exp_i32_f64_e32 v8, v[8:9]
	v_frexp_mant_f32_e32 v9, v11
	s_delay_alu instid0(VALU_DEP_1) | instskip(SKIP_1) | instid1(VALU_DEP_1)
	v_cmp_gt_f32_e32 vcc_lo, 0x3f2aaaab, v9
	v_add_f32_e32 v9, -1.0, v11
	v_sub_f32_e32 v13, v9, v11
	v_sub_f32_e32 v9, v10, v9
	s_delay_alu instid0(VALU_DEP_2) | instskip(NEXT) | instid1(VALU_DEP_1)
	v_add_f32_e32 v13, 1.0, v13
	v_add_f32_e32 v9, v9, v13
	v_cmp_gt_f32_e64 s29, 0x33800000, v10
	v_subrev_co_ci_u32_e32 v8, vcc_lo, 0, v8, vcc_lo
	v_cmp_eq_f32_e32 vcc_lo, 0x7f800000, v10
	s_delay_alu instid0(VALU_DEP_2) | instskip(SKIP_2) | instid1(VALU_DEP_2)
	v_sub_nc_u32_e32 v12, 0, v8
	v_cvt_f32_i32_e32 v8, v8
	s_or_b32 vcc_lo, s29, vcc_lo
	v_ldexp_f32 v11, v11, v12
	v_ldexp_f32 v9, v9, v12
	s_delay_alu instid0(VALU_DEP_2) | instskip(NEXT) | instid1(VALU_DEP_1)
	v_add_f32_e32 v14, 1.0, v11
	v_dual_add_f32 v12, -1.0, v11 :: v_dual_add_f32 v13, -1.0, v14
	s_delay_alu instid0(VALU_DEP_1) | instskip(NEXT) | instid1(VALU_DEP_2)
	v_add_f32_e32 v15, 1.0, v12
	v_sub_f32_e32 v13, v11, v13
	s_delay_alu instid0(VALU_DEP_2) | instskip(NEXT) | instid1(VALU_DEP_2)
	v_sub_f32_e32 v11, v11, v15
	v_add_f32_e32 v13, v9, v13
	s_delay_alu instid0(VALU_DEP_2) | instskip(NEXT) | instid1(VALU_DEP_1)
	v_add_f32_e32 v9, v9, v11
	v_add_f32_e32 v17, v12, v9
	s_delay_alu instid0(VALU_DEP_3) | instskip(NEXT) | instid1(VALU_DEP_2)
	v_add_f32_e32 v15, v14, v13
	v_sub_f32_e32 v12, v12, v17
	s_delay_alu instid0(VALU_DEP_2) | instskip(SKIP_1) | instid1(VALU_DEP_1)
	v_rcp_f32_e32 v11, v15
	v_sub_f32_e32 v14, v14, v15
	v_add_f32_e32 v13, v13, v14
	s_waitcnt_depctr 0xfff
	v_mul_f32_e32 v105, v17, v11
	s_delay_alu instid0(VALU_DEP_1) | instskip(NEXT) | instid1(VALU_DEP_1)
	v_dual_mul_f32 v106, v15, v105 :: v_dual_add_f32 v9, v9, v12
	v_fma_f32 v14, v105, v15, -v106
	s_delay_alu instid0(VALU_DEP_1) | instskip(NEXT) | instid1(VALU_DEP_1)
	v_fmac_f32_e32 v14, v105, v13
	v_add_f32_e32 v107, v106, v14
	s_delay_alu instid0(VALU_DEP_1) | instskip(SKIP_1) | instid1(VALU_DEP_1)
	v_sub_f32_e32 v12, v107, v106
	v_sub_f32_e32 v108, v17, v107
	v_dual_sub_f32 v12, v12, v14 :: v_dual_sub_f32 v17, v17, v108
	s_delay_alu instid0(VALU_DEP_1) | instskip(NEXT) | instid1(VALU_DEP_1)
	v_sub_f32_e32 v17, v17, v107
	v_add_f32_e32 v9, v9, v17
	s_delay_alu instid0(VALU_DEP_1) | instskip(NEXT) | instid1(VALU_DEP_1)
	v_add_f32_e32 v9, v12, v9
	v_add_f32_e32 v12, v108, v9
	s_delay_alu instid0(VALU_DEP_1) | instskip(SKIP_1) | instid1(VALU_DEP_2)
	v_mul_f32_e32 v14, v11, v12
	v_sub_f32_e32 v107, v108, v12
	v_mul_f32_e32 v17, v15, v14
	s_delay_alu instid0(VALU_DEP_2) | instskip(NEXT) | instid1(VALU_DEP_2)
	v_add_f32_e32 v9, v9, v107
	v_fma_f32 v15, v14, v15, -v17
	s_delay_alu instid0(VALU_DEP_1) | instskip(NEXT) | instid1(VALU_DEP_1)
	v_fmac_f32_e32 v15, v14, v13
	v_add_f32_e32 v13, v17, v15
	s_delay_alu instid0(VALU_DEP_1) | instskip(NEXT) | instid1(VALU_DEP_1)
	v_sub_f32_e32 v106, v12, v13
	v_dual_sub_f32 v17, v13, v17 :: v_dual_sub_f32 v12, v12, v106
	s_delay_alu instid0(VALU_DEP_1) | instskip(NEXT) | instid1(VALU_DEP_1)
	v_dual_sub_f32 v12, v12, v13 :: v_dual_sub_f32 v13, v17, v15
	v_add_f32_e32 v9, v9, v12
	v_add_f32_e32 v12, v105, v14
	s_delay_alu instid0(VALU_DEP_2) | instskip(NEXT) | instid1(VALU_DEP_2)
	v_add_f32_e32 v9, v13, v9
	v_sub_f32_e32 v13, v12, v105
	s_delay_alu instid0(VALU_DEP_2) | instskip(NEXT) | instid1(VALU_DEP_2)
	v_add_f32_e32 v9, v106, v9
	v_sub_f32_e32 v13, v14, v13
	s_delay_alu instid0(VALU_DEP_2) | instskip(NEXT) | instid1(VALU_DEP_1)
	v_mul_f32_e32 v9, v11, v9
	v_add_f32_e32 v9, v13, v9
	s_delay_alu instid0(VALU_DEP_1) | instskip(NEXT) | instid1(VALU_DEP_1)
	v_add_f32_e32 v11, v12, v9
	v_mul_f32_e32 v13, v11, v11
	s_delay_alu instid0(VALU_DEP_1) | instskip(SKIP_1) | instid1(VALU_DEP_2)
	v_fmaak_f32 v14, s84, v13, 0x3ecc95a3
	v_mul_f32_e32 v15, v11, v13
	v_fmaak_f32 v13, v13, v14, 0x3f2aaada
	v_ldexp_f32 v14, v11, 1
	v_sub_f32_e32 v11, v11, v12
	s_delay_alu instid0(VALU_DEP_3) | instskip(SKIP_1) | instid1(VALU_DEP_2)
	v_mul_f32_e32 v13, v15, v13
	v_mul_f32_e32 v15, 0x3f317218, v8
	v_dual_sub_f32 v9, v9, v11 :: v_dual_add_f32 v12, v14, v13
	s_delay_alu instid0(VALU_DEP_1) | instskip(NEXT) | instid1(VALU_DEP_2)
	v_ldexp_f32 v9, v9, 1
	v_sub_f32_e32 v11, v12, v14
	s_delay_alu instid0(VALU_DEP_4) | instskip(NEXT) | instid1(VALU_DEP_1)
	v_fma_f32 v14, 0x3f317218, v8, -v15
	v_dual_sub_f32 v11, v13, v11 :: v_dual_fmac_f32 v14, 0xb102e308, v8
	s_delay_alu instid0(VALU_DEP_1) | instskip(NEXT) | instid1(VALU_DEP_1)
	v_dual_add_f32 v8, v9, v11 :: v_dual_add_f32 v9, v15, v14
	v_add_f32_e32 v11, v12, v8
	s_delay_alu instid0(VALU_DEP_2) | instskip(NEXT) | instid1(VALU_DEP_2)
	v_sub_f32_e32 v15, v9, v15
	v_dual_add_f32 v13, v9, v11 :: v_dual_sub_f32 v12, v11, v12
	s_delay_alu instid0(VALU_DEP_1) | instskip(NEXT) | instid1(VALU_DEP_1)
	v_dual_sub_f32 v14, v14, v15 :: v_dual_sub_f32 v17, v13, v9
	v_dual_sub_f32 v8, v8, v12 :: v_dual_sub_f32 v105, v13, v17
	s_delay_alu instid0(VALU_DEP_1) | instskip(NEXT) | instid1(VALU_DEP_2)
	v_dual_sub_f32 v11, v11, v17 :: v_dual_add_f32 v12, v14, v8
	v_sub_f32_e32 v9, v9, v105
	s_delay_alu instid0(VALU_DEP_1) | instskip(NEXT) | instid1(VALU_DEP_3)
	v_add_f32_e32 v9, v11, v9
	v_sub_f32_e32 v11, v12, v14
	s_delay_alu instid0(VALU_DEP_2) | instskip(NEXT) | instid1(VALU_DEP_2)
	v_add_f32_e32 v9, v12, v9
	v_sub_f32_e32 v12, v12, v11
	s_delay_alu instid0(VALU_DEP_2) | instskip(NEXT) | instid1(VALU_DEP_1)
	v_dual_sub_f32 v8, v8, v11 :: v_dual_add_f32 v15, v13, v9
	v_dual_sub_f32 v12, v14, v12 :: v_dual_sub_f32 v11, v15, v13
	s_delay_alu instid0(VALU_DEP_1) | instskip(NEXT) | instid1(VALU_DEP_1)
	v_dual_add_f32 v8, v8, v12 :: v_dual_sub_f32 v9, v9, v11
	v_add_f32_e32 v8, v8, v9
	s_delay_alu instid0(VALU_DEP_1) | instskip(NEXT) | instid1(VALU_DEP_1)
	v_add_f32_e32 v8, v15, v8
	v_cndmask_b32_e32 v121, v8, v10, vcc_lo
.LBB63_106:                             ;   in Loop: Header=BB63_12 Depth=1
	s_or_b32 exec_lo, exec_lo, s30
	v_and_b32_e32 v11, 0xffff0000, v3
	v_and_b32_e32 v9, 0xffff0000, v6
	v_lshlrev_b32_e32 v6, 16, v6
	v_and_b32_e32 v15, 0xffff0000, v0
	v_lshlrev_b32_e32 v8, 16, v7
	v_mul_f32_e32 v115, s70, v11
	v_mul_f32_e32 v105, s70, v9
	v_dual_mul_f32 v107, s70, v6 :: v_dual_and_b32 v10, 0xffff0000, v5
	v_and_b32_e32 v14, 0xffff0000, v7
	v_and_b32_e32 v7, 0xffff0000, v4
	v_lshlrev_b32_e32 v5, 16, v5
	s_delay_alu instid0(VALU_DEP_4) | instskip(NEXT) | instid1(VALU_DEP_4)
	v_dual_mul_f32 v109, s70, v10 :: v_dual_lshlrev_b32 v0, 16, v0
	v_mul_f32_e32 v111, s70, v14
	v_and_b32_e32 v13, 0xffff0000, v1
	v_lshlrev_b32_e32 v3, 16, v3
	v_mul_f32_e32 v108, s70, v7
	v_mul_f32_e32 v120, s70, v0
	s_delay_alu instid0(VALU_DEP_4) | instskip(SKIP_3) | instid1(VALU_DEP_4)
	v_dual_mul_f32 v113, s70, v13 :: v_dual_and_b32 v12, 0xffff0000, v2
	v_lshlrev_b32_e32 v1, 16, v1
	v_mul_f32_e32 v110, s70, v5
	v_mul_f32_e32 v106, s70, v8
	;; [unrolled: 1-line block ×5, first 2 shown]
	v_dual_mul_f32 v119, s70, v15 :: v_dual_lshlrev_b32 v2, 16, v2
	v_lshlrev_b32_e32 v4, 16, v4
	s_and_b32 vcc_lo, exec_lo, s81
	s_delay_alu instid0(VALU_DEP_2) | instskip(SKIP_1) | instid1(VALU_DEP_2)
	v_mul_f32_e32 v117, s70, v2
	s_barrier
	v_mul_f32_e32 v112, s70, v4
	buffer_gl0_inv
	s_cbranch_vccz .LBB63_204
; %bb.107:                              ;   in Loop: Header=BB63_12 Depth=1
	v_dual_mul_f32 v122, v121, v14 :: v_dual_mul_f32 v127, v104, v8
	v_add_co_u32 v14, s29, s53, v16
	s_delay_alu instid0(VALU_DEP_1) | instskip(SKIP_1) | instid1(VALU_DEP_1)
	v_add_co_ci_u32_e64 v17, null, s75, 0, s29
	v_add_co_u32 v16, s29, s57, v16
	v_add_co_ci_u32_e64 v126, null, s76, 0, s29
	s_delay_alu instid0(VALU_DEP_4) | instskip(NEXT) | instid1(VALU_DEP_4)
	v_add_co_u32 v123, vcc_lo, v14, v89
	v_add_co_ci_u32_e32 v124, vcc_lo, 0, v17, vcc_lo
	s_delay_alu instid0(VALU_DEP_4) | instskip(NEXT) | instid1(VALU_DEP_4)
	v_add_co_u32 v125, vcc_lo, v16, v89
	v_add_co_ci_u32_e32 v126, vcc_lo, 0, v126, vcc_lo
	v_cmp_gt_u32_e32 vcc_lo, s41, v18
	s_cmp_lg_u32 s86, 0
	v_cmp_gt_u32_e64 s31, s41, v75
	s_cselect_b32 s51, -1, 0
	s_cmp_eq_u32 s86, s83
	v_cmp_gt_u32_e64 s33, s41, v76
	s_cselect_b32 s87, -1, 0
	s_or_b32 s29, s82, vcc_lo
	v_cmp_gt_u32_e32 vcc_lo, s41, v74
	v_cmp_gt_u32_e64 s34, s41, v77
	v_cmp_gt_u32_e64 s35, s41, v78
	;; [unrolled: 1-line block ×4, first 2 shown]
	s_or_b32 s30, s82, vcc_lo
	v_cmp_gt_u32_e32 vcc_lo, s41, v79
	v_cmp_gt_u32_e64 s39, s41, v82
	v_cmp_gt_u32_e64 s40, s41, v83
	v_cmp_gt_u32_e64 s42, s41, v85
	v_cmp_gt_u32_e64 s43, s41, v86
	s_or_b32 s36, s82, vcc_lo
	v_cmp_gt_u32_e32 vcc_lo, s41, v84
	v_cmp_gt_u32_e64 s44, s41, v87
	v_cmp_gt_u32_e64 s45, s41, v88
	v_dual_mul_f32 v128, v103, v9 :: v_dual_mul_f32 v129, v102, v6
	v_dual_mul_f32 v130, v101, v10 :: v_dual_mul_f32 v131, v100, v5
	;; [unrolled: 1-line block ×7, first 2 shown]
	s_mov_b32 s66, 0
	s_or_b32 s31, s82, s31
	s_or_b32 s33, s82, s33
	;; [unrolled: 1-line block ×8, first 2 shown]
	s_or_b32 s41, s82, vcc_lo
	s_or_b32 s42, s82, s42
	s_or_b32 s43, s82, s43
	;; [unrolled: 1-line block ×4, first 2 shown]
	s_mov_b32 s54, s66
	s_mov_b32 s58, s66
	s_mov_b32 s60, s66
	s_mov_b32 s88, s65
	s_mov_b32 s89, s85
	s_branch .LBB63_109
.LBB63_108:                             ;   in Loop: Header=BB63_109 Depth=2
	s_or_b32 exec_lo, exec_lo, s46
	v_cndmask_b32_e64 v9, v171, v11, s12
	v_cndmask_b32_e64 v10, v170, v10, s12
	s_add_i32 s88, s88, -1
	s_add_i32 s89, s89, 8
	s_add_i32 s60, s60, s62
	v_fma_f32 v9, v9, v145, v144
	v_mul_f32_e32 v10, v10, v145
	s_add_i32 s58, s58, s56
	s_add_i32 s54, s54, s52
	;; [unrolled: 1-line block ×3, first 2 shown]
	v_cndmask_b32_e64 v9, v9, v144, s11
	v_cndmask_b32_e64 v10, v10, v145, s11
	s_cmp_eq_u32 s88, 0
	s_waitcnt lgkmcnt(0)
	s_delay_alu instid0(VALU_DEP_1) | instskip(NEXT) | instid1(VALU_DEP_1)
	v_dual_fmac_f32 v9, v8, v10 :: v_dual_and_b32 v10, 0xffff0000, v5
	v_dual_fmac_f32 v12, v9, v147 :: v_dual_lshlrev_b32 v5, 16, v5
	s_delay_alu instid0(VALU_DEP_1) | instskip(NEXT) | instid1(VALU_DEP_1)
	v_fmac_f32_e32 v13, v12, v148
	v_dual_fmac_f32 v118, v13, v5 :: v_dual_and_b32 v17, 0xffff0000, v0
	v_fmac_f32_e32 v14, v13, v150
	s_delay_alu instid0(VALU_DEP_1) | instskip(NEXT) | instid1(VALU_DEP_1)
	v_fmac_f32_e32 v15, v14, v153
	v_fmac_f32_e32 v142, v15, v154
	s_delay_alu instid0(VALU_DEP_1) | instskip(NEXT) | instid1(VALU_DEP_1)
	v_fmac_f32_e32 v143, v142, v155
	v_fmac_f32_e32 v146, v143, v156
	s_delay_alu instid0(VALU_DEP_1) | instskip(SKIP_1) | instid1(VALU_DEP_2)
	v_dual_fmac_f32 v149, v146, v158 :: v_dual_and_b32 v8, 0xffff0000, v4
	v_lshlrev_b32_e32 v4, 16, v4
	v_dual_fmac_f32 v119, v12, v8 :: v_dual_and_b32 v16, 0xffff0000, v7
	s_delay_alu instid0(VALU_DEP_3) | instskip(SKIP_1) | instid1(VALU_DEP_4)
	v_fmac_f32_e32 v151, v149, v159
	v_and_b32_e32 v11, 0xffff0000, v6
	v_dual_fmac_f32 v120, v9, v4 :: v_dual_lshlrev_b32 v7, 16, v7
	s_delay_alu instid0(VALU_DEP_4) | instskip(NEXT) | instid1(VALU_DEP_4)
	v_fmac_f32_e32 v115, v146, v16
	v_fmac_f32_e32 v152, v151, v160
	s_delay_alu instid0(VALU_DEP_4) | instskip(NEXT) | instid1(VALU_DEP_2)
	v_fmac_f32_e32 v114, v142, v11
	v_dual_fmac_f32 v108, v151, v17 :: v_dual_fmac_f32 v157, v152, v168
	v_lshlrev_b32_e32 v6, 16, v6
	v_dual_fmac_f32 v113, v14, v10 :: v_dual_lshlrev_b32 v0, 16, v0
	v_and_b32_e32 v147, 0xffff0000, v3
	s_delay_alu instid0(VALU_DEP_4) | instskip(SKIP_3) | instid1(VALU_DEP_4)
	v_fmac_f32_e32 v161, v157, v163
	v_and_b32_e32 v145, 0xffff0000, v2
	v_lshlrev_b32_e32 v2, 16, v2
	v_dual_fmac_f32 v117, v15, v6 :: v_dual_and_b32 v144, 0xffff0000, v1
	v_fmac_f32_e32 v162, v161, v165
	v_lshlrev_b32_e32 v1, 16, v1
	v_lshlrev_b32_e32 v3, 16, v3
	v_dual_fmac_f32 v107, v161, v2 :: v_dual_fmac_f32 v116, v143, v7
	s_delay_alu instid0(VALU_DEP_4) | instskip(SKIP_1) | instid1(VALU_DEP_2)
	v_dual_fmac_f32 v109, v157, v144 :: v_dual_fmac_f32 v164, v162, v167
	v_dual_fmac_f32 v112, v149, v0 :: v_dual_fmac_f32 v105, v162, v145
	v_fmac_f32_e32 v106, v164, v3
	v_fmac_f32_e32 v166, v164, v169
	s_delay_alu instid0(VALU_DEP_1)
	v_dual_fmac_f32 v110, v152, v1 :: v_dual_fmac_f32 v111, v166, v147
	s_cbranch_scc1 .LBB63_204
.LBB63_109:                             ;   Parent Loop BB63_12 Depth=1
                                        ; =>  This Inner Loop Header: Depth=2
	s_lshl_b64 s[46:47], s[66:67], 2
	s_mov_b32 s55, s67
	s_add_u32 s46, s74, s46
	s_addc_u32 s47, s63, s47
	v_dual_mov_b32 v2, 0 :: v_dual_mov_b32 v3, 0
	global_load_b32 v142, v21, s[46:47]
	s_lshl_b64 s[46:47], s[54:55], 1
	s_delay_alu instid0(SALU_CYCLE_1)
	v_add_co_u32 v0, vcc_lo, v123, s46
	v_add_co_ci_u32_e32 v1, vcc_lo, s47, v124, vcc_lo
	s_and_saveexec_b32 s46, s13
	s_cbranch_execz .LBB63_111
; %bb.110:                              ;   in Loop: Header=BB63_109 Depth=2
	global_load_u16 v3, v[0:1], off
.LBB63_111:                             ;   in Loop: Header=BB63_109 Depth=2
	s_or_b32 exec_lo, exec_lo, s46
	s_and_saveexec_b32 s46, s14
	s_cbranch_execz .LBB63_113
; %bb.112:                              ;   in Loop: Header=BB63_109 Depth=2
	global_load_u16 v2, v[0:1], off offset:64
.LBB63_113:                             ;   in Loop: Header=BB63_109 Depth=2
	s_or_b32 exec_lo, exec_lo, s46
	v_dual_mov_b32 v4, 0 :: v_dual_mov_b32 v5, 0
	s_and_saveexec_b32 s46, s15
	s_cbranch_execz .LBB63_115
; %bb.114:                              ;   in Loop: Header=BB63_109 Depth=2
	global_load_u16 v5, v[0:1], off offset:128
.LBB63_115:                             ;   in Loop: Header=BB63_109 Depth=2
	s_or_b32 exec_lo, exec_lo, s46
	s_and_saveexec_b32 s46, s16
	s_cbranch_execz .LBB63_117
; %bb.116:                              ;   in Loop: Header=BB63_109 Depth=2
	global_load_u16 v4, v[0:1], off offset:192
.LBB63_117:                             ;   in Loop: Header=BB63_109 Depth=2
	s_or_b32 exec_lo, exec_lo, s46
	v_dual_mov_b32 v6, 0 :: v_dual_mov_b32 v7, 0
	s_and_saveexec_b32 s46, s17
	s_cbranch_execz .LBB63_119
; %bb.118:                              ;   in Loop: Header=BB63_109 Depth=2
	global_load_u16 v7, v[0:1], off offset:256
.LBB63_119:                             ;   in Loop: Header=BB63_109 Depth=2
	;; [unrolled: 13-line block ×7, first 2 shown]
	s_or_b32 exec_lo, exec_lo, s46
	s_and_saveexec_b32 s46, s28
	s_cbranch_execz .LBB63_141
; %bb.140:                              ;   in Loop: Header=BB63_109 Depth=2
	global_load_u16 v16, v[0:1], off offset:960
.LBB63_141:                             ;   in Loop: Header=BB63_109 Depth=2
	s_or_b32 exec_lo, exec_lo, s46
	s_waitcnt vmcnt(0)
	ds_store_b16 v37, v3
	ds_store_b16 v37, v2 offset:64
	ds_store_b16 v38, v5 offset:128
	;; [unrolled: 1-line block ×15, first 2 shown]
	; wave barrier
	ds_load_b128 v[12:15], v52
	ds_load_b128 v[8:11], v52 offset:16
	s_mov_b32 s59, s67
	v_dual_mov_b32 v2, 0 :: v_dual_mov_b32 v3, 0
	s_lshl_b64 s[46:47], s[58:59], 1
	s_delay_alu instid0(SALU_CYCLE_1)
	v_add_co_u32 v0, vcc_lo, v125, s46
	v_add_co_ci_u32_e32 v1, vcc_lo, s47, v126, vcc_lo
	s_and_saveexec_b32 s46, s13
	s_cbranch_execz .LBB63_143
; %bb.142:                              ;   in Loop: Header=BB63_109 Depth=2
	global_load_u16 v3, v[0:1], off
.LBB63_143:                             ;   in Loop: Header=BB63_109 Depth=2
	s_or_b32 exec_lo, exec_lo, s46
	s_and_saveexec_b32 s46, s14
	s_cbranch_execz .LBB63_145
; %bb.144:                              ;   in Loop: Header=BB63_109 Depth=2
	global_load_u16 v2, v[0:1], off offset:64
.LBB63_145:                             ;   in Loop: Header=BB63_109 Depth=2
	s_or_b32 exec_lo, exec_lo, s46
	v_dual_mov_b32 v4, 0 :: v_dual_mov_b32 v5, 0
	s_and_saveexec_b32 s46, s15
	s_cbranch_execz .LBB63_147
; %bb.146:                              ;   in Loop: Header=BB63_109 Depth=2
	global_load_u16 v5, v[0:1], off offset:128
.LBB63_147:                             ;   in Loop: Header=BB63_109 Depth=2
	s_or_b32 exec_lo, exec_lo, s46
	s_and_saveexec_b32 s46, s16
	s_cbranch_execz .LBB63_149
; %bb.148:                              ;   in Loop: Header=BB63_109 Depth=2
	global_load_u16 v4, v[0:1], off offset:192
.LBB63_149:                             ;   in Loop: Header=BB63_109 Depth=2
	s_or_b32 exec_lo, exec_lo, s46
	v_dual_mov_b32 v6, 0 :: v_dual_mov_b32 v7, 0
	s_and_saveexec_b32 s46, s17
	s_cbranch_execz .LBB63_151
; %bb.150:                              ;   in Loop: Header=BB63_109 Depth=2
	global_load_u16 v7, v[0:1], off offset:256
.LBB63_151:                             ;   in Loop: Header=BB63_109 Depth=2
	;; [unrolled: 13-line block ×7, first 2 shown]
	s_or_b32 exec_lo, exec_lo, s46
	s_and_saveexec_b32 s46, s28
	s_cbranch_execz .LBB63_173
; %bb.172:                              ;   in Loop: Header=BB63_109 Depth=2
	global_load_u16 v149, v[0:1], off offset:960
.LBB63_173:                             ;   in Loop: Header=BB63_109 Depth=2
	s_or_b32 exec_lo, exec_lo, s46
	s_waitcnt vmcnt(0)
	ds_store_b16 v37, v3 offset:4224
	ds_store_b16 v53, v2 offset:64
	;; [unrolled: 1-line block ×16, first 2 shown]
	; wave barrier
	ds_load_b128 v[4:7], v52 offset:4224
	ds_load_b128 v[0:3], v68 offset:16
	s_and_not1_b32 vcc_lo, exec_lo, s51
	s_cbranch_vccnz .LBB63_175
; %bb.174:                              ;   in Loop: Header=BB63_109 Depth=2
	v_mov_b32_e32 v16, s89
	ds_load_b64 v[16:17], v16
	s_cbranch_execz .LBB63_176
	s_branch .LBB63_179
.LBB63_175:                             ;   in Loop: Header=BB63_109 Depth=2
                                        ; implicit-def: $vgpr16
.LBB63_176:                             ;   in Loop: Header=BB63_109 Depth=2
	s_waitcnt lgkmcnt(0)
	v_mov_b32_e32 v17, 0
	s_and_not1_b32 vcc_lo, exec_lo, s68
	s_cbranch_vccnz .LBB63_178
; %bb.177:                              ;   in Loop: Header=BB63_109 Depth=2
	s_mov_b32 s61, s67
	s_delay_alu instid0(SALU_CYCLE_1) | instskip(NEXT) | instid1(SALU_CYCLE_1)
	s_lshl_b64 s[46:47], s[60:61], 2
	s_add_u32 s46, s77, s46
	s_addc_u32 s47, s78, s47
	global_load_b32 v17, v21, s[46:47]
.LBB63_178:                             ;   in Loop: Header=BB63_109 Depth=2
	v_mov_b32_e32 v16, 1.0
.LBB63_179:                             ;   in Loop: Header=BB63_109 Depth=2
	s_waitcnt lgkmcnt(19)
	v_dual_mul_f32 v164, 0x3fb8aa3b, v142 :: v_dual_lshlrev_b32 v143, 16, v12
	v_and_b32_e32 v12, 0xffff0000, v12
	v_lshlrev_b32_e32 v142, 16, v13
	v_and_b32_e32 v146, 0xffff0000, v13
	v_lshlrev_b32_e32 v149, 16, v14
	v_mul_f32_e32 v13, v164, v90
	v_dual_mul_f32 v14, v164, v91 :: v_dual_and_b32 v151, 0xffff0000, v14
	v_dual_mul_f32 v145, v164, v93 :: v_dual_lshlrev_b32 v152, 16, v15
	s_delay_alu instid0(VALU_DEP_3) | instskip(SKIP_1) | instid1(VALU_DEP_4)
	v_cmp_gt_f32_e32 vcc_lo, 0xc2fc0000, v13
	v_dual_mul_f32 v12, v140, v12 :: v_dual_and_b32 v155, 0xffff0000, v15
	v_cmp_gt_f32_e64 s46, 0xc2fc0000, v14
	v_mul_f32_e32 v15, v164, v92
	v_cndmask_b32_e64 v13, 0, 0x42800000, vcc_lo
	v_cndmask_b32_e64 v144, 1.0, 0x1f800000, vcc_lo
	s_waitcnt lgkmcnt(18)
	v_lshlrev_b32_e32 v161, 16, v10
	v_cndmask_b32_e64 v14, 0, 0x42800000, s46
	v_mul_f32_e32 v143, v141, v143
	v_fmac_f32_e32 v13, v164, v90
	v_dual_mul_f32 v142, v139, v142 :: v_dual_lshlrev_b32 v157, 16, v8
	v_and_b32_e32 v8, 0xffff0000, v8
	v_fmac_f32_e32 v14, v164, v91
	s_delay_alu instid0(VALU_DEP_4) | instskip(SKIP_2) | instid1(VALU_DEP_3)
	v_exp_f32_e32 v13, v13
	v_cmp_gt_f32_e32 vcc_lo, 0xc2fc0000, v15
	v_dual_mul_f32 v151, v136, v151 :: v_dual_and_b32 v10, 0xffff0000, v10
	v_exp_f32_e32 v14, v14
	v_dual_mul_f32 v157, v133, v157 :: v_dual_mul_f32 v8, v132, v8
	v_cndmask_b32_e64 v15, 0, 0x42800000, vcc_lo
	v_lshlrev_b32_e32 v166, 16, v11
	v_and_b32_e32 v11, 0xffff0000, v11
	s_delay_alu instid0(TRANS32_DEP_2)
	v_mul_f32_e32 v13, v13, v144
	v_cndmask_b32_e64 v144, 0, v143, s29
	v_cndmask_b32_e64 v143, 1.0, 0x1f800000, s46
	v_cmp_gt_f32_e64 s46, 0xc2fc0000, v145
	v_fmac_f32_e32 v15, v164, v92
	v_cndmask_b32_e64 v145, 1.0, v13, s29
	v_cndmask_b32_e64 v12, 0, v12, s30
	v_mul_f32_e32 v13, v14, v143
	v_cndmask_b32_e64 v147, 0, 0x42800000, s46
	v_exp_f32_e32 v14, v15
	v_cndmask_b32_e64 v143, 1.0, 0x1f800000, vcc_lo
	v_lshlrev_b32_e32 v159, 16, v9
	v_mul_f32_e32 v15, v164, v94
	v_fmac_f32_e32 v147, v164, v93
	v_and_b32_e32 v9, 0xffff0000, v9
	v_mul_f32_e32 v167, v164, v103
	v_mul_f32_e32 v169, v164, v121
	v_cmp_gt_f32_e32 vcc_lo, 0xc2fc0000, v15
	v_exp_f32_e32 v150, v147
	v_mul_f32_e32 v14, v14, v143
	v_cndmask_b32_e64 v143, 1.0, 0x1f800000, s46
	v_mul_f32_e32 v153, v164, v97
	v_cndmask_b32_e64 v15, 0, 0x42800000, vcc_lo
	v_mul_f32_e32 v156, v164, v98
	v_cndmask_b32_e64 v148, 1.0, v14, s31
	v_mul_f32_e32 v14, v138, v146
	v_mul_f32_e32 v146, v164, v96
	v_fmac_f32_e32 v15, v164, v94
	v_mul_f32_e32 v143, v150, v143
	v_cmp_gt_f32_e64 s47, 0xc2fc0000, v153
	v_cndmask_b32_e64 v14, 0, v14, s33
	v_mul_f32_e32 v158, v164, v100
	v_exp_f32_e32 v15, v15
	v_cndmask_b32_e64 v150, 1.0, v143, s33
	v_cndmask_b32_e64 v143, 1.0, 0x1f800000, vcc_lo
	v_cmp_gt_f32_e32 vcc_lo, 0xc2fc0000, v146
	v_mul_f32_e32 v166, v127, v166
	v_dual_mul_f32 v10, v128, v10 :: v_dual_mul_f32 v11, v122, v11
	v_cndmask_b32_e64 v146, 0, 0x42800000, vcc_lo
	s_delay_alu instid0(TRANS32_DEP_1) | instskip(SKIP_2) | instid1(VALU_DEP_4)
	v_mul_f32_e32 v143, v15, v143
	v_mul_f32_e32 v15, v137, v149
	v_cndmask_b32_e64 v149, 0, 0x42800000, s47
	v_fmac_f32_e32 v146, v164, v96
	v_cndmask_b32_e64 v147, 1.0, v13, s30
	v_cndmask_b32_e64 v13, 0, v142, s31
	v_mul_f32_e32 v142, v164, v95
	v_cndmask_b32_e64 v153, 1.0, v143, s34
	v_exp_f32_e32 v146, v146
	v_fma_f32 v165, v147, v144, v12
	v_cndmask_b32_e64 v15, 0, v15, s34
	v_cmp_gt_f32_e64 s46, 0xc2fc0000, v142
	s_delay_alu instid0(VALU_DEP_1) | instskip(SKIP_1) | instid1(VALU_DEP_2)
	v_cndmask_b32_e64 v142, 0, 0x42800000, s46
	v_cndmask_b32_e64 v154, 1.0, 0x1f800000, s46
	v_fmac_f32_e32 v142, v164, v95
	s_delay_alu instid0(VALU_DEP_1)
	v_exp_f32_e32 v142, v142
	s_waitcnt_depctr 0xfff
	v_mul_f32_e32 v143, v142, v154
	v_cndmask_b32_e64 v142, 0, v151, s35
	v_cndmask_b32_e64 v151, 1.0, 0x1f800000, vcc_lo
	v_cmp_gt_f32_e32 vcc_lo, 0xc2fc0000, v156
	v_mul_f32_e32 v156, v134, v155
	v_cndmask_b32_e64 v154, 1.0, v143, s35
	s_delay_alu instid0(VALU_DEP_4)
	v_dual_mul_f32 v143, v135, v152 :: v_dual_mul_f32 v146, v146, v151
	v_cndmask_b32_e64 v151, 1.0, 0x1f800000, s47
	v_cmp_gt_f32_e64 s47, 0xc2fc0000, v158
	v_mul_f32_e32 v158, v164, v101
	v_cndmask_b32_e64 v152, 0, 0x42800000, vcc_lo
	v_cndmask_b32_e64 v160, 1.0, 0x1f800000, vcc_lo
	v_cndmask_b32_e64 v155, 1.0, v146, s36
	v_cndmask_b32_e64 v146, 0, v156, s37
	v_cmp_gt_f32_e32 vcc_lo, 0xc2fc0000, v158
	v_fmac_f32_e32 v152, v164, v98
	v_cndmask_b32_e64 v143, 0, v143, s36
	v_cndmask_b32_e64 v162, 0, 0x42800000, vcc_lo
	v_cndmask_b32_e64 v163, 1.0, 0x1f800000, vcc_lo
	s_delay_alu instid0(VALU_DEP_2) | instskip(NEXT) | instid1(VALU_DEP_1)
	v_fmac_f32_e32 v162, v164, v101
	v_exp_f32_e32 v162, v162
	v_fmac_f32_e32 v149, v164, v97
	s_delay_alu instid0(VALU_DEP_1) | instskip(SKIP_3) | instid1(VALU_DEP_2)
	v_exp_f32_e32 v149, v149
	s_waitcnt_depctr 0xfff
	v_mul_f32_e32 v149, v149, v151
	v_mul_f32_e32 v151, v164, v99
	v_cndmask_b32_e64 v156, 1.0, v149, s37
	s_delay_alu instid0(VALU_DEP_2) | instskip(SKIP_2) | instid1(VALU_DEP_2)
	v_cmp_gt_f32_e64 s46, 0xc2fc0000, v151
	v_exp_f32_e32 v149, v152
	v_cndmask_b32_e64 v152, 0, 0x42800000, s47
	v_cndmask_b32_e64 v151, 0, 0x42800000, s46
	s_delay_alu instid0(VALU_DEP_2)
	v_fmac_f32_e32 v152, v164, v100
	s_waitcnt_depctr 0xfff
	v_dual_fmac_f32 v151, v164, v99 :: v_dual_mul_f32 v158, v149, v160
	v_cndmask_b32_e64 v149, 0, v157, s38
	v_exp_f32_e32 v152, v152
	v_cndmask_b32_e64 v157, 1.0, 0x1f800000, s46
	s_delay_alu instid0(VALU_DEP_3) | instskip(SKIP_3) | instid1(VALU_DEP_2)
	v_exp_f32_e32 v151, v151
	v_cndmask_b32_e64 v160, 1.0, 0x1f800000, s47
	v_cmp_gt_f32_e64 s46, 0xc2fc0000, v167
	v_cndmask_b32_e64 v158, 1.0, v158, s38
	v_cndmask_b32_e64 v167, 1.0, 0x1f800000, s46
	s_waitcnt_depctr 0xfff
	v_dual_mul_f32 v160, v152, v160 :: v_dual_mul_f32 v157, v151, v157
	v_cndmask_b32_e64 v151, 0, v8, s39
	v_mul_f32_e32 v8, v131, v159
	s_delay_alu instid0(VALU_DEP_3) | instskip(NEXT) | instid1(VALU_DEP_4)
	v_cndmask_b32_e64 v160, 1.0, v160, s40
	v_cndmask_b32_e64 v159, 1.0, v157, s39
	v_mul_f32_e32 v157, v164, v102
	s_delay_alu instid0(VALU_DEP_4) | instskip(SKIP_1) | instid1(VALU_DEP_3)
	v_cndmask_b32_e64 v152, 0, v8, s40
	v_dual_mul_f32 v8, v162, v163 :: v_dual_mul_f32 v163, v147, v145
	v_cmp_gt_f32_e32 vcc_lo, 0xc2fc0000, v157
	s_delay_alu instid0(VALU_DEP_2) | instskip(SKIP_3) | instid1(VALU_DEP_3)
	v_cndmask_b32_e64 v168, 1.0, v8, s41
	v_cndmask_b32_e64 v162, 0, 0x42800000, vcc_lo
	v_mul_f32_e32 v9, v130, v9
	v_cndmask_b32_e64 v8, 1.0, 0x1f800000, vcc_lo
	v_fmac_f32_e32 v162, v164, v102
	s_delay_alu instid0(VALU_DEP_3)
	v_cndmask_b32_e64 v157, 0, v9, s41
	v_mul_f32_e32 v9, v163, v148
	v_fma_f32 v163, v165, v148, v13
	v_cndmask_b32_e64 v165, 0, 0x42800000, s46
	v_exp_f32_e32 v162, v162
	v_cmp_gt_f32_e64 s46, 0xc2fc0000, v169
	v_mul_f32_e32 v9, v9, v150
	v_fma_f32 v163, v163, v150, v14
	v_fmac_f32_e32 v165, v164, v103
	s_delay_alu instid0(VALU_DEP_3) | instskip(NEXT) | instid1(VALU_DEP_3)
	v_mul_f32_e32 v9, v9, v153
	v_fma_f32 v163, v163, v153, v15
	s_delay_alu instid0(VALU_DEP_3)
	v_exp_f32_e32 v165, v165
	s_delay_alu instid0(TRANS32_DEP_2) | instid1(VALU_DEP_2)
	v_dual_mul_f32 v8, v162, v8 :: v_dual_mul_f32 v9, v9, v154
	s_delay_alu instid0(VALU_DEP_2) | instskip(NEXT) | instid1(VALU_DEP_2)
	v_fma_f32 v162, v163, v154, v142
	v_cndmask_b32_e64 v163, 1.0, v8, s42
	s_delay_alu instid0(VALU_DEP_3) | instskip(NEXT) | instid1(VALU_DEP_3)
	v_mul_f32_e32 v8, v9, v155
	v_fma_f32 v9, v162, v155, v143
	v_mul_f32_e32 v162, v164, v104
	s_delay_alu instid0(VALU_DEP_3) | instskip(NEXT) | instid1(VALU_DEP_3)
	v_mul_f32_e32 v8, v8, v156
	v_fma_f32 v9, v9, v156, v146
	s_delay_alu instid0(VALU_DEP_3)
	v_cmp_gt_f32_e32 vcc_lo, 0xc2fc0000, v162
	v_mul_f32_e32 v161, v129, v161
	v_cndmask_b32_e64 v162, 0, v10, s43
	v_mul_f32_e32 v8, v8, v158
	v_fma_f32 v9, v9, v158, v149
	v_cndmask_b32_e64 v10, 0, 0x42800000, s46
	v_mul_f32_e32 v165, v165, v167
	v_cndmask_b32_e64 v167, 0, 0x42800000, vcc_lo
	v_mul_f32_e32 v8, v8, v159
	v_fma_f32 v9, v9, v159, v151
	v_fmac_f32_e32 v10, v164, v121
	v_cndmask_b32_e64 v161, 0, v161, s42
	v_fmac_f32_e32 v167, v164, v104
	v_mul_f32_e32 v8, v8, v160
	v_fma_f32 v9, v9, v160, v152
	v_cndmask_b32_e64 v164, 1.0, 0x1f800000, vcc_lo
	v_exp_f32_e32 v10, v10
	v_exp_f32_e32 v167, v167
	v_mul_f32_e32 v8, v8, v168
	v_fma_f32 v9, v9, v168, v157
	v_cndmask_b32_e64 v165, 1.0, v165, s43
	s_delay_alu instid0(VALU_DEP_3) | instskip(NEXT) | instid1(VALU_DEP_3)
	v_mul_f32_e32 v8, v8, v163
	v_fma_f32 v9, v9, v163, v161
	s_waitcnt_depctr 0xfff
	v_mul_f32_e32 v167, v167, v164
	v_cndmask_b32_e64 v164, 0, v166, s44
	v_cndmask_b32_e64 v166, 1.0, 0x1f800000, s46
	v_mul_f32_e32 v8, v8, v165
	v_fma_f32 v9, v9, v165, v162
	v_cndmask_b32_e64 v167, 1.0, v167, s44
	s_delay_alu instid0(VALU_DEP_4) | instskip(SKIP_1) | instid1(VALU_DEP_3)
	v_mul_f32_e32 v10, v10, v166
	v_cndmask_b32_e64 v166, 0, v11, s45
	v_mul_f32_e32 v8, v8, v167
	v_fma_f32 v9, v9, v167, v164
	s_delay_alu instid0(VALU_DEP_4) | instskip(NEXT) | instid1(VALU_DEP_1)
	v_cndmask_b32_e64 v169, 1.0, v10, s45
	v_mul_f32_e32 v8, v8, v169
	s_delay_alu instid0(VALU_DEP_3) | instskip(NEXT) | instid1(VALU_DEP_2)
	v_fma_f32 v9, v9, v169, v166
	v_mov_b32_dpp v11, v8 row_shr:1 row_mask:0xf bank_mask:0xf
	s_delay_alu instid0(VALU_DEP_2)
	v_mov_b32_dpp v10, v9 row_shr:1 row_mask:0xf bank_mask:0xf
	s_and_saveexec_b32 s46, s0
; %bb.180:                              ;   in Loop: Header=BB63_109 Depth=2
	s_delay_alu instid0(VALU_DEP_2) | instskip(NEXT) | instid1(VALU_DEP_1)
	v_mul_f32_e32 v11, v8, v11
	v_dual_fmac_f32 v9, v8, v10 :: v_dual_mov_b32 v8, v11
; %bb.181:                              ;   in Loop: Header=BB63_109 Depth=2
	s_or_b32 exec_lo, exec_lo, s46
	s_delay_alu instid0(VALU_DEP_1) | instskip(NEXT) | instid1(VALU_DEP_2)
	v_mov_b32_dpp v10, v8 row_shr:2 row_mask:0xf bank_mask:0xf
	v_mov_b32_dpp v11, v9 row_shr:2 row_mask:0xf bank_mask:0xf
	s_and_saveexec_b32 s46, s1
; %bb.182:                              ;   in Loop: Header=BB63_109 Depth=2
	s_delay_alu instid0(VALU_DEP_1) | instskip(NEXT) | instid1(VALU_DEP_3)
	v_fmac_f32_e32 v9, v8, v11
	v_mul_f32_e32 v8, v8, v10
; %bb.183:                              ;   in Loop: Header=BB63_109 Depth=2
	s_or_b32 exec_lo, exec_lo, s46
	s_delay_alu instid0(VALU_DEP_1) | instskip(NEXT) | instid1(VALU_DEP_3)
	v_mov_b32_dpp v10, v8 row_shr:4 row_mask:0xf bank_mask:0xf
	v_mov_b32_dpp v11, v9 row_shr:4 row_mask:0xf bank_mask:0xf
	s_and_saveexec_b32 s46, s2
; %bb.184:                              ;   in Loop: Header=BB63_109 Depth=2
	s_delay_alu instid0(VALU_DEP_1) | instskip(NEXT) | instid1(VALU_DEP_3)
	v_fmac_f32_e32 v9, v8, v11
	v_mul_f32_e32 v8, v8, v10
; %bb.185:                              ;   in Loop: Header=BB63_109 Depth=2
	s_or_b32 exec_lo, exec_lo, s46
	s_delay_alu instid0(VALU_DEP_1) | instskip(NEXT) | instid1(VALU_DEP_3)
	v_mov_b32_dpp v10, v8 row_shr:8 row_mask:0xf bank_mask:0xf
	v_mov_b32_dpp v11, v9 row_shr:8 row_mask:0xf bank_mask:0xf
	s_and_saveexec_b32 s46, s3
; %bb.186:                              ;   in Loop: Header=BB63_109 Depth=2
	s_delay_alu instid0(VALU_DEP_1) | instskip(NEXT) | instid1(VALU_DEP_3)
	v_fmac_f32_e32 v9, v8, v11
	v_mul_f32_e32 v8, v8, v10
; %bb.187:                              ;   in Loop: Header=BB63_109 Depth=2
	s_or_b32 exec_lo, exec_lo, s46
	ds_swizzle_b32 v11, v8 offset:swizzle(BROADCAST,32,15)
	ds_swizzle_b32 v10, v9 offset:swizzle(BROADCAST,32,15)
	s_and_saveexec_b32 s46, s4
	s_cbranch_execz .LBB63_189
; %bb.188:                              ;   in Loop: Header=BB63_109 Depth=2
	s_waitcnt lgkmcnt(1)
	v_mul_f32_e32 v11, v8, v11
	s_waitcnt lgkmcnt(0)
	s_delay_alu instid0(VALU_DEP_1)
	v_dual_fmac_f32 v9, v8, v10 :: v_dual_mov_b32 v8, v11
.LBB63_189:                             ;   in Loop: Header=BB63_109 Depth=2
	s_or_b32 exec_lo, exec_lo, s46
	s_and_saveexec_b32 s46, s5
	s_cbranch_execz .LBB63_191
; %bb.190:                              ;   in Loop: Header=BB63_109 Depth=2
	ds_store_b64 v69, v[8:9] offset:8448
.LBB63_191:                             ;   in Loop: Header=BB63_109 Depth=2
	s_or_b32 exec_lo, exec_lo, s46
	s_waitcnt vmcnt(0) lgkmcnt(0)
	s_waitcnt_vscnt null, 0x0
	s_barrier
	buffer_gl0_inv
	s_and_saveexec_b32 s46, s6
	s_cbranch_execz .LBB63_195
; %bb.192:                              ;   in Loop: Header=BB63_109 Depth=2
	ds_load_b64 v[10:11], v70 offset:8448
	s_waitcnt lgkmcnt(0)
	v_mov_b32_dpp v172, v10 row_shr:1 row_mask:0xf bank_mask:0xf
	v_mov_b32_dpp v171, v11 row_shr:1 row_mask:0xf bank_mask:0xf
	v_mov_b32_e32 v170, v10
	s_and_saveexec_b32 s47, s7
; %bb.193:                              ;   in Loop: Header=BB63_109 Depth=2
	s_delay_alu instid0(VALU_DEP_3) | instskip(NEXT) | instid1(VALU_DEP_3)
	v_mul_f32_e32 v170, v10, v172
	v_fmac_f32_e32 v11, v10, v171
	s_delay_alu instid0(VALU_DEP_2)
	v_mov_b32_e32 v10, v170
; %bb.194:                              ;   in Loop: Header=BB63_109 Depth=2
	s_or_b32 exec_lo, exec_lo, s47
	v_mov_b32_dpp v170, v170 row_shr:2 row_mask:0xf bank_mask:0xf
	s_delay_alu instid0(VALU_DEP_3) | instskip(NEXT) | instid1(VALU_DEP_2)
	v_mov_b32_dpp v171, v11 row_shr:2 row_mask:0xf bank_mask:0xf
	v_mul_f32_e32 v170, v10, v170
	s_delay_alu instid0(VALU_DEP_2) | instskip(NEXT) | instid1(VALU_DEP_2)
	v_fma_f32 v171, v10, v171, v11
	v_cndmask_b32_e64 v10, v10, v170, s8
	s_delay_alu instid0(VALU_DEP_2)
	v_cndmask_b32_e64 v11, v11, v171, s8
	ds_store_b64 v70, v[10:11] offset:8448
.LBB63_195:                             ;   in Loop: Header=BB63_109 Depth=2
	s_or_b32 exec_lo, exec_lo, s46
	s_waitcnt lgkmcnt(0)
	s_barrier
	buffer_gl0_inv
                                        ; implicit-def: $vgpr11
	s_and_saveexec_b32 s46, s10
	s_cbranch_execz .LBB63_197
; %bb.196:                              ;   in Loop: Header=BB63_109 Depth=2
	ds_load_b64 v[10:11], v69 offset:8440
	s_waitcnt lgkmcnt(0)
	v_mul_f32_e32 v170, v8, v10
	s_delay_alu instid0(VALU_DEP_1)
	v_dual_fmac_f32 v9, v8, v11 :: v_dual_mov_b32 v8, v170
.LBB63_197:                             ;   in Loop: Header=BB63_109 Depth=2
	s_or_b32 exec_lo, exec_lo, s46
	ds_bpermute_b32 v170, v71, v8
	ds_bpermute_b32 v171, v71, v9
	s_and_saveexec_b32 s46, s9
	s_cbranch_execz .LBB63_201
; %bb.198:                              ;   in Loop: Header=BB63_109 Depth=2
	ds_load_b64 v[8:9], v21 offset:8472
	s_and_saveexec_b32 s47, s11
	s_cbranch_execz .LBB63_200
; %bb.199:                              ;   in Loop: Header=BB63_109 Depth=2
	ds_store_b64 v21, v[16:17] offset:8472
.LBB63_200:                             ;   in Loop: Header=BB63_109 Depth=2
	s_or_b32 exec_lo, exec_lo, s47
	s_waitcnt lgkmcnt(0)
	v_fmac_f32_e32 v9, v17, v8
	s_delay_alu instid0(VALU_DEP_1)
	v_dual_mul_f32 v16, v16, v8 :: v_dual_mov_b32 v17, v9
.LBB63_201:                             ;   in Loop: Header=BB63_109 Depth=2
	s_or_b32 exec_lo, exec_lo, s46
	s_waitcnt lgkmcnt(0)
	s_barrier
	buffer_gl0_inv
	ds_load_b32 v8, v21 offset:8476
	s_and_saveexec_b32 s46, s11
	s_cbranch_execz .LBB63_108
; %bb.202:                              ;   in Loop: Header=BB63_109 Depth=2
	v_mov_b32_e32 v9, s89
	s_and_not1_b32 vcc_lo, exec_lo, s87
	ds_store_b64 v9, v[16:17]
	s_cbranch_vccnz .LBB63_108
; %bb.203:                              ;   in Loop: Header=BB63_109 Depth=2
	s_mov_b32 s61, s67
	s_delay_alu instid0(SALU_CYCLE_1) | instskip(NEXT) | instid1(SALU_CYCLE_1)
	s_lshl_b64 s[90:91], s[60:61], 2
	s_add_u32 s90, s77, s90
	s_addc_u32 s91, s78, s91
	global_store_b32 v21, v17, s[90:91]
	s_branch .LBB63_108
.LBB63_204:                             ;   in Loop: Header=BB63_12 Depth=1
	v_bfe_u32 v0, v120, 16, 1
	v_bfe_u32 v1, v119, 16, 1
	v_cmp_o_f32_e32 vcc_lo, v120, v120
	v_bfe_u32 v2, v118, 16, 1
	v_bfe_u32 v4, v114, 16, 1
	v_add3_u32 v0, v120, v0, 0x7fff
	v_add3_u32 v1, v119, v1, 0x7fff
	v_bfe_u32 v7, v116, 16, 1
	v_add3_u32 v2, v118, v2, 0x7fff
	v_bfe_u32 v6, v115, 16, 1
	v_lshrrev_b32_e32 v0, 16, v0
	v_lshrrev_b32_e32 v1, 16, v1
	v_add3_u32 v4, v114, v4, 0x7fff
	v_lshrrev_b32_e32 v2, 16, v2
	v_add3_u32 v7, v116, v7, 0x7fff
	v_cndmask_b32_e32 v0, 0x7fc0, v0, vcc_lo
	v_cmp_o_f32_e32 vcc_lo, v119, v119
	v_add3_u32 v6, v115, v6, 0x7fff
	v_bfe_u32 v3, v113, 16, 1
	v_bfe_u32 v10, v109, 16, 1
	;; [unrolled: 1-line block ×3, first 2 shown]
	v_cndmask_b32_e32 v5, 0x7fc0, v1, vcc_lo
	v_bfe_u32 v1, v117, 16, 1
	v_cmp_o_f32_e32 vcc_lo, v118, v118
	v_lshrrev_b32_e32 v6, 16, v6
	v_add3_u32 v3, v113, v3, 0x7fff
	v_bfe_u32 v12, v111, 16, 1
	v_add3_u32 v1, v117, v1, 0x7fff
	v_cndmask_b32_e32 v8, 0x7fc0, v2, vcc_lo
	v_cmp_o_f32_e32 vcc_lo, v117, v117
	v_lshrrev_b32_e32 v2, 16, v4
	v_lshrrev_b32_e32 v4, 16, v7
	v_lshrrev_b32_e32 v1, 16, v1
	v_lshrrev_b32_e32 v3, 16, v3
	v_bfe_u32 v7, v112, 16, 1
	v_add3_u32 v11, v106, v11, 0x7fff
	v_perm_b32 v0, v5, v0, 0x5040100
	v_cndmask_b32_e32 v1, 0x7fc0, v1, vcc_lo
	v_cmp_o_f32_e32 vcc_lo, v116, v116
	s_waitcnt_vscnt null, 0x0
	s_barrier
	buffer_gl0_inv
	s_mov_b32 s51, s67
	v_cndmask_b32_e32 v4, 0x7fc0, v4, vcc_lo
	v_cmp_o_f32_e32 vcc_lo, v115, v115
	s_lshl_b64 s[30:31], s[50:51], 1
	v_cndmask_b32_e32 v6, 0x7fc0, v6, vcc_lo
	v_cmp_o_f32_e32 vcc_lo, v114, v114
	v_cndmask_b32_e32 v2, 0x7fc0, v2, vcc_lo
	v_cmp_o_f32_e32 vcc_lo, v113, v113
	s_delay_alu instid0(VALU_DEP_2)
	v_perm_b32 v2, v2, v1, 0x5040100
	v_cndmask_b32_e32 v9, 0x7fc0, v3, vcc_lo
	v_perm_b32 v3, v6, v4, 0x5040100
	v_add3_u32 v6, v112, v7, 0x7fff
	v_bfe_u32 v7, v110, 16, 1
	v_cmp_o_f32_e32 vcc_lo, v112, v112
	v_perm_b32 v1, v9, v8, 0x5040100
	v_add3_u32 v8, v109, v10, 0x7fff
	v_lshrrev_b32_e32 v6, 16, v6
	v_add3_u32 v7, v110, v7, 0x7fff
	v_bfe_u32 v10, v105, 16, 1
	v_bfe_u32 v4, v108, 16, 1
	s_delay_alu instid0(VALU_DEP_4) | instskip(NEXT) | instid1(VALU_DEP_4)
	v_cndmask_b32_e32 v9, 0x7fc0, v6, vcc_lo
	v_lshrrev_b32_e32 v6, 16, v7
	v_lshrrev_b32_e32 v7, 16, v8
	v_bfe_u32 v8, v107, 16, 1
	v_cmp_o_f32_e32 vcc_lo, v110, v110
	v_add3_u32 v4, v108, v4, 0x7fff
	s_delay_alu instid0(VALU_DEP_3)
	v_add3_u32 v8, v107, v8, 0x7fff
	v_cndmask_b32_e32 v13, 0x7fc0, v6, vcc_lo
	v_cmp_o_f32_e32 vcc_lo, v109, v109
	v_add3_u32 v6, v105, v10, 0x7fff
	v_add3_u32 v10, v111, v12, 0x7fff
	v_lshrrev_b32_e32 v4, 16, v4
	v_cndmask_b32_e32 v12, 0x7fc0, v7, vcc_lo
	v_lshrrev_b32_e32 v7, 16, v8
	v_cmp_o_f32_e32 vcc_lo, v107, v107
	v_lshrrev_b32_e32 v8, 16, v11
	v_lshrrev_b32_e32 v10, 16, v10
	;; [unrolled: 1-line block ×3, first 2 shown]
	v_perm_b32 v5, v12, v13, 0x5040100
	v_cndmask_b32_e32 v11, 0x7fc0, v7, vcc_lo
	v_cmp_o_f32_e32 vcc_lo, v106, v106
	v_cndmask_b32_e32 v7, 0x7fc0, v8, vcc_lo
	v_cmp_o_f32_e32 vcc_lo, v111, v111
	;; [unrolled: 2-line block ×3, first 2 shown]
	s_delay_alu instid0(VALU_DEP_2) | instskip(SKIP_2) | instid1(VALU_DEP_2)
	v_perm_b32 v7, v8, v7, 0x5040100
	v_cndmask_b32_e32 v6, 0x7fc0, v6, vcc_lo
	v_cmp_o_f32_e32 vcc_lo, v108, v108
	v_perm_b32 v6, v6, v11, 0x5040100
	v_cndmask_b32_e32 v4, 0x7fc0, v4, vcc_lo
	s_delay_alu instid0(VALU_DEP_1)
	v_perm_b32 v4, v4, v9, 0x5040100
	ds_store_b128 v52, v[0:3]
	ds_store_b128 v52, v[4:7] offset:16
	; wave barrier
	ds_load_u16 v16, v37 offset:64
	ds_load_u16 v15, v38 offset:128
	;; [unrolled: 1-line block ×15, first 2 shown]
	v_add_co_u32 v0, vcc_lo, v72, s30
	v_add_co_ci_u32_e32 v1, vcc_lo, s31, v73, vcc_lo
	s_and_saveexec_b32 s29, s13
	s_cbranch_execnz .LBB63_222
; %bb.205:                              ;   in Loop: Header=BB63_12 Depth=1
	s_or_b32 exec_lo, exec_lo, s29
	s_and_saveexec_b32 s13, s14
	s_cbranch_execnz .LBB63_223
.LBB63_206:                             ;   in Loop: Header=BB63_12 Depth=1
	s_or_b32 exec_lo, exec_lo, s13
	s_and_saveexec_b32 s13, s15
	s_cbranch_execnz .LBB63_224
.LBB63_207:                             ;   in Loop: Header=BB63_12 Depth=1
	s_or_b32 exec_lo, exec_lo, s13
	s_and_saveexec_b32 s13, s16
	s_cbranch_execnz .LBB63_225
.LBB63_208:                             ;   in Loop: Header=BB63_12 Depth=1
	s_or_b32 exec_lo, exec_lo, s13
	s_and_saveexec_b32 s13, s17
	s_cbranch_execnz .LBB63_226
.LBB63_209:                             ;   in Loop: Header=BB63_12 Depth=1
	s_or_b32 exec_lo, exec_lo, s13
	s_and_saveexec_b32 s13, s18
	s_cbranch_execnz .LBB63_227
.LBB63_210:                             ;   in Loop: Header=BB63_12 Depth=1
	s_or_b32 exec_lo, exec_lo, s13
	s_and_saveexec_b32 s13, s19
	s_cbranch_execnz .LBB63_228
.LBB63_211:                             ;   in Loop: Header=BB63_12 Depth=1
	s_or_b32 exec_lo, exec_lo, s13
	s_and_saveexec_b32 s13, s20
	s_cbranch_execnz .LBB63_229
.LBB63_212:                             ;   in Loop: Header=BB63_12 Depth=1
	s_or_b32 exec_lo, exec_lo, s13
	s_and_saveexec_b32 s13, s21
	s_cbranch_execnz .LBB63_230
.LBB63_213:                             ;   in Loop: Header=BB63_12 Depth=1
	s_or_b32 exec_lo, exec_lo, s13
	s_and_saveexec_b32 s13, s22
	s_cbranch_execnz .LBB63_231
.LBB63_214:                             ;   in Loop: Header=BB63_12 Depth=1
	s_or_b32 exec_lo, exec_lo, s13
	s_and_saveexec_b32 s13, s23
	s_cbranch_execnz .LBB63_232
.LBB63_215:                             ;   in Loop: Header=BB63_12 Depth=1
	s_or_b32 exec_lo, exec_lo, s13
	s_and_saveexec_b32 s13, s24
	s_cbranch_execnz .LBB63_233
.LBB63_216:                             ;   in Loop: Header=BB63_12 Depth=1
	s_or_b32 exec_lo, exec_lo, s13
	s_and_saveexec_b32 s13, s25
	s_cbranch_execnz .LBB63_234
.LBB63_217:                             ;   in Loop: Header=BB63_12 Depth=1
	s_or_b32 exec_lo, exec_lo, s13
	s_and_saveexec_b32 s13, s26
	s_cbranch_execnz .LBB63_235
.LBB63_218:                             ;   in Loop: Header=BB63_12 Depth=1
	s_or_b32 exec_lo, exec_lo, s13
	s_and_saveexec_b32 s13, s27
	s_cbranch_execnz .LBB63_236
.LBB63_219:                             ;   in Loop: Header=BB63_12 Depth=1
	s_or_b32 exec_lo, exec_lo, s13
	s_and_saveexec_b32 s13, s28
	s_cbranch_execz .LBB63_11
	s_branch .LBB63_237
.LBB63_220:                             ;   in Loop: Header=BB63_12 Depth=1
	global_load_u16 v97, v[8:9], off offset:832
	s_or_b32 exec_lo, exec_lo, s29
	s_and_saveexec_b32 s29, s27
	s_cbranch_execz .LBB63_72
.LBB63_221:                             ;   in Loop: Header=BB63_12 Depth=1
	global_load_u16 v96, v[8:9], off offset:896
	s_or_b32 exec_lo, exec_lo, s29
	v_mov_b32_e32 v98, 0
	s_and_saveexec_b32 s29, s28
	s_cbranch_execnz .LBB63_73
	s_branch .LBB63_74
.LBB63_222:                             ;   in Loop: Header=BB63_12 Depth=1
	ds_load_u16 v17, v37
	s_waitcnt lgkmcnt(0)
	global_store_b16 v[0:1], v17, off
	s_or_b32 exec_lo, exec_lo, s29
	s_and_saveexec_b32 s13, s14
	s_cbranch_execz .LBB63_206
.LBB63_223:                             ;   in Loop: Header=BB63_12 Depth=1
	s_waitcnt lgkmcnt(14)
	global_store_b16 v[0:1], v16, off offset:64
	s_or_b32 exec_lo, exec_lo, s13
	s_and_saveexec_b32 s13, s15
	s_cbranch_execz .LBB63_207
.LBB63_224:                             ;   in Loop: Header=BB63_12 Depth=1
	s_waitcnt lgkmcnt(13)
	global_store_b16 v[0:1], v15, off offset:128
	s_or_b32 exec_lo, exec_lo, s13
	s_and_saveexec_b32 s13, s16
	s_cbranch_execz .LBB63_208
.LBB63_225:                             ;   in Loop: Header=BB63_12 Depth=1
	s_waitcnt lgkmcnt(12)
	global_store_b16 v[0:1], v14, off offset:192
	s_or_b32 exec_lo, exec_lo, s13
	s_and_saveexec_b32 s13, s17
	s_cbranch_execz .LBB63_209
.LBB63_226:                             ;   in Loop: Header=BB63_12 Depth=1
	s_waitcnt lgkmcnt(11)
	global_store_b16 v[0:1], v13, off offset:256
	s_or_b32 exec_lo, exec_lo, s13
	s_and_saveexec_b32 s13, s18
	s_cbranch_execz .LBB63_210
.LBB63_227:                             ;   in Loop: Header=BB63_12 Depth=1
	s_waitcnt lgkmcnt(10)
	global_store_b16 v[0:1], v12, off offset:320
	s_or_b32 exec_lo, exec_lo, s13
	s_and_saveexec_b32 s13, s19
	s_cbranch_execz .LBB63_211
.LBB63_228:                             ;   in Loop: Header=BB63_12 Depth=1
	s_waitcnt lgkmcnt(9)
	global_store_b16 v[0:1], v11, off offset:384
	s_or_b32 exec_lo, exec_lo, s13
	s_and_saveexec_b32 s13, s20
	s_cbranch_execz .LBB63_212
.LBB63_229:                             ;   in Loop: Header=BB63_12 Depth=1
	s_waitcnt lgkmcnt(8)
	global_store_b16 v[0:1], v10, off offset:448
	s_or_b32 exec_lo, exec_lo, s13
	s_and_saveexec_b32 s13, s21
	s_cbranch_execz .LBB63_213
.LBB63_230:                             ;   in Loop: Header=BB63_12 Depth=1
	s_waitcnt lgkmcnt(7)
	global_store_b16 v[0:1], v9, off offset:512
	s_or_b32 exec_lo, exec_lo, s13
	s_and_saveexec_b32 s13, s22
	s_cbranch_execz .LBB63_214
.LBB63_231:                             ;   in Loop: Header=BB63_12 Depth=1
	s_waitcnt lgkmcnt(6)
	global_store_b16 v[0:1], v8, off offset:576
	s_or_b32 exec_lo, exec_lo, s13
	s_and_saveexec_b32 s13, s23
	s_cbranch_execz .LBB63_215
.LBB63_232:                             ;   in Loop: Header=BB63_12 Depth=1
	s_waitcnt lgkmcnt(5)
	global_store_b16 v[0:1], v7, off offset:640
	s_or_b32 exec_lo, exec_lo, s13
	s_and_saveexec_b32 s13, s24
	s_cbranch_execz .LBB63_216
.LBB63_233:                             ;   in Loop: Header=BB63_12 Depth=1
	s_waitcnt lgkmcnt(4)
	global_store_b16 v[0:1], v6, off offset:704
	s_or_b32 exec_lo, exec_lo, s13
	s_and_saveexec_b32 s13, s25
	s_cbranch_execz .LBB63_217
.LBB63_234:                             ;   in Loop: Header=BB63_12 Depth=1
	s_waitcnt lgkmcnt(3)
	global_store_b16 v[0:1], v5, off offset:768
	s_or_b32 exec_lo, exec_lo, s13
	s_and_saveexec_b32 s13, s26
	s_cbranch_execz .LBB63_218
.LBB63_235:                             ;   in Loop: Header=BB63_12 Depth=1
	s_waitcnt lgkmcnt(2)
	global_store_b16 v[0:1], v4, off offset:832
	s_or_b32 exec_lo, exec_lo, s13
	s_and_saveexec_b32 s13, s27
	s_cbranch_execz .LBB63_219
.LBB63_236:                             ;   in Loop: Header=BB63_12 Depth=1
	s_waitcnt lgkmcnt(1)
	global_store_b16 v[0:1], v3, off offset:896
	s_or_b32 exec_lo, exec_lo, s13
	s_and_saveexec_b32 s13, s28
	s_cbranch_execz .LBB63_11
.LBB63_237:                             ;   in Loop: Header=BB63_12 Depth=1
	s_waitcnt lgkmcnt(0)
	global_store_b16 v[0:1], v2, off offset:960
	s_branch .LBB63_11
.LBB63_238:
	s_nop 0
	s_sendmsg sendmsg(MSG_DEALLOC_VGPRS)
	s_endpgm
	.section	.rodata,"a",@progbits
	.p2align	6, 0x0
	.amdhsa_kernel _Z25selective_scan_fwd_kernelI32Selective_Scan_fwd_kernel_traitsILi128ELi16ELi1ELb0ELb1ELb1ELb0ELb0EN3c108BFloat16EffEEv13SSMParamsBase
		.amdhsa_group_segment_fixed_size 0
		.amdhsa_private_segment_fixed_size 0
		.amdhsa_kernarg_size 248
		.amdhsa_user_sgpr_count 14
		.amdhsa_user_sgpr_dispatch_ptr 0
		.amdhsa_user_sgpr_queue_ptr 0
		.amdhsa_user_sgpr_kernarg_segment_ptr 1
		.amdhsa_user_sgpr_dispatch_id 0
		.amdhsa_user_sgpr_private_segment_size 0
		.amdhsa_wavefront_size32 1
		.amdhsa_uses_dynamic_stack 0
		.amdhsa_enable_private_segment 0
		.amdhsa_system_sgpr_workgroup_id_x 1
		.amdhsa_system_sgpr_workgroup_id_y 1
		.amdhsa_system_sgpr_workgroup_id_z 0
		.amdhsa_system_sgpr_workgroup_info 0
		.amdhsa_system_vgpr_workitem_id 0
		.amdhsa_next_free_vgpr 173
		.amdhsa_next_free_sgpr 92
		.amdhsa_reserve_vcc 1
		.amdhsa_float_round_mode_32 0
		.amdhsa_float_round_mode_16_64 0
		.amdhsa_float_denorm_mode_32 3
		.amdhsa_float_denorm_mode_16_64 3
		.amdhsa_dx10_clamp 1
		.amdhsa_ieee_mode 1
		.amdhsa_fp16_overflow 0
		.amdhsa_workgroup_processor_mode 1
		.amdhsa_memory_ordered 1
		.amdhsa_forward_progress 0
		.amdhsa_shared_vgpr_count 0
		.amdhsa_exception_fp_ieee_invalid_op 0
		.amdhsa_exception_fp_denorm_src 0
		.amdhsa_exception_fp_ieee_div_zero 0
		.amdhsa_exception_fp_ieee_overflow 0
		.amdhsa_exception_fp_ieee_underflow 0
		.amdhsa_exception_fp_ieee_inexact 0
		.amdhsa_exception_int_div_zero 0
	.end_amdhsa_kernel
	.section	.text._Z25selective_scan_fwd_kernelI32Selective_Scan_fwd_kernel_traitsILi128ELi16ELi1ELb0ELb1ELb1ELb0ELb0EN3c108BFloat16EffEEv13SSMParamsBase,"axG",@progbits,_Z25selective_scan_fwd_kernelI32Selective_Scan_fwd_kernel_traitsILi128ELi16ELi1ELb0ELb1ELb1ELb0ELb0EN3c108BFloat16EffEEv13SSMParamsBase,comdat
.Lfunc_end63:
	.size	_Z25selective_scan_fwd_kernelI32Selective_Scan_fwd_kernel_traitsILi128ELi16ELi1ELb0ELb1ELb1ELb0ELb0EN3c108BFloat16EffEEv13SSMParamsBase, .Lfunc_end63-_Z25selective_scan_fwd_kernelI32Selective_Scan_fwd_kernel_traitsILi128ELi16ELi1ELb0ELb1ELb1ELb0ELb0EN3c108BFloat16EffEEv13SSMParamsBase
                                        ; -- End function
	.section	.AMDGPU.csdata,"",@progbits
; Kernel info:
; codeLenInByte = 21520
; NumSgprs: 94
; NumVgprs: 173
; ScratchSize: 0
; MemoryBound: 0
; FloatMode: 240
; IeeeMode: 1
; LDSByteSize: 0 bytes/workgroup (compile time only)
; SGPRBlocks: 11
; VGPRBlocks: 21
; NumSGPRsForWavesPerEU: 94
; NumVGPRsForWavesPerEU: 173
; Occupancy: 8
; WaveLimiterHint : 0
; COMPUTE_PGM_RSRC2:SCRATCH_EN: 0
; COMPUTE_PGM_RSRC2:USER_SGPR: 14
; COMPUTE_PGM_RSRC2:TRAP_HANDLER: 0
; COMPUTE_PGM_RSRC2:TGID_X_EN: 1
; COMPUTE_PGM_RSRC2:TGID_Y_EN: 1
; COMPUTE_PGM_RSRC2:TGID_Z_EN: 0
; COMPUTE_PGM_RSRC2:TIDIG_COMP_CNT: 0
	.section	.text._Z25selective_scan_fwd_kernelI32Selective_Scan_fwd_kernel_traitsILi64ELi4ELi1ELb1ELb1ELb1ELb1ELb1EN3c104HalfEfS2_EEv13SSMParamsBase,"axG",@progbits,_Z25selective_scan_fwd_kernelI32Selective_Scan_fwd_kernel_traitsILi64ELi4ELi1ELb1ELb1ELb1ELb1ELb1EN3c104HalfEfS2_EEv13SSMParamsBase,comdat
	.protected	_Z25selective_scan_fwd_kernelI32Selective_Scan_fwd_kernel_traitsILi64ELi4ELi1ELb1ELb1ELb1ELb1ELb1EN3c104HalfEfS2_EEv13SSMParamsBase ; -- Begin function _Z25selective_scan_fwd_kernelI32Selective_Scan_fwd_kernel_traitsILi64ELi4ELi1ELb1ELb1ELb1ELb1ELb1EN3c104HalfEfS2_EEv13SSMParamsBase
	.globl	_Z25selective_scan_fwd_kernelI32Selective_Scan_fwd_kernel_traitsILi64ELi4ELi1ELb1ELb1ELb1ELb1ELb1EN3c104HalfEfS2_EEv13SSMParamsBase
	.p2align	8
	.type	_Z25selective_scan_fwd_kernelI32Selective_Scan_fwd_kernel_traitsILi64ELi4ELi1ELb1ELb1ELb1ELb1ELb1EN3c104HalfEfS2_EEv13SSMParamsBase,@function
_Z25selective_scan_fwd_kernelI32Selective_Scan_fwd_kernel_traitsILi64ELi4ELi1ELb1ELb1ELb1ELb1ELb1EN3c104HalfEfS2_EEv13SSMParamsBase: ; @_Z25selective_scan_fwd_kernelI32Selective_Scan_fwd_kernel_traitsILi64ELi4ELi1ELb1ELb1ELb1ELb1ELb1EN3c104HalfEfS2_EEv13SSMParamsBase
; %bb.0:
	s_clause 0x2
	s_load_b32 s11, s[0:1], 0x18
	s_load_b256 s[52:59], s[0:1], 0xc8
	s_load_b128 s[4:7], s[0:1], 0xe8
	s_mov_b32 s12, s15
	s_ashr_i32 s15, s14, 31
	s_mov_b32 s33, 0
	s_lshl_b64 s[8:9], s[14:15], 2
	s_waitcnt lgkmcnt(0)
	s_abs_i32 s10, s11
	s_add_u32 s2, s58, s8
	v_cvt_f32_u32_e32 v1, s10
	s_addc_u32 s3, s59, s9
	s_cmp_eq_u64 s[6:7], 0
	s_delay_alu instid0(VALU_DEP_1) | instskip(SKIP_2) | instid1(VALU_DEP_1)
	v_rcp_iflag_f32_e32 v1, v1
	s_waitcnt_depctr 0xfff
	v_mul_f32_e32 v1, 0x4f7ffffe, v1
	v_cvt_u32_f32_e32 v1, v1
	s_delay_alu instid0(VALU_DEP_1)
	v_readfirstlane_b32 s60, v1
	s_cbranch_scc1 .LBB64_2
; %bb.1:
	v_mov_b32_e32 v1, 0
	s_add_u32 s6, s6, s14
	s_addc_u32 s7, s7, s15
	global_load_u8 v1, v1, s[6:7]
	s_waitcnt vmcnt(0)
	v_and_b32_e32 v1, 1, v1
	s_delay_alu instid0(VALU_DEP_1)
	v_cmp_eq_u32_e64 s33, 1, v1
.LBB64_2:
	s_load_b64 s[6:7], s[0:1], 0x20
	s_cmp_eq_u64 s[4:5], 0
	s_cbranch_scc1 .LBB64_4
; %bb.3:
	s_add_u32 s4, s4, s8
	s_addc_u32 s5, s5, s9
	s_load_b32 s14, s[4:5], 0x0
	s_waitcnt lgkmcnt(0)
	s_ashr_i32 s15, s14, 31
.LBB64_4:
	s_waitcnt lgkmcnt(0)
	s_cmp_eq_u64 s[6:7], s[14:15]
	s_cbranch_scc1 .LBB64_108
; %bb.5:
	s_load_b512 s[16:31], s[0:1], 0x88
	s_load_b64 s[34:35], s[2:3], 0x0
	s_mov_b32 s58, 0
	s_mov_b32 s59, 0
	s_waitcnt lgkmcnt(0)
	s_cmp_eq_u64 s[22:23], 0
	s_cbranch_scc1 .LBB64_7
; %bb.6:
	s_ashr_i32 s13, s12, 31
	s_delay_alu instid0(SALU_CYCLE_1) | instskip(NEXT) | instid1(SALU_CYCLE_1)
	s_lshl_b64 s[2:3], s[12:13], 2
	s_add_u32 s2, s22, s2
	s_addc_u32 s3, s23, s3
	s_load_b32 s59, s[2:3], 0x0
.LBB64_7:
	s_cmp_eq_u64 s[28:29], 0
	s_cbranch_scc1 .LBB64_9
; %bb.8:
	s_ashr_i32 s13, s12, 31
	s_delay_alu instid0(SALU_CYCLE_1) | instskip(NEXT) | instid1(SALU_CYCLE_1)
	s_lshl_b64 s[2:3], s[12:13], 2
	s_add_u32 s2, s28, s2
	s_addc_u32 s3, s29, s3
	s_load_b32 s58, s[2:3], 0x0
.LBB64_9:
	s_sub_i32 s23, s35, s34
	s_delay_alu instid0(SALU_CYCLE_1)
	s_cmp_lt_i32 s23, 1
	s_cbranch_scc1 .LBB64_108
; %bb.10:
	s_sub_i32 s2, 0, s10
	s_load_b256 s[36:43], s[0:1], 0x4c
	s_mul_i32 s2, s2, s60
	s_abs_i32 s3, s12
	s_mul_hi_u32 s2, s60, s2
	s_ashr_i32 s5, s11, 31
	s_add_i32 s60, s60, s2
	s_ashr_i32 s2, s12, 31
	s_mul_hi_u32 s4, s3, s60
	s_xor_b32 s5, s2, s5
	s_mul_i32 s6, s4, s10
	s_load_b256 s[44:51], s[0:1], 0x2c
	s_sub_i32 s2, s3, s6
	s_add_i32 s3, s4, 1
	s_sub_i32 s6, s2, s10
	s_cmp_ge_u32 s2, s10
	s_mov_b32 s29, 0
	s_cselect_b32 s3, s3, s4
	s_cselect_b32 s2, s6, s2
	s_add_i32 s4, s3, 1
	s_cmp_ge_u32 s2, s10
	s_waitcnt lgkmcnt(0)
	s_mul_i32 s28, s34, s38
	s_cselect_b32 s4, s4, s3
	s_lshl_b64 s[2:3], s[28:29], 1
	s_xor_b32 s4, s4, s5
	s_mul_i32 s28, s39, s12
	s_sub_i32 s6, s4, s5
	s_add_u32 s4, s24, s2
	s_addc_u32 s5, s25, s3
	s_lshl_b64 s[2:3], s[28:29], 1
	s_mul_i32 s28, s34, s40
	s_add_u32 s38, s4, s2
	s_addc_u32 s39, s5, s3
	s_lshl_b64 s[2:3], s[28:29], 1
	s_mul_i32 s28, s41, s12
	s_add_u32 s4, s26, s2
	s_addc_u32 s5, s27, s3
	s_lshl_b64 s[2:3], s[28:29], 1
	s_mul_i32 s28, s44, s12
	s_add_u32 s40, s4, s2
	s_addc_u32 s41, s5, s3
	s_load_b64 s[4:5], s[0:1], 0x7c
	s_lshl_b64 s[2:3], s[28:29], 2
	v_lshlrev_b32_e32 v8, 2, v0
	s_mul_i32 s28, s34, s46
	s_add_u32 s44, s16, s2
	s_addc_u32 s46, s17, s3
	s_lshl_b64 s[2:3], s[28:29], 1
	s_mul_i32 s28, s6, s49
	s_add_u32 s7, s18, s2
	v_mbcnt_lo_u32_b32 v1, -1, 0
	v_and_b32_e32 v2, 0x80, v8
	v_dual_mov_b32 v12, 0 :: v_dual_and_b32 v3, 32, v0
	s_addc_u32 s8, s19, s3
	s_lshl_b64 s[2:3], s[28:29], 1
	s_mul_i32 s28, s34, s50
	s_add_u32 s47, s7, s2
	s_addc_u32 s49, s8, s3
	s_lshl_b64 s[2:3], s[28:29], 1
	s_mul_i32 s28, s6, s37
	s_clause 0x1
	s_load_b32 s37, s[0:1], 0xc
	s_load_b32 s8, s[0:1], 0x28
	v_or_b32_e32 v9, v1, v2
	v_or_b32_e32 v4, v1, v3
	s_add_u32 s7, s20, s2
	s_load_b128 s[16:19], s[0:1], 0x6c
	s_addc_u32 s6, s21, s3
	v_or_b32_e32 v11, 0x60, v9
	v_lshrrev_b32_e32 v14, 3, v4
	s_lshl_b64 s[2:3], s[28:29], 1
	s_waitcnt lgkmcnt(0)
	s_mul_i32 s28, s14, s4
	s_add_u32 s51, s7, s2
	s_load_b32 s50, s[0:1], 0x84
	s_addc_u32 s60, s6, s3
	s_lshl_b64 s[0:1], s[28:29], 1
	v_or_b32_e32 v10, 64, v9
	v_lshrrev_b32_e32 v7, 5, v11
	v_and_b32_e32 v16, 6, v14
	s_mul_i32 s28, s5, s12
	s_add_u32 s2, s52, s0
	s_addc_u32 s3, s53, s1
	s_lshl_b64 s[0:1], s[28:29], 1
	v_lshrrev_b32_e32 v5, 5, v2
	s_add_u32 s52, s2, s0
	v_lshrrev_b32_e32 v6, 5, v10
	v_and_b32_e32 v7, 6, v7
	v_lshl_add_u32 v4, v4, 2, v16
	s_addc_u32 s53, s3, s1
	s_add_i32 s0, s23, 0x7ff
	v_add_lshl_u32 v5, v5, v9, 1
	s_lshr_b32 s61, s0, 11
	s_bitcmp1_b32 s8, 0
	v_add_lshl_u32 v6, v6, v9, 1
	v_add_lshl_u32 v7, v7, v9, 1
	v_lshl_add_u32 v17, v4, 1, 0
	v_and_b32_e32 v4, 15, v1
	s_cselect_b32 s62, -1, 0
	s_cmp_gt_i32 s37, 0
	s_mul_i32 s28, s34, s16
	s_cselect_b32 s63, -1, 0
	s_add_i32 s0, 0, 0x210
	s_and_b32 s1, s23, 0xff
	v_add_nc_u32_e32 v18, s0, v5
	v_add_nc_u32_e32 v19, s0, v6
	s_cmp_eq_u32 s1, 0
	v_add_nc_u32_e32 v20, s0, v7
	v_cmp_ne_u32_e64 s0, 0, v4
	v_cmp_lt_u32_e64 s1, 1, v4
	v_cmp_lt_u32_e64 s2, 3, v4
	;; [unrolled: 1-line block ×3, first 2 shown]
	v_add_nc_u32_e32 v4, -1, v1
	v_or_b32_e32 v3, 31, v3
	s_cselect_b32 s64, -1, 0
	s_lshl_b64 s[14:15], s[28:29], 1
	s_add_i32 s65, s61, -1
	v_cmp_gt_i32_e32 vcc_lo, 0, v4
	s_mul_i32 s28, s17, s12
	v_add_nc_u32_e32 v14, 0, v5
	v_lshrrev_b32_e32 v5, 2, v0
	s_add_u32 s13, s30, s14
	v_cndmask_b32_e32 v4, v4, v1, vcc_lo
	s_addc_u32 s16, s31, s15
	s_lshl_b64 s[14:15], s[28:29], 1
	v_cmp_eq_u32_e64 s5, v3, v0
	v_and_b32_e32 v3, 1, v1
	v_cmp_gt_u32_e64 s6, 2, v0
	v_lshl_add_u32 v22, v0, 3, 0
	v_cmp_gt_u32_e64 s8, 32, v0
	v_cmp_lt_u32_e64 s9, 31, v0
	v_cmp_eq_u32_e64 s10, 0, v0
	s_mul_i32 s28, s34, s42
	v_lshlrev_b32_e32 v0, 1, v1
	s_add_u32 s13, s13, s14
	s_addc_u32 s16, s16, s15
	s_lshl_b64 s[14:15], s[28:29], 1
	v_and_b32_e32 v5, 8, v5
	s_mul_i32 s28, s43, s12
	s_add_u32 s17, s54, s14
	v_cmp_eq_u32_e64 s7, 0, v3
	s_addc_u32 s20, s55, s15
	s_lshl_b64 s[14:15], s[28:29], 1
	v_add_co_u32 v3, s13, s13, v0
	s_mul_i32 s28, s34, s18
	v_lshlrev_b32_e32 v23, 2, v4
	v_add_co_ci_u32_e64 v4, null, s16, 0, s13
	s_add_u32 s16, s17, s14
	v_add_nc_u32_e32 v21, 0, v5
	s_addc_u32 s17, s20, s15
	s_lshl_b64 s[14:15], s[28:29], 1
	v_lshlrev_b32_e32 v5, 1, v2
	s_mul_i32 s28, s19, s12
	s_add_u32 s14, s56, s14
	s_addc_u32 s15, s57, s15
	s_lshl_b64 s[12:13], s[28:29], 1
	v_add_nc_u32_e32 v15, 0, v6
	v_and_b32_e32 v6, 16, v1
	v_add_co_u32 v24, vcc_lo, v3, v5
	s_add_u32 s12, s14, s12
	v_add_co_u32 v3, s14, s16, v0
	v_add_co_ci_u32_e32 v25, vcc_lo, 0, v4, vcc_lo
	v_add_co_ci_u32_e64 v4, null, s17, 0, s14
	s_addc_u32 s13, s15, s13
	v_add_co_u32 v0, s12, s12, v0
	v_cmp_ne_u32_e64 s4, 0, v6
	v_add_co_ci_u32_e64 v6, null, s13, 0, s12
	v_add_co_u32 v26, vcc_lo, v3, v5
	v_add_co_ci_u32_e32 v27, vcc_lo, 0, v4, vcc_lo
	v_add_co_u32 v28, vcc_lo, v0, v5
	v_or_b32_e32 v13, 32, v9
	v_add_nc_u32_e32 v16, 0, v7
	v_cmp_eq_u32_e64 s11, 0, v1
	v_add_co_ci_u32_e32 v29, vcc_lo, 0, v6, vcc_lo
	v_or_b32_e32 v30, 1, v8
	v_or_b32_e32 v31, 2, v8
	;; [unrolled: 1-line block ×3, first 2 shown]
	v_lshlrev_b32_e32 v33, 1, v1
	v_lshlrev_b32_e32 v34, 1, v2
	s_mov_b32 s42, 0x3e9b6dac
	s_add_i32 s43, 0, 0x430
	s_mov_b32 s54, 0xbfb8aa3b
	s_mov_b32 s55, 0xb2a5705f
	;; [unrolled: 1-line block ×3, first 2 shown]
	s_branch .LBB64_12
.LBB64_11:                              ;   in Loop: Header=BB64_12 Depth=1
	s_or_b32 exec_lo, exec_lo, s12
	s_add_u32 s40, s40, 0x200
	s_addc_u32 s41, s41, 0
	s_add_u32 s38, s38, 0x200
	s_addc_u32 s39, s39, 0
	;; [unrolled: 2-line block ×4, first 2 shown]
	s_add_i32 s56, s56, 1
	s_delay_alu instid0(SALU_CYCLE_1)
	s_cmp_lg_u32 s56, s61
	s_cbranch_scc0 .LBB64_108
.LBB64_12:                              ; =>This Loop Header: Depth=1
                                        ;     Child Loop BB64_37 Depth 2
	v_add_co_u32 v0, s12, s38, v33
	s_delay_alu instid0(VALU_DEP_1) | instskip(SKIP_1) | instid1(VALU_DEP_2)
	v_add_co_ci_u32_e64 v1, null, s39, 0, s12
	s_lshl_b32 s24, s56, 8
	v_add_co_u32 v0, vcc_lo, v0, v34
	s_sub_i32 s19, s23, s24
	s_delay_alu instid0(VALU_DEP_2)
	v_add_co_ci_u32_e32 v1, vcc_lo, 0, v1, vcc_lo
	v_cmp_gt_u32_e64 s12, s19, v9
	s_waitcnt lgkmcnt(0)
	v_mov_b32_e32 v2, 0
	s_waitcnt lgkmcnt(0)
	s_waitcnt_vscnt null, 0x0
	s_barrier
	buffer_gl0_inv
	s_and_saveexec_b32 s13, s12
	s_cbranch_execz .LBB64_14
; %bb.13:                               ;   in Loop: Header=BB64_12 Depth=1
	global_load_u16 v2, v[0:1], off
.LBB64_14:                              ;   in Loop: Header=BB64_12 Depth=1
	s_or_b32 exec_lo, exec_lo, s13
	v_cmp_gt_u32_e64 s13, s19, v13
	v_mov_b32_e32 v3, 0
	v_mov_b32_e32 v5, 0
	s_delay_alu instid0(VALU_DEP_3)
	s_and_saveexec_b32 s14, s13
	s_cbranch_execz .LBB64_16
; %bb.15:                               ;   in Loop: Header=BB64_12 Depth=1
	global_load_u16 v5, v[0:1], off offset:64
.LBB64_16:                              ;   in Loop: Header=BB64_12 Depth=1
	s_or_b32 exec_lo, exec_lo, s14
	v_cmp_gt_u32_e64 s14, s19, v10
	s_delay_alu instid0(VALU_DEP_1)
	s_and_saveexec_b32 s15, s14
	s_cbranch_execz .LBB64_18
; %bb.17:                               ;   in Loop: Header=BB64_12 Depth=1
	global_load_u16 v3, v[0:1], off offset:128
.LBB64_18:                              ;   in Loop: Header=BB64_12 Depth=1
	s_or_b32 exec_lo, exec_lo, s15
	v_cmp_gt_u32_e64 s15, s19, v11
	v_mov_b32_e32 v4, 0
	v_mov_b32_e32 v6, 0
	s_delay_alu instid0(VALU_DEP_3)
	s_and_saveexec_b32 s16, s15
	s_cbranch_execz .LBB64_20
; %bb.19:                               ;   in Loop: Header=BB64_12 Depth=1
	global_load_u16 v6, v[0:1], off offset:192
.LBB64_20:                              ;   in Loop: Header=BB64_12 Depth=1
	s_or_b32 exec_lo, exec_lo, s16
	s_waitcnt vmcnt(0)
	ds_store_b16 v14, v2
	ds_store_b16 v14, v5 offset:64
	ds_store_b16 v15, v3 offset:128
	;; [unrolled: 1-line block ×3, first 2 shown]
	; wave barrier
	ds_load_b64 v[0:1], v17
	v_add_co_u32 v2, s16, s40, v33
	s_delay_alu instid0(VALU_DEP_1) | instskip(SKIP_1) | instid1(VALU_DEP_2)
	v_add_co_ci_u32_e64 v3, null, s41, 0, s16
	s_waitcnt lgkmcnt(0)
	v_add_co_u32 v2, vcc_lo, v2, v34
	s_delay_alu instid0(VALU_DEP_2)
	v_add_co_ci_u32_e32 v3, vcc_lo, 0, v3, vcc_lo
	s_barrier
	buffer_gl0_inv
	s_and_saveexec_b32 s16, s12
	s_cbranch_execz .LBB64_22
; %bb.21:                               ;   in Loop: Header=BB64_12 Depth=1
	global_load_u16 v4, v[2:3], off
.LBB64_22:                              ;   in Loop: Header=BB64_12 Depth=1
	s_or_b32 exec_lo, exec_lo, s16
	v_dual_mov_b32 v5, 0 :: v_dual_mov_b32 v6, 0
	s_and_saveexec_b32 s16, s13
	s_cbranch_execnz .LBB64_99
; %bb.23:                               ;   in Loop: Header=BB64_12 Depth=1
	s_or_b32 exec_lo, exec_lo, s16
	s_and_saveexec_b32 s16, s14
	s_cbranch_execnz .LBB64_100
.LBB64_24:                              ;   in Loop: Header=BB64_12 Depth=1
	s_or_b32 exec_lo, exec_lo, s16
	v_mov_b32_e32 v7, 0
	s_and_saveexec_b32 s16, s15
	s_cbranch_execz .LBB64_26
.LBB64_25:                              ;   in Loop: Header=BB64_12 Depth=1
	global_load_u16 v7, v[2:3], off offset:192
.LBB64_26:                              ;   in Loop: Header=BB64_12 Depth=1
	s_or_b32 exec_lo, exec_lo, s16
	s_waitcnt vmcnt(0)
	ds_store_b16 v14, v4
	ds_store_b16 v14, v6 offset:64
	ds_store_b16 v15, v5 offset:128
	;; [unrolled: 1-line block ×3, first 2 shown]
	; wave barrier
	ds_load_b64 v[2:3], v17
	s_waitcnt lgkmcnt(0)
	v_cvt_f32_f16_e32 v4, v2
	s_delay_alu instid0(VALU_DEP_1) | instskip(NEXT) | instid1(VALU_DEP_1)
	v_add_f32_e32 v35, s58, v4
	v_cmp_ge_f32_e32 vcc_lo, 0x41a00000, v35
	s_and_b32 s16, s62, vcc_lo
	s_delay_alu instid0(SALU_CYCLE_1)
	s_and_saveexec_b32 s17, s16
	s_cbranch_execz .LBB64_28
; %bb.27:                               ;   in Loop: Header=BB64_12 Depth=1
	v_mul_f32_e32 v4, 0x3fb8aa3b, v35
	v_cmp_ngt_f32_e32 vcc_lo, 0xc2ce8ed0, v35
	s_delay_alu instid0(VALU_DEP_2) | instskip(SKIP_1) | instid1(VALU_DEP_2)
	v_rndne_f32_e32 v5, v4
	v_fma_f32 v6, 0x3fb8aa3b, v35, -v4
	v_sub_f32_e32 v4, v4, v5
	s_delay_alu instid0(VALU_DEP_2) | instskip(SKIP_1) | instid1(VALU_DEP_2)
	v_fmac_f32_e32 v6, 0x32a5705f, v35
	v_cvt_i32_f32_e32 v5, v5
	v_add_f32_e32 v4, v4, v6
	s_delay_alu instid0(VALU_DEP_1) | instskip(SKIP_2) | instid1(VALU_DEP_1)
	v_exp_f32_e32 v4, v4
	s_waitcnt_depctr 0xfff
	v_ldexp_f32 v4, v4, v5
	v_cndmask_b32_e32 v4, 0, v4, vcc_lo
	v_cmp_nlt_f32_e32 vcc_lo, 0x42b17218, v35
	s_delay_alu instid0(VALU_DEP_2) | instskip(NEXT) | instid1(VALU_DEP_1)
	v_cndmask_b32_e32 v6, 0x7f800000, v4, vcc_lo
	v_add_f32_e32 v7, 1.0, v6
	s_delay_alu instid0(VALU_DEP_1) | instskip(NEXT) | instid1(VALU_DEP_1)
	v_cvt_f64_f32_e32 v[4:5], v7
	v_frexp_exp_i32_f64_e32 v4, v[4:5]
	v_frexp_mant_f32_e32 v5, v7
	s_delay_alu instid0(VALU_DEP_1) | instskip(SKIP_1) | instid1(VALU_DEP_1)
	v_cmp_gt_f32_e32 vcc_lo, 0x3f2aaaab, v5
	v_add_f32_e32 v5, -1.0, v7
	v_dual_sub_f32 v36, v5, v7 :: v_dual_sub_f32 v5, v6, v5
	s_delay_alu instid0(VALU_DEP_1) | instskip(NEXT) | instid1(VALU_DEP_1)
	v_add_f32_e32 v36, 1.0, v36
	v_add_f32_e32 v5, v5, v36
	v_subrev_co_ci_u32_e32 v4, vcc_lo, 0, v4, vcc_lo
	s_delay_alu instid0(VALU_DEP_1) | instskip(SKIP_1) | instid1(VALU_DEP_2)
	v_sub_nc_u32_e32 v35, 0, v4
	v_cvt_f32_i32_e32 v4, v4
	v_ldexp_f32 v7, v7, v35
	v_ldexp_f32 v5, v5, v35
	s_delay_alu instid0(VALU_DEP_2) | instskip(SKIP_3) | instid1(VALU_DEP_4)
	v_add_f32_e32 v37, 1.0, v7
	v_add_f32_e32 v35, -1.0, v7
	v_cmp_eq_f32_e32 vcc_lo, 0x7f800000, v6
	v_cmp_gt_f32_e64 s16, 0x33800000, v6
	v_add_f32_e32 v36, -1.0, v37
	s_delay_alu instid0(VALU_DEP_4) | instskip(NEXT) | instid1(VALU_DEP_3)
	v_add_f32_e32 v38, 1.0, v35
	s_or_b32 vcc_lo, s16, vcc_lo
	s_delay_alu instid0(VALU_DEP_2) | instskip(NEXT) | instid1(VALU_DEP_1)
	v_sub_f32_e32 v36, v7, v36
	v_dual_sub_f32 v7, v7, v38 :: v_dual_add_f32 v36, v5, v36
	s_delay_alu instid0(VALU_DEP_1) | instskip(NEXT) | instid1(VALU_DEP_1)
	v_add_f32_e32 v5, v5, v7
	v_dual_add_f32 v39, v35, v5 :: v_dual_add_f32 v38, v37, v36
	s_delay_alu instid0(VALU_DEP_1) | instskip(NEXT) | instid1(VALU_DEP_2)
	v_sub_f32_e32 v35, v35, v39
	v_rcp_f32_e32 v7, v38
	v_sub_f32_e32 v37, v37, v38
	s_delay_alu instid0(VALU_DEP_1) | instskip(SKIP_2) | instid1(VALU_DEP_1)
	v_dual_add_f32 v5, v5, v35 :: v_dual_add_f32 v36, v36, v37
	s_waitcnt_depctr 0xfff
	v_mul_f32_e32 v40, v39, v7
	v_mul_f32_e32 v41, v38, v40
	s_delay_alu instid0(VALU_DEP_1) | instskip(NEXT) | instid1(VALU_DEP_1)
	v_fma_f32 v37, v40, v38, -v41
	v_fmac_f32_e32 v37, v40, v36
	s_delay_alu instid0(VALU_DEP_1) | instskip(NEXT) | instid1(VALU_DEP_1)
	v_add_f32_e32 v42, v41, v37
	v_sub_f32_e32 v43, v39, v42
	s_delay_alu instid0(VALU_DEP_1) | instskip(SKIP_1) | instid1(VALU_DEP_2)
	v_sub_f32_e32 v39, v39, v43
	v_sub_f32_e32 v35, v42, v41
	;; [unrolled: 1-line block ×3, first 2 shown]
	s_delay_alu instid0(VALU_DEP_2) | instskip(NEXT) | instid1(VALU_DEP_2)
	v_sub_f32_e32 v35, v35, v37
	v_add_f32_e32 v5, v5, v39
	s_delay_alu instid0(VALU_DEP_1) | instskip(NEXT) | instid1(VALU_DEP_1)
	v_add_f32_e32 v5, v35, v5
	v_add_f32_e32 v35, v43, v5
	s_delay_alu instid0(VALU_DEP_1) | instskip(NEXT) | instid1(VALU_DEP_1)
	v_mul_f32_e32 v37, v7, v35
	v_dual_sub_f32 v42, v43, v35 :: v_dual_mul_f32 v39, v38, v37
	s_delay_alu instid0(VALU_DEP_1) | instskip(NEXT) | instid1(VALU_DEP_2)
	v_add_f32_e32 v5, v5, v42
	v_fma_f32 v38, v37, v38, -v39
	s_delay_alu instid0(VALU_DEP_1) | instskip(NEXT) | instid1(VALU_DEP_1)
	v_fmac_f32_e32 v38, v37, v36
	v_add_f32_e32 v36, v39, v38
	s_delay_alu instid0(VALU_DEP_1) | instskip(SKIP_1) | instid1(VALU_DEP_2)
	v_sub_f32_e32 v41, v35, v36
	v_sub_f32_e32 v39, v36, v39
	;; [unrolled: 1-line block ×3, first 2 shown]
	s_delay_alu instid0(VALU_DEP_1) | instskip(NEXT) | instid1(VALU_DEP_1)
	v_sub_f32_e32 v35, v35, v36
	v_dual_sub_f32 v36, v39, v38 :: v_dual_add_f32 v5, v5, v35
	v_add_f32_e32 v35, v40, v37
	s_delay_alu instid0(VALU_DEP_1) | instskip(NEXT) | instid1(VALU_DEP_1)
	v_dual_add_f32 v5, v36, v5 :: v_dual_sub_f32 v36, v35, v40
	v_add_f32_e32 v5, v41, v5
	s_delay_alu instid0(VALU_DEP_1) | instskip(NEXT) | instid1(VALU_DEP_1)
	v_dual_sub_f32 v36, v37, v36 :: v_dual_mul_f32 v5, v7, v5
	v_add_f32_e32 v5, v36, v5
	s_delay_alu instid0(VALU_DEP_1) | instskip(NEXT) | instid1(VALU_DEP_1)
	v_add_f32_e32 v7, v35, v5
	v_mul_f32_e32 v36, v7, v7
	s_delay_alu instid0(VALU_DEP_1) | instskip(SKIP_1) | instid1(VALU_DEP_2)
	v_fmaak_f32 v37, s42, v36, 0x3ecc95a3
	v_mul_f32_e32 v38, v7, v36
	v_fmaak_f32 v36, v36, v37, 0x3f2aaada
	v_ldexp_f32 v37, v7, 1
	s_delay_alu instid0(VALU_DEP_2) | instskip(NEXT) | instid1(VALU_DEP_1)
	v_dual_sub_f32 v7, v7, v35 :: v_dual_mul_f32 v36, v38, v36
	v_dual_mul_f32 v38, 0x3f317218, v4 :: v_dual_sub_f32 v5, v5, v7
	s_delay_alu instid0(VALU_DEP_2) | instskip(NEXT) | instid1(VALU_DEP_2)
	v_add_f32_e32 v35, v37, v36
	v_ldexp_f32 v5, v5, 1
	s_delay_alu instid0(VALU_DEP_2) | instskip(NEXT) | instid1(VALU_DEP_4)
	v_sub_f32_e32 v7, v35, v37
	v_fma_f32 v37, 0x3f317218, v4, -v38
	s_delay_alu instid0(VALU_DEP_2) | instskip(NEXT) | instid1(VALU_DEP_1)
	v_sub_f32_e32 v7, v36, v7
	v_dual_fmac_f32 v37, 0xb102e308, v4 :: v_dual_add_f32 v4, v5, v7
	s_delay_alu instid0(VALU_DEP_1) | instskip(NEXT) | instid1(VALU_DEP_1)
	v_add_f32_e32 v5, v38, v37
	v_dual_add_f32 v7, v35, v4 :: v_dual_sub_f32 v38, v5, v38
	s_delay_alu instid0(VALU_DEP_1) | instskip(SKIP_1) | instid1(VALU_DEP_3)
	v_add_f32_e32 v36, v5, v7
	v_sub_f32_e32 v35, v7, v35
	v_sub_f32_e32 v37, v37, v38
	s_delay_alu instid0(VALU_DEP_3) | instskip(NEXT) | instid1(VALU_DEP_3)
	v_sub_f32_e32 v39, v36, v5
	v_sub_f32_e32 v4, v4, v35
	s_delay_alu instid0(VALU_DEP_2) | instskip(SKIP_1) | instid1(VALU_DEP_3)
	v_sub_f32_e32 v40, v36, v39
	v_sub_f32_e32 v7, v7, v39
	v_add_f32_e32 v35, v37, v4
	s_delay_alu instid0(VALU_DEP_3) | instskip(NEXT) | instid1(VALU_DEP_1)
	v_sub_f32_e32 v5, v5, v40
	v_add_f32_e32 v5, v7, v5
	s_delay_alu instid0(VALU_DEP_3) | instskip(NEXT) | instid1(VALU_DEP_1)
	v_sub_f32_e32 v7, v35, v37
	v_dual_add_f32 v5, v35, v5 :: v_dual_sub_f32 v4, v4, v7
	s_delay_alu instid0(VALU_DEP_1) | instskip(NEXT) | instid1(VALU_DEP_1)
	v_dual_sub_f32 v35, v35, v7 :: v_dual_add_f32 v38, v36, v5
	v_sub_f32_e32 v35, v37, v35
	s_delay_alu instid0(VALU_DEP_1) | instskip(NEXT) | instid1(VALU_DEP_1)
	v_dual_sub_f32 v7, v38, v36 :: v_dual_add_f32 v4, v4, v35
	v_sub_f32_e32 v5, v5, v7
	s_delay_alu instid0(VALU_DEP_1) | instskip(NEXT) | instid1(VALU_DEP_1)
	v_add_f32_e32 v4, v4, v5
	v_add_f32_e32 v4, v38, v4
	s_delay_alu instid0(VALU_DEP_1)
	v_cndmask_b32_e32 v35, v4, v6, vcc_lo
.LBB64_28:                              ;   in Loop: Header=BB64_12 Depth=1
	s_or_b32 exec_lo, exec_lo, s17
	v_lshrrev_b32_e32 v2, 16, v2
	s_delay_alu instid0(VALU_DEP_1) | instskip(NEXT) | instid1(VALU_DEP_1)
	v_cvt_f32_f16_e32 v2, v2
	v_add_f32_e32 v36, s58, v2
	s_delay_alu instid0(VALU_DEP_1) | instskip(SKIP_1) | instid1(SALU_CYCLE_1)
	v_cmp_ge_f32_e32 vcc_lo, 0x41a00000, v36
	s_and_b32 s16, s62, vcc_lo
	s_and_saveexec_b32 s17, s16
	s_cbranch_execz .LBB64_30
; %bb.29:                               ;   in Loop: Header=BB64_12 Depth=1
	v_mul_f32_e32 v2, 0x3fb8aa3b, v36
	v_cmp_ngt_f32_e32 vcc_lo, 0xc2ce8ed0, v36
	s_delay_alu instid0(VALU_DEP_2) | instskip(SKIP_1) | instid1(VALU_DEP_2)
	v_rndne_f32_e32 v4, v2
	v_fma_f32 v5, 0x3fb8aa3b, v36, -v2
	v_sub_f32_e32 v2, v2, v4
	s_delay_alu instid0(VALU_DEP_2) | instskip(SKIP_1) | instid1(VALU_DEP_2)
	v_fmac_f32_e32 v5, 0x32a5705f, v36
	v_cvt_i32_f32_e32 v4, v4
	v_add_f32_e32 v2, v2, v5
	s_delay_alu instid0(VALU_DEP_1) | instskip(SKIP_2) | instid1(VALU_DEP_1)
	v_exp_f32_e32 v2, v2
	s_waitcnt_depctr 0xfff
	v_ldexp_f32 v2, v2, v4
	v_cndmask_b32_e32 v2, 0, v2, vcc_lo
	v_cmp_nlt_f32_e32 vcc_lo, 0x42b17218, v36
	s_delay_alu instid0(VALU_DEP_2) | instskip(NEXT) | instid1(VALU_DEP_1)
	v_cndmask_b32_e32 v2, 0x7f800000, v2, vcc_lo
	v_add_f32_e32 v6, 1.0, v2
	s_delay_alu instid0(VALU_DEP_1) | instskip(NEXT) | instid1(VALU_DEP_1)
	v_cvt_f64_f32_e32 v[4:5], v6
	v_frexp_exp_i32_f64_e32 v4, v[4:5]
	v_frexp_mant_f32_e32 v5, v6
	s_delay_alu instid0(VALU_DEP_1) | instskip(SKIP_1) | instid1(VALU_DEP_1)
	v_cmp_gt_f32_e32 vcc_lo, 0x3f2aaaab, v5
	v_add_f32_e32 v5, -1.0, v6
	v_dual_sub_f32 v36, v5, v6 :: v_dual_sub_f32 v5, v2, v5
	v_subrev_co_ci_u32_e32 v4, vcc_lo, 0, v4, vcc_lo
	s_delay_alu instid0(VALU_DEP_1) | instskip(SKIP_1) | instid1(VALU_DEP_2)
	v_sub_nc_u32_e32 v7, 0, v4
	v_cvt_f32_i32_e32 v4, v4
	v_ldexp_f32 v6, v6, v7
	s_delay_alu instid0(VALU_DEP_1) | instskip(NEXT) | instid1(VALU_DEP_1)
	v_dual_add_f32 v36, 1.0, v36 :: v_dual_add_f32 v37, 1.0, v6
	v_add_f32_e32 v5, v5, v36
	s_delay_alu instid0(VALU_DEP_1) | instskip(NEXT) | instid1(VALU_DEP_3)
	v_ldexp_f32 v5, v5, v7
	v_dual_add_f32 v7, -1.0, v6 :: v_dual_add_f32 v36, -1.0, v37
	s_delay_alu instid0(VALU_DEP_1) | instskip(NEXT) | instid1(VALU_DEP_2)
	v_add_f32_e32 v38, 1.0, v7
	v_sub_f32_e32 v36, v6, v36
	s_delay_alu instid0(VALU_DEP_2) | instskip(NEXT) | instid1(VALU_DEP_2)
	v_sub_f32_e32 v6, v6, v38
	v_add_f32_e32 v36, v5, v36
	s_delay_alu instid0(VALU_DEP_2) | instskip(NEXT) | instid1(VALU_DEP_1)
	v_add_f32_e32 v5, v5, v6
	v_dual_add_f32 v39, v7, v5 :: v_dual_add_f32 v38, v37, v36
	v_cmp_eq_f32_e32 vcc_lo, 0x7f800000, v2
	v_cmp_gt_f32_e64 s16, 0x33800000, v2
	s_delay_alu instid0(VALU_DEP_3) | instskip(NEXT) | instid1(VALU_DEP_4)
	v_sub_f32_e32 v7, v7, v39
	v_rcp_f32_e32 v6, v38
	v_sub_f32_e32 v37, v37, v38
	s_delay_alu instid0(VALU_DEP_3) | instskip(NEXT) | instid1(VALU_DEP_1)
	s_or_b32 vcc_lo, s16, vcc_lo
	v_dual_add_f32 v5, v5, v7 :: v_dual_add_f32 v36, v36, v37
	s_waitcnt_depctr 0xfff
	v_mul_f32_e32 v40, v39, v6
	s_delay_alu instid0(VALU_DEP_1) | instskip(NEXT) | instid1(VALU_DEP_1)
	v_mul_f32_e32 v41, v38, v40
	v_fma_f32 v37, v40, v38, -v41
	s_delay_alu instid0(VALU_DEP_1) | instskip(NEXT) | instid1(VALU_DEP_1)
	v_fmac_f32_e32 v37, v40, v36
	v_add_f32_e32 v42, v41, v37
	s_delay_alu instid0(VALU_DEP_1) | instskip(NEXT) | instid1(VALU_DEP_1)
	v_sub_f32_e32 v43, v39, v42
	v_sub_f32_e32 v39, v39, v43
	s_delay_alu instid0(VALU_DEP_1) | instskip(SKIP_1) | instid1(VALU_DEP_2)
	v_sub_f32_e32 v39, v39, v42
	v_sub_f32_e32 v7, v42, v41
	v_add_f32_e32 v5, v5, v39
	s_delay_alu instid0(VALU_DEP_2) | instskip(NEXT) | instid1(VALU_DEP_1)
	v_sub_f32_e32 v7, v7, v37
	v_add_f32_e32 v5, v7, v5
	s_delay_alu instid0(VALU_DEP_1) | instskip(NEXT) | instid1(VALU_DEP_1)
	v_add_f32_e32 v7, v43, v5
	v_mul_f32_e32 v37, v6, v7
	s_delay_alu instid0(VALU_DEP_1) | instskip(NEXT) | instid1(VALU_DEP_1)
	v_dual_sub_f32 v42, v43, v7 :: v_dual_mul_f32 v39, v38, v37
	v_add_f32_e32 v5, v5, v42
	s_delay_alu instid0(VALU_DEP_2) | instskip(NEXT) | instid1(VALU_DEP_1)
	v_fma_f32 v38, v37, v38, -v39
	v_fmac_f32_e32 v38, v37, v36
	s_delay_alu instid0(VALU_DEP_1) | instskip(NEXT) | instid1(VALU_DEP_1)
	v_add_f32_e32 v36, v39, v38
	v_sub_f32_e32 v41, v7, v36
	s_delay_alu instid0(VALU_DEP_1) | instskip(NEXT) | instid1(VALU_DEP_1)
	v_sub_f32_e32 v7, v7, v41
	v_sub_f32_e32 v7, v7, v36
	s_delay_alu instid0(VALU_DEP_1) | instskip(SKIP_2) | instid1(VALU_DEP_1)
	v_add_f32_e32 v5, v5, v7
	v_add_f32_e32 v7, v40, v37
	v_sub_f32_e32 v39, v36, v39
	v_sub_f32_e32 v36, v39, v38
	s_delay_alu instid0(VALU_DEP_1) | instskip(NEXT) | instid1(VALU_DEP_1)
	v_dual_add_f32 v5, v36, v5 :: v_dual_sub_f32 v36, v7, v40
	v_add_f32_e32 v5, v41, v5
	s_delay_alu instid0(VALU_DEP_1) | instskip(NEXT) | instid1(VALU_DEP_1)
	v_dual_sub_f32 v36, v37, v36 :: v_dual_mul_f32 v5, v6, v5
	v_add_f32_e32 v5, v36, v5
	s_delay_alu instid0(VALU_DEP_1) | instskip(NEXT) | instid1(VALU_DEP_1)
	v_add_f32_e32 v6, v7, v5
	v_mul_f32_e32 v36, v6, v6
	s_delay_alu instid0(VALU_DEP_1) | instskip(SKIP_1) | instid1(VALU_DEP_2)
	v_fmaak_f32 v37, s42, v36, 0x3ecc95a3
	v_mul_f32_e32 v38, v6, v36
	v_fmaak_f32 v36, v36, v37, 0x3f2aaada
	v_ldexp_f32 v37, v6, 1
	v_sub_f32_e32 v6, v6, v7
	s_delay_alu instid0(VALU_DEP_3) | instskip(SKIP_1) | instid1(VALU_DEP_2)
	v_mul_f32_e32 v36, v38, v36
	v_mul_f32_e32 v38, 0x3f317218, v4
	v_add_f32_e32 v7, v37, v36
	s_delay_alu instid0(VALU_DEP_1) | instskip(NEXT) | instid1(VALU_DEP_3)
	v_dual_sub_f32 v5, v5, v6 :: v_dual_sub_f32 v6, v7, v37
	v_fma_f32 v37, 0x3f317218, v4, -v38
	s_delay_alu instid0(VALU_DEP_2) | instskip(NEXT) | instid1(VALU_DEP_2)
	v_ldexp_f32 v5, v5, 1
	v_dual_sub_f32 v6, v36, v6 :: v_dual_fmac_f32 v37, 0xb102e308, v4
	s_delay_alu instid0(VALU_DEP_1) | instskip(NEXT) | instid1(VALU_DEP_1)
	v_dual_add_f32 v4, v5, v6 :: v_dual_add_f32 v5, v38, v37
	v_add_f32_e32 v6, v7, v4
	s_delay_alu instid0(VALU_DEP_1) | instskip(NEXT) | instid1(VALU_DEP_1)
	v_add_f32_e32 v36, v5, v6
	v_sub_f32_e32 v39, v36, v5
	s_delay_alu instid0(VALU_DEP_1) | instskip(SKIP_2) | instid1(VALU_DEP_2)
	v_sub_f32_e32 v40, v36, v39
	v_sub_f32_e32 v7, v6, v7
	;; [unrolled: 1-line block ×5, first 2 shown]
	s_delay_alu instid0(VALU_DEP_1) | instskip(NEXT) | instid1(VALU_DEP_1)
	v_sub_f32_e32 v37, v37, v38
	v_add_f32_e32 v7, v37, v4
	v_sub_f32_e32 v5, v5, v40
	s_delay_alu instid0(VALU_DEP_1) | instskip(NEXT) | instid1(VALU_DEP_3)
	v_add_f32_e32 v5, v6, v5
	v_sub_f32_e32 v6, v7, v37
	s_delay_alu instid0(VALU_DEP_1) | instskip(NEXT) | instid1(VALU_DEP_1)
	v_dual_sub_f32 v4, v4, v6 :: v_dual_add_f32 v5, v7, v5
	v_dual_sub_f32 v7, v7, v6 :: v_dual_add_f32 v38, v36, v5
	s_delay_alu instid0(VALU_DEP_1) | instskip(NEXT) | instid1(VALU_DEP_1)
	v_dual_sub_f32 v7, v37, v7 :: v_dual_sub_f32 v6, v38, v36
	v_dual_add_f32 v4, v4, v7 :: v_dual_sub_f32 v5, v5, v6
	s_delay_alu instid0(VALU_DEP_1) | instskip(NEXT) | instid1(VALU_DEP_1)
	v_add_f32_e32 v4, v4, v5
	v_add_f32_e32 v4, v38, v4
	s_delay_alu instid0(VALU_DEP_1)
	v_cndmask_b32_e32 v36, v4, v2, vcc_lo
.LBB64_30:                              ;   in Loop: Header=BB64_12 Depth=1
	s_or_b32 exec_lo, exec_lo, s17
	v_cvt_f32_f16_e32 v2, v3
	s_delay_alu instid0(VALU_DEP_1) | instskip(NEXT) | instid1(VALU_DEP_1)
	v_add_f32_e32 v41, s58, v2
	v_cmp_ge_f32_e32 vcc_lo, 0x41a00000, v41
	s_and_b32 s16, s62, vcc_lo
	s_delay_alu instid0(SALU_CYCLE_1)
	s_and_saveexec_b32 s17, s16
	s_cbranch_execz .LBB64_32
; %bb.31:                               ;   in Loop: Header=BB64_12 Depth=1
	v_mul_f32_e32 v2, 0x3fb8aa3b, v41
	v_cmp_ngt_f32_e32 vcc_lo, 0xc2ce8ed0, v41
	s_delay_alu instid0(VALU_DEP_2) | instskip(SKIP_1) | instid1(VALU_DEP_1)
	v_rndne_f32_e32 v4, v2
	v_fma_f32 v5, 0x3fb8aa3b, v41, -v2
	v_dual_sub_f32 v2, v2, v4 :: v_dual_fmac_f32 v5, 0x32a5705f, v41
	v_cvt_i32_f32_e32 v4, v4
	s_delay_alu instid0(VALU_DEP_2) | instskip(NEXT) | instid1(VALU_DEP_1)
	v_add_f32_e32 v2, v2, v5
	v_exp_f32_e32 v2, v2
	s_waitcnt_depctr 0xfff
	v_ldexp_f32 v2, v2, v4
	s_delay_alu instid0(VALU_DEP_1) | instskip(SKIP_1) | instid1(VALU_DEP_2)
	v_cndmask_b32_e32 v2, 0, v2, vcc_lo
	v_cmp_nlt_f32_e32 vcc_lo, 0x42b17218, v41
	v_cndmask_b32_e32 v2, 0x7f800000, v2, vcc_lo
	s_delay_alu instid0(VALU_DEP_1) | instskip(NEXT) | instid1(VALU_DEP_1)
	v_add_f32_e32 v6, 1.0, v2
	v_cvt_f64_f32_e32 v[4:5], v6
	s_delay_alu instid0(VALU_DEP_1) | instskip(SKIP_1) | instid1(VALU_DEP_1)
	v_frexp_exp_i32_f64_e32 v4, v[4:5]
	v_frexp_mant_f32_e32 v5, v6
	v_cmp_gt_f32_e32 vcc_lo, 0x3f2aaaab, v5
	v_add_f32_e32 v5, -1.0, v6
	s_delay_alu instid0(VALU_DEP_1) | instskip(SKIP_1) | instid1(VALU_DEP_2)
	v_sub_f32_e32 v37, v5, v6
	v_sub_f32_e32 v5, v2, v5
	v_add_f32_e32 v37, 1.0, v37
	s_delay_alu instid0(VALU_DEP_1) | instskip(SKIP_3) | instid1(VALU_DEP_2)
	v_add_f32_e32 v5, v5, v37
	v_cmp_gt_f32_e64 s16, 0x33800000, v2
	v_subrev_co_ci_u32_e32 v4, vcc_lo, 0, v4, vcc_lo
	v_cmp_eq_f32_e32 vcc_lo, 0x7f800000, v2
	v_sub_nc_u32_e32 v7, 0, v4
	v_cvt_f32_i32_e32 v4, v4
	s_or_b32 vcc_lo, s16, vcc_lo
	s_delay_alu instid0(VALU_DEP_2) | instskip(SKIP_1) | instid1(VALU_DEP_2)
	v_ldexp_f32 v6, v6, v7
	v_ldexp_f32 v5, v5, v7
	v_add_f32_e32 v38, 1.0, v6
	v_add_f32_e32 v7, -1.0, v6
	s_delay_alu instid0(VALU_DEP_1) | instskip(NEXT) | instid1(VALU_DEP_3)
	v_add_f32_e32 v39, 1.0, v7
	v_add_f32_e32 v37, -1.0, v38
	s_delay_alu instid0(VALU_DEP_1) | instskip(NEXT) | instid1(VALU_DEP_1)
	v_sub_f32_e32 v37, v6, v37
	v_dual_sub_f32 v6, v6, v39 :: v_dual_add_f32 v37, v5, v37
	s_delay_alu instid0(VALU_DEP_1) | instskip(NEXT) | instid1(VALU_DEP_2)
	v_add_f32_e32 v39, v38, v37
	v_add_f32_e32 v5, v5, v6
	s_delay_alu instid0(VALU_DEP_2) | instskip(SKIP_1) | instid1(VALU_DEP_1)
	v_rcp_f32_e32 v6, v39
	v_sub_f32_e32 v38, v38, v39
	v_dual_add_f32 v40, v7, v5 :: v_dual_add_f32 v37, v37, v38
	s_delay_alu instid0(VALU_DEP_1) | instskip(SKIP_2) | instid1(VALU_DEP_1)
	v_sub_f32_e32 v7, v7, v40
	s_waitcnt_depctr 0xfff
	v_mul_f32_e32 v41, v40, v6
	v_mul_f32_e32 v42, v39, v41
	s_delay_alu instid0(VALU_DEP_1) | instskip(NEXT) | instid1(VALU_DEP_1)
	v_fma_f32 v38, v41, v39, -v42
	v_fmac_f32_e32 v38, v41, v37
	s_delay_alu instid0(VALU_DEP_1) | instskip(NEXT) | instid1(VALU_DEP_1)
	v_add_f32_e32 v43, v42, v38
	v_sub_f32_e32 v44, v40, v43
	s_delay_alu instid0(VALU_DEP_1) | instskip(NEXT) | instid1(VALU_DEP_1)
	v_dual_sub_f32 v40, v40, v44 :: v_dual_add_f32 v5, v5, v7
	v_dual_sub_f32 v7, v43, v42 :: v_dual_sub_f32 v40, v40, v43
	s_delay_alu instid0(VALU_DEP_1) | instskip(NEXT) | instid1(VALU_DEP_2)
	v_sub_f32_e32 v7, v7, v38
	v_add_f32_e32 v5, v5, v40
	s_delay_alu instid0(VALU_DEP_1) | instskip(NEXT) | instid1(VALU_DEP_1)
	v_add_f32_e32 v5, v7, v5
	v_add_f32_e32 v7, v44, v5
	s_delay_alu instid0(VALU_DEP_1) | instskip(NEXT) | instid1(VALU_DEP_1)
	v_mul_f32_e32 v38, v6, v7
	v_dual_sub_f32 v43, v44, v7 :: v_dual_mul_f32 v40, v39, v38
	s_delay_alu instid0(VALU_DEP_1) | instskip(NEXT) | instid1(VALU_DEP_2)
	v_add_f32_e32 v5, v5, v43
	v_fma_f32 v39, v38, v39, -v40
	s_delay_alu instid0(VALU_DEP_1) | instskip(NEXT) | instid1(VALU_DEP_1)
	v_fmac_f32_e32 v39, v38, v37
	v_add_f32_e32 v37, v40, v39
	s_delay_alu instid0(VALU_DEP_1) | instskip(NEXT) | instid1(VALU_DEP_1)
	v_sub_f32_e32 v42, v7, v37
	v_dual_sub_f32 v40, v37, v40 :: v_dual_sub_f32 v7, v7, v42
	s_delay_alu instid0(VALU_DEP_1) | instskip(NEXT) | instid1(VALU_DEP_2)
	v_sub_f32_e32 v7, v7, v37
	v_sub_f32_e32 v37, v40, v39
	s_delay_alu instid0(VALU_DEP_2) | instskip(SKIP_1) | instid1(VALU_DEP_2)
	v_add_f32_e32 v5, v5, v7
	v_add_f32_e32 v7, v41, v38
	;; [unrolled: 1-line block ×3, first 2 shown]
	s_delay_alu instid0(VALU_DEP_2) | instskip(NEXT) | instid1(VALU_DEP_2)
	v_sub_f32_e32 v37, v7, v41
	v_add_f32_e32 v5, v42, v5
	s_delay_alu instid0(VALU_DEP_2) | instskip(NEXT) | instid1(VALU_DEP_2)
	v_sub_f32_e32 v37, v38, v37
	v_mul_f32_e32 v5, v6, v5
	s_delay_alu instid0(VALU_DEP_1) | instskip(NEXT) | instid1(VALU_DEP_1)
	v_add_f32_e32 v5, v37, v5
	v_add_f32_e32 v6, v7, v5
	s_delay_alu instid0(VALU_DEP_1) | instskip(NEXT) | instid1(VALU_DEP_1)
	v_mul_f32_e32 v37, v6, v6
	v_fmaak_f32 v38, s42, v37, 0x3ecc95a3
	v_mul_f32_e32 v39, v6, v37
	s_delay_alu instid0(VALU_DEP_2) | instskip(SKIP_1) | instid1(VALU_DEP_2)
	v_fmaak_f32 v37, v37, v38, 0x3f2aaada
	v_ldexp_f32 v38, v6, 1
	v_dual_sub_f32 v6, v6, v7 :: v_dual_mul_f32 v37, v39, v37
	v_mul_f32_e32 v39, 0x3f317218, v4
	s_delay_alu instid0(VALU_DEP_2) | instskip(NEXT) | instid1(VALU_DEP_3)
	v_sub_f32_e32 v5, v5, v6
	v_add_f32_e32 v7, v38, v37
	s_delay_alu instid0(VALU_DEP_2) | instskip(NEXT) | instid1(VALU_DEP_2)
	v_ldexp_f32 v5, v5, 1
	v_sub_f32_e32 v6, v7, v38
	v_fma_f32 v38, 0x3f317218, v4, -v39
	s_delay_alu instid0(VALU_DEP_2) | instskip(NEXT) | instid1(VALU_DEP_2)
	v_sub_f32_e32 v6, v37, v6
	v_fmac_f32_e32 v38, 0xb102e308, v4
	s_delay_alu instid0(VALU_DEP_2) | instskip(NEXT) | instid1(VALU_DEP_2)
	v_add_f32_e32 v4, v5, v6
	v_add_f32_e32 v5, v39, v38
	s_delay_alu instid0(VALU_DEP_1) | instskip(NEXT) | instid1(VALU_DEP_1)
	v_dual_add_f32 v6, v7, v4 :: v_dual_sub_f32 v39, v5, v39
	v_add_f32_e32 v37, v5, v6
	v_sub_f32_e32 v7, v6, v7
	s_delay_alu instid0(VALU_DEP_3) | instskip(NEXT) | instid1(VALU_DEP_3)
	v_sub_f32_e32 v38, v38, v39
	v_sub_f32_e32 v40, v37, v5
	s_delay_alu instid0(VALU_DEP_1) | instskip(SKIP_1) | instid1(VALU_DEP_2)
	v_dual_sub_f32 v4, v4, v7 :: v_dual_sub_f32 v41, v37, v40
	v_sub_f32_e32 v6, v6, v40
	v_add_f32_e32 v7, v38, v4
	s_delay_alu instid0(VALU_DEP_3) | instskip(NEXT) | instid1(VALU_DEP_1)
	v_sub_f32_e32 v5, v5, v41
	v_dual_add_f32 v5, v6, v5 :: v_dual_sub_f32 v6, v7, v38
	s_delay_alu instid0(VALU_DEP_1) | instskip(NEXT) | instid1(VALU_DEP_2)
	v_add_f32_e32 v5, v7, v5
	v_sub_f32_e32 v7, v7, v6
	s_delay_alu instid0(VALU_DEP_2) | instskip(NEXT) | instid1(VALU_DEP_1)
	v_dual_sub_f32 v4, v4, v6 :: v_dual_add_f32 v39, v37, v5
	v_dual_sub_f32 v7, v38, v7 :: v_dual_sub_f32 v6, v39, v37
	s_delay_alu instid0(VALU_DEP_1) | instskip(NEXT) | instid1(VALU_DEP_1)
	v_dual_add_f32 v4, v4, v7 :: v_dual_sub_f32 v5, v5, v6
	v_add_f32_e32 v4, v4, v5
	s_delay_alu instid0(VALU_DEP_1) | instskip(NEXT) | instid1(VALU_DEP_1)
	v_add_f32_e32 v4, v39, v4
	v_cndmask_b32_e32 v41, v4, v2, vcc_lo
.LBB64_32:                              ;   in Loop: Header=BB64_12 Depth=1
	s_or_b32 exec_lo, exec_lo, s17
	v_lshrrev_b32_e32 v2, 16, v3
	s_delay_alu instid0(VALU_DEP_1) | instskip(NEXT) | instid1(VALU_DEP_1)
	v_cvt_f32_f16_e32 v2, v2
	v_add_f32_e32 v42, s58, v2
	s_delay_alu instid0(VALU_DEP_1) | instskip(SKIP_1) | instid1(SALU_CYCLE_1)
	v_cmp_ge_f32_e32 vcc_lo, 0x41a00000, v42
	s_and_b32 s16, s62, vcc_lo
	s_and_saveexec_b32 s17, s16
	s_cbranch_execz .LBB64_34
; %bb.33:                               ;   in Loop: Header=BB64_12 Depth=1
	v_mul_f32_e32 v2, 0x3fb8aa3b, v42
	v_cmp_ngt_f32_e32 vcc_lo, 0xc2ce8ed0, v42
	s_delay_alu instid0(VALU_DEP_2) | instskip(SKIP_1) | instid1(VALU_DEP_2)
	v_rndne_f32_e32 v3, v2
	v_fma_f32 v4, 0x3fb8aa3b, v42, -v2
	v_sub_f32_e32 v2, v2, v3
	s_delay_alu instid0(VALU_DEP_2) | instskip(SKIP_1) | instid1(VALU_DEP_2)
	v_fmac_f32_e32 v4, 0x32a5705f, v42
	v_cvt_i32_f32_e32 v3, v3
	v_add_f32_e32 v2, v2, v4
	s_delay_alu instid0(VALU_DEP_1) | instskip(SKIP_2) | instid1(VALU_DEP_1)
	v_exp_f32_e32 v2, v2
	s_waitcnt_depctr 0xfff
	v_ldexp_f32 v2, v2, v3
	v_cndmask_b32_e32 v2, 0, v2, vcc_lo
	v_cmp_nlt_f32_e32 vcc_lo, 0x42b17218, v42
	s_delay_alu instid0(VALU_DEP_2) | instskip(NEXT) | instid1(VALU_DEP_1)
	v_cndmask_b32_e32 v4, 0x7f800000, v2, vcc_lo
	v_add_f32_e32 v5, 1.0, v4
	s_delay_alu instid0(VALU_DEP_1) | instskip(NEXT) | instid1(VALU_DEP_1)
	v_cvt_f64_f32_e32 v[2:3], v5
	v_frexp_exp_i32_f64_e32 v2, v[2:3]
	v_frexp_mant_f32_e32 v3, v5
	s_delay_alu instid0(VALU_DEP_1) | instskip(SKIP_1) | instid1(VALU_DEP_1)
	v_cmp_gt_f32_e32 vcc_lo, 0x3f2aaaab, v3
	v_add_f32_e32 v3, -1.0, v5
	v_sub_f32_e32 v7, v3, v5
	s_delay_alu instid0(VALU_DEP_1) | instskip(SKIP_1) | instid1(VALU_DEP_1)
	v_add_f32_e32 v7, 1.0, v7
	v_subrev_co_ci_u32_e32 v2, vcc_lo, 0, v2, vcc_lo
	v_sub_nc_u32_e32 v6, 0, v2
	v_cvt_f32_i32_e32 v2, v2
	s_delay_alu instid0(VALU_DEP_2) | instskip(NEXT) | instid1(VALU_DEP_1)
	v_ldexp_f32 v5, v5, v6
	v_add_f32_e32 v37, 1.0, v5
	v_sub_f32_e32 v3, v4, v3
	v_cmp_eq_f32_e32 vcc_lo, 0x7f800000, v4
	v_cmp_gt_f32_e64 s16, 0x33800000, v4
	s_delay_alu instid0(VALU_DEP_3) | instskip(NEXT) | instid1(VALU_DEP_2)
	v_add_f32_e32 v3, v3, v7
	s_or_b32 vcc_lo, s16, vcc_lo
	s_delay_alu instid0(VALU_DEP_1) | instskip(SKIP_1) | instid1(VALU_DEP_1)
	v_ldexp_f32 v3, v3, v6
	v_add_f32_e32 v6, -1.0, v5
	v_dual_add_f32 v7, -1.0, v37 :: v_dual_add_f32 v38, 1.0, v6
	s_delay_alu instid0(VALU_DEP_1) | instskip(NEXT) | instid1(VALU_DEP_2)
	v_sub_f32_e32 v7, v5, v7
	v_sub_f32_e32 v5, v5, v38
	s_delay_alu instid0(VALU_DEP_2) | instskip(NEXT) | instid1(VALU_DEP_1)
	v_add_f32_e32 v7, v3, v7
	v_dual_add_f32 v3, v3, v5 :: v_dual_add_f32 v38, v37, v7
	s_delay_alu instid0(VALU_DEP_1) | instskip(NEXT) | instid1(VALU_DEP_2)
	v_add_f32_e32 v39, v6, v3
	v_rcp_f32_e32 v5, v38
	s_delay_alu instid0(VALU_DEP_1) | instskip(NEXT) | instid1(VALU_DEP_1)
	v_dual_sub_f32 v37, v37, v38 :: v_dual_sub_f32 v6, v6, v39
	v_add_f32_e32 v3, v3, v6
	s_waitcnt_depctr 0xfff
	v_mul_f32_e32 v40, v39, v5
	s_delay_alu instid0(VALU_DEP_1) | instskip(NEXT) | instid1(VALU_DEP_1)
	v_dual_mul_f32 v42, v38, v40 :: v_dual_add_f32 v7, v7, v37
	v_fma_f32 v37, v40, v38, -v42
	s_delay_alu instid0(VALU_DEP_1) | instskip(NEXT) | instid1(VALU_DEP_1)
	v_fmac_f32_e32 v37, v40, v7
	v_add_f32_e32 v43, v42, v37
	s_delay_alu instid0(VALU_DEP_1) | instskip(SKIP_1) | instid1(VALU_DEP_1)
	v_sub_f32_e32 v6, v43, v42
	v_sub_f32_e32 v44, v39, v43
	v_dual_sub_f32 v6, v6, v37 :: v_dual_sub_f32 v39, v39, v44
	s_delay_alu instid0(VALU_DEP_1) | instskip(NEXT) | instid1(VALU_DEP_1)
	v_sub_f32_e32 v39, v39, v43
	v_add_f32_e32 v3, v3, v39
	s_delay_alu instid0(VALU_DEP_1) | instskip(NEXT) | instid1(VALU_DEP_1)
	v_add_f32_e32 v3, v6, v3
	v_add_f32_e32 v6, v44, v3
	s_delay_alu instid0(VALU_DEP_1) | instskip(SKIP_1) | instid1(VALU_DEP_2)
	v_mul_f32_e32 v37, v5, v6
	v_sub_f32_e32 v43, v44, v6
	v_mul_f32_e32 v39, v38, v37
	s_delay_alu instid0(VALU_DEP_2) | instskip(NEXT) | instid1(VALU_DEP_2)
	v_add_f32_e32 v3, v3, v43
	v_fma_f32 v38, v37, v38, -v39
	s_delay_alu instid0(VALU_DEP_1) | instskip(NEXT) | instid1(VALU_DEP_1)
	v_fmac_f32_e32 v38, v37, v7
	v_add_f32_e32 v7, v39, v38
	s_delay_alu instid0(VALU_DEP_1) | instskip(NEXT) | instid1(VALU_DEP_1)
	v_sub_f32_e32 v42, v6, v7
	v_dual_sub_f32 v39, v7, v39 :: v_dual_sub_f32 v6, v6, v42
	s_delay_alu instid0(VALU_DEP_1) | instskip(NEXT) | instid1(VALU_DEP_1)
	v_dual_sub_f32 v6, v6, v7 :: v_dual_sub_f32 v7, v39, v38
	v_dual_add_f32 v3, v3, v6 :: v_dual_add_f32 v6, v40, v37
	s_delay_alu instid0(VALU_DEP_1) | instskip(NEXT) | instid1(VALU_DEP_2)
	v_add_f32_e32 v3, v7, v3
	v_sub_f32_e32 v7, v6, v40
	s_delay_alu instid0(VALU_DEP_2) | instskip(NEXT) | instid1(VALU_DEP_2)
	v_add_f32_e32 v3, v42, v3
	v_sub_f32_e32 v7, v37, v7
	s_delay_alu instid0(VALU_DEP_2) | instskip(NEXT) | instid1(VALU_DEP_1)
	v_mul_f32_e32 v3, v5, v3
	v_add_f32_e32 v3, v7, v3
	s_delay_alu instid0(VALU_DEP_1) | instskip(NEXT) | instid1(VALU_DEP_1)
	v_add_f32_e32 v5, v6, v3
	v_mul_f32_e32 v7, v5, v5
	s_delay_alu instid0(VALU_DEP_1) | instskip(NEXT) | instid1(VALU_DEP_1)
	v_fmaak_f32 v37, s42, v7, 0x3ecc95a3
	v_dual_mul_f32 v38, v5, v7 :: v_dual_fmaak_f32 v7, v7, v37, 0x3f2aaada
	v_ldexp_f32 v37, v5, 1
	v_sub_f32_e32 v5, v5, v6
	s_delay_alu instid0(VALU_DEP_3) | instskip(NEXT) | instid1(VALU_DEP_1)
	v_dual_mul_f32 v7, v38, v7 :: v_dual_mul_f32 v38, 0x3f317218, v2
	v_dual_sub_f32 v3, v3, v5 :: v_dual_add_f32 v6, v37, v7
	s_delay_alu instid0(VALU_DEP_1) | instskip(NEXT) | instid1(VALU_DEP_2)
	v_ldexp_f32 v3, v3, 1
	v_sub_f32_e32 v5, v6, v37
	s_delay_alu instid0(VALU_DEP_4) | instskip(NEXT) | instid1(VALU_DEP_2)
	v_fma_f32 v37, 0x3f317218, v2, -v38
	v_sub_f32_e32 v5, v7, v5
	s_delay_alu instid0(VALU_DEP_1) | instskip(NEXT) | instid1(VALU_DEP_1)
	v_dual_fmac_f32 v37, 0xb102e308, v2 :: v_dual_add_f32 v2, v3, v5
	v_add_f32_e32 v3, v38, v37
	s_delay_alu instid0(VALU_DEP_2) | instskip(NEXT) | instid1(VALU_DEP_2)
	v_add_f32_e32 v5, v6, v2
	v_sub_f32_e32 v38, v3, v38
	s_delay_alu instid0(VALU_DEP_2) | instskip(NEXT) | instid1(VALU_DEP_2)
	v_dual_add_f32 v7, v3, v5 :: v_dual_sub_f32 v6, v5, v6
	v_sub_f32_e32 v37, v37, v38
	s_delay_alu instid0(VALU_DEP_2) | instskip(NEXT) | instid1(VALU_DEP_1)
	v_dual_sub_f32 v39, v7, v3 :: v_dual_sub_f32 v2, v2, v6
	v_sub_f32_e32 v40, v7, v39
	v_sub_f32_e32 v5, v5, v39
	s_delay_alu instid0(VALU_DEP_2) | instskip(NEXT) | instid1(VALU_DEP_1)
	v_dual_add_f32 v6, v37, v2 :: v_dual_sub_f32 v3, v3, v40
	v_add_f32_e32 v3, v5, v3
	s_delay_alu instid0(VALU_DEP_2) | instskip(NEXT) | instid1(VALU_DEP_2)
	v_sub_f32_e32 v5, v6, v37
	v_add_f32_e32 v3, v6, v3
	s_delay_alu instid0(VALU_DEP_2) | instskip(SKIP_1) | instid1(VALU_DEP_3)
	v_sub_f32_e32 v6, v6, v5
	v_sub_f32_e32 v2, v2, v5
	v_add_f32_e32 v38, v7, v3
	s_delay_alu instid0(VALU_DEP_1) | instskip(NEXT) | instid1(VALU_DEP_1)
	v_dual_sub_f32 v6, v37, v6 :: v_dual_sub_f32 v5, v38, v7
	v_dual_add_f32 v2, v2, v6 :: v_dual_sub_f32 v3, v3, v5
	s_delay_alu instid0(VALU_DEP_1) | instskip(NEXT) | instid1(VALU_DEP_1)
	v_add_f32_e32 v2, v2, v3
	v_add_f32_e32 v2, v38, v2
	s_delay_alu instid0(VALU_DEP_1)
	v_cndmask_b32_e32 v42, v2, v4, vcc_lo
.LBB64_34:                              ;   in Loop: Header=BB64_12 Depth=1
	s_or_b32 exec_lo, exec_lo, s17
	v_lshrrev_b32_e32 v2, 16, v0
	v_lshrrev_b32_e32 v3, 16, v1
	v_cvt_f32_f16_e32 v1, v1
	v_cvt_f32_f16_e32 v0, v0
	s_and_b32 vcc_lo, exec_lo, s63
	v_cvt_f32_f16_e32 v2, v2
	v_cvt_f32_f16_e32 v3, v3
	v_mul_f32_e32 v38, s59, v1
	v_mul_f32_e32 v40, s59, v0
	s_delay_alu instid0(VALU_DEP_4) | instskip(NEXT) | instid1(VALU_DEP_4)
	v_mul_f32_e32 v37, s59, v2
	v_mul_f32_e32 v39, s59, v3
	s_barrier
	buffer_gl0_inv
	s_cbranch_vccz .LBB64_82
; %bb.35:                               ;   in Loop: Header=BB64_12 Depth=1
	v_dual_mul_f32 v43, v42, v3 :: v_dual_mul_f32 v48, v41, v1
	v_add_co_u32 v3, s16, s47, v33
	s_delay_alu instid0(VALU_DEP_1) | instskip(SKIP_1) | instid1(VALU_DEP_1)
	v_add_co_ci_u32_e64 v4, null, s49, 0, s16
	v_add_co_u32 v5, s16, s51, v33
	v_add_co_ci_u32_e64 v6, null, s60, 0, s16
	s_delay_alu instid0(VALU_DEP_4) | instskip(NEXT) | instid1(VALU_DEP_4)
	v_add_co_u32 v44, vcc_lo, v3, v34
	v_add_co_ci_u32_e32 v45, vcc_lo, 0, v4, vcc_lo
	s_delay_alu instid0(VALU_DEP_4) | instskip(NEXT) | instid1(VALU_DEP_4)
	v_add_co_u32 v46, vcc_lo, v5, v34
	v_add_co_ci_u32_e32 v47, vcc_lo, 0, v6, vcc_lo
	v_cmp_gt_u32_e32 vcc_lo, s19, v8
	v_cmp_gt_u32_e64 s17, s19, v30
	v_cmp_gt_u32_e64 s18, s19, v31
	;; [unrolled: 1-line block ×3, first 2 shown]
	s_cmp_lg_u32 s56, 0
	v_dual_mul_f32 v49, v36, v2 :: v_dual_mul_f32 v50, v35, v0
	s_mov_b32 s28, 0
	s_cselect_b32 s25, -1, 0
	s_cmp_eq_u32 s56, s65
	s_mov_b32 s26, s28
	s_cselect_b32 s57, -1, 0
	s_or_b32 s16, s64, vcc_lo
	s_or_b32 s17, s64, s17
	s_or_b32 s18, s64, s18
	;; [unrolled: 1-line block ×3, first 2 shown]
	s_mov_b32 s30, s28
	s_mov_b32 s34, s28
	;; [unrolled: 1-line block ×4, first 2 shown]
	s_branch .LBB64_37
.LBB64_36:                              ;   in Loop: Header=BB64_37 Depth=2
	s_or_b32 exec_lo, exec_lo, s20
	v_cndmask_b32_e64 v2, v60, v7, s11
	v_cndmask_b32_e64 v3, v59, v6, s11
	s_add_i32 s66, s66, -1
	s_add_i32 s67, s67, 8
	s_add_i32 s34, s34, s50
	v_fma_f32 v2, v2, v56, v53
	v_mul_f32_e32 v3, v3, v56
	s_add_i32 s30, s30, s36
	s_add_i32 s26, s26, s48
	;; [unrolled: 1-line block ×3, first 2 shown]
	v_cndmask_b32_e64 v2, v2, v53, s10
	v_cndmask_b32_e64 v3, v3, v56, s10
	s_cmp_eq_u32 s66, 0
	s_waitcnt lgkmcnt(0)
	s_delay_alu instid0(VALU_DEP_1) | instskip(NEXT) | instid1(VALU_DEP_1)
	v_fmac_f32_e32 v2, v4, v3
	v_fmac_f32_e32 v51, v2, v57
	v_fma_mix_f32 v40, v2, v0, v40 op_sel_hi:[0,1,0]
	s_delay_alu instid0(VALU_DEP_2) | instskip(SKIP_1) | instid1(VALU_DEP_2)
	v_fmac_f32_e32 v52, v51, v58
	v_fma_mix_f32 v37, v51, v0, v37 op_sel:[0,1,0] op_sel_hi:[0,1,0]
	v_fmac_f32_e32 v54, v52, v55
	v_fma_mix_f32 v38, v52, v1, v38 op_sel_hi:[0,1,0]
	s_delay_alu instid0(VALU_DEP_2)
	v_fma_mix_f32 v39, v54, v1, v39 op_sel:[0,1,0] op_sel_hi:[0,1,0]
	s_cbranch_scc1 .LBB64_82
.LBB64_37:                              ;   Parent Loop BB64_12 Depth=1
                                        ; =>  This Inner Loop Header: Depth=2
	s_lshl_b64 s[20:21], s[28:29], 2
	s_mov_b32 s27, s29
	s_add_u32 s20, s44, s20
	s_addc_u32 s21, s46, s21
	v_dual_mov_b32 v2, 0 :: v_dual_mov_b32 v3, 0
	global_load_b32 v6, v12, s[20:21]
	s_lshl_b64 s[20:21], s[26:27], 1
	s_delay_alu instid0(SALU_CYCLE_1)
	v_add_co_u32 v0, vcc_lo, v44, s20
	v_add_co_ci_u32_e32 v1, vcc_lo, s21, v45, vcc_lo
	s_and_saveexec_b32 s20, s12
	s_cbranch_execnz .LBB64_49
; %bb.38:                               ;   in Loop: Header=BB64_37 Depth=2
	s_or_b32 exec_lo, exec_lo, s20
	s_and_saveexec_b32 s20, s13
	s_cbranch_execnz .LBB64_50
.LBB64_39:                              ;   in Loop: Header=BB64_37 Depth=2
	s_or_b32 exec_lo, exec_lo, s20
	v_mov_b32_e32 v4, 0
	s_and_saveexec_b32 s20, s14
	s_cbranch_execnz .LBB64_51
.LBB64_40:                              ;   in Loop: Header=BB64_37 Depth=2
	s_or_b32 exec_lo, exec_lo, s20
	s_and_saveexec_b32 s20, s15
	s_cbranch_execz .LBB64_42
.LBB64_41:                              ;   in Loop: Header=BB64_37 Depth=2
	global_load_u16 v0, v[0:1], off offset:192
	s_waitcnt vmcnt(0)
	v_lshl_or_b32 v4, v0, 16, v4
.LBB64_42:                              ;   in Loop: Header=BB64_37 Depth=2
	s_or_b32 exec_lo, exec_lo, s20
	s_waitcnt vmcnt(0)
	ds_store_b16 v14, v3
	ds_store_b16 v14, v2 offset:64
	ds_store_b16 v15, v4 offset:128
	ds_store_b16_d16_hi v16, v4 offset:192
	; wave barrier
	ds_load_b64 v[4:5], v17
	s_mov_b32 s31, s29
	v_dual_mov_b32 v2, 0 :: v_dual_mov_b32 v3, 0
	s_lshl_b64 s[20:21], s[30:31], 1
	s_delay_alu instid0(SALU_CYCLE_1)
	v_add_co_u32 v0, vcc_lo, v46, s20
	v_add_co_ci_u32_e32 v1, vcc_lo, s21, v47, vcc_lo
	s_and_saveexec_b32 s20, s12
	s_cbranch_execnz .LBB64_52
; %bb.43:                               ;   in Loop: Header=BB64_37 Depth=2
	s_or_b32 exec_lo, exec_lo, s20
	s_and_saveexec_b32 s20, s13
	s_cbranch_execnz .LBB64_53
.LBB64_44:                              ;   in Loop: Header=BB64_37 Depth=2
	s_or_b32 exec_lo, exec_lo, s20
	v_mov_b32_e32 v7, 0
	s_and_saveexec_b32 s20, s14
	s_cbranch_execnz .LBB64_54
.LBB64_45:                              ;   in Loop: Header=BB64_37 Depth=2
	s_or_b32 exec_lo, exec_lo, s20
	s_and_saveexec_b32 s20, s15
	s_cbranch_execz .LBB64_47
.LBB64_46:                              ;   in Loop: Header=BB64_37 Depth=2
	global_load_u16 v0, v[0:1], off offset:192
	s_waitcnt vmcnt(0)
	v_lshl_or_b32 v7, v0, 16, v7
.LBB64_47:                              ;   in Loop: Header=BB64_37 Depth=2
	s_or_b32 exec_lo, exec_lo, s20
	s_waitcnt vmcnt(0)
	ds_store_b16 v14, v3 offset:528
	ds_store_b16 v18, v2 offset:64
	;; [unrolled: 1-line block ×3, first 2 shown]
	ds_store_b16_d16_hi v20, v7 offset:192
	; wave barrier
	ds_load_b64 v[0:1], v17 offset:528
	s_and_not1_b32 vcc_lo, exec_lo, s25
	s_cbranch_vccnz .LBB64_55
; %bb.48:                               ;   in Loop: Header=BB64_37 Depth=2
	v_mov_b32_e32 v2, s67
	ds_load_b64 v[2:3], v2
	s_cbranch_execz .LBB64_56
	s_branch .LBB64_59
.LBB64_49:                              ;   in Loop: Header=BB64_37 Depth=2
	global_load_u16 v3, v[0:1], off
	s_or_b32 exec_lo, exec_lo, s20
	s_and_saveexec_b32 s20, s13
	s_cbranch_execz .LBB64_39
.LBB64_50:                              ;   in Loop: Header=BB64_37 Depth=2
	global_load_u16 v2, v[0:1], off offset:64
	s_or_b32 exec_lo, exec_lo, s20
	v_mov_b32_e32 v4, 0
	s_and_saveexec_b32 s20, s14
	s_cbranch_execz .LBB64_40
.LBB64_51:                              ;   in Loop: Header=BB64_37 Depth=2
	global_load_u16 v4, v[0:1], off offset:128
	s_or_b32 exec_lo, exec_lo, s20
	s_and_saveexec_b32 s20, s15
	s_cbranch_execnz .LBB64_41
	s_branch .LBB64_42
.LBB64_52:                              ;   in Loop: Header=BB64_37 Depth=2
	global_load_u16 v3, v[0:1], off
	s_or_b32 exec_lo, exec_lo, s20
	s_and_saveexec_b32 s20, s13
	s_cbranch_execz .LBB64_44
.LBB64_53:                              ;   in Loop: Header=BB64_37 Depth=2
	global_load_u16 v2, v[0:1], off offset:64
	s_or_b32 exec_lo, exec_lo, s20
	v_mov_b32_e32 v7, 0
	s_and_saveexec_b32 s20, s14
	s_cbranch_execz .LBB64_45
.LBB64_54:                              ;   in Loop: Header=BB64_37 Depth=2
	global_load_u16 v7, v[0:1], off offset:128
	s_or_b32 exec_lo, exec_lo, s20
	s_and_saveexec_b32 s20, s15
	s_cbranch_execnz .LBB64_46
	s_branch .LBB64_47
.LBB64_55:                              ;   in Loop: Header=BB64_37 Depth=2
                                        ; implicit-def: $vgpr2
.LBB64_56:                              ;   in Loop: Header=BB64_37 Depth=2
	s_waitcnt lgkmcnt(0)
	v_mov_b32_e32 v3, 0
	s_and_not1_b32 vcc_lo, exec_lo, s33
	s_cbranch_vccnz .LBB64_58
; %bb.57:                               ;   in Loop: Header=BB64_37 Depth=2
	s_mov_b32 s35, s29
	s_delay_alu instid0(SALU_CYCLE_1) | instskip(NEXT) | instid1(SALU_CYCLE_1)
	s_lshl_b64 s[20:21], s[34:35], 1
	s_add_u32 s20, s52, s20
	s_addc_u32 s21, s53, s21
	global_load_u16 v2, v12, s[20:21]
	s_waitcnt vmcnt(0)
	v_cvt_f32_f16_e32 v3, v2
.LBB64_58:                              ;   in Loop: Header=BB64_37 Depth=2
	v_mov_b32_e32 v2, 1.0
.LBB64_59:                              ;   in Loop: Header=BB64_37 Depth=2
	s_waitcnt lgkmcnt(5)
	v_lshrrev_b32_e32 v7, 16, v4
	v_lshrrev_b32_e32 v51, 16, v5
	v_cvt_f32_f16_e32 v5, v5
	v_cvt_f32_f16_e32 v4, v4
	s_delay_alu instid0(VALU_DEP_4) | instskip(SKIP_2) | instid1(VALU_DEP_4)
	v_cvt_f32_f16_e32 v7, v7
	v_mul_f32_e32 v6, 0x3fb8aa3b, v6
	v_cvt_f32_f16_e32 v55, v51
	v_dual_mul_f32 v4, v50, v4 :: v_dual_mul_f32 v5, v48, v5
	s_delay_alu instid0(VALU_DEP_4) | instskip(NEXT) | instid1(VALU_DEP_4)
	v_mul_f32_e32 v7, v49, v7
	v_mul_f32_e32 v52, v6, v35
	s_delay_alu instid0(VALU_DEP_1) | instskip(SKIP_2) | instid1(VALU_DEP_2)
	v_cmp_gt_f32_e32 vcc_lo, 0xc2fc0000, v52
	v_cndmask_b32_e64 v52, 0, 0x42800000, vcc_lo
	v_cndmask_b32_e64 v57, 1.0, 0x1f800000, vcc_lo
	v_fmac_f32_e32 v52, v6, v35
	s_delay_alu instid0(VALU_DEP_1) | instskip(SKIP_2) | instid1(VALU_DEP_1)
	v_exp_f32_e32 v52, v52
	s_waitcnt_depctr 0xfff
	v_dual_mul_f32 v53, v6, v36 :: v_dual_mul_f32 v52, v52, v57
	v_cmp_gt_f32_e64 s20, 0xc2fc0000, v53
	v_mul_f32_e32 v53, v6, v42
	s_delay_alu instid0(VALU_DEP_2) | instskip(NEXT) | instid1(VALU_DEP_2)
	v_cndmask_b32_e64 v51, 0, 0x42800000, s20
	v_cmp_gt_f32_e64 s22, 0xc2fc0000, v53
	v_cndmask_b32_e64 v53, 0, v4, s16
	s_delay_alu instid0(VALU_DEP_2) | instskip(NEXT) | instid1(VALU_DEP_1)
	v_cndmask_b32_e64 v56, 0, 0x42800000, s22
	v_fmac_f32_e32 v56, v6, v42
	s_delay_alu instid0(VALU_DEP_1) | instskip(SKIP_3) | instid1(VALU_DEP_3)
	v_exp_f32_e32 v59, v56
	v_mul_f32_e32 v54, v6, v41
	v_cndmask_b32_e64 v56, 1.0, v52, s16
	v_cndmask_b32_e64 v52, 0, v5, s18
	v_cmp_gt_f32_e64 s21, 0xc2fc0000, v54
	s_delay_alu instid0(VALU_DEP_1) | instskip(NEXT) | instid1(VALU_DEP_1)
	v_cndmask_b32_e64 v54, 0, 0x42800000, s21
	v_fmac_f32_e32 v54, v6, v41
	s_delay_alu instid0(VALU_DEP_1)
	v_exp_f32_e32 v4, v54
	v_cndmask_b32_e64 v54, 1.0, 0x1f800000, s21
	v_fmac_f32_e32 v51, v6, v36
	v_cndmask_b32_e64 v6, 1.0, 0x1f800000, s20
	s_waitcnt_depctr 0xfff
	v_mul_f32_e32 v4, v4, v54
	v_exp_f32_e32 v51, v51
	s_delay_alu instid0(VALU_DEP_1)
	v_cndmask_b32_e64 v58, 1.0, v4, s18
	v_mul_f32_e32 v4, v43, v55
	s_waitcnt_depctr 0xfff
	v_mul_f32_e32 v6, v51, v6
	v_cndmask_b32_e64 v51, 0, v7, s17
	v_cndmask_b32_e64 v7, 1.0, 0x1f800000, s22
	v_cndmask_b32_e64 v54, 0, v4, s19
	s_delay_alu instid0(VALU_DEP_4) | instskip(NEXT) | instid1(VALU_DEP_1)
	v_cndmask_b32_e64 v57, 1.0, v6, s17
	v_dual_mul_f32 v5, v59, v7 :: v_dual_mul_f32 v6, v57, v56
	v_fma_f32 v7, v57, v53, v51
	s_delay_alu instid0(VALU_DEP_2) | instskip(NEXT) | instid1(VALU_DEP_3)
	v_cndmask_b32_e64 v55, 1.0, v5, s19
	v_mul_f32_e32 v4, v6, v58
	s_delay_alu instid0(VALU_DEP_3) | instskip(NEXT) | instid1(VALU_DEP_2)
	v_fma_f32 v5, v7, v58, v52
	v_mul_f32_e32 v4, v4, v55
	s_delay_alu instid0(VALU_DEP_2) | instskip(NEXT) | instid1(VALU_DEP_2)
	v_fma_f32 v5, v5, v55, v54
	v_mov_b32_dpp v7, v4 row_shr:1 row_mask:0xf bank_mask:0xf
	s_delay_alu instid0(VALU_DEP_2)
	v_mov_b32_dpp v6, v5 row_shr:1 row_mask:0xf bank_mask:0xf
	s_and_saveexec_b32 s20, s0
; %bb.60:                               ;   in Loop: Header=BB64_37 Depth=2
	s_delay_alu instid0(VALU_DEP_2) | instskip(NEXT) | instid1(VALU_DEP_1)
	v_mul_f32_e32 v7, v4, v7
	v_dual_fmac_f32 v5, v4, v6 :: v_dual_mov_b32 v4, v7
; %bb.61:                               ;   in Loop: Header=BB64_37 Depth=2
	s_or_b32 exec_lo, exec_lo, s20
	s_delay_alu instid0(VALU_DEP_1) | instskip(NEXT) | instid1(VALU_DEP_2)
	v_mov_b32_dpp v6, v4 row_shr:2 row_mask:0xf bank_mask:0xf
	v_mov_b32_dpp v7, v5 row_shr:2 row_mask:0xf bank_mask:0xf
	s_and_saveexec_b32 s20, s1
; %bb.62:                               ;   in Loop: Header=BB64_37 Depth=2
	s_delay_alu instid0(VALU_DEP_1) | instskip(NEXT) | instid1(VALU_DEP_3)
	v_fmac_f32_e32 v5, v4, v7
	v_mul_f32_e32 v4, v4, v6
; %bb.63:                               ;   in Loop: Header=BB64_37 Depth=2
	s_or_b32 exec_lo, exec_lo, s20
	s_delay_alu instid0(VALU_DEP_1) | instskip(NEXT) | instid1(VALU_DEP_3)
	v_mov_b32_dpp v6, v4 row_shr:4 row_mask:0xf bank_mask:0xf
	v_mov_b32_dpp v7, v5 row_shr:4 row_mask:0xf bank_mask:0xf
	s_and_saveexec_b32 s20, s2
; %bb.64:                               ;   in Loop: Header=BB64_37 Depth=2
	s_delay_alu instid0(VALU_DEP_1) | instskip(NEXT) | instid1(VALU_DEP_3)
	v_fmac_f32_e32 v5, v4, v7
	v_mul_f32_e32 v4, v4, v6
; %bb.65:                               ;   in Loop: Header=BB64_37 Depth=2
	s_or_b32 exec_lo, exec_lo, s20
	s_delay_alu instid0(VALU_DEP_1) | instskip(NEXT) | instid1(VALU_DEP_3)
	v_mov_b32_dpp v6, v4 row_shr:8 row_mask:0xf bank_mask:0xf
	v_mov_b32_dpp v7, v5 row_shr:8 row_mask:0xf bank_mask:0xf
	s_and_saveexec_b32 s20, s3
; %bb.66:                               ;   in Loop: Header=BB64_37 Depth=2
	s_delay_alu instid0(VALU_DEP_1) | instskip(NEXT) | instid1(VALU_DEP_3)
	v_fmac_f32_e32 v5, v4, v7
	v_mul_f32_e32 v4, v4, v6
; %bb.67:                               ;   in Loop: Header=BB64_37 Depth=2
	s_or_b32 exec_lo, exec_lo, s20
	ds_swizzle_b32 v7, v4 offset:swizzle(BROADCAST,32,15)
	ds_swizzle_b32 v6, v5 offset:swizzle(BROADCAST,32,15)
	s_and_saveexec_b32 s20, s4
	s_cbranch_execz .LBB64_69
; %bb.68:                               ;   in Loop: Header=BB64_37 Depth=2
	s_waitcnt lgkmcnt(1)
	v_mul_f32_e32 v7, v4, v7
	s_waitcnt lgkmcnt(0)
	s_delay_alu instid0(VALU_DEP_1)
	v_dual_fmac_f32 v5, v4, v6 :: v_dual_mov_b32 v4, v7
.LBB64_69:                              ;   in Loop: Header=BB64_37 Depth=2
	s_or_b32 exec_lo, exec_lo, s20
	s_and_saveexec_b32 s20, s5
	s_cbranch_execz .LBB64_71
; %bb.70:                               ;   in Loop: Header=BB64_37 Depth=2
	ds_store_b64 v21, v[4:5] offset:1056
.LBB64_71:                              ;   in Loop: Header=BB64_37 Depth=2
	s_or_b32 exec_lo, exec_lo, s20
	s_waitcnt lgkmcnt(0)
	s_waitcnt_vscnt null, 0x0
	s_barrier
	buffer_gl0_inv
	s_and_saveexec_b32 s20, s6
	s_cbranch_execz .LBB64_73
; %bb.72:                               ;   in Loop: Header=BB64_37 Depth=2
	ds_load_b64 v[6:7], v22 offset:1056
	s_waitcnt lgkmcnt(0)
	v_mov_b32_dpp v59, v6 row_shr:1 row_mask:0xf bank_mask:0xf
	v_mov_b32_dpp v60, v7 row_shr:1 row_mask:0xf bank_mask:0xf
	s_delay_alu instid0(VALU_DEP_2) | instskip(NEXT) | instid1(VALU_DEP_2)
	v_mul_f32_e32 v59, v6, v59
	v_fma_f32 v60, v6, v60, v7
	s_delay_alu instid0(VALU_DEP_2) | instskip(NEXT) | instid1(VALU_DEP_2)
	v_cndmask_b32_e64 v6, v59, v6, s7
	v_cndmask_b32_e64 v7, v60, v7, s7
	ds_store_b64 v22, v[6:7] offset:1056
.LBB64_73:                              ;   in Loop: Header=BB64_37 Depth=2
	s_or_b32 exec_lo, exec_lo, s20
	s_waitcnt lgkmcnt(0)
	s_barrier
	buffer_gl0_inv
                                        ; implicit-def: $vgpr7
	s_and_saveexec_b32 s20, s9
	s_cbranch_execz .LBB64_75
; %bb.74:                               ;   in Loop: Header=BB64_37 Depth=2
	ds_load_b64 v[6:7], v21 offset:1048
	s_waitcnt lgkmcnt(0)
	v_mul_f32_e32 v59, v4, v6
	s_delay_alu instid0(VALU_DEP_1)
	v_dual_fmac_f32 v5, v4, v7 :: v_dual_mov_b32 v4, v59
.LBB64_75:                              ;   in Loop: Header=BB64_37 Depth=2
	s_or_b32 exec_lo, exec_lo, s20
	ds_bpermute_b32 v59, v23, v4
	ds_bpermute_b32 v60, v23, v5
	s_and_saveexec_b32 s20, s8
	s_cbranch_execz .LBB64_79
; %bb.76:                               ;   in Loop: Header=BB64_37 Depth=2
	ds_load_b64 v[4:5], v12 offset:1064
	s_and_saveexec_b32 s21, s10
	s_cbranch_execz .LBB64_78
; %bb.77:                               ;   in Loop: Header=BB64_37 Depth=2
	ds_store_b64 v12, v[2:3] offset:1064
.LBB64_78:                              ;   in Loop: Header=BB64_37 Depth=2
	s_or_b32 exec_lo, exec_lo, s21
	s_waitcnt lgkmcnt(0)
	v_fmac_f32_e32 v5, v3, v4
	s_delay_alu instid0(VALU_DEP_1)
	v_dual_mul_f32 v2, v2, v4 :: v_dual_mov_b32 v3, v5
.LBB64_79:                              ;   in Loop: Header=BB64_37 Depth=2
	s_or_b32 exec_lo, exec_lo, s20
	s_waitcnt lgkmcnt(0)
	s_barrier
	buffer_gl0_inv
	ds_load_b32 v4, v12 offset:1068
	s_and_saveexec_b32 s20, s10
	s_cbranch_execz .LBB64_36
; %bb.80:                               ;   in Loop: Header=BB64_37 Depth=2
	v_mov_b32_e32 v5, s67
	s_and_not1_b32 vcc_lo, exec_lo, s57
	ds_store_b64 v5, v[2:3]
	s_cbranch_vccnz .LBB64_36
; %bb.81:                               ;   in Loop: Header=BB64_37 Depth=2
	s_mov_b32 s35, s29
	v_cvt_f16_f32_e32 v2, v3
	s_lshl_b64 s[68:69], s[34:35], 1
	s_delay_alu instid0(SALU_CYCLE_1)
	s_add_u32 s68, s52, s68
	s_addc_u32 s69, s53, s69
	global_store_b16 v12, v2, s[68:69]
	s_branch .LBB64_36
.LBB64_82:                              ;   in Loop: Header=BB64_12 Depth=1
	v_cvt_f16_f32_e32 v0, v40
	s_delay_alu instid0(VALU_DEP_3) | instskip(NEXT) | instid1(VALU_DEP_3)
	v_cvt_f16_f32_e32 v1, v38
	v_cvt_f16_f32_e32 v2, v39
	;; [unrolled: 1-line block ×3, first 2 shown]
	s_waitcnt_vscnt null, 0x0
	s_barrier
	buffer_gl0_inv
	v_pack_b32_f16 v1, v1, v2
	v_pack_b32_f16 v0, v0, v3
	s_mov_b32 s25, s29
	s_delay_alu instid0(SALU_CYCLE_1)
	s_lshl_b64 s[20:21], s[24:25], 1
	ds_store_b64 v17, v[0:1]
	; wave barrier
	ds_load_u16 v4, v14 offset:64
	ds_load_u16 v3, v15 offset:128
	;; [unrolled: 1-line block ×3, first 2 shown]
	v_add_co_u32 v0, vcc_lo, v24, s20
	v_add_co_ci_u32_e32 v1, vcc_lo, s21, v25, vcc_lo
	s_and_saveexec_b32 s16, s12
	s_cbranch_execnz .LBB64_101
; %bb.83:                               ;   in Loop: Header=BB64_12 Depth=1
	s_or_b32 exec_lo, exec_lo, s16
	s_and_saveexec_b32 s16, s13
	s_cbranch_execnz .LBB64_102
.LBB64_84:                              ;   in Loop: Header=BB64_12 Depth=1
	s_or_b32 exec_lo, exec_lo, s16
	s_and_saveexec_b32 s16, s14
	s_cbranch_execnz .LBB64_103
.LBB64_85:                              ;   in Loop: Header=BB64_12 Depth=1
	s_or_b32 exec_lo, exec_lo, s16
	s_and_saveexec_b32 s16, s15
	s_cbranch_execz .LBB64_87
.LBB64_86:                              ;   in Loop: Header=BB64_12 Depth=1
	s_waitcnt lgkmcnt(0)
	global_store_b16 v[0:1], v2, off offset:192
.LBB64_87:                              ;   in Loop: Header=BB64_12 Depth=1
	s_or_b32 exec_lo, exec_lo, s16
	v_add_co_u32 v0, vcc_lo, v26, s20
	v_add_co_ci_u32_e32 v1, vcc_lo, s21, v27, vcc_lo
	s_waitcnt lgkmcnt(0)
	v_dual_mov_b32 v2, 0 :: v_dual_mov_b32 v3, 0
	s_waitcnt_vscnt null, 0x0
	s_barrier
	buffer_gl0_inv
	s_and_saveexec_b32 s16, s12
	s_cbranch_execz .LBB64_89
; %bb.88:                               ;   in Loop: Header=BB64_12 Depth=1
	global_load_u16 v3, v[0:1], off
.LBB64_89:                              ;   in Loop: Header=BB64_12 Depth=1
	s_or_b32 exec_lo, exec_lo, s16
	s_and_saveexec_b32 s16, s13
	s_cbranch_execz .LBB64_91
; %bb.90:                               ;   in Loop: Header=BB64_12 Depth=1
	global_load_u16 v2, v[0:1], off offset:64
.LBB64_91:                              ;   in Loop: Header=BB64_12 Depth=1
	s_or_b32 exec_lo, exec_lo, s16
	v_dual_mov_b32 v4, 0 :: v_dual_mov_b32 v5, 0
	s_and_saveexec_b32 s16, s14
	s_cbranch_execz .LBB64_93
; %bb.92:                               ;   in Loop: Header=BB64_12 Depth=1
	global_load_u16 v5, v[0:1], off offset:128
.LBB64_93:                              ;   in Loop: Header=BB64_12 Depth=1
	s_or_b32 exec_lo, exec_lo, s16
	s_and_saveexec_b32 s16, s15
	s_cbranch_execz .LBB64_95
; %bb.94:                               ;   in Loop: Header=BB64_12 Depth=1
	global_load_u16 v4, v[0:1], off offset:192
.LBB64_95:                              ;   in Loop: Header=BB64_12 Depth=1
	s_or_b32 exec_lo, exec_lo, s16
	s_waitcnt vmcnt(0)
	ds_store_b16 v14, v3
	ds_store_b16 v14, v2 offset:64
	ds_store_b16 v15, v5 offset:128
	;; [unrolled: 1-line block ×3, first 2 shown]
	; wave barrier
	ds_load_b64 v[0:1], v17
	s_waitcnt lgkmcnt(0)
	s_barrier
	buffer_gl0_inv
	v_cvt_f32_f16_e32 v3, v0
	v_lshrrev_b32_e32 v2, 16, v0
	v_cvt_f32_f16_e32 v5, v1
	v_lshrrev_b32_e32 v4, 16, v1
	s_delay_alu instid0(VALU_DEP_4) | instskip(NEXT) | instid1(VALU_DEP_4)
	v_mul_f32_e32 v6, 0xbfb8aa3b, v3
	v_cvt_f32_f16_e32 v2, v2
	s_delay_alu instid0(VALU_DEP_4) | instskip(NEXT) | instid1(VALU_DEP_4)
	v_mul_f32_e32 v7, 0xbfb8aa3b, v5
	v_cvt_f32_f16_e32 v4, v4
	v_cmp_nlt_f32_e32 vcc_lo, 0x42ce8ed0, v3
	v_rndne_f32_e32 v36, v6
	v_fma_mix_f32 v41, v0, s54, -v6 op_sel_hi:[1,0,0]
	s_delay_alu instid0(VALU_DEP_4)
	v_dual_mul_f32 v35, 0xbfb8aa3b, v2 :: v_dual_mul_f32 v42, 0xbfb8aa3b, v4
	v_rndne_f32_e32 v43, v7
	v_fma_mix_f32 v44, v1, s54, -v7 op_sel_hi:[1,0,0]
	v_sub_f32_e32 v6, v6, v36
	v_fma_mix_f32 v41, v0, s55, v41 op_sel_hi:[1,0,0]
	v_rndne_f32_e32 v45, v35
	v_sub_f32_e32 v7, v7, v43
	v_fma_mix_f32 v46, v0, s54, -v35 op_sel:[1,0,0] op_sel_hi:[1,0,0]
	v_fma_mix_f32 v44, v1, s55, v44 op_sel_hi:[1,0,0]
	v_add_f32_e32 v6, v6, v41
	v_rndne_f32_e32 v47, v42
	v_sub_f32_e32 v35, v35, v45
	v_fma_mix_f32 v0, v0, s55, v46 op_sel:[1,0,0] op_sel_hi:[1,0,0]
	v_add_f32_e32 v7, v7, v44
	v_exp_f32_e32 v6, v6
	v_sub_f32_e32 v41, v42, v47
	v_fma_mix_f32 v48, v1, s54, -v42 op_sel:[1,0,0] op_sel_hi:[1,0,0]
	v_add_f32_e32 v0, v35, v0
	v_exp_f32_e32 v7, v7
	v_cvt_i32_f32_e32 v35, v36
	v_cvt_i32_f32_e32 v36, v43
	v_fma_mix_f32 v1, v1, s55, v48 op_sel:[1,0,0] op_sel_hi:[1,0,0]
	v_exp_f32_e32 v0, v0
	s_delay_alu instid0(TRANS32_DEP_3) | instid1(VALU_DEP_3)
	v_ldexp_f32 v6, v6, v35
	v_cvt_i32_f32_e32 v35, v47
	s_delay_alu instid0(TRANS32_DEP_2) | instskip(NEXT) | instid1(VALU_DEP_3)
	v_ldexp_f32 v7, v7, v36
	v_cndmask_b32_e32 v6, 0, v6, vcc_lo
	v_cmp_nlt_f32_e32 vcc_lo, 0x42ce8ed0, v5
	s_delay_alu instid0(VALU_DEP_3) | instskip(SKIP_3) | instid1(VALU_DEP_1)
	v_cndmask_b32_e32 v7, 0, v7, vcc_lo
	v_cmp_nlt_f32_e32 vcc_lo, 0x42ce8ed0, v2
	v_add_f32_e32 v1, v41, v1
	v_cvt_i32_f32_e32 v41, v45
	v_ldexp_f32 v0, v0, v41
	s_delay_alu instid0(VALU_DEP_1) | instskip(NEXT) | instid1(VALU_DEP_4)
	v_cndmask_b32_e32 v0, 0, v0, vcc_lo
	v_exp_f32_e32 v1, v1
	v_cmp_nlt_f32_e32 vcc_lo, 0x42ce8ed0, v4
	s_waitcnt_depctr 0xfff
	v_ldexp_f32 v1, v1, v35
	s_delay_alu instid0(VALU_DEP_1) | instskip(SKIP_3) | instid1(VALU_DEP_2)
	v_cndmask_b32_e32 v1, 0, v1, vcc_lo
	v_cmp_ngt_f32_e32 vcc_lo, 0xc2b17218, v3
	v_cndmask_b32_e32 v6, 0x7f800000, v6, vcc_lo
	v_cmp_ngt_f32_e32 vcc_lo, 0xc2b17218, v5
	v_dual_add_f32 v6, 1.0, v6 :: v_dual_cndmask_b32 v7, 0x7f800000, v7
	v_cmp_ngt_f32_e32 vcc_lo, 0xc2b17218, v4
	s_delay_alu instid0(VALU_DEP_2) | instskip(SKIP_3) | instid1(VALU_DEP_4)
	v_div_scale_f32 v35, null, v6, v6, v3
	v_cndmask_b32_e32 v1, 0x7f800000, v1, vcc_lo
	v_cmp_ngt_f32_e32 vcc_lo, 0xc2b17218, v2
	v_add_f32_e32 v7, 1.0, v7
	v_rcp_f32_e32 v43, v35
	v_div_scale_f32 v47, s16, v3, v6, v3
	v_dual_cndmask_b32 v0, 0x7f800000, v0 :: v_dual_add_f32 v1, 1.0, v1
	s_delay_alu instid0(VALU_DEP_3) | instskip(SKIP_1) | instid1(VALU_DEP_3)
	v_div_scale_f32 v36, null, v7, v7, v5
	v_div_scale_f32 v48, s17, v5, v7, v5
	v_add_f32_e32 v0, 1.0, v0
	s_delay_alu instid0(VALU_DEP_3) | instskip(SKIP_1) | instid1(TRANS32_DEP_2)
	v_rcp_f32_e32 v44, v36
	v_div_scale_f32 v42, null, v1, v1, v4
	v_fma_f32 v50, -v35, v43, 1.0
	s_delay_alu instid0(VALU_DEP_3) | instskip(NEXT) | instid1(VALU_DEP_3)
	v_div_scale_f32 v41, null, v0, v0, v2
	v_rcp_f32_e32 v46, v42
	v_div_scale_f32 v49, vcc_lo, v2, v0, v2
	s_delay_alu instid0(VALU_DEP_2) | instskip(NEXT) | instid1(TRANS32_DEP_3)
	v_rcp_f32_e32 v45, v41
	v_fma_f32 v51, -v36, v44, 1.0
	v_div_scale_f32 v54, s18, v4, v1, v4
	s_delay_alu instid0(VALU_DEP_2) | instskip(SKIP_3) | instid1(VALU_DEP_1)
	v_dual_fmac_f32 v44, v51, v44 :: v_dual_fmac_f32 v43, v50, v43
	s_waitcnt_depctr 0xfff
	v_fma_f32 v53, -v42, v46, 1.0
	v_fma_f32 v52, -v41, v45, 1.0
	v_dual_fmac_f32 v46, v53, v46 :: v_dual_fmac_f32 v45, v52, v45
	v_mul_f32_e32 v52, v48, v44
	v_mul_f32_e32 v50, v47, v43
	s_delay_alu instid0(VALU_DEP_2) | instskip(NEXT) | instid1(VALU_DEP_2)
	v_fma_f32 v57, -v36, v52, v48
	v_fma_f32 v55, -v35, v50, v47
	v_mul_f32_e32 v51, v49, v45
	s_delay_alu instid0(VALU_DEP_3) | instskip(NEXT) | instid1(VALU_DEP_3)
	v_dual_mul_f32 v53, v54, v46 :: v_dual_fmac_f32 v52, v57, v44
	v_fmac_f32_e32 v50, v55, v43
	s_delay_alu instid0(VALU_DEP_3) | instskip(NEXT) | instid1(VALU_DEP_3)
	v_fma_f32 v56, -v41, v51, v49
	v_fma_f32 v58, -v42, v53, v54
	s_delay_alu instid0(VALU_DEP_4) | instskip(NEXT) | instid1(VALU_DEP_4)
	v_fma_f32 v36, -v36, v52, v48
	v_fma_f32 v35, -v35, v50, v47
	s_delay_alu instid0(VALU_DEP_4) | instskip(NEXT) | instid1(VALU_DEP_4)
	v_fmac_f32_e32 v51, v56, v45
	v_fmac_f32_e32 v53, v58, v46
	s_delay_alu instid0(VALU_DEP_2) | instskip(NEXT) | instid1(VALU_DEP_2)
	v_fma_f32 v41, -v41, v51, v49
	v_fma_f32 v42, -v42, v53, v54
	s_delay_alu instid0(VALU_DEP_2) | instskip(SKIP_3) | instid1(VALU_DEP_2)
	v_div_fmas_f32 v41, v41, v45, v51
	s_mov_b32 vcc_lo, s16
	v_div_fmas_f32 v35, v35, v43, v50
	s_mov_b32 vcc_lo, s18
	v_div_fixup_f32 v2, v41, v0, v2
	v_div_fmas_f32 v42, v42, v46, v53
	s_mov_b32 vcc_lo, s17
	v_div_fixup_f32 v3, v35, v6, v3
	v_div_fmas_f32 v36, v36, v44, v52
	s_delay_alu instid0(VALU_DEP_3) | instskip(NEXT) | instid1(VALU_DEP_3)
	v_div_fixup_f32 v4, v42, v1, v4
	v_fma_mixlo_f16 v0, v40, v3, 0
	s_delay_alu instid0(VALU_DEP_3) | instskip(NEXT) | instid1(VALU_DEP_2)
	v_div_fixup_f32 v5, v36, v7, v5
	v_fma_mixhi_f16 v0, v37, v2, 0
	s_delay_alu instid0(VALU_DEP_2) | instskip(NEXT) | instid1(VALU_DEP_1)
	v_fma_mixlo_f16 v1, v38, v5, 0
	v_fma_mixhi_f16 v1, v39, v4, 0
	ds_store_b64 v17, v[0:1]
	; wave barrier
	ds_load_u16 v4, v14 offset:64
	ds_load_u16 v3, v15 offset:128
	;; [unrolled: 1-line block ×3, first 2 shown]
	v_add_co_u32 v0, vcc_lo, v28, s20
	v_add_co_ci_u32_e32 v1, vcc_lo, s21, v29, vcc_lo
	s_and_saveexec_b32 s16, s12
	s_cbranch_execnz .LBB64_104
; %bb.96:                               ;   in Loop: Header=BB64_12 Depth=1
	s_or_b32 exec_lo, exec_lo, s16
	s_and_saveexec_b32 s12, s13
	s_cbranch_execnz .LBB64_105
.LBB64_97:                              ;   in Loop: Header=BB64_12 Depth=1
	s_or_b32 exec_lo, exec_lo, s12
	s_and_saveexec_b32 s12, s14
	s_cbranch_execnz .LBB64_106
.LBB64_98:                              ;   in Loop: Header=BB64_12 Depth=1
	s_or_b32 exec_lo, exec_lo, s12
	s_and_saveexec_b32 s12, s15
	s_cbranch_execz .LBB64_11
	s_branch .LBB64_107
.LBB64_99:                              ;   in Loop: Header=BB64_12 Depth=1
	global_load_u16 v6, v[2:3], off offset:64
	s_or_b32 exec_lo, exec_lo, s16
	s_and_saveexec_b32 s16, s14
	s_cbranch_execz .LBB64_24
.LBB64_100:                             ;   in Loop: Header=BB64_12 Depth=1
	global_load_u16 v5, v[2:3], off offset:128
	s_or_b32 exec_lo, exec_lo, s16
	v_mov_b32_e32 v7, 0
	s_and_saveexec_b32 s16, s15
	s_cbranch_execnz .LBB64_25
	s_branch .LBB64_26
.LBB64_101:                             ;   in Loop: Header=BB64_12 Depth=1
	ds_load_u16 v5, v14
	s_waitcnt lgkmcnt(0)
	global_store_b16 v[0:1], v5, off
	s_or_b32 exec_lo, exec_lo, s16
	s_and_saveexec_b32 s16, s13
	s_cbranch_execz .LBB64_84
.LBB64_102:                             ;   in Loop: Header=BB64_12 Depth=1
	s_waitcnt lgkmcnt(2)
	global_store_b16 v[0:1], v4, off offset:64
	s_or_b32 exec_lo, exec_lo, s16
	s_and_saveexec_b32 s16, s14
	s_cbranch_execz .LBB64_85
.LBB64_103:                             ;   in Loop: Header=BB64_12 Depth=1
	s_waitcnt lgkmcnt(1)
	global_store_b16 v[0:1], v3, off offset:128
	s_or_b32 exec_lo, exec_lo, s16
	s_and_saveexec_b32 s16, s15
	s_cbranch_execnz .LBB64_86
	s_branch .LBB64_87
.LBB64_104:                             ;   in Loop: Header=BB64_12 Depth=1
	ds_load_u16 v5, v14
	s_waitcnt lgkmcnt(0)
	global_store_b16 v[0:1], v5, off
	s_or_b32 exec_lo, exec_lo, s16
	s_and_saveexec_b32 s12, s13
	s_cbranch_execz .LBB64_97
.LBB64_105:                             ;   in Loop: Header=BB64_12 Depth=1
	s_waitcnt lgkmcnt(2)
	global_store_b16 v[0:1], v4, off offset:64
	s_or_b32 exec_lo, exec_lo, s12
	s_and_saveexec_b32 s12, s14
	s_cbranch_execz .LBB64_98
.LBB64_106:                             ;   in Loop: Header=BB64_12 Depth=1
	s_waitcnt lgkmcnt(1)
	global_store_b16 v[0:1], v3, off offset:128
	s_or_b32 exec_lo, exec_lo, s12
	s_and_saveexec_b32 s12, s15
	s_cbranch_execz .LBB64_11
.LBB64_107:                             ;   in Loop: Header=BB64_12 Depth=1
	s_waitcnt lgkmcnt(0)
	global_store_b16 v[0:1], v2, off offset:192
	s_branch .LBB64_11
.LBB64_108:
	s_nop 0
	s_sendmsg sendmsg(MSG_DEALLOC_VGPRS)
	s_endpgm
	.section	.rodata,"a",@progbits
	.p2align	6, 0x0
	.amdhsa_kernel _Z25selective_scan_fwd_kernelI32Selective_Scan_fwd_kernel_traitsILi64ELi4ELi1ELb1ELb1ELb1ELb1ELb1EN3c104HalfEfS2_EEv13SSMParamsBase
		.amdhsa_group_segment_fixed_size 0
		.amdhsa_private_segment_fixed_size 0
		.amdhsa_kernarg_size 248
		.amdhsa_user_sgpr_count 14
		.amdhsa_user_sgpr_dispatch_ptr 0
		.amdhsa_user_sgpr_queue_ptr 0
		.amdhsa_user_sgpr_kernarg_segment_ptr 1
		.amdhsa_user_sgpr_dispatch_id 0
		.amdhsa_user_sgpr_private_segment_size 0
		.amdhsa_wavefront_size32 1
		.amdhsa_uses_dynamic_stack 0
		.amdhsa_enable_private_segment 0
		.amdhsa_system_sgpr_workgroup_id_x 1
		.amdhsa_system_sgpr_workgroup_id_y 1
		.amdhsa_system_sgpr_workgroup_id_z 0
		.amdhsa_system_sgpr_workgroup_info 0
		.amdhsa_system_vgpr_workitem_id 0
		.amdhsa_next_free_vgpr 61
		.amdhsa_next_free_sgpr 70
		.amdhsa_reserve_vcc 1
		.amdhsa_float_round_mode_32 0
		.amdhsa_float_round_mode_16_64 0
		.amdhsa_float_denorm_mode_32 3
		.amdhsa_float_denorm_mode_16_64 3
		.amdhsa_dx10_clamp 1
		.amdhsa_ieee_mode 1
		.amdhsa_fp16_overflow 0
		.amdhsa_workgroup_processor_mode 1
		.amdhsa_memory_ordered 1
		.amdhsa_forward_progress 0
		.amdhsa_shared_vgpr_count 0
		.amdhsa_exception_fp_ieee_invalid_op 0
		.amdhsa_exception_fp_denorm_src 0
		.amdhsa_exception_fp_ieee_div_zero 0
		.amdhsa_exception_fp_ieee_overflow 0
		.amdhsa_exception_fp_ieee_underflow 0
		.amdhsa_exception_fp_ieee_inexact 0
		.amdhsa_exception_int_div_zero 0
	.end_amdhsa_kernel
	.section	.text._Z25selective_scan_fwd_kernelI32Selective_Scan_fwd_kernel_traitsILi64ELi4ELi1ELb1ELb1ELb1ELb1ELb1EN3c104HalfEfS2_EEv13SSMParamsBase,"axG",@progbits,_Z25selective_scan_fwd_kernelI32Selective_Scan_fwd_kernel_traitsILi64ELi4ELi1ELb1ELb1ELb1ELb1ELb1EN3c104HalfEfS2_EEv13SSMParamsBase,comdat
.Lfunc_end64:
	.size	_Z25selective_scan_fwd_kernelI32Selective_Scan_fwd_kernel_traitsILi64ELi4ELi1ELb1ELb1ELb1ELb1ELb1EN3c104HalfEfS2_EEv13SSMParamsBase, .Lfunc_end64-_Z25selective_scan_fwd_kernelI32Selective_Scan_fwd_kernel_traitsILi64ELi4ELi1ELb1ELb1ELb1ELb1ELb1EN3c104HalfEfS2_EEv13SSMParamsBase
                                        ; -- End function
	.section	.AMDGPU.csdata,"",@progbits
; Kernel info:
; codeLenInByte = 8300
; NumSgprs: 72
; NumVgprs: 61
; ScratchSize: 0
; MemoryBound: 0
; FloatMode: 240
; IeeeMode: 1
; LDSByteSize: 0 bytes/workgroup (compile time only)
; SGPRBlocks: 8
; VGPRBlocks: 7
; NumSGPRsForWavesPerEU: 72
; NumVGPRsForWavesPerEU: 61
; Occupancy: 16
; WaveLimiterHint : 1
; COMPUTE_PGM_RSRC2:SCRATCH_EN: 0
; COMPUTE_PGM_RSRC2:USER_SGPR: 14
; COMPUTE_PGM_RSRC2:TRAP_HANDLER: 0
; COMPUTE_PGM_RSRC2:TGID_X_EN: 1
; COMPUTE_PGM_RSRC2:TGID_Y_EN: 1
; COMPUTE_PGM_RSRC2:TGID_Z_EN: 0
; COMPUTE_PGM_RSRC2:TIDIG_COMP_CNT: 0
	.section	.text._Z25selective_scan_fwd_kernelI32Selective_Scan_fwd_kernel_traitsILi64ELi4ELi1ELb1ELb1ELb1ELb1ELb0EN3c104HalfEfS2_EEv13SSMParamsBase,"axG",@progbits,_Z25selective_scan_fwd_kernelI32Selective_Scan_fwd_kernel_traitsILi64ELi4ELi1ELb1ELb1ELb1ELb1ELb0EN3c104HalfEfS2_EEv13SSMParamsBase,comdat
	.protected	_Z25selective_scan_fwd_kernelI32Selective_Scan_fwd_kernel_traitsILi64ELi4ELi1ELb1ELb1ELb1ELb1ELb0EN3c104HalfEfS2_EEv13SSMParamsBase ; -- Begin function _Z25selective_scan_fwd_kernelI32Selective_Scan_fwd_kernel_traitsILi64ELi4ELi1ELb1ELb1ELb1ELb1ELb0EN3c104HalfEfS2_EEv13SSMParamsBase
	.globl	_Z25selective_scan_fwd_kernelI32Selective_Scan_fwd_kernel_traitsILi64ELi4ELi1ELb1ELb1ELb1ELb1ELb0EN3c104HalfEfS2_EEv13SSMParamsBase
	.p2align	8
	.type	_Z25selective_scan_fwd_kernelI32Selective_Scan_fwd_kernel_traitsILi64ELi4ELi1ELb1ELb1ELb1ELb1ELb0EN3c104HalfEfS2_EEv13SSMParamsBase,@function
_Z25selective_scan_fwd_kernelI32Selective_Scan_fwd_kernel_traitsILi64ELi4ELi1ELb1ELb1ELb1ELb1ELb0EN3c104HalfEfS2_EEv13SSMParamsBase: ; @_Z25selective_scan_fwd_kernelI32Selective_Scan_fwd_kernel_traitsILi64ELi4ELi1ELb1ELb1ELb1ELb1ELb0EN3c104HalfEfS2_EEv13SSMParamsBase
; %bb.0:
	s_clause 0x1
	s_load_b32 s9, s[0:1], 0x18
	s_load_b128 s[4:7], s[0:1], 0xe8
	s_mov_b32 s12, s15
	s_mov_b32 s33, 0
	s_waitcnt lgkmcnt(0)
	s_abs_i32 s8, s9
	s_cmp_eq_u64 s[6:7], 0
	v_cvt_f32_u32_e32 v1, s8
	s_delay_alu instid0(VALU_DEP_1) | instskip(SKIP_2) | instid1(VALU_DEP_1)
	v_rcp_iflag_f32_e32 v1, v1
	s_waitcnt_depctr 0xfff
	v_mul_f32_e32 v1, 0x4f7ffffe, v1
	v_cvt_u32_f32_e32 v1, v1
	s_delay_alu instid0(VALU_DEP_1)
	v_readfirstlane_b32 s10, v1
	s_cbranch_scc1 .LBB65_2
; %bb.1:
	v_mov_b32_e32 v1, 0
	s_ashr_i32 s3, s14, 31
	s_add_u32 s2, s6, s14
	s_addc_u32 s3, s7, s3
	global_load_u8 v1, v1, s[2:3]
	s_waitcnt vmcnt(0)
	v_and_b32_e32 v1, 1, v1
	s_delay_alu instid0(VALU_DEP_1)
	v_cmp_eq_u32_e64 s33, 1, v1
.LBB65_2:
	s_load_b64 s[6:7], s[0:1], 0x20
	s_cmp_eq_u64 s[4:5], 0
	s_cbranch_scc1 .LBB65_4
; %bb.3:
	s_ashr_i32 s15, s14, 31
	s_delay_alu instid0(SALU_CYCLE_1) | instskip(NEXT) | instid1(SALU_CYCLE_1)
	s_lshl_b64 s[2:3], s[14:15], 2
	s_add_u32 s2, s4, s2
	s_addc_u32 s3, s5, s3
	s_load_b32 s2, s[2:3], 0x0
	s_waitcnt lgkmcnt(0)
	s_ashr_i32 s3, s2, 31
	s_delay_alu instid0(SALU_CYCLE_1)
	s_cmp_eq_u64 s[6:7], s[2:3]
	s_cbranch_scc0 .LBB65_5
	s_branch .LBB65_56
.LBB65_4:
	s_mov_b32 s2, s14
	s_delay_alu instid0(SALU_CYCLE_1)
	s_ashr_i32 s3, s2, 31
	s_waitcnt lgkmcnt(0)
	s_cmp_eq_u64 s[6:7], s[2:3]
	s_cbranch_scc1 .LBB65_56
.LBB65_5:
	s_clause 0x1
	s_load_b512 s[16:31], s[0:1], 0x88
	s_load_b64 s[34:35], s[0:1], 0x8
	s_mov_b32 s52, 0
	s_mov_b32 s53, 0
	s_waitcnt lgkmcnt(0)
	s_cmp_eq_u64 s[22:23], 0
	s_cbranch_scc1 .LBB65_7
; %bb.6:
	s_ashr_i32 s13, s12, 31
	s_delay_alu instid0(SALU_CYCLE_1) | instskip(NEXT) | instid1(SALU_CYCLE_1)
	s_lshl_b64 s[4:5], s[12:13], 2
	s_add_u32 s4, s22, s4
	s_addc_u32 s5, s23, s5
	s_load_b32 s53, s[4:5], 0x0
.LBB65_7:
	s_cmp_eq_u64 s[28:29], 0
	s_cbranch_scc1 .LBB65_9
; %bb.8:
	s_ashr_i32 s13, s12, 31
	s_delay_alu instid0(SALU_CYCLE_1) | instskip(NEXT) | instid1(SALU_CYCLE_1)
	s_lshl_b64 s[4:5], s[12:13], 2
	s_add_u32 s4, s28, s4
	s_addc_u32 s5, s29, s5
	s_load_b32 s52, s[4:5], 0x0
.LBB65_9:
	s_cmp_lt_i32 s34, 1
	s_cbranch_scc1 .LBB65_56
; %bb.10:
	s_sub_i32 s3, 0, s8
	s_load_b256 s[36:43], s[0:1], 0x4c
	s_mul_i32 s3, s3, s10
	s_abs_i32 s4, s12
	s_mul_hi_u32 s3, s10, s3
	s_ashr_i32 s6, s9, 31
	s_add_i32 s10, s10, s3
	s_ashr_i32 s3, s12, 31
	s_mul_hi_u32 s5, s4, s10
	s_xor_b32 s3, s3, s6
	s_mul_i32 s7, s5, s8
	s_add_i32 s6, s5, 1
	s_sub_i32 s4, s4, s7
	s_load_b256 s[44:51], s[0:1], 0x2c
	s_sub_i32 s7, s4, s8
	s_cmp_ge_u32 s4, s8
	s_mov_b32 s23, 0
	s_cselect_b32 s5, s6, s5
	s_cselect_b32 s4, s7, s4
	s_add_i32 s6, s5, 1
	s_cmp_ge_u32 s4, s8
	s_waitcnt lgkmcnt(0)
	s_mul_i32 s22, s38, s14
	s_cselect_b32 s6, s6, s5
	s_lshl_b64 s[4:5], s[22:23], 1
	s_xor_b32 s6, s6, s3
	s_mul_i32 s22, s39, s12
	s_sub_i32 s3, s6, s3
	s_add_u32 s6, s24, s4
	s_addc_u32 s7, s25, s5
	s_lshl_b64 s[4:5], s[22:23], 1
	s_mul_i32 s22, s40, s14
	s_add_u32 s24, s6, s4
	s_addc_u32 s25, s7, s5
	s_lshl_b64 s[4:5], s[22:23], 1
	s_mul_i32 s22, s41, s12
	;; [unrolled: 4-line block ×3, first 2 shown]
	s_add_u32 s26, s6, s4
	s_load_b64 s[28:29], s[0:1], 0x7c
	s_addc_u32 s27, s7, s5
	s_lshl_b64 s[4:5], s[22:23], 2
	s_mul_i32 s22, s46, s14
	s_add_u32 s40, s16, s4
	s_addc_u32 s41, s17, s5
	s_load_b128 s[4:7], s[0:1], 0xc8
	s_lshl_b64 s[8:9], s[22:23], 1
	s_mul_i32 s22, s3, s49
	s_load_b32 s49, s[0:1], 0x84
	s_add_u32 s10, s18, s8
	s_addc_u32 s11, s19, s9
	s_lshl_b64 s[8:9], s[22:23], 1
	s_load_b32 s13, s[0:1], 0x28
	s_mul_i32 s22, s50, s14
	s_add_u32 s44, s10, s8
	s_addc_u32 s46, s11, s9
	s_lshl_b64 s[8:9], s[22:23], 1
	s_mul_i32 s22, s3, s37
	s_add_u32 s15, s20, s8
	s_addc_u32 s3, s21, s9
	s_load_b128 s[8:11], s[0:1], 0x6c
	s_lshl_b64 s[16:17], s[22:23], 1
	s_waitcnt lgkmcnt(0)
	s_mul_i32 s22, s2, s28
	s_add_u32 s37, s15, s16
	s_addc_u32 s47, s3, s17
	s_lshl_b64 s[2:3], s[22:23], 1
	s_mul_i32 s22, s29, s12
	s_add_u32 s4, s4, s2
	s_addc_u32 s5, s5, s3
	s_lshl_b64 s[2:3], s[22:23], 1
	v_lshrrev_b32_e32 v1, 2, v0
	s_add_u32 s50, s4, s2
	s_addc_u32 s51, s5, s3
	s_load_b64 s[4:5], s[0:1], 0xd8
	s_add_i32 s2, s34, 0x7ff
	v_dual_mov_b32 v14, 0 :: v_dual_and_b32 v1, 8, v1
	s_lshr_b32 s54, s2, 11
	s_bitcmp1_b32 s13, 0
	v_or_b32_e32 v2, 31, v0
	s_cselect_b32 s55, -1, 0
	s_cmp_gt_i32 s35, 0
	s_mul_i32 s22, s8, s14
	s_cselect_b32 s56, -1, 0
	s_and_b32 s1, s34, 0xff
	v_add_nc_u32_e32 v16, 0, v1
	s_cmp_eq_u32 s1, 0
	v_lshlrev_b32_e32 v1, 3, v0
	s_cselect_b32 s57, -1, 0
	s_lshl_b64 s[16:17], s[22:23], 1
	s_add_i32 s58, s54, -1
	s_mul_i32 s22, s9, s12
	s_add_u32 s3, s30, s16
	s_addc_u32 s13, s31, s17
	s_lshl_b64 s[8:9], s[22:23], 1
	s_mul_i32 s22, s10, s14
	s_add_u32 s15, s3, s8
	s_addc_u32 s10, s13, s9
	s_lshl_b64 s[8:9], s[22:23], 1
	s_mul_i32 s22, s11, s12
	s_waitcnt lgkmcnt(0)
	s_add_u32 s13, s4, s8
	s_addc_u32 s5, s5, s9
	s_lshl_b64 s[8:9], s[22:23], 1
	s_mul_i32 s22, s42, s14
	s_add_u32 s11, s13, s8
	s_addc_u32 s13, s5, s9
	s_lshl_b64 s[8:9], s[22:23], 1
	s_mul_i32 s22, s43, s12
	s_add_u32 s8, s6, s8
	s_addc_u32 s9, s7, s9
	s_lshl_b64 s[6:7], s[22:23], 1
	v_lshlrev_b32_e32 v15, 2, v0
	s_add_u32 s6, s8, s6
	s_addc_u32 s7, s9, s7
	v_add_co_u32 v20, s6, s6, v1
	v_add_co_u32 v18, s12, s15, v1
	v_add_co_ci_u32_e64 v21, null, s7, 0, s6
	v_add_co_u32 v22, s6, s11, v1
	v_cmp_gt_u32_e64 s0, 64, v0
	v_cmp_eq_u32_e64 s1, v2, v0
	v_cmp_gt_u32_e64 s2, 2, v0
	v_add_nc_u32_e32 v17, 0, v1
	v_cmp_gt_u32_e64 s3, 32, v0
	v_cmp_lt_u32_e64 s4, 31, v0
	v_cmp_eq_u32_e64 s5, 0, v0
	v_add_co_ci_u32_e64 v19, null, s10, 0, s12
	v_add_co_ci_u32_e64 v23, null, s13, 0, s6
	v_or_b32_e32 v24, 1, v15
	v_or_b32_e32 v25, 2, v15
	;; [unrolled: 1-line block ×3, first 2 shown]
	v_lshlrev_b32_e32 v27, 3, v0
	v_mbcnt_lo_u32_b32 v28, -1, 0
	s_mov_b32 s42, 0x3e9b6dac
	s_add_i32 s43, 0, 0x430
	s_mov_b32 s59, 0xbfb8aa3b
	s_mov_b32 s60, 0xb2a5705f
	s_mov_b32 s61, 0
                                        ; implicit-def: $vgpr31
                                        ; implicit-def: $vgpr3
                                        ; implicit-def: $vgpr30
                                        ; implicit-def: $vgpr0
                                        ; implicit-def: $vgpr29
                                        ; implicit-def: $vgpr32
                                        ; implicit-def: $vgpr4
	s_branch .LBB65_12
.LBB65_11:                              ;   in Loop: Header=BB65_12 Depth=1
	s_or_b32 exec_lo, exec_lo, s6
	s_waitcnt vmcnt(0)
	v_lshrrev_b32_e32 v6, 16, v4
	v_cvt_f32_f16_e32 v7, v4
	v_lshrrev_b32_e32 v8, 16, v5
	v_cvt_f32_f16_e32 v9, v5
	s_add_u32 s26, s26, 0x200
	v_cvt_f32_f16_e32 v6, v6
	v_mul_f32_e32 v10, 0xbfb8aa3b, v7
	v_cvt_f32_f16_e32 v8, v8
	v_mul_f32_e32 v11, 0xbfb8aa3b, v9
	v_cmp_nlt_f32_e32 vcc_lo, 0x42ce8ed0, v7
	s_addc_u32 s27, s27, 0
	v_rndne_f32_e32 v13, v10
	v_fma_mix_f32 v33, v4, s59, -v10 op_sel_hi:[1,0,0]
	v_mul_f32_e32 v34, 0xbfb8aa3b, v8
	v_rndne_f32_e32 v39, v11
	v_mul_f32_e32 v12, 0xbfb8aa3b, v6
	v_fma_mix_f32 v40, v5, s59, -v11 op_sel_hi:[1,0,0]
	v_fma_mix_f32 v33, v4, s60, v33 op_sel_hi:[1,0,0]
	v_rndne_f32_e32 v43, v34
	v_sub_f32_e32 v11, v11, v39
	v_rndne_f32_e32 v41, v12
	v_fma_mix_f32 v44, v5, s59, -v34 op_sel:[1,0,0] op_sel_hi:[1,0,0]
	v_fma_mix_f32 v40, v5, s60, v40 op_sel_hi:[1,0,0]
	v_sub_f32_e32 v10, v10, v13
	v_fma_mix_f32 v42, v4, s59, -v12 op_sel:[1,0,0] op_sel_hi:[1,0,0]
	v_sub_f32_e32 v12, v12, v41
	v_cvt_i32_f32_e32 v13, v13
	s_delay_alu instid0(VALU_DEP_4) | instskip(SKIP_3) | instid1(VALU_DEP_4)
	v_dual_add_f32 v11, v11, v40 :: v_dual_add_f32 v10, v10, v33
	v_sub_f32_e32 v33, v34, v43
	v_fma_mix_f32 v34, v5, s60, v44 op_sel:[1,0,0] op_sel_hi:[1,0,0]
	v_fma_mix_f32 v42, v4, s60, v42 op_sel:[1,0,0] op_sel_hi:[1,0,0]
	v_exp_f32_e32 v11, v11
	s_add_u32 s24, s24, 0x200
	s_addc_u32 s25, s25, 0
	v_add_f32_e32 v33, v33, v34
	v_exp_f32_e32 v10, v10
	v_cvt_i32_f32_e32 v34, v39
	v_cvt_i32_f32_e32 v39, v41
	s_add_u32 s44, s44, 0x200
	v_exp_f32_e32 v33, v33
	s_addc_u32 s46, s46, 0
	v_ldexp_f32 v11, v11, v34
	s_add_u32 s37, s37, 0x200
	s_addc_u32 s47, s47, 0
	s_add_i32 s61, s61, 1
	s_waitcnt_depctr 0xfff
	v_ldexp_f32 v10, v10, v13
	v_cvt_i32_f32_e32 v13, v43
	s_cmp_eq_u32 s61, s54
	s_barrier
	s_delay_alu instid0(VALU_DEP_2) | instskip(NEXT) | instid1(VALU_DEP_2)
	v_cndmask_b32_e32 v10, 0, v10, vcc_lo
	v_ldexp_f32 v13, v33, v13
	v_add_f32_e32 v12, v12, v42
	v_cmp_nlt_f32_e32 vcc_lo, 0x42ce8ed0, v6
	buffer_gl0_inv
	v_exp_f32_e32 v12, v12
	s_waitcnt_depctr 0xfff
	v_ldexp_f32 v12, v12, v39
	s_delay_alu instid0(VALU_DEP_1) | instskip(SKIP_3) | instid1(VALU_DEP_2)
	v_cndmask_b32_e32 v12, 0, v12, vcc_lo
	v_cmp_ngt_f32_e32 vcc_lo, 0xc2b17218, v7
	v_cndmask_b32_e32 v10, 0x7f800000, v10, vcc_lo
	v_cmp_ngt_f32_e32 vcc_lo, 0xc2b17218, v6
	v_add_f32_e32 v10, 1.0, v10
	s_delay_alu instid0(VALU_DEP_1) | instskip(NEXT) | instid1(VALU_DEP_1)
	v_div_scale_f32 v33, null, v10, v10, v7
	v_rcp_f32_e32 v39, v33
	s_waitcnt_depctr 0xfff
	v_fma_f32 v44, -v33, v39, 1.0
	s_delay_alu instid0(VALU_DEP_1) | instskip(SKIP_3) | instid1(VALU_DEP_3)
	v_fmac_f32_e32 v39, v44, v39
	v_div_scale_f32 v44, s6, v7, v10, v7
	v_cndmask_b32_e32 v12, 0x7f800000, v12, vcc_lo
	v_cmp_nlt_f32_e32 vcc_lo, 0x42ce8ed0, v9
	v_mul_f32_e32 v49, v44, v39
	v_cndmask_b32_e32 v11, 0, v11, vcc_lo
	v_cmp_nlt_f32_e32 vcc_lo, 0x42ce8ed0, v8
	v_cndmask_b32_e32 v13, 0, v13, vcc_lo
	v_cmp_ngt_f32_e32 vcc_lo, 0xc2b17218, v9
	s_delay_alu instid0(VALU_DEP_4) | instskip(SKIP_1) | instid1(VALU_DEP_2)
	v_cndmask_b32_e32 v11, 0x7f800000, v11, vcc_lo
	v_cmp_ngt_f32_e32 vcc_lo, 0xc2b17218, v8
	v_dual_add_f32 v12, 1.0, v12 :: v_dual_add_f32 v11, 1.0, v11
	v_cndmask_b32_e32 v13, 0x7f800000, v13, vcc_lo
	s_delay_alu instid0(VALU_DEP_2) | instskip(SKIP_1) | instid1(VALU_DEP_3)
	v_div_scale_f32 v34, null, v12, v12, v6
	v_div_scale_f32 v47, vcc_lo, v6, v12, v6
	v_add_f32_e32 v13, 1.0, v13
	s_delay_alu instid0(VALU_DEP_3) | instskip(SKIP_1) | instid1(VALU_DEP_2)
	v_rcp_f32_e32 v40, v34
	v_div_scale_f32 v41, null, v11, v11, v9
	v_div_scale_f32 v42, null, v13, v13, v8
	s_delay_alu instid0(VALU_DEP_2) | instskip(SKIP_1) | instid1(VALU_DEP_2)
	v_rcp_f32_e32 v43, v41
	v_div_scale_f32 v51, s7, v8, v13, v8
	v_rcp_f32_e32 v45, v42
	s_delay_alu instid0(TRANS32_DEP_3) | instskip(SKIP_4) | instid1(VALU_DEP_2)
	v_fma_f32 v46, -v34, v40, 1.0
	s_waitcnt_depctr 0xfff
	v_fma_f32 v48, -v42, v45, 1.0
	v_fmac_f32_e32 v40, v46, v40
	v_fma_f32 v46, -v41, v43, 1.0
	v_dual_fmac_f32 v45, v48, v45 :: v_dual_mul_f32 v50, v47, v40
	s_delay_alu instid0(VALU_DEP_2) | instskip(SKIP_2) | instid1(VALU_DEP_4)
	v_fmac_f32_e32 v43, v46, v43
	v_fma_f32 v48, -v33, v49, v44
	v_div_scale_f32 v46, s8, v9, v11, v9
	v_fma_f32 v52, -v34, v50, v47
	v_mul_f32_e32 v53, v51, v45
	s_delay_alu instid0(VALU_DEP_4) | instskip(NEXT) | instid1(VALU_DEP_3)
	v_fmac_f32_e32 v49, v48, v39
	v_fmac_f32_e32 v50, v52, v40
	s_delay_alu instid0(VALU_DEP_3) | instskip(SKIP_1) | instid1(VALU_DEP_4)
	v_fma_f32 v52, -v42, v53, v51
	v_mul_f32_e32 v48, v46, v43
	v_fma_f32 v33, -v33, v49, v44
	s_delay_alu instid0(VALU_DEP_4) | instskip(NEXT) | instid1(VALU_DEP_4)
	v_fma_f32 v34, -v34, v50, v47
	v_fmac_f32_e32 v53, v52, v45
	s_delay_alu instid0(VALU_DEP_4) | instskip(NEXT) | instid1(VALU_DEP_3)
	v_fma_f32 v44, -v41, v48, v46
	v_div_fmas_f32 v34, v34, v40, v50
	s_delay_alu instid0(VALU_DEP_3) | instskip(NEXT) | instid1(VALU_DEP_3)
	v_fma_f32 v40, -v42, v53, v51
	v_fmac_f32_e32 v48, v44, v43
	s_mov_b32 vcc_lo, s6
	v_div_fmas_f32 v33, v33, v39, v49
	s_mov_b32 vcc_lo, s7
	s_delay_alu instid0(VALU_DEP_2)
	v_fma_f32 v39, -v41, v48, v46
	v_div_fmas_f32 v40, v40, v45, v53
	s_mov_b32 vcc_lo, s8
	v_div_fixup_f32 v7, v33, v10, v7
	v_div_fixup_f32 v10, v34, v12, v6
	v_div_fmas_f32 v39, v39, v43, v48
	s_delay_alu instid0(VALU_DEP_3) | instskip(NEXT) | instid1(VALU_DEP_2)
	v_fma_mixlo_f16 v6, v38, v7, 0
	v_div_fixup_f32 v9, v39, v11, v9
	v_div_fixup_f32 v11, v40, v13, v8
	v_add_co_u32 v8, vcc_lo, v22, s10
	s_delay_alu instid0(VALU_DEP_4) | instskip(NEXT) | instid1(VALU_DEP_4)
	v_fma_mixhi_f16 v6, v35, v10, 0
	v_fma_mixlo_f16 v7, v36, v9, 0
	v_add_co_ci_u32_e32 v9, vcc_lo, s11, v23, vcc_lo
	s_delay_alu instid0(VALU_DEP_2)
	v_fma_mixhi_f16 v7, v37, v11, 0
	global_store_b64 v[8:9], v[6:7], off
	s_cbranch_scc1 .LBB65_56
.LBB65_12:                              ; =>This Loop Header: Depth=1
                                        ;     Child Loop BB65_25 Depth 2
	s_waitcnt_vscnt null, 0x0
	s_barrier
	buffer_gl0_inv
	s_and_saveexec_b32 s6, s0
	s_cbranch_execz .LBB65_14
; %bb.13:                               ;   in Loop: Header=BB65_12 Depth=1
	s_clause 0x1
	global_load_b64 v[0:1], v27, s[24:25]
	global_load_b64 v[2:3], v27, s[26:27]
	s_waitcnt vmcnt(1)
	v_lshrrev_b32_e32 v29, 16, v0
	v_lshrrev_b32_e32 v32, 16, v1
	s_waitcnt vmcnt(0)
	v_lshrrev_b32_e32 v30, 16, v2
	v_lshrrev_b32_e32 v31, 16, v3
.LBB65_14:                              ;   in Loop: Header=BB65_12 Depth=1
	s_or_b32 exec_lo, exec_lo, s6
	v_cvt_f32_f16_e32 v6, v2
	s_delay_alu instid0(VALU_DEP_1) | instskip(NEXT) | instid1(VALU_DEP_1)
	v_add_f32_e32 v33, s52, v6
	v_cmp_ge_f32_e32 vcc_lo, 0x41a00000, v33
	s_and_b32 s6, s55, vcc_lo
	s_delay_alu instid0(SALU_CYCLE_1)
	s_and_saveexec_b32 s7, s6
	s_cbranch_execz .LBB65_16
; %bb.15:                               ;   in Loop: Header=BB65_12 Depth=1
	v_mul_f32_e32 v6, 0x3fb8aa3b, v33
	v_cmp_ngt_f32_e32 vcc_lo, 0xc2ce8ed0, v33
	s_delay_alu instid0(VALU_DEP_2) | instskip(SKIP_1) | instid1(VALU_DEP_2)
	v_rndne_f32_e32 v7, v6
	v_fma_f32 v8, 0x3fb8aa3b, v33, -v6
	v_sub_f32_e32 v6, v6, v7
	s_delay_alu instid0(VALU_DEP_2) | instskip(SKIP_1) | instid1(VALU_DEP_2)
	v_fmac_f32_e32 v8, 0x32a5705f, v33
	v_cvt_i32_f32_e32 v7, v7
	v_add_f32_e32 v6, v6, v8
	s_delay_alu instid0(VALU_DEP_1) | instskip(SKIP_2) | instid1(VALU_DEP_1)
	v_exp_f32_e32 v6, v6
	s_waitcnt_depctr 0xfff
	v_ldexp_f32 v6, v6, v7
	v_cndmask_b32_e32 v6, 0, v6, vcc_lo
	v_cmp_nlt_f32_e32 vcc_lo, 0x42b17218, v33
	s_delay_alu instid0(VALU_DEP_2) | instskip(NEXT) | instid1(VALU_DEP_1)
	v_cndmask_b32_e32 v8, 0x7f800000, v6, vcc_lo
	v_add_f32_e32 v9, 1.0, v8
	s_delay_alu instid0(VALU_DEP_1) | instskip(NEXT) | instid1(VALU_DEP_1)
	v_cvt_f64_f32_e32 v[6:7], v9
	v_frexp_exp_i32_f64_e32 v6, v[6:7]
	v_frexp_mant_f32_e32 v7, v9
	s_delay_alu instid0(VALU_DEP_1) | instskip(SKIP_1) | instid1(VALU_DEP_1)
	v_cmp_gt_f32_e32 vcc_lo, 0x3f2aaaab, v7
	v_add_f32_e32 v7, -1.0, v9
	v_sub_f32_e32 v11, v7, v9
	v_sub_f32_e32 v7, v8, v7
	s_delay_alu instid0(VALU_DEP_2) | instskip(NEXT) | instid1(VALU_DEP_1)
	v_add_f32_e32 v11, 1.0, v11
	v_add_f32_e32 v7, v7, v11
	v_cmp_gt_f32_e64 s6, 0x33800000, v8
	v_subrev_co_ci_u32_e32 v6, vcc_lo, 0, v6, vcc_lo
	v_cmp_eq_f32_e32 vcc_lo, 0x7f800000, v8
	s_delay_alu instid0(VALU_DEP_2) | instskip(SKIP_2) | instid1(VALU_DEP_2)
	v_sub_nc_u32_e32 v10, 0, v6
	v_cvt_f32_i32_e32 v6, v6
	s_or_b32 vcc_lo, s6, vcc_lo
	v_ldexp_f32 v9, v9, v10
	v_ldexp_f32 v7, v7, v10
	s_delay_alu instid0(VALU_DEP_2) | instskip(NEXT) | instid1(VALU_DEP_1)
	v_add_f32_e32 v12, 1.0, v9
	v_dual_add_f32 v10, -1.0, v9 :: v_dual_add_f32 v11, -1.0, v12
	s_delay_alu instid0(VALU_DEP_1) | instskip(NEXT) | instid1(VALU_DEP_2)
	v_add_f32_e32 v13, 1.0, v10
	v_sub_f32_e32 v11, v9, v11
	s_delay_alu instid0(VALU_DEP_2) | instskip(NEXT) | instid1(VALU_DEP_2)
	v_sub_f32_e32 v9, v9, v13
	v_add_f32_e32 v11, v7, v11
	s_delay_alu instid0(VALU_DEP_2) | instskip(NEXT) | instid1(VALU_DEP_2)
	v_add_f32_e32 v7, v7, v9
	v_add_f32_e32 v13, v12, v11
	s_delay_alu instid0(VALU_DEP_1) | instskip(NEXT) | instid1(VALU_DEP_2)
	v_rcp_f32_e32 v9, v13
	v_dual_add_f32 v33, v10, v7 :: v_dual_sub_f32 v12, v12, v13
	s_delay_alu instid0(VALU_DEP_1) | instskip(SKIP_2) | instid1(VALU_DEP_1)
	v_dual_sub_f32 v10, v10, v33 :: v_dual_add_f32 v11, v11, v12
	s_waitcnt_depctr 0xfff
	v_dual_mul_f32 v34, v33, v9 :: v_dual_add_f32 v7, v7, v10
	v_mul_f32_e32 v35, v13, v34
	s_delay_alu instid0(VALU_DEP_1) | instskip(NEXT) | instid1(VALU_DEP_1)
	v_fma_f32 v12, v34, v13, -v35
	v_fmac_f32_e32 v12, v34, v11
	s_delay_alu instid0(VALU_DEP_1) | instskip(NEXT) | instid1(VALU_DEP_1)
	v_add_f32_e32 v36, v35, v12
	v_dual_sub_f32 v37, v33, v36 :: v_dual_sub_f32 v10, v36, v35
	s_delay_alu instid0(VALU_DEP_1) | instskip(NEXT) | instid1(VALU_DEP_1)
	v_dual_sub_f32 v33, v33, v37 :: v_dual_sub_f32 v10, v10, v12
	v_sub_f32_e32 v33, v33, v36
	s_delay_alu instid0(VALU_DEP_1) | instskip(NEXT) | instid1(VALU_DEP_1)
	v_add_f32_e32 v7, v7, v33
	v_add_f32_e32 v7, v10, v7
	s_delay_alu instid0(VALU_DEP_1) | instskip(NEXT) | instid1(VALU_DEP_1)
	v_add_f32_e32 v10, v37, v7
	v_mul_f32_e32 v12, v9, v10
	v_sub_f32_e32 v36, v37, v10
	s_delay_alu instid0(VALU_DEP_2) | instskip(NEXT) | instid1(VALU_DEP_2)
	v_mul_f32_e32 v33, v13, v12
	v_add_f32_e32 v7, v7, v36
	s_delay_alu instid0(VALU_DEP_2) | instskip(NEXT) | instid1(VALU_DEP_1)
	v_fma_f32 v13, v12, v13, -v33
	v_fmac_f32_e32 v13, v12, v11
	s_delay_alu instid0(VALU_DEP_1) | instskip(NEXT) | instid1(VALU_DEP_1)
	v_add_f32_e32 v11, v33, v13
	v_sub_f32_e32 v35, v10, v11
	s_delay_alu instid0(VALU_DEP_1) | instskip(NEXT) | instid1(VALU_DEP_1)
	v_dual_sub_f32 v33, v11, v33 :: v_dual_sub_f32 v10, v10, v35
	v_sub_f32_e32 v10, v10, v11
	s_delay_alu instid0(VALU_DEP_1) | instskip(NEXT) | instid1(VALU_DEP_3)
	v_dual_add_f32 v7, v7, v10 :: v_dual_add_f32 v10, v34, v12
	v_sub_f32_e32 v11, v33, v13
	s_delay_alu instid0(VALU_DEP_1) | instskip(NEXT) | instid1(VALU_DEP_3)
	v_add_f32_e32 v7, v11, v7
	v_sub_f32_e32 v11, v10, v34
	s_delay_alu instid0(VALU_DEP_2) | instskip(NEXT) | instid1(VALU_DEP_2)
	v_add_f32_e32 v7, v35, v7
	v_sub_f32_e32 v11, v12, v11
	s_delay_alu instid0(VALU_DEP_2) | instskip(NEXT) | instid1(VALU_DEP_1)
	v_mul_f32_e32 v7, v9, v7
	v_add_f32_e32 v7, v11, v7
	s_delay_alu instid0(VALU_DEP_1) | instskip(NEXT) | instid1(VALU_DEP_1)
	v_add_f32_e32 v9, v10, v7
	v_mul_f32_e32 v11, v9, v9
	s_delay_alu instid0(VALU_DEP_1) | instskip(SKIP_1) | instid1(VALU_DEP_2)
	v_fmaak_f32 v12, s42, v11, 0x3ecc95a3
	v_mul_f32_e32 v13, v9, v11
	v_fmaak_f32 v11, v11, v12, 0x3f2aaada
	v_ldexp_f32 v12, v9, 1
	v_sub_f32_e32 v9, v9, v10
	s_delay_alu instid0(VALU_DEP_3) | instskip(SKIP_1) | instid1(VALU_DEP_2)
	v_mul_f32_e32 v11, v13, v11
	v_mul_f32_e32 v13, 0x3f317218, v6
	v_dual_sub_f32 v7, v7, v9 :: v_dual_add_f32 v10, v12, v11
	s_delay_alu instid0(VALU_DEP_1) | instskip(NEXT) | instid1(VALU_DEP_2)
	v_ldexp_f32 v7, v7, 1
	v_sub_f32_e32 v9, v10, v12
	s_delay_alu instid0(VALU_DEP_4) | instskip(NEXT) | instid1(VALU_DEP_1)
	v_fma_f32 v12, 0x3f317218, v6, -v13
	v_dual_sub_f32 v9, v11, v9 :: v_dual_fmac_f32 v12, 0xb102e308, v6
	s_delay_alu instid0(VALU_DEP_1) | instskip(NEXT) | instid1(VALU_DEP_1)
	v_dual_add_f32 v6, v7, v9 :: v_dual_add_f32 v7, v13, v12
	v_add_f32_e32 v9, v10, v6
	s_delay_alu instid0(VALU_DEP_2) | instskip(NEXT) | instid1(VALU_DEP_2)
	v_sub_f32_e32 v13, v7, v13
	v_dual_add_f32 v11, v7, v9 :: v_dual_sub_f32 v10, v9, v10
	s_delay_alu instid0(VALU_DEP_1) | instskip(NEXT) | instid1(VALU_DEP_2)
	v_dual_sub_f32 v12, v12, v13 :: v_dual_sub_f32 v33, v11, v7
	v_sub_f32_e32 v6, v6, v10
	s_delay_alu instid0(VALU_DEP_2) | instskip(NEXT) | instid1(VALU_DEP_2)
	v_sub_f32_e32 v34, v11, v33
	v_dual_sub_f32 v9, v9, v33 :: v_dual_add_f32 v10, v12, v6
	s_delay_alu instid0(VALU_DEP_2) | instskip(NEXT) | instid1(VALU_DEP_1)
	v_sub_f32_e32 v7, v7, v34
	v_add_f32_e32 v7, v9, v7
	s_delay_alu instid0(VALU_DEP_3) | instskip(NEXT) | instid1(VALU_DEP_2)
	v_sub_f32_e32 v9, v10, v12
	v_add_f32_e32 v7, v10, v7
	s_delay_alu instid0(VALU_DEP_2) | instskip(NEXT) | instid1(VALU_DEP_2)
	v_sub_f32_e32 v10, v10, v9
	v_dual_sub_f32 v6, v6, v9 :: v_dual_add_f32 v13, v11, v7
	s_delay_alu instid0(VALU_DEP_1) | instskip(NEXT) | instid1(VALU_DEP_1)
	v_dual_sub_f32 v10, v12, v10 :: v_dual_sub_f32 v9, v13, v11
	v_dual_add_f32 v6, v6, v10 :: v_dual_sub_f32 v7, v7, v9
	s_delay_alu instid0(VALU_DEP_1) | instskip(NEXT) | instid1(VALU_DEP_1)
	v_add_f32_e32 v6, v6, v7
	v_add_f32_e32 v6, v13, v6
	s_delay_alu instid0(VALU_DEP_1)
	v_cndmask_b32_e32 v33, v6, v8, vcc_lo
.LBB65_16:                              ;   in Loop: Header=BB65_12 Depth=1
	s_or_b32 exec_lo, exec_lo, s7
	v_cvt_f32_f16_e32 v6, v30
	s_delay_alu instid0(VALU_DEP_1) | instskip(NEXT) | instid1(VALU_DEP_1)
	v_add_f32_e32 v34, s52, v6
	v_cmp_ge_f32_e32 vcc_lo, 0x41a00000, v34
	s_and_b32 s6, s55, vcc_lo
	s_delay_alu instid0(SALU_CYCLE_1)
	s_and_saveexec_b32 s7, s6
	s_cbranch_execz .LBB65_18
; %bb.17:                               ;   in Loop: Header=BB65_12 Depth=1
	v_mul_f32_e32 v6, 0x3fb8aa3b, v34
	v_cmp_ngt_f32_e32 vcc_lo, 0xc2ce8ed0, v34
	s_delay_alu instid0(VALU_DEP_2) | instskip(SKIP_1) | instid1(VALU_DEP_2)
	v_rndne_f32_e32 v7, v6
	v_fma_f32 v8, 0x3fb8aa3b, v34, -v6
	v_sub_f32_e32 v6, v6, v7
	s_delay_alu instid0(VALU_DEP_2) | instskip(SKIP_1) | instid1(VALU_DEP_2)
	v_fmac_f32_e32 v8, 0x32a5705f, v34
	v_cvt_i32_f32_e32 v7, v7
	v_add_f32_e32 v6, v6, v8
	s_delay_alu instid0(VALU_DEP_1) | instskip(SKIP_2) | instid1(VALU_DEP_1)
	v_exp_f32_e32 v6, v6
	s_waitcnt_depctr 0xfff
	v_ldexp_f32 v6, v6, v7
	v_cndmask_b32_e32 v6, 0, v6, vcc_lo
	v_cmp_nlt_f32_e32 vcc_lo, 0x42b17218, v34
	s_delay_alu instid0(VALU_DEP_2) | instskip(NEXT) | instid1(VALU_DEP_1)
	v_cndmask_b32_e32 v8, 0x7f800000, v6, vcc_lo
	v_add_f32_e32 v9, 1.0, v8
	s_delay_alu instid0(VALU_DEP_1) | instskip(NEXT) | instid1(VALU_DEP_1)
	v_cvt_f64_f32_e32 v[6:7], v9
	v_frexp_exp_i32_f64_e32 v6, v[6:7]
	v_frexp_mant_f32_e32 v7, v9
	s_delay_alu instid0(VALU_DEP_1) | instskip(SKIP_1) | instid1(VALU_DEP_1)
	v_cmp_gt_f32_e32 vcc_lo, 0x3f2aaaab, v7
	v_add_f32_e32 v7, -1.0, v9
	v_sub_f32_e32 v11, v7, v9
	v_sub_f32_e32 v7, v8, v7
	s_delay_alu instid0(VALU_DEP_2) | instskip(NEXT) | instid1(VALU_DEP_1)
	v_add_f32_e32 v11, 1.0, v11
	v_add_f32_e32 v7, v7, v11
	v_cmp_gt_f32_e64 s6, 0x33800000, v8
	v_subrev_co_ci_u32_e32 v6, vcc_lo, 0, v6, vcc_lo
	v_cmp_eq_f32_e32 vcc_lo, 0x7f800000, v8
	s_delay_alu instid0(VALU_DEP_2) | instskip(SKIP_2) | instid1(VALU_DEP_2)
	v_sub_nc_u32_e32 v10, 0, v6
	v_cvt_f32_i32_e32 v6, v6
	s_or_b32 vcc_lo, s6, vcc_lo
	v_ldexp_f32 v9, v9, v10
	v_ldexp_f32 v7, v7, v10
	s_delay_alu instid0(VALU_DEP_2) | instskip(NEXT) | instid1(VALU_DEP_1)
	v_add_f32_e32 v12, 1.0, v9
	v_dual_add_f32 v10, -1.0, v9 :: v_dual_add_f32 v11, -1.0, v12
	s_delay_alu instid0(VALU_DEP_1) | instskip(NEXT) | instid1(VALU_DEP_2)
	v_add_f32_e32 v13, 1.0, v10
	v_sub_f32_e32 v11, v9, v11
	s_delay_alu instid0(VALU_DEP_2) | instskip(NEXT) | instid1(VALU_DEP_2)
	v_sub_f32_e32 v9, v9, v13
	v_add_f32_e32 v11, v7, v11
	s_delay_alu instid0(VALU_DEP_2) | instskip(NEXT) | instid1(VALU_DEP_1)
	v_add_f32_e32 v7, v7, v9
	v_add_f32_e32 v34, v10, v7
	s_delay_alu instid0(VALU_DEP_1) | instskip(NEXT) | instid1(VALU_DEP_1)
	v_dual_add_f32 v13, v12, v11 :: v_dual_sub_f32 v10, v10, v34
	v_rcp_f32_e32 v9, v13
	v_sub_f32_e32 v12, v12, v13
	s_delay_alu instid0(VALU_DEP_1) | instskip(SKIP_2) | instid1(VALU_DEP_1)
	v_add_f32_e32 v11, v11, v12
	s_waitcnt_depctr 0xfff
	v_mul_f32_e32 v35, v34, v9
	v_mul_f32_e32 v36, v13, v35
	s_delay_alu instid0(VALU_DEP_1) | instskip(NEXT) | instid1(VALU_DEP_1)
	v_fma_f32 v12, v35, v13, -v36
	v_fmac_f32_e32 v12, v35, v11
	s_delay_alu instid0(VALU_DEP_1) | instskip(NEXT) | instid1(VALU_DEP_1)
	v_add_f32_e32 v37, v36, v12
	v_sub_f32_e32 v38, v34, v37
	s_delay_alu instid0(VALU_DEP_1) | instskip(SKIP_1) | instid1(VALU_DEP_2)
	v_sub_f32_e32 v34, v34, v38
	v_dual_add_f32 v7, v7, v10 :: v_dual_sub_f32 v10, v37, v36
	v_sub_f32_e32 v34, v34, v37
	s_delay_alu instid0(VALU_DEP_1) | instskip(NEXT) | instid1(VALU_DEP_1)
	v_dual_sub_f32 v10, v10, v12 :: v_dual_add_f32 v7, v7, v34
	v_add_f32_e32 v7, v10, v7
	s_delay_alu instid0(VALU_DEP_1) | instskip(NEXT) | instid1(VALU_DEP_1)
	v_add_f32_e32 v10, v38, v7
	v_mul_f32_e32 v12, v9, v10
	s_delay_alu instid0(VALU_DEP_1) | instskip(NEXT) | instid1(VALU_DEP_1)
	v_dual_sub_f32 v37, v38, v10 :: v_dual_mul_f32 v34, v13, v12
	v_add_f32_e32 v7, v7, v37
	s_delay_alu instid0(VALU_DEP_2) | instskip(NEXT) | instid1(VALU_DEP_1)
	v_fma_f32 v13, v12, v13, -v34
	v_fmac_f32_e32 v13, v12, v11
	s_delay_alu instid0(VALU_DEP_1) | instskip(NEXT) | instid1(VALU_DEP_1)
	v_add_f32_e32 v11, v34, v13
	v_sub_f32_e32 v36, v10, v11
	s_delay_alu instid0(VALU_DEP_1) | instskip(NEXT) | instid1(VALU_DEP_1)
	v_sub_f32_e32 v10, v10, v36
	v_sub_f32_e32 v10, v10, v11
	s_delay_alu instid0(VALU_DEP_1) | instskip(SKIP_2) | instid1(VALU_DEP_1)
	v_add_f32_e32 v7, v7, v10
	v_add_f32_e32 v10, v35, v12
	v_sub_f32_e32 v34, v11, v34
	v_sub_f32_e32 v11, v34, v13
	s_delay_alu instid0(VALU_DEP_1) | instskip(NEXT) | instid1(VALU_DEP_4)
	v_add_f32_e32 v7, v11, v7
	v_sub_f32_e32 v11, v10, v35
	s_delay_alu instid0(VALU_DEP_2) | instskip(NEXT) | instid1(VALU_DEP_2)
	v_add_f32_e32 v7, v36, v7
	v_sub_f32_e32 v11, v12, v11
	s_delay_alu instid0(VALU_DEP_2) | instskip(NEXT) | instid1(VALU_DEP_1)
	v_mul_f32_e32 v7, v9, v7
	v_add_f32_e32 v7, v11, v7
	s_delay_alu instid0(VALU_DEP_1) | instskip(NEXT) | instid1(VALU_DEP_1)
	v_add_f32_e32 v9, v10, v7
	v_mul_f32_e32 v11, v9, v9
	s_delay_alu instid0(VALU_DEP_1) | instskip(SKIP_1) | instid1(VALU_DEP_2)
	v_fmaak_f32 v12, s42, v11, 0x3ecc95a3
	v_mul_f32_e32 v13, v9, v11
	v_fmaak_f32 v11, v11, v12, 0x3f2aaada
	v_ldexp_f32 v12, v9, 1
	s_delay_alu instid0(VALU_DEP_2) | instskip(SKIP_1) | instid1(VALU_DEP_2)
	v_mul_f32_e32 v11, v13, v11
	v_sub_f32_e32 v9, v9, v10
	v_dual_mul_f32 v13, 0x3f317218, v6 :: v_dual_add_f32 v10, v12, v11
	s_delay_alu instid0(VALU_DEP_2) | instskip(NEXT) | instid1(VALU_DEP_2)
	v_sub_f32_e32 v7, v7, v9
	v_sub_f32_e32 v9, v10, v12
	s_delay_alu instid0(VALU_DEP_3) | instskip(NEXT) | instid1(VALU_DEP_3)
	v_fma_f32 v12, 0x3f317218, v6, -v13
	v_ldexp_f32 v7, v7, 1
	s_delay_alu instid0(VALU_DEP_2) | instskip(NEXT) | instid1(VALU_DEP_1)
	v_dual_sub_f32 v9, v11, v9 :: v_dual_fmac_f32 v12, 0xb102e308, v6
	v_dual_add_f32 v6, v7, v9 :: v_dual_add_f32 v7, v13, v12
	s_delay_alu instid0(VALU_DEP_1) | instskip(NEXT) | instid1(VALU_DEP_1)
	v_add_f32_e32 v9, v10, v6
	v_dual_add_f32 v11, v7, v9 :: v_dual_sub_f32 v10, v9, v10
	s_delay_alu instid0(VALU_DEP_1) | instskip(NEXT) | instid1(VALU_DEP_2)
	v_sub_f32_e32 v34, v11, v7
	v_dual_sub_f32 v13, v7, v13 :: v_dual_sub_f32 v6, v6, v10
	s_delay_alu instid0(VALU_DEP_1) | instskip(SKIP_1) | instid1(VALU_DEP_2)
	v_dual_sub_f32 v35, v11, v34 :: v_dual_sub_f32 v12, v12, v13
	v_sub_f32_e32 v9, v9, v34
	v_dual_sub_f32 v7, v7, v35 :: v_dual_add_f32 v10, v12, v6
	s_delay_alu instid0(VALU_DEP_1) | instskip(NEXT) | instid1(VALU_DEP_2)
	v_add_f32_e32 v7, v9, v7
	v_sub_f32_e32 v9, v10, v12
	s_delay_alu instid0(VALU_DEP_2) | instskip(NEXT) | instid1(VALU_DEP_2)
	v_add_f32_e32 v7, v10, v7
	v_sub_f32_e32 v10, v10, v9
	s_delay_alu instid0(VALU_DEP_2) | instskip(NEXT) | instid1(VALU_DEP_1)
	v_dual_sub_f32 v6, v6, v9 :: v_dual_add_f32 v13, v11, v7
	v_dual_sub_f32 v10, v12, v10 :: v_dual_sub_f32 v9, v13, v11
	s_delay_alu instid0(VALU_DEP_1) | instskip(NEXT) | instid1(VALU_DEP_1)
	v_dual_add_f32 v6, v6, v10 :: v_dual_sub_f32 v7, v7, v9
	v_add_f32_e32 v6, v6, v7
	s_delay_alu instid0(VALU_DEP_1) | instskip(NEXT) | instid1(VALU_DEP_1)
	v_add_f32_e32 v6, v13, v6
	v_cndmask_b32_e32 v34, v6, v8, vcc_lo
.LBB65_18:                              ;   in Loop: Header=BB65_12 Depth=1
	s_or_b32 exec_lo, exec_lo, s7
	v_cvt_f32_f16_e32 v6, v3
	s_delay_alu instid0(VALU_DEP_1) | instskip(NEXT) | instid1(VALU_DEP_1)
	v_add_f32_e32 v39, s52, v6
	v_cmp_ge_f32_e32 vcc_lo, 0x41a00000, v39
	s_and_b32 s6, s55, vcc_lo
	s_delay_alu instid0(SALU_CYCLE_1)
	s_and_saveexec_b32 s7, s6
	s_cbranch_execz .LBB65_20
; %bb.19:                               ;   in Loop: Header=BB65_12 Depth=1
	v_mul_f32_e32 v6, 0x3fb8aa3b, v39
	v_cmp_ngt_f32_e32 vcc_lo, 0xc2ce8ed0, v39
	s_delay_alu instid0(VALU_DEP_2) | instskip(SKIP_1) | instid1(VALU_DEP_2)
	v_rndne_f32_e32 v7, v6
	v_fma_f32 v8, 0x3fb8aa3b, v39, -v6
	v_sub_f32_e32 v6, v6, v7
	s_delay_alu instid0(VALU_DEP_2) | instskip(SKIP_1) | instid1(VALU_DEP_2)
	v_fmac_f32_e32 v8, 0x32a5705f, v39
	v_cvt_i32_f32_e32 v7, v7
	v_add_f32_e32 v6, v6, v8
	s_delay_alu instid0(VALU_DEP_1) | instskip(SKIP_2) | instid1(VALU_DEP_1)
	v_exp_f32_e32 v6, v6
	s_waitcnt_depctr 0xfff
	v_ldexp_f32 v6, v6, v7
	v_cndmask_b32_e32 v6, 0, v6, vcc_lo
	v_cmp_nlt_f32_e32 vcc_lo, 0x42b17218, v39
	s_delay_alu instid0(VALU_DEP_2) | instskip(NEXT) | instid1(VALU_DEP_1)
	v_cndmask_b32_e32 v8, 0x7f800000, v6, vcc_lo
	v_add_f32_e32 v9, 1.0, v8
	s_delay_alu instid0(VALU_DEP_1) | instskip(NEXT) | instid1(VALU_DEP_1)
	v_cvt_f64_f32_e32 v[6:7], v9
	v_frexp_exp_i32_f64_e32 v6, v[6:7]
	v_frexp_mant_f32_e32 v7, v9
	s_delay_alu instid0(VALU_DEP_1) | instskip(SKIP_1) | instid1(VALU_DEP_1)
	v_cmp_gt_f32_e32 vcc_lo, 0x3f2aaaab, v7
	v_add_f32_e32 v7, -1.0, v9
	v_sub_f32_e32 v11, v7, v9
	v_sub_f32_e32 v7, v8, v7
	s_delay_alu instid0(VALU_DEP_2) | instskip(NEXT) | instid1(VALU_DEP_1)
	v_add_f32_e32 v11, 1.0, v11
	v_add_f32_e32 v7, v7, v11
	v_cmp_gt_f32_e64 s6, 0x33800000, v8
	v_subrev_co_ci_u32_e32 v6, vcc_lo, 0, v6, vcc_lo
	v_cmp_eq_f32_e32 vcc_lo, 0x7f800000, v8
	s_delay_alu instid0(VALU_DEP_2) | instskip(SKIP_2) | instid1(VALU_DEP_2)
	v_sub_nc_u32_e32 v10, 0, v6
	v_cvt_f32_i32_e32 v6, v6
	s_or_b32 vcc_lo, s6, vcc_lo
	v_ldexp_f32 v9, v9, v10
	v_ldexp_f32 v7, v7, v10
	s_delay_alu instid0(VALU_DEP_2) | instskip(NEXT) | instid1(VALU_DEP_1)
	v_add_f32_e32 v12, 1.0, v9
	v_dual_add_f32 v10, -1.0, v9 :: v_dual_add_f32 v11, -1.0, v12
	s_delay_alu instid0(VALU_DEP_1) | instskip(NEXT) | instid1(VALU_DEP_2)
	v_add_f32_e32 v13, 1.0, v10
	v_sub_f32_e32 v11, v9, v11
	s_delay_alu instid0(VALU_DEP_2) | instskip(NEXT) | instid1(VALU_DEP_2)
	v_sub_f32_e32 v9, v9, v13
	v_add_f32_e32 v11, v7, v11
	s_delay_alu instid0(VALU_DEP_2) | instskip(NEXT) | instid1(VALU_DEP_2)
	v_add_f32_e32 v7, v7, v9
	v_add_f32_e32 v13, v12, v11
	s_delay_alu instid0(VALU_DEP_1) | instskip(NEXT) | instid1(VALU_DEP_2)
	v_rcp_f32_e32 v9, v13
	v_dual_add_f32 v35, v10, v7 :: v_dual_sub_f32 v12, v12, v13
	s_delay_alu instid0(VALU_DEP_1) | instskip(SKIP_3) | instid1(VALU_DEP_2)
	v_sub_f32_e32 v10, v10, v35
	s_waitcnt_depctr 0xfff
	v_mul_f32_e32 v36, v35, v9
	v_add_f32_e32 v7, v7, v10
	v_mul_f32_e32 v37, v13, v36
	v_add_f32_e32 v11, v11, v12
	s_delay_alu instid0(VALU_DEP_2) | instskip(NEXT) | instid1(VALU_DEP_1)
	v_fma_f32 v12, v36, v13, -v37
	v_fmac_f32_e32 v12, v36, v11
	s_delay_alu instid0(VALU_DEP_1) | instskip(NEXT) | instid1(VALU_DEP_1)
	v_add_f32_e32 v38, v37, v12
	v_dual_sub_f32 v10, v38, v37 :: v_dual_sub_f32 v39, v35, v38
	s_delay_alu instid0(VALU_DEP_1) | instskip(NEXT) | instid1(VALU_DEP_1)
	v_dual_sub_f32 v10, v10, v12 :: v_dual_sub_f32 v35, v35, v39
	v_sub_f32_e32 v35, v35, v38
	s_delay_alu instid0(VALU_DEP_1) | instskip(NEXT) | instid1(VALU_DEP_1)
	v_add_f32_e32 v7, v7, v35
	v_add_f32_e32 v7, v10, v7
	s_delay_alu instid0(VALU_DEP_1) | instskip(NEXT) | instid1(VALU_DEP_1)
	v_add_f32_e32 v10, v39, v7
	v_sub_f32_e32 v38, v39, v10
	v_mul_f32_e32 v12, v9, v10
	s_delay_alu instid0(VALU_DEP_2) | instskip(NEXT) | instid1(VALU_DEP_2)
	v_add_f32_e32 v7, v7, v38
	v_mul_f32_e32 v35, v13, v12
	s_delay_alu instid0(VALU_DEP_1) | instskip(NEXT) | instid1(VALU_DEP_1)
	v_fma_f32 v13, v12, v13, -v35
	v_fmac_f32_e32 v13, v12, v11
	s_delay_alu instid0(VALU_DEP_1) | instskip(NEXT) | instid1(VALU_DEP_1)
	v_add_f32_e32 v11, v35, v13
	v_sub_f32_e32 v37, v10, v11
	s_delay_alu instid0(VALU_DEP_1) | instskip(NEXT) | instid1(VALU_DEP_1)
	v_dual_sub_f32 v35, v11, v35 :: v_dual_sub_f32 v10, v10, v37
	v_dual_sub_f32 v10, v10, v11 :: v_dual_sub_f32 v11, v35, v13
	s_delay_alu instid0(VALU_DEP_1) | instskip(NEXT) | instid1(VALU_DEP_1)
	v_dual_add_f32 v7, v7, v10 :: v_dual_add_f32 v10, v36, v12
	v_add_f32_e32 v7, v11, v7
	s_delay_alu instid0(VALU_DEP_2) | instskip(NEXT) | instid1(VALU_DEP_2)
	v_sub_f32_e32 v11, v10, v36
	v_add_f32_e32 v7, v37, v7
	s_delay_alu instid0(VALU_DEP_2) | instskip(NEXT) | instid1(VALU_DEP_2)
	v_sub_f32_e32 v11, v12, v11
	v_mul_f32_e32 v7, v9, v7
	s_delay_alu instid0(VALU_DEP_1) | instskip(NEXT) | instid1(VALU_DEP_1)
	v_add_f32_e32 v7, v11, v7
	v_add_f32_e32 v9, v10, v7
	s_delay_alu instid0(VALU_DEP_1) | instskip(NEXT) | instid1(VALU_DEP_1)
	v_mul_f32_e32 v11, v9, v9
	v_fmaak_f32 v12, s42, v11, 0x3ecc95a3
	v_mul_f32_e32 v13, v9, v11
	s_delay_alu instid0(VALU_DEP_2) | instskip(SKIP_2) | instid1(VALU_DEP_3)
	v_fmaak_f32 v11, v11, v12, 0x3f2aaada
	v_ldexp_f32 v12, v9, 1
	v_sub_f32_e32 v9, v9, v10
	v_mul_f32_e32 v11, v13, v11
	v_mul_f32_e32 v13, 0x3f317218, v6
	s_delay_alu instid0(VALU_DEP_2) | instskip(NEXT) | instid1(VALU_DEP_1)
	v_dual_sub_f32 v7, v7, v9 :: v_dual_add_f32 v10, v12, v11
	v_ldexp_f32 v7, v7, 1
	s_delay_alu instid0(VALU_DEP_2) | instskip(NEXT) | instid1(VALU_DEP_4)
	v_sub_f32_e32 v9, v10, v12
	v_fma_f32 v12, 0x3f317218, v6, -v13
	s_delay_alu instid0(VALU_DEP_1) | instskip(NEXT) | instid1(VALU_DEP_1)
	v_dual_sub_f32 v9, v11, v9 :: v_dual_fmac_f32 v12, 0xb102e308, v6
	v_dual_add_f32 v6, v7, v9 :: v_dual_add_f32 v7, v13, v12
	s_delay_alu instid0(VALU_DEP_1) | instskip(NEXT) | instid1(VALU_DEP_2)
	v_add_f32_e32 v9, v10, v6
	v_sub_f32_e32 v13, v7, v13
	s_delay_alu instid0(VALU_DEP_2) | instskip(NEXT) | instid1(VALU_DEP_1)
	v_dual_add_f32 v11, v7, v9 :: v_dual_sub_f32 v10, v9, v10
	v_dual_sub_f32 v12, v12, v13 :: v_dual_sub_f32 v35, v11, v7
	s_delay_alu instid0(VALU_DEP_2) | instskip(NEXT) | instid1(VALU_DEP_2)
	v_sub_f32_e32 v6, v6, v10
	v_sub_f32_e32 v36, v11, v35
	s_delay_alu instid0(VALU_DEP_2) | instskip(NEXT) | instid1(VALU_DEP_2)
	v_dual_sub_f32 v9, v9, v35 :: v_dual_add_f32 v10, v12, v6
	v_sub_f32_e32 v7, v7, v36
	s_delay_alu instid0(VALU_DEP_1) | instskip(NEXT) | instid1(VALU_DEP_3)
	v_add_f32_e32 v7, v9, v7
	v_sub_f32_e32 v9, v10, v12
	s_delay_alu instid0(VALU_DEP_2) | instskip(NEXT) | instid1(VALU_DEP_2)
	v_add_f32_e32 v7, v10, v7
	v_sub_f32_e32 v10, v10, v9
	s_delay_alu instid0(VALU_DEP_2) | instskip(NEXT) | instid1(VALU_DEP_1)
	v_dual_sub_f32 v6, v6, v9 :: v_dual_add_f32 v13, v11, v7
	v_dual_sub_f32 v10, v12, v10 :: v_dual_sub_f32 v9, v13, v11
	s_delay_alu instid0(VALU_DEP_1) | instskip(NEXT) | instid1(VALU_DEP_1)
	v_dual_add_f32 v6, v6, v10 :: v_dual_sub_f32 v7, v7, v9
	v_add_f32_e32 v6, v6, v7
	s_delay_alu instid0(VALU_DEP_1) | instskip(NEXT) | instid1(VALU_DEP_1)
	v_add_f32_e32 v6, v13, v6
	v_cndmask_b32_e32 v39, v6, v8, vcc_lo
.LBB65_20:                              ;   in Loop: Header=BB65_12 Depth=1
	s_or_b32 exec_lo, exec_lo, s7
	v_cvt_f32_f16_e32 v6, v31
	s_delay_alu instid0(VALU_DEP_1) | instskip(NEXT) | instid1(VALU_DEP_1)
	v_add_f32_e32 v40, s52, v6
	v_cmp_ge_f32_e32 vcc_lo, 0x41a00000, v40
	s_and_b32 s6, s55, vcc_lo
	s_delay_alu instid0(SALU_CYCLE_1)
	s_and_saveexec_b32 s7, s6
	s_cbranch_execz .LBB65_22
; %bb.21:                               ;   in Loop: Header=BB65_12 Depth=1
	v_mul_f32_e32 v6, 0x3fb8aa3b, v40
	v_cmp_ngt_f32_e32 vcc_lo, 0xc2ce8ed0, v40
	s_delay_alu instid0(VALU_DEP_2) | instskip(SKIP_1) | instid1(VALU_DEP_2)
	v_rndne_f32_e32 v7, v6
	v_fma_f32 v8, 0x3fb8aa3b, v40, -v6
	v_sub_f32_e32 v6, v6, v7
	s_delay_alu instid0(VALU_DEP_2) | instskip(SKIP_1) | instid1(VALU_DEP_2)
	v_fmac_f32_e32 v8, 0x32a5705f, v40
	v_cvt_i32_f32_e32 v7, v7
	v_add_f32_e32 v6, v6, v8
	s_delay_alu instid0(VALU_DEP_1) | instskip(SKIP_2) | instid1(VALU_DEP_1)
	v_exp_f32_e32 v6, v6
	s_waitcnt_depctr 0xfff
	v_ldexp_f32 v6, v6, v7
	v_cndmask_b32_e32 v6, 0, v6, vcc_lo
	v_cmp_nlt_f32_e32 vcc_lo, 0x42b17218, v40
	s_delay_alu instid0(VALU_DEP_2) | instskip(NEXT) | instid1(VALU_DEP_1)
	v_cndmask_b32_e32 v8, 0x7f800000, v6, vcc_lo
	v_add_f32_e32 v9, 1.0, v8
	s_delay_alu instid0(VALU_DEP_1) | instskip(NEXT) | instid1(VALU_DEP_1)
	v_cvt_f64_f32_e32 v[6:7], v9
	v_frexp_exp_i32_f64_e32 v6, v[6:7]
	v_frexp_mant_f32_e32 v7, v9
	s_delay_alu instid0(VALU_DEP_1) | instskip(SKIP_1) | instid1(VALU_DEP_1)
	v_cmp_gt_f32_e32 vcc_lo, 0x3f2aaaab, v7
	v_add_f32_e32 v7, -1.0, v9
	v_sub_f32_e32 v11, v7, v9
	v_sub_f32_e32 v7, v8, v7
	s_delay_alu instid0(VALU_DEP_2) | instskip(NEXT) | instid1(VALU_DEP_1)
	v_add_f32_e32 v11, 1.0, v11
	v_add_f32_e32 v7, v7, v11
	v_cmp_gt_f32_e64 s6, 0x33800000, v8
	v_subrev_co_ci_u32_e32 v6, vcc_lo, 0, v6, vcc_lo
	v_cmp_eq_f32_e32 vcc_lo, 0x7f800000, v8
	s_delay_alu instid0(VALU_DEP_2) | instskip(SKIP_2) | instid1(VALU_DEP_2)
	v_sub_nc_u32_e32 v10, 0, v6
	v_cvt_f32_i32_e32 v6, v6
	s_or_b32 vcc_lo, s6, vcc_lo
	v_ldexp_f32 v9, v9, v10
	v_ldexp_f32 v7, v7, v10
	s_delay_alu instid0(VALU_DEP_2) | instskip(NEXT) | instid1(VALU_DEP_1)
	v_add_f32_e32 v12, 1.0, v9
	v_dual_add_f32 v10, -1.0, v9 :: v_dual_add_f32 v11, -1.0, v12
	s_delay_alu instid0(VALU_DEP_1) | instskip(NEXT) | instid1(VALU_DEP_2)
	v_add_f32_e32 v13, 1.0, v10
	v_sub_f32_e32 v11, v9, v11
	s_delay_alu instid0(VALU_DEP_2) | instskip(NEXT) | instid1(VALU_DEP_2)
	v_sub_f32_e32 v9, v9, v13
	v_add_f32_e32 v11, v7, v11
	s_delay_alu instid0(VALU_DEP_2) | instskip(NEXT) | instid1(VALU_DEP_2)
	v_add_f32_e32 v7, v7, v9
	v_add_f32_e32 v13, v12, v11
	s_delay_alu instid0(VALU_DEP_1) | instskip(NEXT) | instid1(VALU_DEP_2)
	v_rcp_f32_e32 v9, v13
	v_dual_add_f32 v35, v10, v7 :: v_dual_sub_f32 v12, v12, v13
	s_delay_alu instid0(VALU_DEP_1) | instskip(SKIP_2) | instid1(VALU_DEP_1)
	v_sub_f32_e32 v10, v10, v35
	s_waitcnt_depctr 0xfff
	v_mul_f32_e32 v36, v35, v9
	v_mul_f32_e32 v37, v13, v36
	v_add_f32_e32 v11, v11, v12
	s_delay_alu instid0(VALU_DEP_2) | instskip(NEXT) | instid1(VALU_DEP_1)
	v_fma_f32 v12, v36, v13, -v37
	v_dual_fmac_f32 v12, v36, v11 :: v_dual_add_f32 v7, v7, v10
	s_delay_alu instid0(VALU_DEP_1) | instskip(NEXT) | instid1(VALU_DEP_1)
	v_add_f32_e32 v38, v37, v12
	v_sub_f32_e32 v40, v35, v38
	s_delay_alu instid0(VALU_DEP_1) | instskip(NEXT) | instid1(VALU_DEP_1)
	v_dual_sub_f32 v10, v38, v37 :: v_dual_sub_f32 v35, v35, v40
	v_dual_sub_f32 v10, v10, v12 :: v_dual_sub_f32 v35, v35, v38
	s_delay_alu instid0(VALU_DEP_1) | instskip(NEXT) | instid1(VALU_DEP_1)
	v_add_f32_e32 v7, v7, v35
	v_add_f32_e32 v7, v10, v7
	s_delay_alu instid0(VALU_DEP_1) | instskip(NEXT) | instid1(VALU_DEP_1)
	v_add_f32_e32 v10, v40, v7
	v_mul_f32_e32 v12, v9, v10
	s_delay_alu instid0(VALU_DEP_1) | instskip(NEXT) | instid1(VALU_DEP_1)
	v_dual_sub_f32 v38, v40, v10 :: v_dual_mul_f32 v35, v13, v12
	v_add_f32_e32 v7, v7, v38
	s_delay_alu instid0(VALU_DEP_2) | instskip(NEXT) | instid1(VALU_DEP_1)
	v_fma_f32 v13, v12, v13, -v35
	v_fmac_f32_e32 v13, v12, v11
	s_delay_alu instid0(VALU_DEP_1) | instskip(NEXT) | instid1(VALU_DEP_1)
	v_add_f32_e32 v11, v35, v13
	v_sub_f32_e32 v37, v10, v11
	s_delay_alu instid0(VALU_DEP_1) | instskip(NEXT) | instid1(VALU_DEP_1)
	v_sub_f32_e32 v10, v10, v37
	v_sub_f32_e32 v10, v10, v11
	;; [unrolled: 1-line block ×3, first 2 shown]
	s_delay_alu instid0(VALU_DEP_2) | instskip(NEXT) | instid1(VALU_DEP_2)
	v_add_f32_e32 v7, v7, v10
	v_dual_sub_f32 v11, v35, v13 :: v_dual_add_f32 v10, v36, v12
	s_delay_alu instid0(VALU_DEP_1) | instskip(NEXT) | instid1(VALU_DEP_2)
	v_add_f32_e32 v7, v11, v7
	v_sub_f32_e32 v11, v10, v36
	s_delay_alu instid0(VALU_DEP_2) | instskip(NEXT) | instid1(VALU_DEP_2)
	v_add_f32_e32 v7, v37, v7
	v_sub_f32_e32 v11, v12, v11
	s_delay_alu instid0(VALU_DEP_2) | instskip(NEXT) | instid1(VALU_DEP_1)
	v_mul_f32_e32 v7, v9, v7
	v_add_f32_e32 v7, v11, v7
	s_delay_alu instid0(VALU_DEP_1) | instskip(NEXT) | instid1(VALU_DEP_1)
	v_add_f32_e32 v9, v10, v7
	v_mul_f32_e32 v11, v9, v9
	s_delay_alu instid0(VALU_DEP_1) | instskip(SKIP_1) | instid1(VALU_DEP_2)
	v_fmaak_f32 v12, s42, v11, 0x3ecc95a3
	v_mul_f32_e32 v13, v9, v11
	v_fmaak_f32 v11, v11, v12, 0x3f2aaada
	v_ldexp_f32 v12, v9, 1
	v_sub_f32_e32 v9, v9, v10
	s_delay_alu instid0(VALU_DEP_3) | instskip(SKIP_1) | instid1(VALU_DEP_2)
	v_mul_f32_e32 v11, v13, v11
	v_mul_f32_e32 v13, 0x3f317218, v6
	v_dual_sub_f32 v7, v7, v9 :: v_dual_add_f32 v10, v12, v11
	s_delay_alu instid0(VALU_DEP_1) | instskip(NEXT) | instid1(VALU_DEP_2)
	v_ldexp_f32 v7, v7, 1
	v_sub_f32_e32 v9, v10, v12
	s_delay_alu instid0(VALU_DEP_4) | instskip(NEXT) | instid1(VALU_DEP_1)
	v_fma_f32 v12, 0x3f317218, v6, -v13
	v_dual_sub_f32 v9, v11, v9 :: v_dual_fmac_f32 v12, 0xb102e308, v6
	s_delay_alu instid0(VALU_DEP_1) | instskip(NEXT) | instid1(VALU_DEP_1)
	v_dual_add_f32 v6, v7, v9 :: v_dual_add_f32 v7, v13, v12
	v_add_f32_e32 v9, v10, v6
	s_delay_alu instid0(VALU_DEP_2) | instskip(NEXT) | instid1(VALU_DEP_2)
	v_sub_f32_e32 v13, v7, v13
	v_dual_add_f32 v11, v7, v9 :: v_dual_sub_f32 v10, v9, v10
	s_delay_alu instid0(VALU_DEP_1) | instskip(NEXT) | instid1(VALU_DEP_2)
	v_dual_sub_f32 v12, v12, v13 :: v_dual_sub_f32 v35, v11, v7
	v_sub_f32_e32 v6, v6, v10
	s_delay_alu instid0(VALU_DEP_2) | instskip(NEXT) | instid1(VALU_DEP_2)
	v_sub_f32_e32 v36, v11, v35
	v_dual_sub_f32 v9, v9, v35 :: v_dual_add_f32 v10, v12, v6
	s_delay_alu instid0(VALU_DEP_2) | instskip(NEXT) | instid1(VALU_DEP_1)
	v_sub_f32_e32 v7, v7, v36
	v_add_f32_e32 v7, v9, v7
	s_delay_alu instid0(VALU_DEP_3) | instskip(NEXT) | instid1(VALU_DEP_2)
	v_sub_f32_e32 v9, v10, v12
	v_add_f32_e32 v7, v10, v7
	s_delay_alu instid0(VALU_DEP_2) | instskip(NEXT) | instid1(VALU_DEP_2)
	v_sub_f32_e32 v10, v10, v9
	v_dual_sub_f32 v6, v6, v9 :: v_dual_add_f32 v13, v11, v7
	s_delay_alu instid0(VALU_DEP_1) | instskip(NEXT) | instid1(VALU_DEP_1)
	v_dual_sub_f32 v10, v12, v10 :: v_dual_sub_f32 v9, v13, v11
	v_dual_add_f32 v6, v6, v10 :: v_dual_sub_f32 v7, v7, v9
	s_delay_alu instid0(VALU_DEP_1) | instskip(NEXT) | instid1(VALU_DEP_1)
	v_add_f32_e32 v6, v6, v7
	v_add_f32_e32 v6, v13, v6
	s_delay_alu instid0(VALU_DEP_1)
	v_cndmask_b32_e32 v40, v6, v8, vcc_lo
.LBB65_22:                              ;   in Loop: Header=BB65_12 Depth=1
	s_or_b32 exec_lo, exec_lo, s7
	v_cvt_f32_f16_e32 v6, v1
	v_cvt_f32_f16_e32 v7, v29
	v_cvt_f32_f16_e32 v8, v0
	v_cvt_f32_f16_e32 v9, v32
	s_lshl_b32 s20, s61, 8
	s_delay_alu instid0(VALU_DEP_3) | instskip(NEXT) | instid1(VALU_DEP_2)
	v_dual_mul_f32 v36, s53, v6 :: v_dual_mul_f32 v35, s53, v7
	v_dual_mul_f32 v38, s53, v8 :: v_dual_mul_f32 v37, s53, v9
	s_and_b32 vcc_lo, exec_lo, s56
	s_barrier
	buffer_gl0_inv
	s_cbranch_vccz .LBB65_54
; %bb.23:                               ;   in Loop: Header=BB65_12 Depth=1
	v_dual_mul_f32 v43, v34, v7 :: v_dual_mul_f32 v44, v33, v8
	v_add_nc_u32_e32 v7, -1, v28
	v_dual_mul_f32 v41, v40, v9 :: v_dual_mul_f32 v42, v39, v6
	v_and_b32_e32 v6, 15, v28
	v_and_b32_e32 v8, 16, v28
	s_delay_alu instid0(VALU_DEP_4)
	v_cmp_gt_i32_e32 vcc_lo, 0, v7
	v_and_b32_e32 v9, 1, v28
	s_sub_i32 s13, s34, s20
	v_add_co_u32 v45, s6, s44, v27
	v_cndmask_b32_e32 v7, v7, v28, vcc_lo
	v_add_co_ci_u32_e64 v46, null, s46, 0, s6
	v_add_co_u32 v47, s6, s37, v27
	v_cmp_gt_u32_e32 vcc_lo, s13, v15
	v_cmp_gt_u32_e64 s14, s13, v24
	v_cmp_gt_u32_e64 s15, s13, v25
	;; [unrolled: 1-line block ×3, first 2 shown]
	s_cmp_lg_u32 s61, 0
	v_add_co_ci_u32_e64 v48, null, s47, 0, s6
	v_cmp_ne_u32_e64 s6, 0, v6
	v_cmp_lt_u32_e64 s7, 1, v6
	v_cmp_lt_u32_e64 s8, 3, v6
	;; [unrolled: 1-line block ×3, first 2 shown]
	v_cmp_ne_u32_e64 s10, 0, v8
	v_cmp_eq_u32_e64 s11, 0, v9
	v_lshlrev_b32_e32 v49, 2, v7
	v_cmp_eq_u32_e64 s12, 0, v28
	s_mov_b32 s22, 0
	s_cselect_b32 s21, -1, 0
	s_cmp_eq_u32 s61, s58
	s_mov_b32 s28, s22
	s_cselect_b32 s62, -1, 0
	s_or_b32 s13, s57, vcc_lo
	s_or_b32 s14, s57, s14
	s_or_b32 s15, s57, s15
	s_or_b32 s16, s57, s16
	s_mov_b32 s30, s22
	s_mov_b32 s38, s22
	;; [unrolled: 1-line block ×4, first 2 shown]
	s_branch .LBB65_25
.LBB65_24:                              ;   in Loop: Header=BB65_25 Depth=2
	s_or_b32 exec_lo, exec_lo, s17
	v_cndmask_b32_e64 v8, v59, v13, s12
	v_cndmask_b32_e64 v9, v58, v12, s12
	s_add_i32 s63, s63, -1
	s_add_i32 s64, s64, 8
	s_add_i32 s38, s38, s49
	v_fma_f32 v8, v8, v55, v52
	v_mul_f32_e32 v9, v9, v55
	s_add_i32 s30, s30, s36
	s_add_i32 s28, s28, s48
	;; [unrolled: 1-line block ×3, first 2 shown]
	v_cndmask_b32_e64 v8, v8, v52, s5
	v_cndmask_b32_e64 v9, v9, v55, s5
	s_cmp_eq_u32 s63, 0
	s_waitcnt lgkmcnt(0)
	s_delay_alu instid0(VALU_DEP_1) | instskip(NEXT) | instid1(VALU_DEP_1)
	v_fmac_f32_e32 v8, v10, v9
	v_fmac_f32_e32 v50, v8, v56
	s_delay_alu instid0(VALU_DEP_1) | instskip(SKIP_1) | instid1(VALU_DEP_2)
	v_fmac_f32_e32 v51, v50, v57
	v_fma_mix_f32 v35, v50, v6, v35 op_sel:[0,1,0] op_sel_hi:[0,1,0]
	v_fmac_f32_e32 v53, v51, v54
	v_fma_mix_f32 v38, v8, v6, v38 op_sel_hi:[0,1,0]
	v_fma_mix_f32 v36, v51, v7, v36 op_sel_hi:[0,1,0]
	s_delay_alu instid0(VALU_DEP_3)
	v_fma_mix_f32 v37, v53, v7, v37 op_sel:[0,1,0] op_sel_hi:[0,1,0]
	s_cbranch_scc1 .LBB65_54
.LBB65_25:                              ;   Parent Loop BB65_12 Depth=1
                                        ; =>  This Inner Loop Header: Depth=2
	s_lshl_b64 s[18:19], s[22:23], 2
	s_mov_b32 s29, s23
	s_add_u32 s18, s40, s18
	s_addc_u32 s19, s41, s19
	s_lshl_b64 s[66:67], s[28:29], 1
	s_mov_b32 s31, s23
	v_add_co_u32 v6, vcc_lo, v45, s66
	v_add_co_ci_u32_e32 v7, vcc_lo, s67, v46, vcc_lo
	s_lshl_b64 s[66:67], s[30:31], 1
	s_delay_alu instid0(SALU_CYCLE_1)
	v_add_co_u32 v8, vcc_lo, v47, s66
	v_add_co_ci_u32_e32 v9, vcc_lo, s67, v48, vcc_lo
	global_load_b32 v12, v14, s[18:19]
	global_load_b64 v[10:11], v[6:7], off
	global_load_b64 v[6:7], v[8:9], off
	s_and_not1_b32 vcc_lo, exec_lo, s21
	s_cbranch_vccnz .LBB65_27
; %bb.26:                               ;   in Loop: Header=BB65_25 Depth=2
	v_mov_b32_e32 v8, s64
	ds_load_b64 v[8:9], v8
	s_cbranch_execz .LBB65_28
	s_branch .LBB65_31
.LBB65_27:                              ;   in Loop: Header=BB65_25 Depth=2
                                        ; implicit-def: $vgpr8
.LBB65_28:                              ;   in Loop: Header=BB65_25 Depth=2
	s_waitcnt lgkmcnt(0)
	v_mov_b32_e32 v9, 0
	s_and_not1_b32 vcc_lo, exec_lo, s33
	s_cbranch_vccnz .LBB65_30
; %bb.29:                               ;   in Loop: Header=BB65_25 Depth=2
	s_mov_b32 s39, s23
	s_delay_alu instid0(SALU_CYCLE_1) | instskip(NEXT) | instid1(SALU_CYCLE_1)
	s_lshl_b64 s[18:19], s[38:39], 1
	s_add_u32 s18, s50, s18
	s_addc_u32 s19, s51, s19
	global_load_u16 v8, v14, s[18:19]
	s_waitcnt vmcnt(0)
	v_cvt_f32_f16_e32 v9, v8
.LBB65_30:                              ;   in Loop: Header=BB65_25 Depth=2
	v_mov_b32_e32 v8, 1.0
.LBB65_31:                              ;   in Loop: Header=BB65_25 Depth=2
	s_waitcnt vmcnt(1)
	v_lshrrev_b32_e32 v13, 16, v10
	v_cvt_f32_f16_e32 v51, v11
	v_cvt_f32_f16_e32 v10, v10
	v_lshrrev_b32_e32 v11, 16, v11
	s_delay_alu instid0(VALU_DEP_4) | instskip(SKIP_1) | instid1(VALU_DEP_4)
	v_cvt_f32_f16_e32 v13, v13
	v_mul_f32_e32 v12, 0x3fb8aa3b, v12
	v_mul_f32_e32 v10, v44, v10
	s_delay_alu instid0(VALU_DEP_4) | instskip(SKIP_1) | instid1(VALU_DEP_4)
	v_cvt_f32_f16_e32 v11, v11
	v_mul_f32_e32 v51, v42, v51
	v_dual_mul_f32 v13, v43, v13 :: v_dual_mul_f32 v54, v12, v40
	v_mul_f32_e32 v50, v12, v33
	s_delay_alu instid0(VALU_DEP_3) | instskip(NEXT) | instid1(VALU_DEP_3)
	v_cndmask_b32_e64 v51, 0, v51, s15
	v_cmp_gt_f32_e64 s19, 0xc2fc0000, v54
	s_delay_alu instid0(VALU_DEP_3) | instskip(NEXT) | instid1(VALU_DEP_2)
	v_cmp_gt_f32_e32 vcc_lo, 0xc2fc0000, v50
	v_cndmask_b32_e64 v54, 0, 0x42800000, s19
	v_cndmask_b32_e64 v50, 0, 0x42800000, vcc_lo
	v_cndmask_b32_e64 v56, 1.0, 0x1f800000, vcc_lo
	s_delay_alu instid0(VALU_DEP_3) | instskip(NEXT) | instid1(VALU_DEP_3)
	v_fmac_f32_e32 v54, v12, v40
	v_fmac_f32_e32 v50, v12, v33
	s_delay_alu instid0(VALU_DEP_2) | instskip(SKIP_1) | instid1(VALU_DEP_2)
	v_exp_f32_e32 v54, v54
	v_mul_f32_e32 v52, v12, v34
	v_exp_f32_e32 v50, v50
	v_mul_f32_e32 v53, v12, v39
	s_delay_alu instid0(VALU_DEP_2) | instskip(NEXT) | instid1(VALU_DEP_1)
	v_cmp_gt_f32_e64 s17, 0xc2fc0000, v52
	v_cndmask_b32_e64 v52, 0, 0x42800000, s17
	s_waitcnt_depctr 0xfff
	v_mul_f32_e32 v50, v50, v56
	v_cmp_gt_f32_e64 s18, 0xc2fc0000, v53
	v_fmac_f32_e32 v52, v12, v34
	s_delay_alu instid0(VALU_DEP_2) | instskip(NEXT) | instid1(VALU_DEP_2)
	v_cndmask_b32_e64 v53, 0, 0x42800000, s18
	v_exp_f32_e32 v55, v52
	v_cndmask_b32_e64 v52, 0, v10, s13
	s_delay_alu instid0(VALU_DEP_2)
	v_fmac_f32_e32 v53, v12, v39
	v_cndmask_b32_e64 v12, 1.0, 0x1f800000, s17
	s_waitcnt_depctr 0xfff
	v_mul_f32_e32 v12, v55, v12
	v_exp_f32_e32 v10, v53
	v_cndmask_b32_e64 v53, 1.0, 0x1f800000, s18
	v_cndmask_b32_e64 v55, 1.0, v50, s13
	v_cndmask_b32_e64 v50, 0, v13, s14
	v_cndmask_b32_e64 v13, 1.0, 0x1f800000, s19
	v_cndmask_b32_e64 v56, 1.0, v12, s14
	s_waitcnt_depctr 0xfff
	v_mul_f32_e32 v10, v10, v53
	v_mul_f32_e32 v12, v56, v55
	s_delay_alu instid0(VALU_DEP_2) | instskip(SKIP_2) | instid1(VALU_DEP_2)
	v_cndmask_b32_e64 v57, 1.0, v10, s15
	v_dual_mul_f32 v10, v41, v11 :: v_dual_mul_f32 v11, v54, v13
	v_fma_f32 v13, v56, v52, v50
	v_cndmask_b32_e64 v53, 0, v10, s16
	s_delay_alu instid0(VALU_DEP_3) | instskip(SKIP_1) | instid1(VALU_DEP_4)
	v_cndmask_b32_e64 v54, 1.0, v11, s16
	v_mul_f32_e32 v10, v12, v57
	v_fma_f32 v11, v13, v57, v51
	s_delay_alu instid0(VALU_DEP_2) | instskip(NEXT) | instid1(VALU_DEP_2)
	v_mul_f32_e32 v10, v10, v54
	v_fma_f32 v11, v11, v54, v53
	s_delay_alu instid0(VALU_DEP_2) | instskip(NEXT) | instid1(VALU_DEP_2)
	v_mov_b32_dpp v13, v10 row_shr:1 row_mask:0xf bank_mask:0xf
	v_mov_b32_dpp v12, v11 row_shr:1 row_mask:0xf bank_mask:0xf
	s_and_saveexec_b32 s17, s6
; %bb.32:                               ;   in Loop: Header=BB65_25 Depth=2
	s_delay_alu instid0(VALU_DEP_2) | instskip(NEXT) | instid1(VALU_DEP_1)
	v_mul_f32_e32 v13, v10, v13
	v_dual_fmac_f32 v11, v10, v12 :: v_dual_mov_b32 v10, v13
; %bb.33:                               ;   in Loop: Header=BB65_25 Depth=2
	s_or_b32 exec_lo, exec_lo, s17
	s_delay_alu instid0(VALU_DEP_1) | instskip(NEXT) | instid1(VALU_DEP_2)
	v_mov_b32_dpp v12, v10 row_shr:2 row_mask:0xf bank_mask:0xf
	v_mov_b32_dpp v13, v11 row_shr:2 row_mask:0xf bank_mask:0xf
	s_and_saveexec_b32 s17, s7
; %bb.34:                               ;   in Loop: Header=BB65_25 Depth=2
	s_delay_alu instid0(VALU_DEP_1) | instskip(NEXT) | instid1(VALU_DEP_3)
	v_fmac_f32_e32 v11, v10, v13
	v_mul_f32_e32 v10, v10, v12
; %bb.35:                               ;   in Loop: Header=BB65_25 Depth=2
	s_or_b32 exec_lo, exec_lo, s17
	s_delay_alu instid0(VALU_DEP_1) | instskip(NEXT) | instid1(VALU_DEP_3)
	v_mov_b32_dpp v12, v10 row_shr:4 row_mask:0xf bank_mask:0xf
	v_mov_b32_dpp v13, v11 row_shr:4 row_mask:0xf bank_mask:0xf
	s_and_saveexec_b32 s17, s8
; %bb.36:                               ;   in Loop: Header=BB65_25 Depth=2
	s_delay_alu instid0(VALU_DEP_1) | instskip(NEXT) | instid1(VALU_DEP_3)
	v_fmac_f32_e32 v11, v10, v13
	v_mul_f32_e32 v10, v10, v12
; %bb.37:                               ;   in Loop: Header=BB65_25 Depth=2
	s_or_b32 exec_lo, exec_lo, s17
	s_delay_alu instid0(VALU_DEP_1) | instskip(NEXT) | instid1(VALU_DEP_3)
	v_mov_b32_dpp v12, v10 row_shr:8 row_mask:0xf bank_mask:0xf
	v_mov_b32_dpp v13, v11 row_shr:8 row_mask:0xf bank_mask:0xf
	s_and_saveexec_b32 s17, s9
; %bb.38:                               ;   in Loop: Header=BB65_25 Depth=2
	s_delay_alu instid0(VALU_DEP_1) | instskip(NEXT) | instid1(VALU_DEP_3)
	v_fmac_f32_e32 v11, v10, v13
	v_mul_f32_e32 v10, v10, v12
; %bb.39:                               ;   in Loop: Header=BB65_25 Depth=2
	s_or_b32 exec_lo, exec_lo, s17
	ds_swizzle_b32 v13, v10 offset:swizzle(BROADCAST,32,15)
	ds_swizzle_b32 v12, v11 offset:swizzle(BROADCAST,32,15)
	s_and_saveexec_b32 s17, s10
	s_cbranch_execz .LBB65_41
; %bb.40:                               ;   in Loop: Header=BB65_25 Depth=2
	s_waitcnt lgkmcnt(1)
	v_mul_f32_e32 v13, v10, v13
	s_waitcnt lgkmcnt(0)
	s_delay_alu instid0(VALU_DEP_1)
	v_dual_fmac_f32 v11, v10, v12 :: v_dual_mov_b32 v10, v13
.LBB65_41:                              ;   in Loop: Header=BB65_25 Depth=2
	s_or_b32 exec_lo, exec_lo, s17
	s_and_saveexec_b32 s17, s1
	s_cbranch_execz .LBB65_43
; %bb.42:                               ;   in Loop: Header=BB65_25 Depth=2
	ds_store_b64 v16, v[10:11] offset:1056
.LBB65_43:                              ;   in Loop: Header=BB65_25 Depth=2
	s_or_b32 exec_lo, exec_lo, s17
	s_waitcnt vmcnt(0) lgkmcnt(0)
	s_waitcnt_vscnt null, 0x0
	s_barrier
	buffer_gl0_inv
	s_and_saveexec_b32 s17, s2
	s_cbranch_execz .LBB65_45
; %bb.44:                               ;   in Loop: Header=BB65_25 Depth=2
	ds_load_b64 v[12:13], v17 offset:1056
	s_waitcnt lgkmcnt(0)
	v_mov_b32_dpp v58, v12 row_shr:1 row_mask:0xf bank_mask:0xf
	v_mov_b32_dpp v59, v13 row_shr:1 row_mask:0xf bank_mask:0xf
	s_delay_alu instid0(VALU_DEP_2) | instskip(NEXT) | instid1(VALU_DEP_2)
	v_mul_f32_e32 v58, v12, v58
	v_fma_f32 v59, v12, v59, v13
	s_delay_alu instid0(VALU_DEP_2) | instskip(NEXT) | instid1(VALU_DEP_2)
	v_cndmask_b32_e64 v12, v58, v12, s11
	v_cndmask_b32_e64 v13, v59, v13, s11
	ds_store_b64 v17, v[12:13] offset:1056
.LBB65_45:                              ;   in Loop: Header=BB65_25 Depth=2
	s_or_b32 exec_lo, exec_lo, s17
	s_waitcnt lgkmcnt(0)
	s_barrier
	buffer_gl0_inv
                                        ; implicit-def: $vgpr13
	s_and_saveexec_b32 s17, s4
	s_cbranch_execz .LBB65_47
; %bb.46:                               ;   in Loop: Header=BB65_25 Depth=2
	ds_load_b64 v[12:13], v16 offset:1048
	s_waitcnt lgkmcnt(0)
	v_mul_f32_e32 v58, v10, v12
	v_fmac_f32_e32 v11, v10, v13
	s_delay_alu instid0(VALU_DEP_2)
	v_mov_b32_e32 v10, v58
.LBB65_47:                              ;   in Loop: Header=BB65_25 Depth=2
	s_or_b32 exec_lo, exec_lo, s17
	ds_bpermute_b32 v58, v49, v10
	ds_bpermute_b32 v59, v49, v11
	s_and_saveexec_b32 s17, s3
	s_cbranch_execz .LBB65_51
; %bb.48:                               ;   in Loop: Header=BB65_25 Depth=2
	ds_load_b64 v[10:11], v14 offset:1064
	s_and_saveexec_b32 s18, s5
	s_cbranch_execz .LBB65_50
; %bb.49:                               ;   in Loop: Header=BB65_25 Depth=2
	ds_store_b64 v14, v[8:9] offset:1064
.LBB65_50:                              ;   in Loop: Header=BB65_25 Depth=2
	s_or_b32 exec_lo, exec_lo, s18
	s_waitcnt lgkmcnt(0)
	v_fmac_f32_e32 v11, v9, v10
	s_delay_alu instid0(VALU_DEP_1)
	v_dual_mul_f32 v8, v8, v10 :: v_dual_mov_b32 v9, v11
.LBB65_51:                              ;   in Loop: Header=BB65_25 Depth=2
	s_or_b32 exec_lo, exec_lo, s17
	s_waitcnt lgkmcnt(0)
	s_barrier
	buffer_gl0_inv
	ds_load_b32 v10, v14 offset:1068
	s_and_saveexec_b32 s17, s5
	s_cbranch_execz .LBB65_24
; %bb.52:                               ;   in Loop: Header=BB65_25 Depth=2
	v_mov_b32_e32 v11, s64
	s_and_not1_b32 vcc_lo, exec_lo, s62
	ds_store_b64 v11, v[8:9]
	s_cbranch_vccnz .LBB65_24
; %bb.53:                               ;   in Loop: Header=BB65_25 Depth=2
	s_mov_b32 s39, s23
	v_cvt_f16_f32_e32 v8, v9
	s_lshl_b64 s[18:19], s[38:39], 1
	s_delay_alu instid0(SALU_CYCLE_1)
	s_add_u32 s18, s50, s18
	s_addc_u32 s19, s51, s19
	global_store_b16 v14, v8, s[18:19]
	s_branch .LBB65_24
.LBB65_54:                              ;   in Loop: Header=BB65_12 Depth=1
	s_mov_b32 s21, s23
	v_cvt_f16_f32_e32 v8, v38
	v_cvt_f16_f32_e32 v10, v35
	;; [unrolled: 1-line block ×4, first 2 shown]
	s_lshl_b64 s[10:11], s[20:21], 1
	s_waitcnt_vscnt null, 0x0
	v_add_co_u32 v6, vcc_lo, v18, s10
	v_add_co_ci_u32_e32 v7, vcc_lo, s11, v19, vcc_lo
	v_pack_b32_f16 v9, v9, v11
	v_pack_b32_f16 v8, v8, v10
	s_barrier
	buffer_gl0_inv
	global_store_b64 v[6:7], v[8:9], off
	s_waitcnt_vscnt null, 0x0
	s_barrier
	buffer_gl0_inv
	s_and_saveexec_b32 s6, s0
	s_cbranch_execz .LBB65_11
; %bb.55:                               ;   in Loop: Header=BB65_12 Depth=1
	v_add_co_u32 v4, vcc_lo, v20, s10
	v_add_co_ci_u32_e32 v5, vcc_lo, s11, v21, vcc_lo
	global_load_b64 v[4:5], v[4:5], off
	s_branch .LBB65_11
.LBB65_56:
	s_nop 0
	s_sendmsg sendmsg(MSG_DEALLOC_VGPRS)
	s_endpgm
	.section	.rodata,"a",@progbits
	.p2align	6, 0x0
	.amdhsa_kernel _Z25selective_scan_fwd_kernelI32Selective_Scan_fwd_kernel_traitsILi64ELi4ELi1ELb1ELb1ELb1ELb1ELb0EN3c104HalfEfS2_EEv13SSMParamsBase
		.amdhsa_group_segment_fixed_size 0
		.amdhsa_private_segment_fixed_size 0
		.amdhsa_kernarg_size 248
		.amdhsa_user_sgpr_count 14
		.amdhsa_user_sgpr_dispatch_ptr 0
		.amdhsa_user_sgpr_queue_ptr 0
		.amdhsa_user_sgpr_kernarg_segment_ptr 1
		.amdhsa_user_sgpr_dispatch_id 0
		.amdhsa_user_sgpr_private_segment_size 0
		.amdhsa_wavefront_size32 1
		.amdhsa_uses_dynamic_stack 0
		.amdhsa_enable_private_segment 0
		.amdhsa_system_sgpr_workgroup_id_x 1
		.amdhsa_system_sgpr_workgroup_id_y 1
		.amdhsa_system_sgpr_workgroup_id_z 0
		.amdhsa_system_sgpr_workgroup_info 0
		.amdhsa_system_vgpr_workitem_id 0
		.amdhsa_next_free_vgpr 60
		.amdhsa_next_free_sgpr 68
		.amdhsa_reserve_vcc 1
		.amdhsa_float_round_mode_32 0
		.amdhsa_float_round_mode_16_64 0
		.amdhsa_float_denorm_mode_32 3
		.amdhsa_float_denorm_mode_16_64 3
		.amdhsa_dx10_clamp 1
		.amdhsa_ieee_mode 1
		.amdhsa_fp16_overflow 0
		.amdhsa_workgroup_processor_mode 1
		.amdhsa_memory_ordered 1
		.amdhsa_forward_progress 0
		.amdhsa_shared_vgpr_count 0
		.amdhsa_exception_fp_ieee_invalid_op 0
		.amdhsa_exception_fp_denorm_src 0
		.amdhsa_exception_fp_ieee_div_zero 0
		.amdhsa_exception_fp_ieee_overflow 0
		.amdhsa_exception_fp_ieee_underflow 0
		.amdhsa_exception_fp_ieee_inexact 0
		.amdhsa_exception_int_div_zero 0
	.end_amdhsa_kernel
	.section	.text._Z25selective_scan_fwd_kernelI32Selective_Scan_fwd_kernel_traitsILi64ELi4ELi1ELb1ELb1ELb1ELb1ELb0EN3c104HalfEfS2_EEv13SSMParamsBase,"axG",@progbits,_Z25selective_scan_fwd_kernelI32Selective_Scan_fwd_kernel_traitsILi64ELi4ELi1ELb1ELb1ELb1ELb1ELb0EN3c104HalfEfS2_EEv13SSMParamsBase,comdat
.Lfunc_end65:
	.size	_Z25selective_scan_fwd_kernelI32Selective_Scan_fwd_kernel_traitsILi64ELi4ELi1ELb1ELb1ELb1ELb1ELb0EN3c104HalfEfS2_EEv13SSMParamsBase, .Lfunc_end65-_Z25selective_scan_fwd_kernelI32Selective_Scan_fwd_kernel_traitsILi64ELi4ELi1ELb1ELb1ELb1ELb1ELb0EN3c104HalfEfS2_EEv13SSMParamsBase
                                        ; -- End function
	.section	.AMDGPU.csdata,"",@progbits
; Kernel info:
; codeLenInByte = 6848
; NumSgprs: 70
; NumVgprs: 60
; ScratchSize: 0
; MemoryBound: 0
; FloatMode: 240
; IeeeMode: 1
; LDSByteSize: 0 bytes/workgroup (compile time only)
; SGPRBlocks: 8
; VGPRBlocks: 7
; NumSGPRsForWavesPerEU: 70
; NumVGPRsForWavesPerEU: 60
; Occupancy: 16
; WaveLimiterHint : 0
; COMPUTE_PGM_RSRC2:SCRATCH_EN: 0
; COMPUTE_PGM_RSRC2:USER_SGPR: 14
; COMPUTE_PGM_RSRC2:TRAP_HANDLER: 0
; COMPUTE_PGM_RSRC2:TGID_X_EN: 1
; COMPUTE_PGM_RSRC2:TGID_Y_EN: 1
; COMPUTE_PGM_RSRC2:TGID_Z_EN: 0
; COMPUTE_PGM_RSRC2:TIDIG_COMP_CNT: 0
	.section	.text._Z25selective_scan_fwd_kernelI32Selective_Scan_fwd_kernel_traitsILi64ELi4ELi1ELb1ELb1ELb1ELb0ELb1EN3c104HalfEfS2_EEv13SSMParamsBase,"axG",@progbits,_Z25selective_scan_fwd_kernelI32Selective_Scan_fwd_kernel_traitsILi64ELi4ELi1ELb1ELb1ELb1ELb0ELb1EN3c104HalfEfS2_EEv13SSMParamsBase,comdat
	.protected	_Z25selective_scan_fwd_kernelI32Selective_Scan_fwd_kernel_traitsILi64ELi4ELi1ELb1ELb1ELb1ELb0ELb1EN3c104HalfEfS2_EEv13SSMParamsBase ; -- Begin function _Z25selective_scan_fwd_kernelI32Selective_Scan_fwd_kernel_traitsILi64ELi4ELi1ELb1ELb1ELb1ELb0ELb1EN3c104HalfEfS2_EEv13SSMParamsBase
	.globl	_Z25selective_scan_fwd_kernelI32Selective_Scan_fwd_kernel_traitsILi64ELi4ELi1ELb1ELb1ELb1ELb0ELb1EN3c104HalfEfS2_EEv13SSMParamsBase
	.p2align	8
	.type	_Z25selective_scan_fwd_kernelI32Selective_Scan_fwd_kernel_traitsILi64ELi4ELi1ELb1ELb1ELb1ELb0ELb1EN3c104HalfEfS2_EEv13SSMParamsBase,@function
_Z25selective_scan_fwd_kernelI32Selective_Scan_fwd_kernel_traitsILi64ELi4ELi1ELb1ELb1ELb1ELb0ELb1EN3c104HalfEfS2_EEv13SSMParamsBase: ; @_Z25selective_scan_fwd_kernelI32Selective_Scan_fwd_kernel_traitsILi64ELi4ELi1ELb1ELb1ELb1ELb0ELb1EN3c104HalfEfS2_EEv13SSMParamsBase
; %bb.0:
	s_clause 0x2
	s_load_b32 s35, s[0:1], 0x18
	s_load_b128 s[4:7], s[0:1], 0xe0
	s_load_b64 s[10:11], s[0:1], 0xf0
	s_mov_b32 s12, s15
	s_ashr_i32 s15, s14, 31
	s_mov_b32 s33, 0
	s_lshl_b64 s[8:9], s[14:15], 2
	s_waitcnt lgkmcnt(0)
	s_abs_i32 s34, s35
	s_add_u32 s2, s4, s8
	v_cvt_f32_u32_e32 v1, s34
	s_addc_u32 s3, s5, s9
	s_cmp_eq_u64 s[10:11], 0
	s_delay_alu instid0(VALU_DEP_1) | instskip(SKIP_2) | instid1(VALU_DEP_1)
	v_rcp_iflag_f32_e32 v1, v1
	s_waitcnt_depctr 0xfff
	v_mul_f32_e32 v1, 0x4f7ffffe, v1
	v_cvt_u32_f32_e32 v1, v1
	s_delay_alu instid0(VALU_DEP_1)
	v_readfirstlane_b32 s36, v1
	s_cbranch_scc1 .LBB66_2
; %bb.1:
	v_mov_b32_e32 v1, 0
	s_add_u32 s4, s10, s14
	s_addc_u32 s5, s11, s15
	global_load_u8 v1, v1, s[4:5]
	s_waitcnt vmcnt(0)
	v_and_b32_e32 v1, 1, v1
	s_delay_alu instid0(VALU_DEP_1)
	v_cmp_eq_u32_e64 s33, 1, v1
.LBB66_2:
	s_load_b64 s[4:5], s[0:1], 0x20
	s_cmp_eq_u64 s[6:7], 0
	s_cbranch_scc1 .LBB66_4
; %bb.3:
	s_add_u32 s6, s6, s8
	s_addc_u32 s7, s7, s9
	s_load_b32 s14, s[6:7], 0x0
	s_waitcnt lgkmcnt(0)
	s_ashr_i32 s15, s14, 31
.LBB66_4:
	s_waitcnt lgkmcnt(0)
	s_cmp_eq_u64 s[4:5], s[14:15]
	s_cbranch_scc1 .LBB66_92
; %bb.5:
	s_load_b512 s[16:31], s[0:1], 0x88
	s_load_b64 s[10:11], s[2:3], 0x0
	s_mov_b32 s48, 0
	s_mov_b32 s49, 0
	s_waitcnt lgkmcnt(0)
	s_cmp_eq_u64 s[22:23], 0
	s_cbranch_scc1 .LBB66_7
; %bb.6:
	s_ashr_i32 s13, s12, 31
	s_delay_alu instid0(SALU_CYCLE_1) | instskip(NEXT) | instid1(SALU_CYCLE_1)
	s_lshl_b64 s[2:3], s[12:13], 2
	s_add_u32 s2, s22, s2
	s_addc_u32 s3, s23, s3
	s_load_b32 s49, s[2:3], 0x0
.LBB66_7:
	s_cmp_eq_u64 s[28:29], 0
	s_cbranch_scc1 .LBB66_9
; %bb.8:
	s_ashr_i32 s13, s12, 31
	s_delay_alu instid0(SALU_CYCLE_1) | instskip(NEXT) | instid1(SALU_CYCLE_1)
	s_lshl_b64 s[2:3], s[12:13], 2
	s_add_u32 s2, s28, s2
	s_addc_u32 s3, s29, s3
	s_load_b32 s48, s[2:3], 0x0
.LBB66_9:
	s_sub_i32 s23, s11, s10
	s_delay_alu instid0(SALU_CYCLE_1)
	s_cmp_lt_i32 s23, 1
	s_cbranch_scc1 .LBB66_92
; %bb.10:
	s_sub_i32 s2, 0, s34
	s_abs_i32 s5, s12
	s_mul_i32 s4, s2, s36
	s_clause 0x1
	s_load_b64 s[2:3], s[0:1], 0x5c
	s_load_b128 s[44:47], s[0:1], 0x4c
	s_mul_hi_u32 s4, s36, s4
	s_ashr_i32 s7, s35, 31
	s_add_i32 s36, s36, s4
	s_ashr_i32 s4, s12, 31
	s_mul_hi_u32 s6, s5, s36
	s_xor_b32 s7, s4, s7
	s_mul_i32 s8, s6, s34
	s_load_b256 s[36:43], s[0:1], 0x2c
	s_sub_i32 s4, s5, s8
	s_add_i32 s5, s6, 1
	s_sub_i32 s8, s4, s34
	s_cmp_ge_u32 s4, s34
	s_mov_b32 s29, 0
	s_cselect_b32 s5, s5, s6
	s_cselect_b32 s4, s8, s4
	s_add_i32 s6, s5, 1
	s_cmp_ge_u32 s4, s34
	v_lshlrev_b32_e32 v8, 2, v0
	s_cselect_b32 s4, s6, s5
	s_waitcnt lgkmcnt(0)
	s_mul_i32 s28, s10, s46
	s_xor_b32 s6, s4, s7
	s_lshl_b64 s[4:5], s[28:29], 1
	s_sub_i32 s6, s6, s7
	s_mul_i32 s28, s47, s12
	s_add_u32 s7, s24, s4
	s_addc_u32 s8, s25, s5
	s_lshl_b64 s[4:5], s[28:29], 1
	s_mul_i32 s28, s10, s2
	s_add_u32 s43, s7, s4
	s_addc_u32 s46, s8, s5
	s_lshl_b64 s[4:5], s[28:29], 1
	;; [unrolled: 4-line block ×3, first 2 shown]
	s_mul_i32 s28, s36, s12
	s_add_u32 s47, s4, s2
	s_addc_u32 s36, s5, s3
	s_clause 0x1
	s_load_b128 s[24:27], s[0:1], 0x7c
	s_load_b64 s[4:5], s[0:1], 0xc8
	s_lshl_b64 s[2:3], s[28:29], 2
	s_mul_i32 s28, s10, s38
	s_add_u32 s50, s16, s2
	s_addc_u32 s51, s17, s3
	s_lshl_b64 s[2:3], s[28:29], 1
	s_mul_i32 s28, s6, s41
	s_add_u32 s7, s18, s2
	v_mbcnt_lo_u32_b32 v1, -1, 0
	v_and_b32_e32 v2, 0x80, v8
	v_dual_mov_b32 v12, 0 :: v_dual_and_b32 v3, 32, v0
	s_addc_u32 s8, s19, s3
	s_lshl_b64 s[2:3], s[28:29], 1
	s_mul_i32 s28, s10, s42
	s_waitcnt lgkmcnt(0)
	s_add_u32 s27, s7, s2
	s_addc_u32 s41, s8, s3
	s_clause 0x1
	s_load_b32 s42, s[0:1], 0xc
	s_load_b32 s8, s[0:1], 0x28
	v_or_b32_e32 v9, v1, v2
	v_or_b32_e32 v4, v1, v3
	s_lshl_b64 s[2:3], s[28:29], 1
	s_mul_i32 s28, s6, s45
	s_add_u32 s7, s20, s2
	v_or_b32_e32 v11, 0x60, v9
	v_lshrrev_b32_e32 v14, 3, v4
	s_addc_u32 s6, s21, s3
	s_lshl_b64 s[2:3], s[28:29], 1
	s_mul_i32 s28, s14, s24
	s_load_b64 s[16:17], s[0:1], 0x6c
	s_add_u32 s45, s7, s2
	s_addc_u32 s52, s6, s3
	s_lshl_b64 s[0:1], s[28:29], 1
	v_or_b32_e32 v10, 64, v9
	v_lshrrev_b32_e32 v7, 5, v11
	v_and_b32_e32 v16, 6, v14
	s_mul_i32 s28, s25, s12
	s_add_u32 s2, s4, s0
	s_addc_u32 s3, s5, s1
	s_lshl_b64 s[0:1], s[28:29], 1
	v_lshrrev_b32_e32 v5, 5, v2
	s_add_u32 s53, s2, s0
	v_lshrrev_b32_e32 v6, 5, v10
	v_and_b32_e32 v7, 6, v7
	v_lshl_add_u32 v4, v4, 2, v16
	s_addc_u32 s54, s3, s1
	s_add_i32 s0, s23, 0x7ff
	v_add_lshl_u32 v5, v5, v9, 1
	s_lshr_b32 s55, s0, 11
	s_waitcnt lgkmcnt(0)
	s_bitcmp1_b32 s8, 0
	v_add_lshl_u32 v6, v6, v9, 1
	v_add_lshl_u32 v7, v7, v9, 1
	v_lshl_add_u32 v17, v4, 1, 0
	v_and_b32_e32 v4, 15, v1
	s_cselect_b32 s56, -1, 0
	s_cmp_gt_i32 s42, 0
	v_or_b32_e32 v3, 31, v3
	s_cselect_b32 s57, -1, 0
	s_add_i32 s0, 0, 0x210
	s_and_b32 s1, s23, 0xff
	v_add_nc_u32_e32 v18, s0, v5
	v_add_nc_u32_e32 v19, s0, v6
	s_cmp_eq_u32 s1, 0
	v_add_nc_u32_e32 v20, s0, v7
	v_cmp_ne_u32_e64 s0, 0, v4
	v_cmp_lt_u32_e64 s1, 1, v4
	v_cmp_lt_u32_e64 s2, 3, v4
	;; [unrolled: 1-line block ×3, first 2 shown]
	v_add_nc_u32_e32 v4, -1, v1
	s_mul_i32 s28, s10, s16
	s_cselect_b32 s58, -1, 0
	s_lshl_b64 s[14:15], s[28:29], 1
	s_add_i32 s59, s55, -1
	v_cmp_gt_i32_e32 vcc_lo, 0, v4
	s_mul_i32 s28, s17, s12
	v_add_nc_u32_e32 v14, 0, v5
	v_lshrrev_b32_e32 v5, 2, v0
	v_cmp_eq_u32_e64 s5, v3, v0
	v_cndmask_b32_e32 v4, v4, v1, vcc_lo
	v_and_b32_e32 v3, 1, v1
	v_cmp_gt_u32_e64 s6, 2, v0
	v_lshl_add_u32 v22, v0, 3, 0
	v_cmp_gt_u32_e64 s8, 32, v0
	v_cmp_lt_u32_e64 s9, 31, v0
	v_cmp_eq_u32_e64 s10, 0, v0
	s_add_u32 s11, s30, s14
	v_lshlrev_b32_e32 v0, 1, v1
	s_addc_u32 s14, s31, s15
	s_lshl_b64 s[12:13], s[28:29], 1
	v_cmp_eq_u32_e64 s7, 0, v3
	s_add_u32 s11, s11, s12
	s_addc_u32 s12, s14, s13
	v_lshlrev_b32_e32 v3, 1, v2
	v_add_co_u32 v0, s11, s11, v0
	v_add_nc_u32_e32 v15, 0, v6
	v_and_b32_e32 v6, 16, v1
	v_and_b32_e32 v5, 8, v5
	v_lshlrev_b32_e32 v23, 2, v4
	v_add_co_ci_u32_e64 v4, null, s12, 0, s11
	v_add_co_u32 v24, vcc_lo, v0, v3
	v_or_b32_e32 v13, 32, v9
	v_add_nc_u32_e32 v16, 0, v7
	v_cmp_ne_u32_e64 s4, 0, v6
	v_add_nc_u32_e32 v21, 0, v5
	v_cmp_eq_u32_e64 s11, 0, v1
	v_add_co_ci_u32_e32 v25, vcc_lo, 0, v4, vcc_lo
	v_or_b32_e32 v26, 1, v8
	v_or_b32_e32 v27, 2, v8
	;; [unrolled: 1-line block ×3, first 2 shown]
	v_lshlrev_b32_e32 v29, 1, v1
	v_lshlrev_b32_e32 v30, 1, v2
	s_mov_b32 s60, 0x3e9b6dac
	s_add_i32 s61, 0, 0x430
	s_mov_b32 s62, 0
	s_branch .LBB66_12
.LBB66_11:                              ;   in Loop: Header=BB66_12 Depth=1
	s_or_b32 exec_lo, exec_lo, s12
	s_add_u32 s47, s47, 0x200
	s_addc_u32 s36, s36, 0
	s_add_u32 s43, s43, 0x200
	s_addc_u32 s46, s46, 0
	s_add_u32 s27, s27, 0x200
	s_addc_u32 s41, s41, 0
	s_add_u32 s45, s45, 0x200
	s_addc_u32 s52, s52, 0
	s_add_i32 s62, s62, 1
	s_delay_alu instid0(SALU_CYCLE_1)
	s_cmp_eq_u32 s62, s55
	s_cbranch_scc1 .LBB66_92
.LBB66_12:                              ; =>This Loop Header: Depth=1
                                        ;     Child Loop BB66_37 Depth 2
	v_add_co_u32 v0, s12, s43, v29
	s_delay_alu instid0(VALU_DEP_1) | instskip(SKIP_1) | instid1(VALU_DEP_2)
	v_add_co_ci_u32_e64 v1, null, s46, 0, s12
	s_lshl_b32 s24, s62, 8
	v_add_co_u32 v0, vcc_lo, v0, v30
	s_sub_i32 s19, s23, s24
	s_delay_alu instid0(VALU_DEP_2)
	v_add_co_ci_u32_e32 v1, vcc_lo, 0, v1, vcc_lo
	v_cmp_gt_u32_e64 s12, s19, v9
	s_waitcnt lgkmcnt(0)
	v_mov_b32_e32 v2, 0
	s_waitcnt_vscnt null, 0x0
	s_barrier
	buffer_gl0_inv
	s_and_saveexec_b32 s13, s12
	s_cbranch_execz .LBB66_14
; %bb.13:                               ;   in Loop: Header=BB66_12 Depth=1
	global_load_u16 v2, v[0:1], off
.LBB66_14:                              ;   in Loop: Header=BB66_12 Depth=1
	s_or_b32 exec_lo, exec_lo, s13
	v_cmp_gt_u32_e64 s13, s19, v13
	v_mov_b32_e32 v3, 0
	v_mov_b32_e32 v5, 0
	s_delay_alu instid0(VALU_DEP_3)
	s_and_saveexec_b32 s14, s13
	s_cbranch_execz .LBB66_16
; %bb.15:                               ;   in Loop: Header=BB66_12 Depth=1
	global_load_u16 v5, v[0:1], off offset:64
.LBB66_16:                              ;   in Loop: Header=BB66_12 Depth=1
	s_or_b32 exec_lo, exec_lo, s14
	v_cmp_gt_u32_e64 s14, s19, v10
	s_delay_alu instid0(VALU_DEP_1)
	s_and_saveexec_b32 s15, s14
	s_cbranch_execz .LBB66_18
; %bb.17:                               ;   in Loop: Header=BB66_12 Depth=1
	global_load_u16 v3, v[0:1], off offset:128
.LBB66_18:                              ;   in Loop: Header=BB66_12 Depth=1
	s_or_b32 exec_lo, exec_lo, s15
	v_cmp_gt_u32_e64 s15, s19, v11
	v_mov_b32_e32 v4, 0
	v_mov_b32_e32 v6, 0
	s_delay_alu instid0(VALU_DEP_3)
	s_and_saveexec_b32 s16, s15
	s_cbranch_execz .LBB66_20
; %bb.19:                               ;   in Loop: Header=BB66_12 Depth=1
	global_load_u16 v6, v[0:1], off offset:192
.LBB66_20:                              ;   in Loop: Header=BB66_12 Depth=1
	s_or_b32 exec_lo, exec_lo, s16
	s_waitcnt vmcnt(0)
	ds_store_b16 v14, v2
	ds_store_b16 v14, v5 offset:64
	ds_store_b16 v15, v3 offset:128
	;; [unrolled: 1-line block ×3, first 2 shown]
	; wave barrier
	ds_load_b64 v[0:1], v17
	v_add_co_u32 v2, s16, s47, v29
	s_delay_alu instid0(VALU_DEP_1) | instskip(SKIP_1) | instid1(VALU_DEP_2)
	v_add_co_ci_u32_e64 v3, null, s36, 0, s16
	s_waitcnt lgkmcnt(0)
	v_add_co_u32 v2, vcc_lo, v2, v30
	s_delay_alu instid0(VALU_DEP_2)
	v_add_co_ci_u32_e32 v3, vcc_lo, 0, v3, vcc_lo
	s_barrier
	buffer_gl0_inv
	s_and_saveexec_b32 s16, s12
	s_cbranch_execz .LBB66_22
; %bb.21:                               ;   in Loop: Header=BB66_12 Depth=1
	global_load_u16 v4, v[2:3], off
.LBB66_22:                              ;   in Loop: Header=BB66_12 Depth=1
	s_or_b32 exec_lo, exec_lo, s16
	v_dual_mov_b32 v5, 0 :: v_dual_mov_b32 v6, 0
	s_and_saveexec_b32 s16, s13
	s_cbranch_execnz .LBB66_86
; %bb.23:                               ;   in Loop: Header=BB66_12 Depth=1
	s_or_b32 exec_lo, exec_lo, s16
	s_and_saveexec_b32 s16, s14
	s_cbranch_execnz .LBB66_87
.LBB66_24:                              ;   in Loop: Header=BB66_12 Depth=1
	s_or_b32 exec_lo, exec_lo, s16
	v_mov_b32_e32 v7, 0
	s_and_saveexec_b32 s16, s15
	s_cbranch_execz .LBB66_26
.LBB66_25:                              ;   in Loop: Header=BB66_12 Depth=1
	global_load_u16 v7, v[2:3], off offset:192
.LBB66_26:                              ;   in Loop: Header=BB66_12 Depth=1
	s_or_b32 exec_lo, exec_lo, s16
	s_waitcnt vmcnt(0)
	ds_store_b16 v14, v4
	ds_store_b16 v14, v6 offset:64
	ds_store_b16 v15, v5 offset:128
	;; [unrolled: 1-line block ×3, first 2 shown]
	; wave barrier
	ds_load_b64 v[2:3], v17
	s_waitcnt lgkmcnt(0)
	v_cvt_f32_f16_e32 v4, v2
	s_delay_alu instid0(VALU_DEP_1) | instskip(NEXT) | instid1(VALU_DEP_1)
	v_add_f32_e32 v31, s48, v4
	v_cmp_ge_f32_e32 vcc_lo, 0x41a00000, v31
	s_and_b32 s16, s56, vcc_lo
	s_delay_alu instid0(SALU_CYCLE_1)
	s_and_saveexec_b32 s17, s16
	s_cbranch_execz .LBB66_28
; %bb.27:                               ;   in Loop: Header=BB66_12 Depth=1
	v_mul_f32_e32 v4, 0x3fb8aa3b, v31
	v_cmp_ngt_f32_e32 vcc_lo, 0xc2ce8ed0, v31
	s_delay_alu instid0(VALU_DEP_2) | instskip(SKIP_1) | instid1(VALU_DEP_2)
	v_rndne_f32_e32 v5, v4
	v_fma_f32 v6, 0x3fb8aa3b, v31, -v4
	v_sub_f32_e32 v4, v4, v5
	s_delay_alu instid0(VALU_DEP_2) | instskip(SKIP_1) | instid1(VALU_DEP_2)
	v_fmac_f32_e32 v6, 0x32a5705f, v31
	v_cvt_i32_f32_e32 v5, v5
	v_add_f32_e32 v4, v4, v6
	s_delay_alu instid0(VALU_DEP_1) | instskip(SKIP_2) | instid1(VALU_DEP_1)
	v_exp_f32_e32 v4, v4
	s_waitcnt_depctr 0xfff
	v_ldexp_f32 v4, v4, v5
	v_cndmask_b32_e32 v4, 0, v4, vcc_lo
	v_cmp_nlt_f32_e32 vcc_lo, 0x42b17218, v31
	s_delay_alu instid0(VALU_DEP_2) | instskip(NEXT) | instid1(VALU_DEP_1)
	v_cndmask_b32_e32 v6, 0x7f800000, v4, vcc_lo
	v_add_f32_e32 v7, 1.0, v6
	s_delay_alu instid0(VALU_DEP_1) | instskip(NEXT) | instid1(VALU_DEP_1)
	v_cvt_f64_f32_e32 v[4:5], v7
	v_frexp_exp_i32_f64_e32 v4, v[4:5]
	v_frexp_mant_f32_e32 v5, v7
	s_delay_alu instid0(VALU_DEP_1) | instskip(SKIP_1) | instid1(VALU_DEP_1)
	v_cmp_gt_f32_e32 vcc_lo, 0x3f2aaaab, v5
	v_add_f32_e32 v5, -1.0, v7
	v_dual_sub_f32 v32, v5, v7 :: v_dual_sub_f32 v5, v6, v5
	s_delay_alu instid0(VALU_DEP_1) | instskip(NEXT) | instid1(VALU_DEP_1)
	v_add_f32_e32 v32, 1.0, v32
	v_add_f32_e32 v5, v5, v32
	v_subrev_co_ci_u32_e32 v4, vcc_lo, 0, v4, vcc_lo
	s_delay_alu instid0(VALU_DEP_1) | instskip(SKIP_1) | instid1(VALU_DEP_2)
	v_sub_nc_u32_e32 v31, 0, v4
	v_cvt_f32_i32_e32 v4, v4
	v_ldexp_f32 v7, v7, v31
	v_ldexp_f32 v5, v5, v31
	s_delay_alu instid0(VALU_DEP_2) | instskip(SKIP_3) | instid1(VALU_DEP_4)
	v_add_f32_e32 v33, 1.0, v7
	v_add_f32_e32 v31, -1.0, v7
	v_cmp_eq_f32_e32 vcc_lo, 0x7f800000, v6
	v_cmp_gt_f32_e64 s16, 0x33800000, v6
	v_add_f32_e32 v32, -1.0, v33
	s_delay_alu instid0(VALU_DEP_4) | instskip(NEXT) | instid1(VALU_DEP_3)
	v_add_f32_e32 v34, 1.0, v31
	s_or_b32 vcc_lo, s16, vcc_lo
	s_delay_alu instid0(VALU_DEP_2) | instskip(NEXT) | instid1(VALU_DEP_1)
	v_sub_f32_e32 v32, v7, v32
	v_dual_sub_f32 v7, v7, v34 :: v_dual_add_f32 v32, v5, v32
	s_delay_alu instid0(VALU_DEP_1) | instskip(NEXT) | instid1(VALU_DEP_1)
	v_add_f32_e32 v5, v5, v7
	v_dual_add_f32 v35, v31, v5 :: v_dual_add_f32 v34, v33, v32
	s_delay_alu instid0(VALU_DEP_1) | instskip(NEXT) | instid1(VALU_DEP_2)
	v_sub_f32_e32 v31, v31, v35
	v_rcp_f32_e32 v7, v34
	v_sub_f32_e32 v33, v33, v34
	s_delay_alu instid0(VALU_DEP_1) | instskip(SKIP_2) | instid1(VALU_DEP_1)
	v_dual_add_f32 v5, v5, v31 :: v_dual_add_f32 v32, v32, v33
	s_waitcnt_depctr 0xfff
	v_mul_f32_e32 v36, v35, v7
	v_mul_f32_e32 v37, v34, v36
	s_delay_alu instid0(VALU_DEP_1) | instskip(NEXT) | instid1(VALU_DEP_1)
	v_fma_f32 v33, v36, v34, -v37
	v_fmac_f32_e32 v33, v36, v32
	s_delay_alu instid0(VALU_DEP_1) | instskip(NEXT) | instid1(VALU_DEP_1)
	v_add_f32_e32 v38, v37, v33
	v_sub_f32_e32 v39, v35, v38
	s_delay_alu instid0(VALU_DEP_1) | instskip(SKIP_1) | instid1(VALU_DEP_2)
	v_sub_f32_e32 v35, v35, v39
	v_sub_f32_e32 v31, v38, v37
	;; [unrolled: 1-line block ×3, first 2 shown]
	s_delay_alu instid0(VALU_DEP_2) | instskip(NEXT) | instid1(VALU_DEP_2)
	v_sub_f32_e32 v31, v31, v33
	v_add_f32_e32 v5, v5, v35
	s_delay_alu instid0(VALU_DEP_1) | instskip(NEXT) | instid1(VALU_DEP_1)
	v_add_f32_e32 v5, v31, v5
	v_add_f32_e32 v31, v39, v5
	s_delay_alu instid0(VALU_DEP_1) | instskip(NEXT) | instid1(VALU_DEP_1)
	v_mul_f32_e32 v33, v7, v31
	v_dual_sub_f32 v38, v39, v31 :: v_dual_mul_f32 v35, v34, v33
	s_delay_alu instid0(VALU_DEP_1) | instskip(NEXT) | instid1(VALU_DEP_2)
	v_add_f32_e32 v5, v5, v38
	v_fma_f32 v34, v33, v34, -v35
	s_delay_alu instid0(VALU_DEP_1) | instskip(NEXT) | instid1(VALU_DEP_1)
	v_fmac_f32_e32 v34, v33, v32
	v_add_f32_e32 v32, v35, v34
	s_delay_alu instid0(VALU_DEP_1) | instskip(SKIP_1) | instid1(VALU_DEP_2)
	v_sub_f32_e32 v37, v31, v32
	v_sub_f32_e32 v35, v32, v35
	;; [unrolled: 1-line block ×3, first 2 shown]
	s_delay_alu instid0(VALU_DEP_1) | instskip(NEXT) | instid1(VALU_DEP_1)
	v_sub_f32_e32 v31, v31, v32
	v_dual_sub_f32 v32, v35, v34 :: v_dual_add_f32 v5, v5, v31
	v_add_f32_e32 v31, v36, v33
	s_delay_alu instid0(VALU_DEP_1) | instskip(NEXT) | instid1(VALU_DEP_1)
	v_dual_add_f32 v5, v32, v5 :: v_dual_sub_f32 v32, v31, v36
	v_add_f32_e32 v5, v37, v5
	s_delay_alu instid0(VALU_DEP_1) | instskip(NEXT) | instid1(VALU_DEP_1)
	v_dual_sub_f32 v32, v33, v32 :: v_dual_mul_f32 v5, v7, v5
	v_add_f32_e32 v5, v32, v5
	s_delay_alu instid0(VALU_DEP_1) | instskip(NEXT) | instid1(VALU_DEP_1)
	v_add_f32_e32 v7, v31, v5
	v_mul_f32_e32 v32, v7, v7
	s_delay_alu instid0(VALU_DEP_1) | instskip(SKIP_1) | instid1(VALU_DEP_2)
	v_fmaak_f32 v33, s60, v32, 0x3ecc95a3
	v_mul_f32_e32 v34, v7, v32
	v_fmaak_f32 v32, v32, v33, 0x3f2aaada
	v_ldexp_f32 v33, v7, 1
	s_delay_alu instid0(VALU_DEP_2) | instskip(NEXT) | instid1(VALU_DEP_1)
	v_dual_sub_f32 v7, v7, v31 :: v_dual_mul_f32 v32, v34, v32
	v_dual_mul_f32 v34, 0x3f317218, v4 :: v_dual_sub_f32 v5, v5, v7
	s_delay_alu instid0(VALU_DEP_2) | instskip(NEXT) | instid1(VALU_DEP_2)
	v_add_f32_e32 v31, v33, v32
	v_ldexp_f32 v5, v5, 1
	s_delay_alu instid0(VALU_DEP_2) | instskip(NEXT) | instid1(VALU_DEP_4)
	v_sub_f32_e32 v7, v31, v33
	v_fma_f32 v33, 0x3f317218, v4, -v34
	s_delay_alu instid0(VALU_DEP_2) | instskip(NEXT) | instid1(VALU_DEP_1)
	v_sub_f32_e32 v7, v32, v7
	v_dual_fmac_f32 v33, 0xb102e308, v4 :: v_dual_add_f32 v4, v5, v7
	s_delay_alu instid0(VALU_DEP_1) | instskip(NEXT) | instid1(VALU_DEP_1)
	v_add_f32_e32 v5, v34, v33
	v_dual_add_f32 v7, v31, v4 :: v_dual_sub_f32 v34, v5, v34
	s_delay_alu instid0(VALU_DEP_1) | instskip(SKIP_1) | instid1(VALU_DEP_3)
	v_add_f32_e32 v32, v5, v7
	v_sub_f32_e32 v31, v7, v31
	v_sub_f32_e32 v33, v33, v34
	s_delay_alu instid0(VALU_DEP_3) | instskip(NEXT) | instid1(VALU_DEP_3)
	v_sub_f32_e32 v35, v32, v5
	v_sub_f32_e32 v4, v4, v31
	s_delay_alu instid0(VALU_DEP_2) | instskip(SKIP_1) | instid1(VALU_DEP_3)
	v_sub_f32_e32 v36, v32, v35
	v_sub_f32_e32 v7, v7, v35
	v_add_f32_e32 v31, v33, v4
	s_delay_alu instid0(VALU_DEP_3) | instskip(NEXT) | instid1(VALU_DEP_1)
	v_sub_f32_e32 v5, v5, v36
	v_add_f32_e32 v5, v7, v5
	s_delay_alu instid0(VALU_DEP_3) | instskip(NEXT) | instid1(VALU_DEP_1)
	v_sub_f32_e32 v7, v31, v33
	v_dual_add_f32 v5, v31, v5 :: v_dual_sub_f32 v4, v4, v7
	s_delay_alu instid0(VALU_DEP_1) | instskip(NEXT) | instid1(VALU_DEP_1)
	v_dual_sub_f32 v31, v31, v7 :: v_dual_add_f32 v34, v32, v5
	v_sub_f32_e32 v31, v33, v31
	s_delay_alu instid0(VALU_DEP_1) | instskip(NEXT) | instid1(VALU_DEP_1)
	v_dual_sub_f32 v7, v34, v32 :: v_dual_add_f32 v4, v4, v31
	v_sub_f32_e32 v5, v5, v7
	s_delay_alu instid0(VALU_DEP_1) | instskip(NEXT) | instid1(VALU_DEP_1)
	v_add_f32_e32 v4, v4, v5
	v_add_f32_e32 v4, v34, v4
	s_delay_alu instid0(VALU_DEP_1)
	v_cndmask_b32_e32 v31, v4, v6, vcc_lo
.LBB66_28:                              ;   in Loop: Header=BB66_12 Depth=1
	s_or_b32 exec_lo, exec_lo, s17
	v_lshrrev_b32_e32 v2, 16, v2
	s_delay_alu instid0(VALU_DEP_1) | instskip(NEXT) | instid1(VALU_DEP_1)
	v_cvt_f32_f16_e32 v2, v2
	v_add_f32_e32 v32, s48, v2
	s_delay_alu instid0(VALU_DEP_1) | instskip(SKIP_1) | instid1(SALU_CYCLE_1)
	v_cmp_ge_f32_e32 vcc_lo, 0x41a00000, v32
	s_and_b32 s16, s56, vcc_lo
	s_and_saveexec_b32 s17, s16
	s_cbranch_execz .LBB66_30
; %bb.29:                               ;   in Loop: Header=BB66_12 Depth=1
	v_mul_f32_e32 v2, 0x3fb8aa3b, v32
	v_cmp_ngt_f32_e32 vcc_lo, 0xc2ce8ed0, v32
	s_delay_alu instid0(VALU_DEP_2) | instskip(SKIP_1) | instid1(VALU_DEP_2)
	v_rndne_f32_e32 v4, v2
	v_fma_f32 v5, 0x3fb8aa3b, v32, -v2
	v_sub_f32_e32 v2, v2, v4
	s_delay_alu instid0(VALU_DEP_2) | instskip(SKIP_1) | instid1(VALU_DEP_2)
	v_fmac_f32_e32 v5, 0x32a5705f, v32
	v_cvt_i32_f32_e32 v4, v4
	v_add_f32_e32 v2, v2, v5
	s_delay_alu instid0(VALU_DEP_1) | instskip(SKIP_2) | instid1(VALU_DEP_1)
	v_exp_f32_e32 v2, v2
	s_waitcnt_depctr 0xfff
	v_ldexp_f32 v2, v2, v4
	v_cndmask_b32_e32 v2, 0, v2, vcc_lo
	v_cmp_nlt_f32_e32 vcc_lo, 0x42b17218, v32
	s_delay_alu instid0(VALU_DEP_2) | instskip(NEXT) | instid1(VALU_DEP_1)
	v_cndmask_b32_e32 v2, 0x7f800000, v2, vcc_lo
	v_add_f32_e32 v6, 1.0, v2
	s_delay_alu instid0(VALU_DEP_1) | instskip(NEXT) | instid1(VALU_DEP_1)
	v_cvt_f64_f32_e32 v[4:5], v6
	v_frexp_exp_i32_f64_e32 v4, v[4:5]
	v_frexp_mant_f32_e32 v5, v6
	s_delay_alu instid0(VALU_DEP_1) | instskip(SKIP_1) | instid1(VALU_DEP_1)
	v_cmp_gt_f32_e32 vcc_lo, 0x3f2aaaab, v5
	v_add_f32_e32 v5, -1.0, v6
	v_dual_sub_f32 v32, v5, v6 :: v_dual_sub_f32 v5, v2, v5
	v_subrev_co_ci_u32_e32 v4, vcc_lo, 0, v4, vcc_lo
	s_delay_alu instid0(VALU_DEP_1) | instskip(SKIP_1) | instid1(VALU_DEP_2)
	v_sub_nc_u32_e32 v7, 0, v4
	v_cvt_f32_i32_e32 v4, v4
	v_ldexp_f32 v6, v6, v7
	s_delay_alu instid0(VALU_DEP_1) | instskip(NEXT) | instid1(VALU_DEP_1)
	v_dual_add_f32 v32, 1.0, v32 :: v_dual_add_f32 v33, 1.0, v6
	v_add_f32_e32 v5, v5, v32
	s_delay_alu instid0(VALU_DEP_1) | instskip(NEXT) | instid1(VALU_DEP_3)
	v_ldexp_f32 v5, v5, v7
	v_dual_add_f32 v7, -1.0, v6 :: v_dual_add_f32 v32, -1.0, v33
	s_delay_alu instid0(VALU_DEP_1) | instskip(NEXT) | instid1(VALU_DEP_2)
	v_add_f32_e32 v34, 1.0, v7
	v_sub_f32_e32 v32, v6, v32
	s_delay_alu instid0(VALU_DEP_2) | instskip(NEXT) | instid1(VALU_DEP_2)
	v_sub_f32_e32 v6, v6, v34
	v_add_f32_e32 v32, v5, v32
	s_delay_alu instid0(VALU_DEP_2) | instskip(NEXT) | instid1(VALU_DEP_1)
	v_add_f32_e32 v5, v5, v6
	v_dual_add_f32 v35, v7, v5 :: v_dual_add_f32 v34, v33, v32
	v_cmp_eq_f32_e32 vcc_lo, 0x7f800000, v2
	v_cmp_gt_f32_e64 s16, 0x33800000, v2
	s_delay_alu instid0(VALU_DEP_3) | instskip(NEXT) | instid1(VALU_DEP_4)
	v_sub_f32_e32 v7, v7, v35
	v_rcp_f32_e32 v6, v34
	v_sub_f32_e32 v33, v33, v34
	s_delay_alu instid0(VALU_DEP_3) | instskip(NEXT) | instid1(VALU_DEP_1)
	s_or_b32 vcc_lo, s16, vcc_lo
	v_dual_add_f32 v5, v5, v7 :: v_dual_add_f32 v32, v32, v33
	s_waitcnt_depctr 0xfff
	v_mul_f32_e32 v36, v35, v6
	s_delay_alu instid0(VALU_DEP_1) | instskip(NEXT) | instid1(VALU_DEP_1)
	v_mul_f32_e32 v37, v34, v36
	v_fma_f32 v33, v36, v34, -v37
	s_delay_alu instid0(VALU_DEP_1) | instskip(NEXT) | instid1(VALU_DEP_1)
	v_fmac_f32_e32 v33, v36, v32
	v_add_f32_e32 v38, v37, v33
	s_delay_alu instid0(VALU_DEP_1) | instskip(NEXT) | instid1(VALU_DEP_1)
	v_sub_f32_e32 v39, v35, v38
	v_sub_f32_e32 v35, v35, v39
	s_delay_alu instid0(VALU_DEP_1) | instskip(SKIP_1) | instid1(VALU_DEP_2)
	v_sub_f32_e32 v35, v35, v38
	v_sub_f32_e32 v7, v38, v37
	v_add_f32_e32 v5, v5, v35
	s_delay_alu instid0(VALU_DEP_2) | instskip(NEXT) | instid1(VALU_DEP_1)
	v_sub_f32_e32 v7, v7, v33
	v_add_f32_e32 v5, v7, v5
	s_delay_alu instid0(VALU_DEP_1) | instskip(NEXT) | instid1(VALU_DEP_1)
	v_add_f32_e32 v7, v39, v5
	v_mul_f32_e32 v33, v6, v7
	s_delay_alu instid0(VALU_DEP_1) | instskip(NEXT) | instid1(VALU_DEP_1)
	v_dual_sub_f32 v38, v39, v7 :: v_dual_mul_f32 v35, v34, v33
	v_add_f32_e32 v5, v5, v38
	s_delay_alu instid0(VALU_DEP_2) | instskip(NEXT) | instid1(VALU_DEP_1)
	v_fma_f32 v34, v33, v34, -v35
	v_fmac_f32_e32 v34, v33, v32
	s_delay_alu instid0(VALU_DEP_1) | instskip(NEXT) | instid1(VALU_DEP_1)
	v_add_f32_e32 v32, v35, v34
	v_sub_f32_e32 v37, v7, v32
	s_delay_alu instid0(VALU_DEP_1) | instskip(NEXT) | instid1(VALU_DEP_1)
	v_sub_f32_e32 v7, v7, v37
	v_sub_f32_e32 v7, v7, v32
	s_delay_alu instid0(VALU_DEP_1) | instskip(SKIP_2) | instid1(VALU_DEP_1)
	v_add_f32_e32 v5, v5, v7
	v_add_f32_e32 v7, v36, v33
	v_sub_f32_e32 v35, v32, v35
	v_sub_f32_e32 v32, v35, v34
	s_delay_alu instid0(VALU_DEP_1) | instskip(NEXT) | instid1(VALU_DEP_1)
	v_dual_add_f32 v5, v32, v5 :: v_dual_sub_f32 v32, v7, v36
	v_add_f32_e32 v5, v37, v5
	s_delay_alu instid0(VALU_DEP_1) | instskip(NEXT) | instid1(VALU_DEP_1)
	v_dual_sub_f32 v32, v33, v32 :: v_dual_mul_f32 v5, v6, v5
	v_add_f32_e32 v5, v32, v5
	s_delay_alu instid0(VALU_DEP_1) | instskip(NEXT) | instid1(VALU_DEP_1)
	v_add_f32_e32 v6, v7, v5
	v_mul_f32_e32 v32, v6, v6
	s_delay_alu instid0(VALU_DEP_1) | instskip(SKIP_1) | instid1(VALU_DEP_2)
	v_fmaak_f32 v33, s60, v32, 0x3ecc95a3
	v_mul_f32_e32 v34, v6, v32
	v_fmaak_f32 v32, v32, v33, 0x3f2aaada
	v_ldexp_f32 v33, v6, 1
	v_sub_f32_e32 v6, v6, v7
	s_delay_alu instid0(VALU_DEP_3) | instskip(SKIP_1) | instid1(VALU_DEP_2)
	v_mul_f32_e32 v32, v34, v32
	v_mul_f32_e32 v34, 0x3f317218, v4
	v_add_f32_e32 v7, v33, v32
	s_delay_alu instid0(VALU_DEP_1) | instskip(NEXT) | instid1(VALU_DEP_3)
	v_dual_sub_f32 v5, v5, v6 :: v_dual_sub_f32 v6, v7, v33
	v_fma_f32 v33, 0x3f317218, v4, -v34
	s_delay_alu instid0(VALU_DEP_2) | instskip(NEXT) | instid1(VALU_DEP_2)
	v_ldexp_f32 v5, v5, 1
	v_dual_sub_f32 v6, v32, v6 :: v_dual_fmac_f32 v33, 0xb102e308, v4
	s_delay_alu instid0(VALU_DEP_1) | instskip(NEXT) | instid1(VALU_DEP_1)
	v_dual_add_f32 v4, v5, v6 :: v_dual_add_f32 v5, v34, v33
	v_add_f32_e32 v6, v7, v4
	s_delay_alu instid0(VALU_DEP_1) | instskip(NEXT) | instid1(VALU_DEP_1)
	v_add_f32_e32 v32, v5, v6
	v_sub_f32_e32 v35, v32, v5
	s_delay_alu instid0(VALU_DEP_1) | instskip(SKIP_2) | instid1(VALU_DEP_2)
	v_sub_f32_e32 v36, v32, v35
	v_sub_f32_e32 v7, v6, v7
	;; [unrolled: 1-line block ×5, first 2 shown]
	s_delay_alu instid0(VALU_DEP_1) | instskip(NEXT) | instid1(VALU_DEP_1)
	v_sub_f32_e32 v33, v33, v34
	v_add_f32_e32 v7, v33, v4
	v_sub_f32_e32 v5, v5, v36
	s_delay_alu instid0(VALU_DEP_1) | instskip(NEXT) | instid1(VALU_DEP_3)
	v_add_f32_e32 v5, v6, v5
	v_sub_f32_e32 v6, v7, v33
	s_delay_alu instid0(VALU_DEP_1) | instskip(NEXT) | instid1(VALU_DEP_1)
	v_dual_sub_f32 v4, v4, v6 :: v_dual_add_f32 v5, v7, v5
	v_dual_sub_f32 v7, v7, v6 :: v_dual_add_f32 v34, v32, v5
	s_delay_alu instid0(VALU_DEP_1) | instskip(NEXT) | instid1(VALU_DEP_1)
	v_dual_sub_f32 v7, v33, v7 :: v_dual_sub_f32 v6, v34, v32
	v_dual_add_f32 v4, v4, v7 :: v_dual_sub_f32 v5, v5, v6
	s_delay_alu instid0(VALU_DEP_1) | instskip(NEXT) | instid1(VALU_DEP_1)
	v_add_f32_e32 v4, v4, v5
	v_add_f32_e32 v4, v34, v4
	s_delay_alu instid0(VALU_DEP_1)
	v_cndmask_b32_e32 v32, v4, v2, vcc_lo
.LBB66_30:                              ;   in Loop: Header=BB66_12 Depth=1
	s_or_b32 exec_lo, exec_lo, s17
	v_cvt_f32_f16_e32 v2, v3
	s_delay_alu instid0(VALU_DEP_1) | instskip(NEXT) | instid1(VALU_DEP_1)
	v_add_f32_e32 v33, s48, v2
	v_cmp_ge_f32_e32 vcc_lo, 0x41a00000, v33
	s_and_b32 s16, s56, vcc_lo
	s_delay_alu instid0(SALU_CYCLE_1)
	s_and_saveexec_b32 s17, s16
	s_cbranch_execz .LBB66_32
; %bb.31:                               ;   in Loop: Header=BB66_12 Depth=1
	v_mul_f32_e32 v2, 0x3fb8aa3b, v33
	v_cmp_ngt_f32_e32 vcc_lo, 0xc2ce8ed0, v33
	s_delay_alu instid0(VALU_DEP_2) | instskip(SKIP_1) | instid1(VALU_DEP_1)
	v_rndne_f32_e32 v4, v2
	v_fma_f32 v5, 0x3fb8aa3b, v33, -v2
	v_dual_sub_f32 v2, v2, v4 :: v_dual_fmac_f32 v5, 0x32a5705f, v33
	v_cvt_i32_f32_e32 v4, v4
	s_delay_alu instid0(VALU_DEP_2) | instskip(NEXT) | instid1(VALU_DEP_1)
	v_add_f32_e32 v2, v2, v5
	v_exp_f32_e32 v2, v2
	s_waitcnt_depctr 0xfff
	v_ldexp_f32 v2, v2, v4
	s_delay_alu instid0(VALU_DEP_1) | instskip(SKIP_1) | instid1(VALU_DEP_2)
	v_cndmask_b32_e32 v2, 0, v2, vcc_lo
	v_cmp_nlt_f32_e32 vcc_lo, 0x42b17218, v33
	v_cndmask_b32_e32 v2, 0x7f800000, v2, vcc_lo
	s_delay_alu instid0(VALU_DEP_1) | instskip(NEXT) | instid1(VALU_DEP_1)
	v_add_f32_e32 v6, 1.0, v2
	v_cvt_f64_f32_e32 v[4:5], v6
	s_delay_alu instid0(VALU_DEP_1) | instskip(SKIP_1) | instid1(VALU_DEP_1)
	v_frexp_exp_i32_f64_e32 v4, v[4:5]
	v_frexp_mant_f32_e32 v5, v6
	v_cmp_gt_f32_e32 vcc_lo, 0x3f2aaaab, v5
	v_add_f32_e32 v5, -1.0, v6
	s_delay_alu instid0(VALU_DEP_1) | instskip(SKIP_1) | instid1(VALU_DEP_2)
	v_sub_f32_e32 v33, v5, v6
	v_sub_f32_e32 v5, v2, v5
	v_add_f32_e32 v33, 1.0, v33
	s_delay_alu instid0(VALU_DEP_1) | instskip(SKIP_3) | instid1(VALU_DEP_2)
	v_add_f32_e32 v5, v5, v33
	v_cmp_gt_f32_e64 s16, 0x33800000, v2
	v_subrev_co_ci_u32_e32 v4, vcc_lo, 0, v4, vcc_lo
	v_cmp_eq_f32_e32 vcc_lo, 0x7f800000, v2
	v_sub_nc_u32_e32 v7, 0, v4
	v_cvt_f32_i32_e32 v4, v4
	s_or_b32 vcc_lo, s16, vcc_lo
	s_delay_alu instid0(VALU_DEP_2) | instskip(SKIP_1) | instid1(VALU_DEP_2)
	v_ldexp_f32 v6, v6, v7
	v_ldexp_f32 v5, v5, v7
	v_add_f32_e32 v34, 1.0, v6
	v_add_f32_e32 v7, -1.0, v6
	s_delay_alu instid0(VALU_DEP_1) | instskip(NEXT) | instid1(VALU_DEP_3)
	v_add_f32_e32 v35, 1.0, v7
	v_add_f32_e32 v33, -1.0, v34
	s_delay_alu instid0(VALU_DEP_1) | instskip(NEXT) | instid1(VALU_DEP_1)
	v_sub_f32_e32 v33, v6, v33
	v_dual_sub_f32 v6, v6, v35 :: v_dual_add_f32 v33, v5, v33
	s_delay_alu instid0(VALU_DEP_1) | instskip(NEXT) | instid1(VALU_DEP_2)
	v_add_f32_e32 v35, v34, v33
	v_add_f32_e32 v5, v5, v6
	s_delay_alu instid0(VALU_DEP_2) | instskip(SKIP_1) | instid1(VALU_DEP_1)
	v_rcp_f32_e32 v6, v35
	v_sub_f32_e32 v34, v34, v35
	v_dual_add_f32 v36, v7, v5 :: v_dual_add_f32 v33, v33, v34
	s_delay_alu instid0(VALU_DEP_1) | instskip(SKIP_2) | instid1(VALU_DEP_1)
	v_sub_f32_e32 v7, v7, v36
	s_waitcnt_depctr 0xfff
	v_mul_f32_e32 v37, v36, v6
	v_mul_f32_e32 v38, v35, v37
	s_delay_alu instid0(VALU_DEP_1) | instskip(NEXT) | instid1(VALU_DEP_1)
	v_fma_f32 v34, v37, v35, -v38
	v_fmac_f32_e32 v34, v37, v33
	s_delay_alu instid0(VALU_DEP_1) | instskip(NEXT) | instid1(VALU_DEP_1)
	v_add_f32_e32 v39, v38, v34
	v_sub_f32_e32 v40, v36, v39
	s_delay_alu instid0(VALU_DEP_1) | instskip(NEXT) | instid1(VALU_DEP_1)
	v_dual_sub_f32 v36, v36, v40 :: v_dual_add_f32 v5, v5, v7
	v_dual_sub_f32 v7, v39, v38 :: v_dual_sub_f32 v36, v36, v39
	s_delay_alu instid0(VALU_DEP_1) | instskip(NEXT) | instid1(VALU_DEP_2)
	v_sub_f32_e32 v7, v7, v34
	v_add_f32_e32 v5, v5, v36
	s_delay_alu instid0(VALU_DEP_1) | instskip(NEXT) | instid1(VALU_DEP_1)
	v_add_f32_e32 v5, v7, v5
	v_add_f32_e32 v7, v40, v5
	s_delay_alu instid0(VALU_DEP_1) | instskip(NEXT) | instid1(VALU_DEP_1)
	v_mul_f32_e32 v34, v6, v7
	v_dual_sub_f32 v39, v40, v7 :: v_dual_mul_f32 v36, v35, v34
	s_delay_alu instid0(VALU_DEP_1) | instskip(NEXT) | instid1(VALU_DEP_2)
	v_add_f32_e32 v5, v5, v39
	v_fma_f32 v35, v34, v35, -v36
	s_delay_alu instid0(VALU_DEP_1) | instskip(NEXT) | instid1(VALU_DEP_1)
	v_fmac_f32_e32 v35, v34, v33
	v_add_f32_e32 v33, v36, v35
	s_delay_alu instid0(VALU_DEP_1) | instskip(NEXT) | instid1(VALU_DEP_1)
	v_sub_f32_e32 v38, v7, v33
	v_dual_sub_f32 v36, v33, v36 :: v_dual_sub_f32 v7, v7, v38
	s_delay_alu instid0(VALU_DEP_1) | instskip(NEXT) | instid1(VALU_DEP_2)
	v_sub_f32_e32 v7, v7, v33
	v_sub_f32_e32 v33, v36, v35
	s_delay_alu instid0(VALU_DEP_2) | instskip(SKIP_1) | instid1(VALU_DEP_2)
	v_add_f32_e32 v5, v5, v7
	v_add_f32_e32 v7, v37, v34
	;; [unrolled: 1-line block ×3, first 2 shown]
	s_delay_alu instid0(VALU_DEP_2) | instskip(NEXT) | instid1(VALU_DEP_2)
	v_sub_f32_e32 v33, v7, v37
	v_add_f32_e32 v5, v38, v5
	s_delay_alu instid0(VALU_DEP_2) | instskip(NEXT) | instid1(VALU_DEP_2)
	v_sub_f32_e32 v33, v34, v33
	v_mul_f32_e32 v5, v6, v5
	s_delay_alu instid0(VALU_DEP_1) | instskip(NEXT) | instid1(VALU_DEP_1)
	v_add_f32_e32 v5, v33, v5
	v_add_f32_e32 v6, v7, v5
	s_delay_alu instid0(VALU_DEP_1) | instskip(NEXT) | instid1(VALU_DEP_1)
	v_mul_f32_e32 v33, v6, v6
	v_fmaak_f32 v34, s60, v33, 0x3ecc95a3
	v_mul_f32_e32 v35, v6, v33
	s_delay_alu instid0(VALU_DEP_2) | instskip(SKIP_1) | instid1(VALU_DEP_2)
	v_fmaak_f32 v33, v33, v34, 0x3f2aaada
	v_ldexp_f32 v34, v6, 1
	v_dual_sub_f32 v6, v6, v7 :: v_dual_mul_f32 v33, v35, v33
	v_mul_f32_e32 v35, 0x3f317218, v4
	s_delay_alu instid0(VALU_DEP_2) | instskip(NEXT) | instid1(VALU_DEP_3)
	v_sub_f32_e32 v5, v5, v6
	v_add_f32_e32 v7, v34, v33
	s_delay_alu instid0(VALU_DEP_2) | instskip(NEXT) | instid1(VALU_DEP_2)
	v_ldexp_f32 v5, v5, 1
	v_sub_f32_e32 v6, v7, v34
	v_fma_f32 v34, 0x3f317218, v4, -v35
	s_delay_alu instid0(VALU_DEP_2) | instskip(NEXT) | instid1(VALU_DEP_2)
	v_sub_f32_e32 v6, v33, v6
	v_fmac_f32_e32 v34, 0xb102e308, v4
	s_delay_alu instid0(VALU_DEP_2) | instskip(NEXT) | instid1(VALU_DEP_2)
	v_add_f32_e32 v4, v5, v6
	v_add_f32_e32 v5, v35, v34
	s_delay_alu instid0(VALU_DEP_1) | instskip(NEXT) | instid1(VALU_DEP_1)
	v_dual_add_f32 v6, v7, v4 :: v_dual_sub_f32 v35, v5, v35
	v_add_f32_e32 v33, v5, v6
	v_sub_f32_e32 v7, v6, v7
	s_delay_alu instid0(VALU_DEP_3) | instskip(NEXT) | instid1(VALU_DEP_3)
	v_sub_f32_e32 v34, v34, v35
	v_sub_f32_e32 v36, v33, v5
	s_delay_alu instid0(VALU_DEP_1) | instskip(SKIP_1) | instid1(VALU_DEP_2)
	v_dual_sub_f32 v4, v4, v7 :: v_dual_sub_f32 v37, v33, v36
	v_sub_f32_e32 v6, v6, v36
	v_add_f32_e32 v7, v34, v4
	s_delay_alu instid0(VALU_DEP_3) | instskip(NEXT) | instid1(VALU_DEP_1)
	v_sub_f32_e32 v5, v5, v37
	v_dual_add_f32 v5, v6, v5 :: v_dual_sub_f32 v6, v7, v34
	s_delay_alu instid0(VALU_DEP_1) | instskip(NEXT) | instid1(VALU_DEP_2)
	v_add_f32_e32 v5, v7, v5
	v_sub_f32_e32 v7, v7, v6
	s_delay_alu instid0(VALU_DEP_2) | instskip(NEXT) | instid1(VALU_DEP_1)
	v_dual_sub_f32 v4, v4, v6 :: v_dual_add_f32 v35, v33, v5
	v_dual_sub_f32 v7, v34, v7 :: v_dual_sub_f32 v6, v35, v33
	s_delay_alu instid0(VALU_DEP_1) | instskip(NEXT) | instid1(VALU_DEP_1)
	v_dual_add_f32 v4, v4, v7 :: v_dual_sub_f32 v5, v5, v6
	v_add_f32_e32 v4, v4, v5
	s_delay_alu instid0(VALU_DEP_1) | instskip(NEXT) | instid1(VALU_DEP_1)
	v_add_f32_e32 v4, v35, v4
	v_cndmask_b32_e32 v33, v4, v2, vcc_lo
.LBB66_32:                              ;   in Loop: Header=BB66_12 Depth=1
	s_or_b32 exec_lo, exec_lo, s17
	v_lshrrev_b32_e32 v2, 16, v3
	s_delay_alu instid0(VALU_DEP_1) | instskip(NEXT) | instid1(VALU_DEP_1)
	v_cvt_f32_f16_e32 v2, v2
	v_add_f32_e32 v34, s48, v2
	s_delay_alu instid0(VALU_DEP_1) | instskip(SKIP_1) | instid1(SALU_CYCLE_1)
	v_cmp_ge_f32_e32 vcc_lo, 0x41a00000, v34
	s_and_b32 s16, s56, vcc_lo
	s_and_saveexec_b32 s17, s16
	s_cbranch_execz .LBB66_34
; %bb.33:                               ;   in Loop: Header=BB66_12 Depth=1
	v_mul_f32_e32 v2, 0x3fb8aa3b, v34
	v_cmp_ngt_f32_e32 vcc_lo, 0xc2ce8ed0, v34
	s_delay_alu instid0(VALU_DEP_2) | instskip(SKIP_1) | instid1(VALU_DEP_2)
	v_rndne_f32_e32 v3, v2
	v_fma_f32 v4, 0x3fb8aa3b, v34, -v2
	v_sub_f32_e32 v2, v2, v3
	s_delay_alu instid0(VALU_DEP_2) | instskip(SKIP_1) | instid1(VALU_DEP_2)
	v_fmac_f32_e32 v4, 0x32a5705f, v34
	v_cvt_i32_f32_e32 v3, v3
	v_add_f32_e32 v2, v2, v4
	s_delay_alu instid0(VALU_DEP_1) | instskip(SKIP_2) | instid1(VALU_DEP_1)
	v_exp_f32_e32 v2, v2
	s_waitcnt_depctr 0xfff
	v_ldexp_f32 v2, v2, v3
	v_cndmask_b32_e32 v2, 0, v2, vcc_lo
	v_cmp_nlt_f32_e32 vcc_lo, 0x42b17218, v34
	s_delay_alu instid0(VALU_DEP_2) | instskip(NEXT) | instid1(VALU_DEP_1)
	v_cndmask_b32_e32 v4, 0x7f800000, v2, vcc_lo
	v_add_f32_e32 v5, 1.0, v4
	s_delay_alu instid0(VALU_DEP_1) | instskip(NEXT) | instid1(VALU_DEP_1)
	v_cvt_f64_f32_e32 v[2:3], v5
	v_frexp_exp_i32_f64_e32 v2, v[2:3]
	v_frexp_mant_f32_e32 v3, v5
	s_delay_alu instid0(VALU_DEP_1) | instskip(SKIP_1) | instid1(VALU_DEP_1)
	v_cmp_gt_f32_e32 vcc_lo, 0x3f2aaaab, v3
	v_add_f32_e32 v3, -1.0, v5
	v_sub_f32_e32 v7, v3, v5
	v_sub_f32_e32 v3, v4, v3
	s_delay_alu instid0(VALU_DEP_2) | instskip(NEXT) | instid1(VALU_DEP_1)
	v_add_f32_e32 v7, 1.0, v7
	v_add_f32_e32 v3, v3, v7
	v_cmp_gt_f32_e64 s16, 0x33800000, v4
	v_subrev_co_ci_u32_e32 v2, vcc_lo, 0, v2, vcc_lo
	v_cmp_eq_f32_e32 vcc_lo, 0x7f800000, v4
	s_delay_alu instid0(VALU_DEP_2) | instskip(SKIP_2) | instid1(VALU_DEP_2)
	v_sub_nc_u32_e32 v6, 0, v2
	v_cvt_f32_i32_e32 v2, v2
	s_or_b32 vcc_lo, s16, vcc_lo
	v_ldexp_f32 v5, v5, v6
	v_ldexp_f32 v3, v3, v6
	s_delay_alu instid0(VALU_DEP_2) | instskip(NEXT) | instid1(VALU_DEP_1)
	v_add_f32_e32 v34, 1.0, v5
	v_dual_add_f32 v6, -1.0, v5 :: v_dual_add_f32 v7, -1.0, v34
	s_delay_alu instid0(VALU_DEP_1) | instskip(NEXT) | instid1(VALU_DEP_2)
	v_add_f32_e32 v35, 1.0, v6
	v_sub_f32_e32 v7, v5, v7
	s_delay_alu instid0(VALU_DEP_2) | instskip(NEXT) | instid1(VALU_DEP_2)
	v_sub_f32_e32 v5, v5, v35
	v_add_f32_e32 v7, v3, v7
	s_delay_alu instid0(VALU_DEP_2) | instskip(NEXT) | instid1(VALU_DEP_1)
	v_add_f32_e32 v3, v3, v5
	v_add_f32_e32 v36, v6, v3
	s_delay_alu instid0(VALU_DEP_1) | instskip(NEXT) | instid1(VALU_DEP_4)
	v_sub_f32_e32 v6, v6, v36
	v_add_f32_e32 v35, v34, v7
	s_delay_alu instid0(VALU_DEP_1) | instskip(NEXT) | instid1(VALU_DEP_2)
	v_rcp_f32_e32 v5, v35
	v_dual_sub_f32 v34, v34, v35 :: v_dual_add_f32 v3, v3, v6
	s_delay_alu instid0(VALU_DEP_1) | instskip(SKIP_2) | instid1(VALU_DEP_1)
	v_add_f32_e32 v7, v7, v34
	s_waitcnt_depctr 0xfff
	v_mul_f32_e32 v37, v36, v5
	v_mul_f32_e32 v38, v35, v37
	s_delay_alu instid0(VALU_DEP_1) | instskip(NEXT) | instid1(VALU_DEP_1)
	v_fma_f32 v34, v37, v35, -v38
	v_fmac_f32_e32 v34, v37, v7
	s_delay_alu instid0(VALU_DEP_1) | instskip(NEXT) | instid1(VALU_DEP_1)
	v_add_f32_e32 v39, v38, v34
	v_sub_f32_e32 v40, v36, v39
	v_sub_f32_e32 v6, v39, v38
	s_delay_alu instid0(VALU_DEP_2) | instskip(NEXT) | instid1(VALU_DEP_1)
	v_sub_f32_e32 v36, v36, v40
	v_sub_f32_e32 v36, v36, v39
	s_delay_alu instid0(VALU_DEP_1) | instskip(NEXT) | instid1(VALU_DEP_1)
	v_dual_sub_f32 v6, v6, v34 :: v_dual_add_f32 v3, v3, v36
	v_add_f32_e32 v3, v6, v3
	s_delay_alu instid0(VALU_DEP_1) | instskip(NEXT) | instid1(VALU_DEP_1)
	v_add_f32_e32 v6, v40, v3
	v_mul_f32_e32 v34, v5, v6
	v_sub_f32_e32 v39, v40, v6
	s_delay_alu instid0(VALU_DEP_2) | instskip(NEXT) | instid1(VALU_DEP_2)
	v_mul_f32_e32 v36, v35, v34
	v_add_f32_e32 v3, v3, v39
	s_delay_alu instid0(VALU_DEP_2) | instskip(NEXT) | instid1(VALU_DEP_1)
	v_fma_f32 v35, v34, v35, -v36
	v_fmac_f32_e32 v35, v34, v7
	s_delay_alu instid0(VALU_DEP_1) | instskip(NEXT) | instid1(VALU_DEP_1)
	v_add_f32_e32 v7, v36, v35
	v_sub_f32_e32 v38, v6, v7
	s_delay_alu instid0(VALU_DEP_1) | instskip(NEXT) | instid1(VALU_DEP_1)
	v_sub_f32_e32 v6, v6, v38
	v_sub_f32_e32 v6, v6, v7
	s_delay_alu instid0(VALU_DEP_1) | instskip(SKIP_2) | instid1(VALU_DEP_1)
	v_add_f32_e32 v3, v3, v6
	v_add_f32_e32 v6, v37, v34
	v_sub_f32_e32 v36, v7, v36
	v_sub_f32_e32 v7, v36, v35
	s_delay_alu instid0(VALU_DEP_1) | instskip(NEXT) | instid1(VALU_DEP_4)
	v_add_f32_e32 v3, v7, v3
	v_sub_f32_e32 v7, v6, v37
	s_delay_alu instid0(VALU_DEP_2) | instskip(NEXT) | instid1(VALU_DEP_2)
	v_add_f32_e32 v3, v38, v3
	v_sub_f32_e32 v7, v34, v7
	s_delay_alu instid0(VALU_DEP_2) | instskip(NEXT) | instid1(VALU_DEP_1)
	v_mul_f32_e32 v3, v5, v3
	v_add_f32_e32 v3, v7, v3
	s_delay_alu instid0(VALU_DEP_1) | instskip(NEXT) | instid1(VALU_DEP_1)
	v_add_f32_e32 v5, v6, v3
	v_mul_f32_e32 v7, v5, v5
	s_delay_alu instid0(VALU_DEP_1) | instskip(SKIP_1) | instid1(VALU_DEP_2)
	v_fmaak_f32 v34, s60, v7, 0x3ecc95a3
	v_mul_f32_e32 v35, v5, v7
	v_fmaak_f32 v7, v7, v34, 0x3f2aaada
	v_ldexp_f32 v34, v5, 1
	v_sub_f32_e32 v5, v5, v6
	s_delay_alu instid0(VALU_DEP_3) | instskip(SKIP_1) | instid1(VALU_DEP_2)
	v_mul_f32_e32 v7, v35, v7
	v_mul_f32_e32 v35, 0x3f317218, v2
	v_dual_sub_f32 v3, v3, v5 :: v_dual_add_f32 v6, v34, v7
	s_delay_alu instid0(VALU_DEP_1) | instskip(NEXT) | instid1(VALU_DEP_2)
	v_ldexp_f32 v3, v3, 1
	v_sub_f32_e32 v5, v6, v34
	s_delay_alu instid0(VALU_DEP_4) | instskip(NEXT) | instid1(VALU_DEP_1)
	v_fma_f32 v34, 0x3f317218, v2, -v35
	v_dual_sub_f32 v5, v7, v5 :: v_dual_fmac_f32 v34, 0xb102e308, v2
	s_delay_alu instid0(VALU_DEP_1) | instskip(NEXT) | instid1(VALU_DEP_1)
	v_add_f32_e32 v2, v3, v5
	v_add_f32_e32 v5, v6, v2
	s_delay_alu instid0(VALU_DEP_1) | instskip(NEXT) | instid1(VALU_DEP_1)
	v_sub_f32_e32 v6, v5, v6
	v_sub_f32_e32 v2, v2, v6
	v_add_f32_e32 v3, v35, v34
	s_delay_alu instid0(VALU_DEP_1) | instskip(SKIP_1) | instid1(VALU_DEP_2)
	v_add_f32_e32 v7, v3, v5
	v_sub_f32_e32 v35, v3, v35
	v_sub_f32_e32 v36, v7, v3
	s_delay_alu instid0(VALU_DEP_1) | instskip(NEXT) | instid1(VALU_DEP_1)
	v_dual_sub_f32 v34, v34, v35 :: v_dual_sub_f32 v37, v7, v36
	v_dual_sub_f32 v5, v5, v36 :: v_dual_add_f32 v6, v34, v2
	s_delay_alu instid0(VALU_DEP_2) | instskip(NEXT) | instid1(VALU_DEP_1)
	v_sub_f32_e32 v3, v3, v37
	v_add_f32_e32 v3, v5, v3
	s_delay_alu instid0(VALU_DEP_3) | instskip(NEXT) | instid1(VALU_DEP_2)
	v_sub_f32_e32 v5, v6, v34
	v_add_f32_e32 v3, v6, v3
	s_delay_alu instid0(VALU_DEP_2) | instskip(NEXT) | instid1(VALU_DEP_2)
	v_sub_f32_e32 v6, v6, v5
	v_dual_sub_f32 v2, v2, v5 :: v_dual_add_f32 v35, v7, v3
	s_delay_alu instid0(VALU_DEP_1) | instskip(NEXT) | instid1(VALU_DEP_1)
	v_dual_sub_f32 v6, v34, v6 :: v_dual_sub_f32 v5, v35, v7
	v_dual_add_f32 v2, v2, v6 :: v_dual_sub_f32 v3, v3, v5
	s_delay_alu instid0(VALU_DEP_1) | instskip(NEXT) | instid1(VALU_DEP_1)
	v_add_f32_e32 v2, v2, v3
	v_add_f32_e32 v2, v35, v2
	s_delay_alu instid0(VALU_DEP_1)
	v_cndmask_b32_e32 v34, v2, v4, vcc_lo
.LBB66_34:                              ;   in Loop: Header=BB66_12 Depth=1
	s_or_b32 exec_lo, exec_lo, s17
	v_lshrrev_b32_e32 v2, 16, v0
	v_lshrrev_b32_e32 v3, 16, v1
	v_cvt_f32_f16_e32 v1, v1
	v_cvt_f32_f16_e32 v0, v0
	s_and_b32 vcc_lo, exec_lo, s57
	v_cvt_f32_f16_e32 v2, v2
	v_cvt_f32_f16_e32 v3, v3
	s_delay_alu instid0(VALU_DEP_3) | instskip(NEXT) | instid1(VALU_DEP_2)
	v_dual_mul_f32 v35, s49, v1 :: v_dual_mul_f32 v38, s49, v0
	v_dual_mul_f32 v36, s49, v2 :: v_dual_mul_f32 v37, s49, v3
	s_barrier
	buffer_gl0_inv
	s_cbranch_vccz .LBB66_82
; %bb.35:                               ;   in Loop: Header=BB66_12 Depth=1
	v_dual_mul_f32 v39, v34, v3 :: v_dual_mul_f32 v44, v33, v1
	v_add_co_u32 v3, s16, s27, v29
	s_delay_alu instid0(VALU_DEP_1) | instskip(SKIP_1) | instid1(VALU_DEP_1)
	v_add_co_ci_u32_e64 v4, null, s41, 0, s16
	v_add_co_u32 v5, s16, s45, v29
	v_add_co_ci_u32_e64 v6, null, s52, 0, s16
	s_delay_alu instid0(VALU_DEP_4) | instskip(NEXT) | instid1(VALU_DEP_4)
	v_add_co_u32 v40, vcc_lo, v3, v30
	v_add_co_ci_u32_e32 v41, vcc_lo, 0, v4, vcc_lo
	s_delay_alu instid0(VALU_DEP_4) | instskip(NEXT) | instid1(VALU_DEP_4)
	v_add_co_u32 v42, vcc_lo, v5, v30
	v_add_co_ci_u32_e32 v43, vcc_lo, 0, v6, vcc_lo
	v_cmp_gt_u32_e32 vcc_lo, s19, v8
	v_cmp_gt_u32_e64 s17, s19, v26
	v_cmp_gt_u32_e64 s18, s19, v27
	;; [unrolled: 1-line block ×3, first 2 shown]
	s_cmp_lg_u32 s62, 0
	v_dual_mul_f32 v45, v32, v2 :: v_dual_mul_f32 v46, v31, v0
	s_mov_b32 s28, 0
	s_cselect_b32 s25, -1, 0
	s_cmp_eq_u32 s62, s59
	s_mov_b32 s30, s28
	s_cselect_b32 s63, -1, 0
	s_or_b32 s16, s58, vcc_lo
	s_or_b32 s17, s58, s17
	s_or_b32 s18, s58, s18
	;; [unrolled: 1-line block ×3, first 2 shown]
	s_mov_b32 s34, s28
	s_mov_b32 s38, s28
	;; [unrolled: 1-line block ×4, first 2 shown]
	s_branch .LBB66_37
.LBB66_36:                              ;   in Loop: Header=BB66_37 Depth=2
	s_or_b32 exec_lo, exec_lo, s20
	v_cndmask_b32_e64 v2, v56, v7, s11
	v_cndmask_b32_e64 v3, v55, v6, s11
	s_add_i32 s64, s64, -1
	s_add_i32 s65, s65, 8
	s_add_i32 s38, s38, s26
	v_fma_f32 v2, v2, v52, v49
	v_mul_f32_e32 v3, v3, v52
	s_add_i32 s34, s34, s44
	s_add_i32 s30, s30, s40
	;; [unrolled: 1-line block ×3, first 2 shown]
	v_cndmask_b32_e64 v2, v2, v49, s10
	v_cndmask_b32_e64 v3, v3, v52, s10
	s_cmp_eq_u32 s64, 0
	s_waitcnt lgkmcnt(0)
	s_delay_alu instid0(VALU_DEP_1) | instskip(NEXT) | instid1(VALU_DEP_1)
	v_fmac_f32_e32 v2, v4, v3
	v_fmac_f32_e32 v47, v2, v53
	v_fma_mix_f32 v38, v2, v0, v38 op_sel_hi:[0,1,0]
	s_delay_alu instid0(VALU_DEP_2) | instskip(SKIP_1) | instid1(VALU_DEP_2)
	v_fmac_f32_e32 v48, v47, v54
	v_fma_mix_f32 v36, v47, v0, v36 op_sel:[0,1,0] op_sel_hi:[0,1,0]
	v_fmac_f32_e32 v50, v48, v51
	v_fma_mix_f32 v35, v48, v1, v35 op_sel_hi:[0,1,0]
	s_delay_alu instid0(VALU_DEP_2)
	v_fma_mix_f32 v37, v50, v1, v37 op_sel:[0,1,0] op_sel_hi:[0,1,0]
	s_cbranch_scc1 .LBB66_82
.LBB66_37:                              ;   Parent Loop BB66_12 Depth=1
                                        ; =>  This Inner Loop Header: Depth=2
	s_lshl_b64 s[20:21], s[28:29], 2
	s_mov_b32 s31, s29
	s_add_u32 s20, s50, s20
	s_addc_u32 s21, s51, s21
	v_dual_mov_b32 v2, 0 :: v_dual_mov_b32 v3, 0
	global_load_b32 v6, v12, s[20:21]
	s_lshl_b64 s[20:21], s[30:31], 1
	s_delay_alu instid0(SALU_CYCLE_1)
	v_add_co_u32 v0, vcc_lo, v40, s20
	v_add_co_ci_u32_e32 v1, vcc_lo, s21, v41, vcc_lo
	s_and_saveexec_b32 s20, s12
	s_cbranch_execnz .LBB66_49
; %bb.38:                               ;   in Loop: Header=BB66_37 Depth=2
	s_or_b32 exec_lo, exec_lo, s20
	s_and_saveexec_b32 s20, s13
	s_cbranch_execnz .LBB66_50
.LBB66_39:                              ;   in Loop: Header=BB66_37 Depth=2
	s_or_b32 exec_lo, exec_lo, s20
	v_mov_b32_e32 v4, 0
	s_and_saveexec_b32 s20, s14
	s_cbranch_execnz .LBB66_51
.LBB66_40:                              ;   in Loop: Header=BB66_37 Depth=2
	s_or_b32 exec_lo, exec_lo, s20
	s_and_saveexec_b32 s20, s15
	s_cbranch_execz .LBB66_42
.LBB66_41:                              ;   in Loop: Header=BB66_37 Depth=2
	global_load_u16 v0, v[0:1], off offset:192
	s_waitcnt vmcnt(0)
	v_lshl_or_b32 v4, v0, 16, v4
.LBB66_42:                              ;   in Loop: Header=BB66_37 Depth=2
	s_or_b32 exec_lo, exec_lo, s20
	s_waitcnt vmcnt(0)
	ds_store_b16 v14, v3
	ds_store_b16 v14, v2 offset:64
	ds_store_b16 v15, v4 offset:128
	ds_store_b16_d16_hi v16, v4 offset:192
	; wave barrier
	ds_load_b64 v[4:5], v17
	s_mov_b32 s35, s29
	v_dual_mov_b32 v2, 0 :: v_dual_mov_b32 v3, 0
	s_lshl_b64 s[20:21], s[34:35], 1
	s_delay_alu instid0(SALU_CYCLE_1)
	v_add_co_u32 v0, vcc_lo, v42, s20
	v_add_co_ci_u32_e32 v1, vcc_lo, s21, v43, vcc_lo
	s_and_saveexec_b32 s20, s12
	s_cbranch_execnz .LBB66_52
; %bb.43:                               ;   in Loop: Header=BB66_37 Depth=2
	s_or_b32 exec_lo, exec_lo, s20
	s_and_saveexec_b32 s20, s13
	s_cbranch_execnz .LBB66_53
.LBB66_44:                              ;   in Loop: Header=BB66_37 Depth=2
	s_or_b32 exec_lo, exec_lo, s20
	v_mov_b32_e32 v7, 0
	s_and_saveexec_b32 s20, s14
	s_cbranch_execnz .LBB66_54
.LBB66_45:                              ;   in Loop: Header=BB66_37 Depth=2
	s_or_b32 exec_lo, exec_lo, s20
	s_and_saveexec_b32 s20, s15
	s_cbranch_execz .LBB66_47
.LBB66_46:                              ;   in Loop: Header=BB66_37 Depth=2
	global_load_u16 v0, v[0:1], off offset:192
	s_waitcnt vmcnt(0)
	v_lshl_or_b32 v7, v0, 16, v7
.LBB66_47:                              ;   in Loop: Header=BB66_37 Depth=2
	s_or_b32 exec_lo, exec_lo, s20
	s_waitcnt vmcnt(0)
	ds_store_b16 v14, v3 offset:528
	ds_store_b16 v18, v2 offset:64
	ds_store_b16 v19, v7 offset:128
	ds_store_b16_d16_hi v20, v7 offset:192
	; wave barrier
	ds_load_b64 v[0:1], v17 offset:528
	s_and_not1_b32 vcc_lo, exec_lo, s25
	s_cbranch_vccnz .LBB66_55
; %bb.48:                               ;   in Loop: Header=BB66_37 Depth=2
	v_mov_b32_e32 v2, s65
	ds_load_b64 v[2:3], v2
	s_cbranch_execz .LBB66_56
	s_branch .LBB66_59
.LBB66_49:                              ;   in Loop: Header=BB66_37 Depth=2
	global_load_u16 v3, v[0:1], off
	s_or_b32 exec_lo, exec_lo, s20
	s_and_saveexec_b32 s20, s13
	s_cbranch_execz .LBB66_39
.LBB66_50:                              ;   in Loop: Header=BB66_37 Depth=2
	global_load_u16 v2, v[0:1], off offset:64
	s_or_b32 exec_lo, exec_lo, s20
	v_mov_b32_e32 v4, 0
	s_and_saveexec_b32 s20, s14
	s_cbranch_execz .LBB66_40
.LBB66_51:                              ;   in Loop: Header=BB66_37 Depth=2
	global_load_u16 v4, v[0:1], off offset:128
	s_or_b32 exec_lo, exec_lo, s20
	s_and_saveexec_b32 s20, s15
	s_cbranch_execnz .LBB66_41
	s_branch .LBB66_42
.LBB66_52:                              ;   in Loop: Header=BB66_37 Depth=2
	global_load_u16 v3, v[0:1], off
	s_or_b32 exec_lo, exec_lo, s20
	s_and_saveexec_b32 s20, s13
	s_cbranch_execz .LBB66_44
.LBB66_53:                              ;   in Loop: Header=BB66_37 Depth=2
	global_load_u16 v2, v[0:1], off offset:64
	s_or_b32 exec_lo, exec_lo, s20
	v_mov_b32_e32 v7, 0
	s_and_saveexec_b32 s20, s14
	s_cbranch_execz .LBB66_45
.LBB66_54:                              ;   in Loop: Header=BB66_37 Depth=2
	global_load_u16 v7, v[0:1], off offset:128
	s_or_b32 exec_lo, exec_lo, s20
	s_and_saveexec_b32 s20, s15
	s_cbranch_execnz .LBB66_46
	s_branch .LBB66_47
.LBB66_55:                              ;   in Loop: Header=BB66_37 Depth=2
                                        ; implicit-def: $vgpr2
.LBB66_56:                              ;   in Loop: Header=BB66_37 Depth=2
	s_waitcnt lgkmcnt(0)
	v_mov_b32_e32 v3, 0
	s_and_not1_b32 vcc_lo, exec_lo, s33
	s_cbranch_vccnz .LBB66_58
; %bb.57:                               ;   in Loop: Header=BB66_37 Depth=2
	s_mov_b32 s39, s29
	s_delay_alu instid0(SALU_CYCLE_1) | instskip(NEXT) | instid1(SALU_CYCLE_1)
	s_lshl_b64 s[20:21], s[38:39], 1
	s_add_u32 s20, s53, s20
	s_addc_u32 s21, s54, s21
	global_load_u16 v2, v12, s[20:21]
	s_waitcnt vmcnt(0)
	v_cvt_f32_f16_e32 v3, v2
.LBB66_58:                              ;   in Loop: Header=BB66_37 Depth=2
	v_mov_b32_e32 v2, 1.0
.LBB66_59:                              ;   in Loop: Header=BB66_37 Depth=2
	s_waitcnt lgkmcnt(5)
	v_lshrrev_b32_e32 v7, 16, v4
	v_lshrrev_b32_e32 v47, 16, v5
	v_cvt_f32_f16_e32 v5, v5
	v_cvt_f32_f16_e32 v4, v4
	s_delay_alu instid0(VALU_DEP_4) | instskip(SKIP_2) | instid1(VALU_DEP_4)
	v_cvt_f32_f16_e32 v7, v7
	v_mul_f32_e32 v6, 0x3fb8aa3b, v6
	v_cvt_f32_f16_e32 v51, v47
	v_dual_mul_f32 v4, v46, v4 :: v_dual_mul_f32 v5, v44, v5
	s_delay_alu instid0(VALU_DEP_4) | instskip(NEXT) | instid1(VALU_DEP_4)
	v_mul_f32_e32 v7, v45, v7
	v_mul_f32_e32 v48, v6, v31
	s_delay_alu instid0(VALU_DEP_1) | instskip(SKIP_2) | instid1(VALU_DEP_2)
	v_cmp_gt_f32_e32 vcc_lo, 0xc2fc0000, v48
	v_cndmask_b32_e64 v48, 0, 0x42800000, vcc_lo
	v_cndmask_b32_e64 v53, 1.0, 0x1f800000, vcc_lo
	v_fmac_f32_e32 v48, v6, v31
	s_delay_alu instid0(VALU_DEP_1) | instskip(SKIP_2) | instid1(VALU_DEP_1)
	v_exp_f32_e32 v48, v48
	s_waitcnt_depctr 0xfff
	v_dual_mul_f32 v49, v6, v32 :: v_dual_mul_f32 v48, v48, v53
	v_cmp_gt_f32_e64 s20, 0xc2fc0000, v49
	v_mul_f32_e32 v49, v6, v34
	s_delay_alu instid0(VALU_DEP_2) | instskip(NEXT) | instid1(VALU_DEP_2)
	v_cndmask_b32_e64 v47, 0, 0x42800000, s20
	v_cmp_gt_f32_e64 s22, 0xc2fc0000, v49
	v_cndmask_b32_e64 v49, 0, v4, s16
	s_delay_alu instid0(VALU_DEP_2) | instskip(NEXT) | instid1(VALU_DEP_1)
	v_cndmask_b32_e64 v52, 0, 0x42800000, s22
	v_fmac_f32_e32 v52, v6, v34
	s_delay_alu instid0(VALU_DEP_1) | instskip(SKIP_3) | instid1(VALU_DEP_3)
	v_exp_f32_e32 v55, v52
	v_mul_f32_e32 v50, v6, v33
	v_cndmask_b32_e64 v52, 1.0, v48, s16
	v_cndmask_b32_e64 v48, 0, v5, s18
	v_cmp_gt_f32_e64 s21, 0xc2fc0000, v50
	s_delay_alu instid0(VALU_DEP_1) | instskip(NEXT) | instid1(VALU_DEP_1)
	v_cndmask_b32_e64 v50, 0, 0x42800000, s21
	v_fmac_f32_e32 v50, v6, v33
	s_delay_alu instid0(VALU_DEP_1)
	v_exp_f32_e32 v4, v50
	v_cndmask_b32_e64 v50, 1.0, 0x1f800000, s21
	v_fmac_f32_e32 v47, v6, v32
	v_cndmask_b32_e64 v6, 1.0, 0x1f800000, s20
	s_waitcnt_depctr 0xfff
	v_mul_f32_e32 v4, v4, v50
	v_exp_f32_e32 v47, v47
	s_delay_alu instid0(VALU_DEP_1)
	v_cndmask_b32_e64 v54, 1.0, v4, s18
	v_mul_f32_e32 v4, v39, v51
	s_waitcnt_depctr 0xfff
	v_mul_f32_e32 v6, v47, v6
	v_cndmask_b32_e64 v47, 0, v7, s17
	v_cndmask_b32_e64 v7, 1.0, 0x1f800000, s22
	v_cndmask_b32_e64 v50, 0, v4, s19
	s_delay_alu instid0(VALU_DEP_4) | instskip(NEXT) | instid1(VALU_DEP_1)
	v_cndmask_b32_e64 v53, 1.0, v6, s17
	v_dual_mul_f32 v5, v55, v7 :: v_dual_mul_f32 v6, v53, v52
	v_fma_f32 v7, v53, v49, v47
	s_delay_alu instid0(VALU_DEP_2) | instskip(NEXT) | instid1(VALU_DEP_3)
	v_cndmask_b32_e64 v51, 1.0, v5, s19
	v_mul_f32_e32 v4, v6, v54
	s_delay_alu instid0(VALU_DEP_3) | instskip(NEXT) | instid1(VALU_DEP_2)
	v_fma_f32 v5, v7, v54, v48
	v_mul_f32_e32 v4, v4, v51
	s_delay_alu instid0(VALU_DEP_2) | instskip(NEXT) | instid1(VALU_DEP_2)
	v_fma_f32 v5, v5, v51, v50
	v_mov_b32_dpp v7, v4 row_shr:1 row_mask:0xf bank_mask:0xf
	s_delay_alu instid0(VALU_DEP_2)
	v_mov_b32_dpp v6, v5 row_shr:1 row_mask:0xf bank_mask:0xf
	s_and_saveexec_b32 s20, s0
; %bb.60:                               ;   in Loop: Header=BB66_37 Depth=2
	s_delay_alu instid0(VALU_DEP_2) | instskip(NEXT) | instid1(VALU_DEP_1)
	v_mul_f32_e32 v7, v4, v7
	v_dual_fmac_f32 v5, v4, v6 :: v_dual_mov_b32 v4, v7
; %bb.61:                               ;   in Loop: Header=BB66_37 Depth=2
	s_or_b32 exec_lo, exec_lo, s20
	s_delay_alu instid0(VALU_DEP_1) | instskip(NEXT) | instid1(VALU_DEP_2)
	v_mov_b32_dpp v6, v4 row_shr:2 row_mask:0xf bank_mask:0xf
	v_mov_b32_dpp v7, v5 row_shr:2 row_mask:0xf bank_mask:0xf
	s_and_saveexec_b32 s20, s1
; %bb.62:                               ;   in Loop: Header=BB66_37 Depth=2
	s_delay_alu instid0(VALU_DEP_1) | instskip(NEXT) | instid1(VALU_DEP_3)
	v_fmac_f32_e32 v5, v4, v7
	v_mul_f32_e32 v4, v4, v6
; %bb.63:                               ;   in Loop: Header=BB66_37 Depth=2
	s_or_b32 exec_lo, exec_lo, s20
	s_delay_alu instid0(VALU_DEP_1) | instskip(NEXT) | instid1(VALU_DEP_3)
	v_mov_b32_dpp v6, v4 row_shr:4 row_mask:0xf bank_mask:0xf
	v_mov_b32_dpp v7, v5 row_shr:4 row_mask:0xf bank_mask:0xf
	s_and_saveexec_b32 s20, s2
; %bb.64:                               ;   in Loop: Header=BB66_37 Depth=2
	s_delay_alu instid0(VALU_DEP_1) | instskip(NEXT) | instid1(VALU_DEP_3)
	v_fmac_f32_e32 v5, v4, v7
	v_mul_f32_e32 v4, v4, v6
; %bb.65:                               ;   in Loop: Header=BB66_37 Depth=2
	s_or_b32 exec_lo, exec_lo, s20
	s_delay_alu instid0(VALU_DEP_1) | instskip(NEXT) | instid1(VALU_DEP_3)
	v_mov_b32_dpp v6, v4 row_shr:8 row_mask:0xf bank_mask:0xf
	v_mov_b32_dpp v7, v5 row_shr:8 row_mask:0xf bank_mask:0xf
	s_and_saveexec_b32 s20, s3
; %bb.66:                               ;   in Loop: Header=BB66_37 Depth=2
	s_delay_alu instid0(VALU_DEP_1) | instskip(NEXT) | instid1(VALU_DEP_3)
	v_fmac_f32_e32 v5, v4, v7
	v_mul_f32_e32 v4, v4, v6
; %bb.67:                               ;   in Loop: Header=BB66_37 Depth=2
	s_or_b32 exec_lo, exec_lo, s20
	ds_swizzle_b32 v7, v4 offset:swizzle(BROADCAST,32,15)
	ds_swizzle_b32 v6, v5 offset:swizzle(BROADCAST,32,15)
	s_and_saveexec_b32 s20, s4
	s_cbranch_execz .LBB66_69
; %bb.68:                               ;   in Loop: Header=BB66_37 Depth=2
	s_waitcnt lgkmcnt(1)
	v_mul_f32_e32 v7, v4, v7
	s_waitcnt lgkmcnt(0)
	s_delay_alu instid0(VALU_DEP_1)
	v_dual_fmac_f32 v5, v4, v6 :: v_dual_mov_b32 v4, v7
.LBB66_69:                              ;   in Loop: Header=BB66_37 Depth=2
	s_or_b32 exec_lo, exec_lo, s20
	s_and_saveexec_b32 s20, s5
	s_cbranch_execz .LBB66_71
; %bb.70:                               ;   in Loop: Header=BB66_37 Depth=2
	ds_store_b64 v21, v[4:5] offset:1056
.LBB66_71:                              ;   in Loop: Header=BB66_37 Depth=2
	s_or_b32 exec_lo, exec_lo, s20
	s_waitcnt lgkmcnt(0)
	s_waitcnt_vscnt null, 0x0
	s_barrier
	buffer_gl0_inv
	s_and_saveexec_b32 s20, s6
	s_cbranch_execz .LBB66_73
; %bb.72:                               ;   in Loop: Header=BB66_37 Depth=2
	ds_load_b64 v[6:7], v22 offset:1056
	s_waitcnt lgkmcnt(0)
	v_mov_b32_dpp v55, v6 row_shr:1 row_mask:0xf bank_mask:0xf
	v_mov_b32_dpp v56, v7 row_shr:1 row_mask:0xf bank_mask:0xf
	s_delay_alu instid0(VALU_DEP_2) | instskip(NEXT) | instid1(VALU_DEP_2)
	v_mul_f32_e32 v55, v6, v55
	v_fma_f32 v56, v6, v56, v7
	s_delay_alu instid0(VALU_DEP_2) | instskip(NEXT) | instid1(VALU_DEP_2)
	v_cndmask_b32_e64 v6, v55, v6, s7
	v_cndmask_b32_e64 v7, v56, v7, s7
	ds_store_b64 v22, v[6:7] offset:1056
.LBB66_73:                              ;   in Loop: Header=BB66_37 Depth=2
	s_or_b32 exec_lo, exec_lo, s20
	s_waitcnt lgkmcnt(0)
	s_barrier
	buffer_gl0_inv
                                        ; implicit-def: $vgpr7
	s_and_saveexec_b32 s20, s9
	s_cbranch_execz .LBB66_75
; %bb.74:                               ;   in Loop: Header=BB66_37 Depth=2
	ds_load_b64 v[6:7], v21 offset:1048
	s_waitcnt lgkmcnt(0)
	v_mul_f32_e32 v55, v4, v6
	s_delay_alu instid0(VALU_DEP_1)
	v_dual_fmac_f32 v5, v4, v7 :: v_dual_mov_b32 v4, v55
.LBB66_75:                              ;   in Loop: Header=BB66_37 Depth=2
	s_or_b32 exec_lo, exec_lo, s20
	ds_bpermute_b32 v55, v23, v4
	ds_bpermute_b32 v56, v23, v5
	s_and_saveexec_b32 s20, s8
	s_cbranch_execz .LBB66_79
; %bb.76:                               ;   in Loop: Header=BB66_37 Depth=2
	ds_load_b64 v[4:5], v12 offset:1064
	s_and_saveexec_b32 s21, s10
	s_cbranch_execz .LBB66_78
; %bb.77:                               ;   in Loop: Header=BB66_37 Depth=2
	ds_store_b64 v12, v[2:3] offset:1064
.LBB66_78:                              ;   in Loop: Header=BB66_37 Depth=2
	s_or_b32 exec_lo, exec_lo, s21
	s_waitcnt lgkmcnt(0)
	v_fmac_f32_e32 v5, v3, v4
	s_delay_alu instid0(VALU_DEP_1)
	v_dual_mul_f32 v2, v2, v4 :: v_dual_mov_b32 v3, v5
.LBB66_79:                              ;   in Loop: Header=BB66_37 Depth=2
	s_or_b32 exec_lo, exec_lo, s20
	s_waitcnt lgkmcnt(0)
	s_barrier
	buffer_gl0_inv
	ds_load_b32 v4, v12 offset:1068
	s_and_saveexec_b32 s20, s10
	s_cbranch_execz .LBB66_36
; %bb.80:                               ;   in Loop: Header=BB66_37 Depth=2
	v_mov_b32_e32 v5, s65
	s_and_not1_b32 vcc_lo, exec_lo, s63
	ds_store_b64 v5, v[2:3]
	s_cbranch_vccnz .LBB66_36
; %bb.81:                               ;   in Loop: Header=BB66_37 Depth=2
	s_mov_b32 s39, s29
	v_cvt_f16_f32_e32 v2, v3
	s_lshl_b64 s[66:67], s[38:39], 1
	s_delay_alu instid0(SALU_CYCLE_1)
	s_add_u32 s66, s53, s66
	s_addc_u32 s67, s54, s67
	global_store_b16 v12, v2, s[66:67]
	s_branch .LBB66_36
.LBB66_82:                              ;   in Loop: Header=BB66_12 Depth=1
	v_cvt_f16_f32_e32 v0, v38
	s_delay_alu instid0(VALU_DEP_3) | instskip(NEXT) | instid1(VALU_DEP_3)
	v_cvt_f16_f32_e32 v1, v35
	v_cvt_f16_f32_e32 v2, v37
	;; [unrolled: 1-line block ×3, first 2 shown]
	s_waitcnt_vscnt null, 0x0
	s_barrier
	buffer_gl0_inv
	v_pack_b32_f16 v1, v1, v2
	v_pack_b32_f16 v0, v0, v3
	s_mov_b32 s25, s29
	s_delay_alu instid0(SALU_CYCLE_1)
	s_lshl_b64 s[16:17], s[24:25], 1
	ds_store_b64 v17, v[0:1]
	; wave barrier
	ds_load_u16 v4, v14 offset:64
	ds_load_u16 v3, v15 offset:128
	;; [unrolled: 1-line block ×3, first 2 shown]
	v_add_co_u32 v0, vcc_lo, v24, s16
	v_add_co_ci_u32_e32 v1, vcc_lo, s17, v25, vcc_lo
	s_and_saveexec_b32 s16, s12
	s_cbranch_execnz .LBB66_88
; %bb.83:                               ;   in Loop: Header=BB66_12 Depth=1
	s_or_b32 exec_lo, exec_lo, s16
	s_and_saveexec_b32 s12, s13
	s_cbranch_execnz .LBB66_89
.LBB66_84:                              ;   in Loop: Header=BB66_12 Depth=1
	s_or_b32 exec_lo, exec_lo, s12
	s_and_saveexec_b32 s12, s14
	s_cbranch_execnz .LBB66_90
.LBB66_85:                              ;   in Loop: Header=BB66_12 Depth=1
	s_or_b32 exec_lo, exec_lo, s12
	s_and_saveexec_b32 s12, s15
	s_cbranch_execz .LBB66_11
	s_branch .LBB66_91
.LBB66_86:                              ;   in Loop: Header=BB66_12 Depth=1
	global_load_u16 v6, v[2:3], off offset:64
	s_or_b32 exec_lo, exec_lo, s16
	s_and_saveexec_b32 s16, s14
	s_cbranch_execz .LBB66_24
.LBB66_87:                              ;   in Loop: Header=BB66_12 Depth=1
	global_load_u16 v5, v[2:3], off offset:128
	s_or_b32 exec_lo, exec_lo, s16
	v_mov_b32_e32 v7, 0
	s_and_saveexec_b32 s16, s15
	s_cbranch_execnz .LBB66_25
	s_branch .LBB66_26
.LBB66_88:                              ;   in Loop: Header=BB66_12 Depth=1
	ds_load_u16 v5, v14
	s_waitcnt lgkmcnt(0)
	global_store_b16 v[0:1], v5, off
	s_or_b32 exec_lo, exec_lo, s16
	s_and_saveexec_b32 s12, s13
	s_cbranch_execz .LBB66_84
.LBB66_89:                              ;   in Loop: Header=BB66_12 Depth=1
	s_waitcnt lgkmcnt(2)
	global_store_b16 v[0:1], v4, off offset:64
	s_or_b32 exec_lo, exec_lo, s12
	s_and_saveexec_b32 s12, s14
	s_cbranch_execz .LBB66_85
.LBB66_90:                              ;   in Loop: Header=BB66_12 Depth=1
	s_waitcnt lgkmcnt(1)
	global_store_b16 v[0:1], v3, off offset:128
	s_or_b32 exec_lo, exec_lo, s12
	s_and_saveexec_b32 s12, s15
	s_cbranch_execz .LBB66_11
.LBB66_91:                              ;   in Loop: Header=BB66_12 Depth=1
	s_waitcnt lgkmcnt(0)
	global_store_b16 v[0:1], v2, off offset:192
	s_branch .LBB66_11
.LBB66_92:
	s_nop 0
	s_sendmsg sendmsg(MSG_DEALLOC_VGPRS)
	s_endpgm
	.section	.rodata,"a",@progbits
	.p2align	6, 0x0
	.amdhsa_kernel _Z25selective_scan_fwd_kernelI32Selective_Scan_fwd_kernel_traitsILi64ELi4ELi1ELb1ELb1ELb1ELb0ELb1EN3c104HalfEfS2_EEv13SSMParamsBase
		.amdhsa_group_segment_fixed_size 0
		.amdhsa_private_segment_fixed_size 0
		.amdhsa_kernarg_size 248
		.amdhsa_user_sgpr_count 14
		.amdhsa_user_sgpr_dispatch_ptr 0
		.amdhsa_user_sgpr_queue_ptr 0
		.amdhsa_user_sgpr_kernarg_segment_ptr 1
		.amdhsa_user_sgpr_dispatch_id 0
		.amdhsa_user_sgpr_private_segment_size 0
		.amdhsa_wavefront_size32 1
		.amdhsa_uses_dynamic_stack 0
		.amdhsa_enable_private_segment 0
		.amdhsa_system_sgpr_workgroup_id_x 1
		.amdhsa_system_sgpr_workgroup_id_y 1
		.amdhsa_system_sgpr_workgroup_id_z 0
		.amdhsa_system_sgpr_workgroup_info 0
		.amdhsa_system_vgpr_workitem_id 0
		.amdhsa_next_free_vgpr 57
		.amdhsa_next_free_sgpr 68
		.amdhsa_reserve_vcc 1
		.amdhsa_float_round_mode_32 0
		.amdhsa_float_round_mode_16_64 0
		.amdhsa_float_denorm_mode_32 3
		.amdhsa_float_denorm_mode_16_64 3
		.amdhsa_dx10_clamp 1
		.amdhsa_ieee_mode 1
		.amdhsa_fp16_overflow 0
		.amdhsa_workgroup_processor_mode 1
		.amdhsa_memory_ordered 1
		.amdhsa_forward_progress 0
		.amdhsa_shared_vgpr_count 0
		.amdhsa_exception_fp_ieee_invalid_op 0
		.amdhsa_exception_fp_denorm_src 0
		.amdhsa_exception_fp_ieee_div_zero 0
		.amdhsa_exception_fp_ieee_overflow 0
		.amdhsa_exception_fp_ieee_underflow 0
		.amdhsa_exception_fp_ieee_inexact 0
		.amdhsa_exception_int_div_zero 0
	.end_amdhsa_kernel
	.section	.text._Z25selective_scan_fwd_kernelI32Selective_Scan_fwd_kernel_traitsILi64ELi4ELi1ELb1ELb1ELb1ELb0ELb1EN3c104HalfEfS2_EEv13SSMParamsBase,"axG",@progbits,_Z25selective_scan_fwd_kernelI32Selective_Scan_fwd_kernel_traitsILi64ELi4ELi1ELb1ELb1ELb1ELb0ELb1EN3c104HalfEfS2_EEv13SSMParamsBase,comdat
.Lfunc_end66:
	.size	_Z25selective_scan_fwd_kernelI32Selective_Scan_fwd_kernel_traitsILi64ELi4ELi1ELb1ELb1ELb1ELb0ELb1EN3c104HalfEfS2_EEv13SSMParamsBase, .Lfunc_end66-_Z25selective_scan_fwd_kernelI32Selective_Scan_fwd_kernel_traitsILi64ELi4ELi1ELb1ELb1ELb1ELb0ELb1EN3c104HalfEfS2_EEv13SSMParamsBase
                                        ; -- End function
	.section	.AMDGPU.csdata,"",@progbits
; Kernel info:
; codeLenInByte = 7016
; NumSgprs: 70
; NumVgprs: 57
; ScratchSize: 0
; MemoryBound: 0
; FloatMode: 240
; IeeeMode: 1
; LDSByteSize: 0 bytes/workgroup (compile time only)
; SGPRBlocks: 8
; VGPRBlocks: 7
; NumSGPRsForWavesPerEU: 70
; NumVGPRsForWavesPerEU: 57
; Occupancy: 16
; WaveLimiterHint : 1
; COMPUTE_PGM_RSRC2:SCRATCH_EN: 0
; COMPUTE_PGM_RSRC2:USER_SGPR: 14
; COMPUTE_PGM_RSRC2:TRAP_HANDLER: 0
; COMPUTE_PGM_RSRC2:TGID_X_EN: 1
; COMPUTE_PGM_RSRC2:TGID_Y_EN: 1
; COMPUTE_PGM_RSRC2:TGID_Z_EN: 0
; COMPUTE_PGM_RSRC2:TIDIG_COMP_CNT: 0
	.section	.text._Z25selective_scan_fwd_kernelI32Selective_Scan_fwd_kernel_traitsILi64ELi4ELi1ELb1ELb1ELb1ELb0ELb0EN3c104HalfEfS2_EEv13SSMParamsBase,"axG",@progbits,_Z25selective_scan_fwd_kernelI32Selective_Scan_fwd_kernel_traitsILi64ELi4ELi1ELb1ELb1ELb1ELb0ELb0EN3c104HalfEfS2_EEv13SSMParamsBase,comdat
	.protected	_Z25selective_scan_fwd_kernelI32Selective_Scan_fwd_kernel_traitsILi64ELi4ELi1ELb1ELb1ELb1ELb0ELb0EN3c104HalfEfS2_EEv13SSMParamsBase ; -- Begin function _Z25selective_scan_fwd_kernelI32Selective_Scan_fwd_kernel_traitsILi64ELi4ELi1ELb1ELb1ELb1ELb0ELb0EN3c104HalfEfS2_EEv13SSMParamsBase
	.globl	_Z25selective_scan_fwd_kernelI32Selective_Scan_fwd_kernel_traitsILi64ELi4ELi1ELb1ELb1ELb1ELb0ELb0EN3c104HalfEfS2_EEv13SSMParamsBase
	.p2align	8
	.type	_Z25selective_scan_fwd_kernelI32Selective_Scan_fwd_kernel_traitsILi64ELi4ELi1ELb1ELb1ELb1ELb0ELb0EN3c104HalfEfS2_EEv13SSMParamsBase,@function
_Z25selective_scan_fwd_kernelI32Selective_Scan_fwd_kernel_traitsILi64ELi4ELi1ELb1ELb1ELb1ELb0ELb0EN3c104HalfEfS2_EEv13SSMParamsBase: ; @_Z25selective_scan_fwd_kernelI32Selective_Scan_fwd_kernel_traitsILi64ELi4ELi1ELb1ELb1ELb1ELb0ELb0EN3c104HalfEfS2_EEv13SSMParamsBase
; %bb.0:
	s_clause 0x1
	s_load_b32 s11, s[0:1], 0x18
	s_load_b128 s[4:7], s[0:1], 0xe8
	s_mov_b32 s8, s15
	s_mov_b32 s33, 0
	s_waitcnt lgkmcnt(0)
	s_abs_i32 s10, s11
	s_cmp_eq_u64 s[6:7], 0
	v_cvt_f32_u32_e32 v1, s10
	s_delay_alu instid0(VALU_DEP_1) | instskip(SKIP_2) | instid1(VALU_DEP_1)
	v_rcp_iflag_f32_e32 v1, v1
	s_waitcnt_depctr 0xfff
	v_mul_f32_e32 v1, 0x4f7ffffe, v1
	v_cvt_u32_f32_e32 v1, v1
	s_delay_alu instid0(VALU_DEP_1)
	v_readfirstlane_b32 s12, v1
	s_cbranch_scc1 .LBB67_2
; %bb.1:
	v_mov_b32_e32 v1, 0
	s_ashr_i32 s3, s14, 31
	s_add_u32 s2, s6, s14
	s_addc_u32 s3, s7, s3
	global_load_u8 v1, v1, s[2:3]
	s_waitcnt vmcnt(0)
	v_and_b32_e32 v1, 1, v1
	s_delay_alu instid0(VALU_DEP_1)
	v_cmp_eq_u32_e64 s33, 1, v1
.LBB67_2:
	s_load_b64 s[6:7], s[0:1], 0x20
	s_cmp_eq_u64 s[4:5], 0
	s_cbranch_scc1 .LBB67_4
; %bb.3:
	s_ashr_i32 s15, s14, 31
	s_delay_alu instid0(SALU_CYCLE_1) | instskip(NEXT) | instid1(SALU_CYCLE_1)
	s_lshl_b64 s[2:3], s[14:15], 2
	s_add_u32 s2, s4, s2
	s_addc_u32 s3, s5, s3
	s_load_b32 s2, s[2:3], 0x0
	s_waitcnt lgkmcnt(0)
	s_ashr_i32 s3, s2, 31
	s_delay_alu instid0(SALU_CYCLE_1)
	s_cmp_eq_u64 s[6:7], s[2:3]
	s_cbranch_scc0 .LBB67_5
	s_branch .LBB67_54
.LBB67_4:
	s_mov_b32 s2, s14
	s_delay_alu instid0(SALU_CYCLE_1)
	s_ashr_i32 s3, s2, 31
	s_waitcnt lgkmcnt(0)
	s_cmp_eq_u64 s[6:7], s[2:3]
	s_cbranch_scc1 .LBB67_54
.LBB67_5:
	s_clause 0x1
	s_load_b512 s[16:31], s[0:1], 0x88
	s_load_b64 s[34:35], s[0:1], 0x8
	s_mov_b32 s48, 0
	s_mov_b32 s49, 0
	s_waitcnt lgkmcnt(0)
	s_cmp_eq_u64 s[22:23], 0
	s_cbranch_scc1 .LBB67_7
; %bb.6:
	s_ashr_i32 s9, s8, 31
	s_delay_alu instid0(SALU_CYCLE_1) | instskip(NEXT) | instid1(SALU_CYCLE_1)
	s_lshl_b64 s[4:5], s[8:9], 2
	s_add_u32 s4, s22, s4
	s_addc_u32 s5, s23, s5
	s_load_b32 s49, s[4:5], 0x0
.LBB67_7:
	s_cmp_eq_u64 s[28:29], 0
	s_cbranch_scc1 .LBB67_9
; %bb.8:
	s_ashr_i32 s9, s8, 31
	s_delay_alu instid0(SALU_CYCLE_1) | instskip(NEXT) | instid1(SALU_CYCLE_1)
	s_lshl_b64 s[4:5], s[8:9], 2
	s_add_u32 s4, s28, s4
	s_addc_u32 s5, s29, s5
	s_load_b32 s48, s[4:5], 0x0
.LBB67_9:
	s_cmp_lt_i32 s34, 1
	s_cbranch_scc1 .LBB67_54
; %bb.10:
	s_sub_i32 s3, 0, s10
	s_clause 0x1
	s_load_b64 s[4:5], s[0:1], 0x5c
	s_load_b128 s[44:47], s[0:1], 0x4c
	s_mul_i32 s3, s3, s12
	s_abs_i32 s6, s8
	s_mul_hi_u32 s3, s12, s3
	s_ashr_i32 s9, s11, 31
	s_add_i32 s12, s12, s3
	s_ashr_i32 s3, s8, 31
	s_mul_hi_u32 s7, s6, s12
	s_xor_b32 s3, s3, s9
	s_mul_i32 s11, s7, s10
	s_add_i32 s9, s7, 1
	s_sub_i32 s6, s6, s11
	s_load_b256 s[36:43], s[0:1], 0x2c
	s_sub_i32 s11, s6, s10
	s_cmp_ge_u32 s6, s10
	s_mov_b32 s23, 0
	s_cselect_b32 s7, s9, s7
	s_cselect_b32 s6, s11, s6
	s_add_i32 s9, s7, 1
	s_cmp_ge_u32 s6, s10
	s_waitcnt lgkmcnt(0)
	s_mul_i32 s22, s46, s14
	s_cselect_b32 s6, s9, s7
	v_lshrrev_b32_e32 v1, 2, v0
	s_xor_b32 s9, s6, s3
	s_lshl_b64 s[6:7], s[22:23], 1
	s_sub_i32 s3, s9, s3
	s_mul_i32 s22, s47, s8
	s_add_u32 s9, s24, s6
	s_addc_u32 s10, s25, s7
	s_lshl_b64 s[6:7], s[22:23], 1
	s_mul_i32 s22, s4, s14
	s_add_u32 s28, s9, s6
	s_addc_u32 s29, s10, s7
	s_lshl_b64 s[6:7], s[22:23], 1
	;; [unrolled: 4-line block ×3, first 2 shown]
	s_load_b128 s[24:27], s[0:1], 0x7c
	s_mul_i32 s22, s36, s8
	s_add_u32 s46, s6, s4
	s_addc_u32 s47, s7, s5
	s_lshl_b64 s[4:5], s[22:23], 2
	s_mul_i32 s22, s38, s14
	s_load_b64 s[6:7], s[0:1], 0xc8
	s_add_u32 s36, s16, s4
	s_waitcnt lgkmcnt(0)
	s_addc_u32 s27, s17, s5
	s_lshl_b64 s[4:5], s[22:23], 1
	s_mul_i32 s22, s3, s41
	s_add_u32 s9, s18, s4
	s_addc_u32 s10, s19, s5
	s_lshl_b64 s[4:5], s[22:23], 1
	s_mul_i32 s22, s42, s14
	s_add_u32 s41, s9, s4
	s_load_b32 s9, s[0:1], 0x28
	s_addc_u32 s42, s10, s5
	s_load_b64 s[10:11], s[0:1], 0x6c
	s_lshl_b64 s[4:5], s[22:23], 1
	s_mul_i32 s22, s3, s45
	s_add_u32 s12, s20, s4
	s_addc_u32 s3, s21, s5
	s_lshl_b64 s[4:5], s[22:23], 1
	s_mul_i32 s22, s2, s24
	s_add_u32 s43, s12, s4
	s_addc_u32 s45, s3, s5
	;; [unrolled: 4-line block ×3, first 2 shown]
	s_lshl_b64 s[0:1], s[22:23], 1
	v_lshlrev_b32_e32 v3, 3, v0
	s_add_u32 s50, s2, s0
	s_addc_u32 s51, s3, s1
	s_add_i32 s0, s34, 0x7ff
	v_dual_mov_b32 v12, 0 :: v_dual_and_b32 v1, 8, v1
	s_lshr_b32 s52, s0, 11
	s_waitcnt lgkmcnt(0)
	s_bitcmp1_b32 s9, 0
	s_mul_i32 s22, s10, s14
	s_cselect_b32 s53, -1, 0
	s_cmp_gt_i32 s35, 0
	v_or_b32_e32 v2, 31, v0
	s_cselect_b32 s54, -1, 0
	s_and_b32 s1, s34, 0xff
	v_lshlrev_b32_e32 v13, 2, v0
	s_cmp_eq_u32 s1, 0
	v_cmp_gt_u32_e64 s0, 64, v0
	s_cselect_b32 s55, -1, 0
	s_lshl_b64 s[6:7], s[22:23], 1
	s_add_i32 s56, s52, -1
	s_mul_i32 s22, s11, s8
	s_add_u32 s9, s30, s6
	s_addc_u32 s8, s31, s7
	s_lshl_b64 s[6:7], s[22:23], 1
	v_cmp_eq_u32_e64 s1, v2, v0
	s_add_u32 s6, s9, s6
	s_addc_u32 s7, s8, s7
	v_add_co_u32 v16, s6, s6, v3
	v_add_nc_u32_e32 v14, 0, v1
	v_cmp_gt_u32_e64 s2, 2, v0
	v_add_nc_u32_e32 v15, 0, v3
	v_cmp_gt_u32_e64 s3, 32, v0
	v_cmp_lt_u32_e64 s4, 31, v0
	v_cmp_eq_u32_e64 s5, 0, v0
	v_add_co_ci_u32_e64 v17, null, s7, 0, s6
	v_or_b32_e32 v18, 1, v13
	v_or_b32_e32 v19, 2, v13
	;; [unrolled: 1-line block ×3, first 2 shown]
	v_lshlrev_b32_e32 v21, 3, v0
	v_mbcnt_lo_u32_b32 v22, -1, 0
	s_mov_b32 s57, 0x3e9b6dac
	s_add_i32 s58, 0, 0x430
	s_mov_b32 s59, 0
                                        ; implicit-def: $vgpr25
                                        ; implicit-def: $vgpr3
                                        ; implicit-def: $vgpr24
                                        ; implicit-def: $vgpr0
                                        ; implicit-def: $vgpr23
                                        ; implicit-def: $vgpr26
	s_branch .LBB67_12
.LBB67_11:                              ;   in Loop: Header=BB67_12 Depth=1
	s_add_u32 s46, s46, 0x200
	s_addc_u32 s47, s47, 0
	s_mov_b32 s21, s23
	s_add_u32 s28, s28, 0x200
	v_cvt_f16_f32_e32 v6, v33
	v_cvt_f16_f32_e32 v8, v32
	;; [unrolled: 1-line block ×4, first 2 shown]
	s_addc_u32 s29, s29, 0
	s_lshl_b64 s[6:7], s[20:21], 1
	s_add_u32 s41, s41, 0x200
	v_add_co_u32 v4, vcc_lo, v16, s6
	s_addc_u32 s42, s42, 0
	v_add_co_ci_u32_e32 v5, vcc_lo, s7, v17, vcc_lo
	v_pack_b32_f16 v7, v9, v7
	v_pack_b32_f16 v6, v8, v6
	s_add_u32 s43, s43, 0x200
	s_addc_u32 s45, s45, 0
	s_add_i32 s59, s59, 1
	s_waitcnt_vscnt null, 0x0
	s_cmp_eq_u32 s59, s52
	s_barrier
	buffer_gl0_inv
	global_store_b64 v[4:5], v[6:7], off
	s_cbranch_scc1 .LBB67_54
.LBB67_12:                              ; =>This Loop Header: Depth=1
                                        ;     Child Loop BB67_25 Depth 2
	s_waitcnt_vscnt null, 0x0
	s_barrier
	buffer_gl0_inv
	s_and_saveexec_b32 s6, s0
	s_cbranch_execz .LBB67_14
; %bb.13:                               ;   in Loop: Header=BB67_12 Depth=1
	s_clause 0x1
	global_load_b64 v[0:1], v21, s[28:29]
	global_load_b64 v[2:3], v21, s[46:47]
	s_waitcnt vmcnt(1)
	v_lshrrev_b32_e32 v23, 16, v0
	v_lshrrev_b32_e32 v26, 16, v1
	s_waitcnt vmcnt(0)
	v_lshrrev_b32_e32 v24, 16, v2
	v_lshrrev_b32_e32 v25, 16, v3
.LBB67_14:                              ;   in Loop: Header=BB67_12 Depth=1
	s_or_b32 exec_lo, exec_lo, s6
	v_cvt_f32_f16_e32 v4, v2
	s_delay_alu instid0(VALU_DEP_1) | instskip(NEXT) | instid1(VALU_DEP_1)
	v_add_f32_e32 v27, s48, v4
	v_cmp_ge_f32_e32 vcc_lo, 0x41a00000, v27
	s_and_b32 s6, s53, vcc_lo
	s_delay_alu instid0(SALU_CYCLE_1)
	s_and_saveexec_b32 s7, s6
	s_cbranch_execz .LBB67_16
; %bb.15:                               ;   in Loop: Header=BB67_12 Depth=1
	v_mul_f32_e32 v4, 0x3fb8aa3b, v27
	v_cmp_ngt_f32_e32 vcc_lo, 0xc2ce8ed0, v27
	s_delay_alu instid0(VALU_DEP_2) | instskip(SKIP_1) | instid1(VALU_DEP_2)
	v_rndne_f32_e32 v5, v4
	v_fma_f32 v6, 0x3fb8aa3b, v27, -v4
	v_sub_f32_e32 v4, v4, v5
	s_delay_alu instid0(VALU_DEP_2) | instskip(SKIP_1) | instid1(VALU_DEP_2)
	v_fmac_f32_e32 v6, 0x32a5705f, v27
	v_cvt_i32_f32_e32 v5, v5
	v_add_f32_e32 v4, v4, v6
	s_delay_alu instid0(VALU_DEP_1) | instskip(SKIP_2) | instid1(VALU_DEP_1)
	v_exp_f32_e32 v4, v4
	s_waitcnt_depctr 0xfff
	v_ldexp_f32 v4, v4, v5
	v_cndmask_b32_e32 v4, 0, v4, vcc_lo
	v_cmp_nlt_f32_e32 vcc_lo, 0x42b17218, v27
	s_delay_alu instid0(VALU_DEP_2) | instskip(NEXT) | instid1(VALU_DEP_1)
	v_cndmask_b32_e32 v6, 0x7f800000, v4, vcc_lo
	v_add_f32_e32 v7, 1.0, v6
	s_delay_alu instid0(VALU_DEP_1) | instskip(NEXT) | instid1(VALU_DEP_1)
	v_cvt_f64_f32_e32 v[4:5], v7
	v_frexp_exp_i32_f64_e32 v4, v[4:5]
	v_frexp_mant_f32_e32 v5, v7
	s_delay_alu instid0(VALU_DEP_1) | instskip(SKIP_1) | instid1(VALU_DEP_1)
	v_cmp_gt_f32_e32 vcc_lo, 0x3f2aaaab, v5
	v_add_f32_e32 v5, -1.0, v7
	v_sub_f32_e32 v9, v5, v7
	v_sub_f32_e32 v5, v6, v5
	s_delay_alu instid0(VALU_DEP_2) | instskip(NEXT) | instid1(VALU_DEP_1)
	v_add_f32_e32 v9, 1.0, v9
	v_add_f32_e32 v5, v5, v9
	v_cmp_gt_f32_e64 s6, 0x33800000, v6
	v_subrev_co_ci_u32_e32 v4, vcc_lo, 0, v4, vcc_lo
	v_cmp_eq_f32_e32 vcc_lo, 0x7f800000, v6
	s_delay_alu instid0(VALU_DEP_2) | instskip(SKIP_2) | instid1(VALU_DEP_2)
	v_sub_nc_u32_e32 v8, 0, v4
	v_cvt_f32_i32_e32 v4, v4
	s_or_b32 vcc_lo, s6, vcc_lo
	v_ldexp_f32 v7, v7, v8
	v_ldexp_f32 v5, v5, v8
	s_delay_alu instid0(VALU_DEP_2) | instskip(NEXT) | instid1(VALU_DEP_1)
	v_add_f32_e32 v10, 1.0, v7
	v_dual_add_f32 v8, -1.0, v7 :: v_dual_add_f32 v9, -1.0, v10
	s_delay_alu instid0(VALU_DEP_1) | instskip(NEXT) | instid1(VALU_DEP_2)
	v_add_f32_e32 v11, 1.0, v8
	v_sub_f32_e32 v9, v7, v9
	s_delay_alu instid0(VALU_DEP_2) | instskip(NEXT) | instid1(VALU_DEP_2)
	v_sub_f32_e32 v7, v7, v11
	v_add_f32_e32 v9, v5, v9
	s_delay_alu instid0(VALU_DEP_2) | instskip(NEXT) | instid1(VALU_DEP_2)
	v_add_f32_e32 v5, v5, v7
	v_add_f32_e32 v11, v10, v9
	s_delay_alu instid0(VALU_DEP_1) | instskip(NEXT) | instid1(VALU_DEP_2)
	v_rcp_f32_e32 v7, v11
	v_dual_add_f32 v27, v8, v5 :: v_dual_sub_f32 v10, v10, v11
	s_delay_alu instid0(VALU_DEP_1) | instskip(SKIP_2) | instid1(VALU_DEP_1)
	v_dual_sub_f32 v8, v8, v27 :: v_dual_add_f32 v9, v9, v10
	s_waitcnt_depctr 0xfff
	v_dual_mul_f32 v28, v27, v7 :: v_dual_add_f32 v5, v5, v8
	v_mul_f32_e32 v29, v11, v28
	s_delay_alu instid0(VALU_DEP_1) | instskip(NEXT) | instid1(VALU_DEP_1)
	v_fma_f32 v10, v28, v11, -v29
	v_fmac_f32_e32 v10, v28, v9
	s_delay_alu instid0(VALU_DEP_1) | instskip(NEXT) | instid1(VALU_DEP_1)
	v_add_f32_e32 v30, v29, v10
	v_dual_sub_f32 v31, v27, v30 :: v_dual_sub_f32 v8, v30, v29
	s_delay_alu instid0(VALU_DEP_1) | instskip(NEXT) | instid1(VALU_DEP_1)
	v_dual_sub_f32 v27, v27, v31 :: v_dual_sub_f32 v8, v8, v10
	v_sub_f32_e32 v27, v27, v30
	s_delay_alu instid0(VALU_DEP_1) | instskip(NEXT) | instid1(VALU_DEP_1)
	v_add_f32_e32 v5, v5, v27
	v_add_f32_e32 v5, v8, v5
	s_delay_alu instid0(VALU_DEP_1) | instskip(NEXT) | instid1(VALU_DEP_1)
	v_add_f32_e32 v8, v31, v5
	v_mul_f32_e32 v10, v7, v8
	v_sub_f32_e32 v30, v31, v8
	s_delay_alu instid0(VALU_DEP_2) | instskip(NEXT) | instid1(VALU_DEP_2)
	v_mul_f32_e32 v27, v11, v10
	v_add_f32_e32 v5, v5, v30
	s_delay_alu instid0(VALU_DEP_2) | instskip(NEXT) | instid1(VALU_DEP_1)
	v_fma_f32 v11, v10, v11, -v27
	v_fmac_f32_e32 v11, v10, v9
	s_delay_alu instid0(VALU_DEP_1) | instskip(NEXT) | instid1(VALU_DEP_1)
	v_add_f32_e32 v9, v27, v11
	v_sub_f32_e32 v29, v8, v9
	s_delay_alu instid0(VALU_DEP_1) | instskip(NEXT) | instid1(VALU_DEP_1)
	v_dual_sub_f32 v27, v9, v27 :: v_dual_sub_f32 v8, v8, v29
	v_sub_f32_e32 v8, v8, v9
	s_delay_alu instid0(VALU_DEP_1) | instskip(NEXT) | instid1(VALU_DEP_3)
	v_dual_add_f32 v5, v5, v8 :: v_dual_add_f32 v8, v28, v10
	v_sub_f32_e32 v9, v27, v11
	s_delay_alu instid0(VALU_DEP_1) | instskip(NEXT) | instid1(VALU_DEP_3)
	v_add_f32_e32 v5, v9, v5
	v_sub_f32_e32 v9, v8, v28
	s_delay_alu instid0(VALU_DEP_2) | instskip(NEXT) | instid1(VALU_DEP_2)
	v_add_f32_e32 v5, v29, v5
	v_sub_f32_e32 v9, v10, v9
	s_delay_alu instid0(VALU_DEP_2) | instskip(NEXT) | instid1(VALU_DEP_1)
	v_mul_f32_e32 v5, v7, v5
	v_add_f32_e32 v5, v9, v5
	s_delay_alu instid0(VALU_DEP_1) | instskip(NEXT) | instid1(VALU_DEP_1)
	v_add_f32_e32 v7, v8, v5
	v_mul_f32_e32 v9, v7, v7
	s_delay_alu instid0(VALU_DEP_1) | instskip(SKIP_1) | instid1(VALU_DEP_2)
	v_fmaak_f32 v10, s57, v9, 0x3ecc95a3
	v_mul_f32_e32 v11, v7, v9
	v_fmaak_f32 v9, v9, v10, 0x3f2aaada
	v_ldexp_f32 v10, v7, 1
	v_sub_f32_e32 v7, v7, v8
	s_delay_alu instid0(VALU_DEP_3) | instskip(SKIP_1) | instid1(VALU_DEP_2)
	v_mul_f32_e32 v9, v11, v9
	v_mul_f32_e32 v11, 0x3f317218, v4
	v_dual_sub_f32 v5, v5, v7 :: v_dual_add_f32 v8, v10, v9
	s_delay_alu instid0(VALU_DEP_1) | instskip(NEXT) | instid1(VALU_DEP_2)
	v_ldexp_f32 v5, v5, 1
	v_sub_f32_e32 v7, v8, v10
	s_delay_alu instid0(VALU_DEP_4) | instskip(NEXT) | instid1(VALU_DEP_1)
	v_fma_f32 v10, 0x3f317218, v4, -v11
	v_dual_sub_f32 v7, v9, v7 :: v_dual_fmac_f32 v10, 0xb102e308, v4
	s_delay_alu instid0(VALU_DEP_1) | instskip(NEXT) | instid1(VALU_DEP_1)
	v_dual_add_f32 v4, v5, v7 :: v_dual_add_f32 v5, v11, v10
	v_add_f32_e32 v7, v8, v4
	s_delay_alu instid0(VALU_DEP_2) | instskip(NEXT) | instid1(VALU_DEP_2)
	v_sub_f32_e32 v11, v5, v11
	v_dual_add_f32 v9, v5, v7 :: v_dual_sub_f32 v8, v7, v8
	s_delay_alu instid0(VALU_DEP_1) | instskip(NEXT) | instid1(VALU_DEP_2)
	v_dual_sub_f32 v10, v10, v11 :: v_dual_sub_f32 v27, v9, v5
	v_sub_f32_e32 v4, v4, v8
	s_delay_alu instid0(VALU_DEP_2) | instskip(NEXT) | instid1(VALU_DEP_2)
	v_sub_f32_e32 v28, v9, v27
	v_dual_sub_f32 v7, v7, v27 :: v_dual_add_f32 v8, v10, v4
	s_delay_alu instid0(VALU_DEP_2) | instskip(NEXT) | instid1(VALU_DEP_1)
	v_sub_f32_e32 v5, v5, v28
	v_add_f32_e32 v5, v7, v5
	s_delay_alu instid0(VALU_DEP_3) | instskip(NEXT) | instid1(VALU_DEP_2)
	v_sub_f32_e32 v7, v8, v10
	v_add_f32_e32 v5, v8, v5
	s_delay_alu instid0(VALU_DEP_2) | instskip(NEXT) | instid1(VALU_DEP_2)
	v_sub_f32_e32 v8, v8, v7
	v_dual_sub_f32 v4, v4, v7 :: v_dual_add_f32 v11, v9, v5
	s_delay_alu instid0(VALU_DEP_1) | instskip(NEXT) | instid1(VALU_DEP_1)
	v_dual_sub_f32 v8, v10, v8 :: v_dual_sub_f32 v7, v11, v9
	v_dual_add_f32 v4, v4, v8 :: v_dual_sub_f32 v5, v5, v7
	s_delay_alu instid0(VALU_DEP_1) | instskip(NEXT) | instid1(VALU_DEP_1)
	v_add_f32_e32 v4, v4, v5
	v_add_f32_e32 v4, v11, v4
	s_delay_alu instid0(VALU_DEP_1)
	v_cndmask_b32_e32 v27, v4, v6, vcc_lo
.LBB67_16:                              ;   in Loop: Header=BB67_12 Depth=1
	s_or_b32 exec_lo, exec_lo, s7
	v_cvt_f32_f16_e32 v4, v24
	s_delay_alu instid0(VALU_DEP_1) | instskip(NEXT) | instid1(VALU_DEP_1)
	v_add_f32_e32 v28, s48, v4
	v_cmp_ge_f32_e32 vcc_lo, 0x41a00000, v28
	s_and_b32 s6, s53, vcc_lo
	s_delay_alu instid0(SALU_CYCLE_1)
	s_and_saveexec_b32 s7, s6
	s_cbranch_execz .LBB67_18
; %bb.17:                               ;   in Loop: Header=BB67_12 Depth=1
	v_mul_f32_e32 v4, 0x3fb8aa3b, v28
	v_cmp_ngt_f32_e32 vcc_lo, 0xc2ce8ed0, v28
	s_delay_alu instid0(VALU_DEP_2) | instskip(SKIP_1) | instid1(VALU_DEP_2)
	v_rndne_f32_e32 v5, v4
	v_fma_f32 v6, 0x3fb8aa3b, v28, -v4
	v_sub_f32_e32 v4, v4, v5
	s_delay_alu instid0(VALU_DEP_2) | instskip(SKIP_1) | instid1(VALU_DEP_2)
	v_fmac_f32_e32 v6, 0x32a5705f, v28
	v_cvt_i32_f32_e32 v5, v5
	v_add_f32_e32 v4, v4, v6
	s_delay_alu instid0(VALU_DEP_1) | instskip(SKIP_2) | instid1(VALU_DEP_1)
	v_exp_f32_e32 v4, v4
	s_waitcnt_depctr 0xfff
	v_ldexp_f32 v4, v4, v5
	v_cndmask_b32_e32 v4, 0, v4, vcc_lo
	v_cmp_nlt_f32_e32 vcc_lo, 0x42b17218, v28
	s_delay_alu instid0(VALU_DEP_2) | instskip(NEXT) | instid1(VALU_DEP_1)
	v_cndmask_b32_e32 v6, 0x7f800000, v4, vcc_lo
	v_add_f32_e32 v7, 1.0, v6
	s_delay_alu instid0(VALU_DEP_1) | instskip(NEXT) | instid1(VALU_DEP_1)
	v_cvt_f64_f32_e32 v[4:5], v7
	v_frexp_exp_i32_f64_e32 v4, v[4:5]
	v_frexp_mant_f32_e32 v5, v7
	s_delay_alu instid0(VALU_DEP_1) | instskip(SKIP_1) | instid1(VALU_DEP_1)
	v_cmp_gt_f32_e32 vcc_lo, 0x3f2aaaab, v5
	v_add_f32_e32 v5, -1.0, v7
	v_sub_f32_e32 v9, v5, v7
	v_sub_f32_e32 v5, v6, v5
	s_delay_alu instid0(VALU_DEP_2) | instskip(NEXT) | instid1(VALU_DEP_1)
	v_add_f32_e32 v9, 1.0, v9
	v_add_f32_e32 v5, v5, v9
	v_cmp_gt_f32_e64 s6, 0x33800000, v6
	v_subrev_co_ci_u32_e32 v4, vcc_lo, 0, v4, vcc_lo
	v_cmp_eq_f32_e32 vcc_lo, 0x7f800000, v6
	s_delay_alu instid0(VALU_DEP_2) | instskip(SKIP_2) | instid1(VALU_DEP_2)
	v_sub_nc_u32_e32 v8, 0, v4
	v_cvt_f32_i32_e32 v4, v4
	s_or_b32 vcc_lo, s6, vcc_lo
	v_ldexp_f32 v7, v7, v8
	v_ldexp_f32 v5, v5, v8
	s_delay_alu instid0(VALU_DEP_2) | instskip(NEXT) | instid1(VALU_DEP_1)
	v_add_f32_e32 v10, 1.0, v7
	v_dual_add_f32 v8, -1.0, v7 :: v_dual_add_f32 v9, -1.0, v10
	s_delay_alu instid0(VALU_DEP_1) | instskip(NEXT) | instid1(VALU_DEP_2)
	v_add_f32_e32 v11, 1.0, v8
	v_sub_f32_e32 v9, v7, v9
	s_delay_alu instid0(VALU_DEP_2) | instskip(NEXT) | instid1(VALU_DEP_2)
	v_sub_f32_e32 v7, v7, v11
	v_add_f32_e32 v9, v5, v9
	s_delay_alu instid0(VALU_DEP_2) | instskip(NEXT) | instid1(VALU_DEP_1)
	v_add_f32_e32 v5, v5, v7
	v_add_f32_e32 v28, v8, v5
	s_delay_alu instid0(VALU_DEP_1) | instskip(NEXT) | instid1(VALU_DEP_1)
	v_dual_add_f32 v11, v10, v9 :: v_dual_sub_f32 v8, v8, v28
	v_rcp_f32_e32 v7, v11
	v_sub_f32_e32 v10, v10, v11
	s_delay_alu instid0(VALU_DEP_1) | instskip(SKIP_2) | instid1(VALU_DEP_1)
	v_add_f32_e32 v9, v9, v10
	s_waitcnt_depctr 0xfff
	v_mul_f32_e32 v29, v28, v7
	v_mul_f32_e32 v30, v11, v29
	s_delay_alu instid0(VALU_DEP_1) | instskip(NEXT) | instid1(VALU_DEP_1)
	v_fma_f32 v10, v29, v11, -v30
	v_fmac_f32_e32 v10, v29, v9
	s_delay_alu instid0(VALU_DEP_1) | instskip(NEXT) | instid1(VALU_DEP_1)
	v_add_f32_e32 v31, v30, v10
	v_sub_f32_e32 v32, v28, v31
	s_delay_alu instid0(VALU_DEP_1) | instskip(SKIP_1) | instid1(VALU_DEP_2)
	v_sub_f32_e32 v28, v28, v32
	v_dual_add_f32 v5, v5, v8 :: v_dual_sub_f32 v8, v31, v30
	v_sub_f32_e32 v28, v28, v31
	s_delay_alu instid0(VALU_DEP_1) | instskip(NEXT) | instid1(VALU_DEP_1)
	v_dual_sub_f32 v8, v8, v10 :: v_dual_add_f32 v5, v5, v28
	v_add_f32_e32 v5, v8, v5
	s_delay_alu instid0(VALU_DEP_1) | instskip(NEXT) | instid1(VALU_DEP_1)
	v_add_f32_e32 v8, v32, v5
	v_mul_f32_e32 v10, v7, v8
	s_delay_alu instid0(VALU_DEP_1) | instskip(NEXT) | instid1(VALU_DEP_1)
	v_dual_sub_f32 v31, v32, v8 :: v_dual_mul_f32 v28, v11, v10
	v_add_f32_e32 v5, v5, v31
	s_delay_alu instid0(VALU_DEP_2) | instskip(NEXT) | instid1(VALU_DEP_1)
	v_fma_f32 v11, v10, v11, -v28
	v_fmac_f32_e32 v11, v10, v9
	s_delay_alu instid0(VALU_DEP_1) | instskip(NEXT) | instid1(VALU_DEP_1)
	v_add_f32_e32 v9, v28, v11
	v_sub_f32_e32 v30, v8, v9
	s_delay_alu instid0(VALU_DEP_1) | instskip(NEXT) | instid1(VALU_DEP_1)
	v_sub_f32_e32 v8, v8, v30
	v_sub_f32_e32 v8, v8, v9
	s_delay_alu instid0(VALU_DEP_1) | instskip(SKIP_2) | instid1(VALU_DEP_1)
	v_add_f32_e32 v5, v5, v8
	v_add_f32_e32 v8, v29, v10
	v_sub_f32_e32 v28, v9, v28
	v_sub_f32_e32 v9, v28, v11
	s_delay_alu instid0(VALU_DEP_1) | instskip(NEXT) | instid1(VALU_DEP_4)
	v_add_f32_e32 v5, v9, v5
	v_sub_f32_e32 v9, v8, v29
	s_delay_alu instid0(VALU_DEP_2) | instskip(NEXT) | instid1(VALU_DEP_2)
	v_add_f32_e32 v5, v30, v5
	v_sub_f32_e32 v9, v10, v9
	s_delay_alu instid0(VALU_DEP_2) | instskip(NEXT) | instid1(VALU_DEP_1)
	v_mul_f32_e32 v5, v7, v5
	v_add_f32_e32 v5, v9, v5
	s_delay_alu instid0(VALU_DEP_1) | instskip(NEXT) | instid1(VALU_DEP_1)
	v_add_f32_e32 v7, v8, v5
	v_mul_f32_e32 v9, v7, v7
	s_delay_alu instid0(VALU_DEP_1) | instskip(SKIP_1) | instid1(VALU_DEP_2)
	v_fmaak_f32 v10, s57, v9, 0x3ecc95a3
	v_mul_f32_e32 v11, v7, v9
	v_fmaak_f32 v9, v9, v10, 0x3f2aaada
	v_ldexp_f32 v10, v7, 1
	s_delay_alu instid0(VALU_DEP_2) | instskip(SKIP_1) | instid1(VALU_DEP_2)
	v_mul_f32_e32 v9, v11, v9
	v_sub_f32_e32 v7, v7, v8
	v_dual_mul_f32 v11, 0x3f317218, v4 :: v_dual_add_f32 v8, v10, v9
	s_delay_alu instid0(VALU_DEP_2) | instskip(NEXT) | instid1(VALU_DEP_2)
	v_sub_f32_e32 v5, v5, v7
	v_sub_f32_e32 v7, v8, v10
	s_delay_alu instid0(VALU_DEP_3) | instskip(NEXT) | instid1(VALU_DEP_3)
	v_fma_f32 v10, 0x3f317218, v4, -v11
	v_ldexp_f32 v5, v5, 1
	s_delay_alu instid0(VALU_DEP_2) | instskip(NEXT) | instid1(VALU_DEP_1)
	v_dual_sub_f32 v7, v9, v7 :: v_dual_fmac_f32 v10, 0xb102e308, v4
	v_dual_add_f32 v4, v5, v7 :: v_dual_add_f32 v5, v11, v10
	s_delay_alu instid0(VALU_DEP_1) | instskip(NEXT) | instid1(VALU_DEP_1)
	v_add_f32_e32 v7, v8, v4
	v_dual_add_f32 v9, v5, v7 :: v_dual_sub_f32 v8, v7, v8
	s_delay_alu instid0(VALU_DEP_1) | instskip(NEXT) | instid1(VALU_DEP_2)
	v_sub_f32_e32 v28, v9, v5
	v_dual_sub_f32 v11, v5, v11 :: v_dual_sub_f32 v4, v4, v8
	s_delay_alu instid0(VALU_DEP_1) | instskip(SKIP_1) | instid1(VALU_DEP_2)
	v_dual_sub_f32 v29, v9, v28 :: v_dual_sub_f32 v10, v10, v11
	v_sub_f32_e32 v7, v7, v28
	v_dual_sub_f32 v5, v5, v29 :: v_dual_add_f32 v8, v10, v4
	s_delay_alu instid0(VALU_DEP_1) | instskip(NEXT) | instid1(VALU_DEP_2)
	v_add_f32_e32 v5, v7, v5
	v_sub_f32_e32 v7, v8, v10
	s_delay_alu instid0(VALU_DEP_2) | instskip(NEXT) | instid1(VALU_DEP_2)
	v_add_f32_e32 v5, v8, v5
	v_sub_f32_e32 v8, v8, v7
	s_delay_alu instid0(VALU_DEP_2) | instskip(NEXT) | instid1(VALU_DEP_1)
	v_dual_sub_f32 v4, v4, v7 :: v_dual_add_f32 v11, v9, v5
	v_dual_sub_f32 v8, v10, v8 :: v_dual_sub_f32 v7, v11, v9
	s_delay_alu instid0(VALU_DEP_1) | instskip(NEXT) | instid1(VALU_DEP_1)
	v_dual_add_f32 v4, v4, v8 :: v_dual_sub_f32 v5, v5, v7
	v_add_f32_e32 v4, v4, v5
	s_delay_alu instid0(VALU_DEP_1) | instskip(NEXT) | instid1(VALU_DEP_1)
	v_add_f32_e32 v4, v11, v4
	v_cndmask_b32_e32 v28, v4, v6, vcc_lo
.LBB67_18:                              ;   in Loop: Header=BB67_12 Depth=1
	s_or_b32 exec_lo, exec_lo, s7
	v_cvt_f32_f16_e32 v4, v3
	s_delay_alu instid0(VALU_DEP_1) | instskip(NEXT) | instid1(VALU_DEP_1)
	v_add_f32_e32 v29, s48, v4
	v_cmp_ge_f32_e32 vcc_lo, 0x41a00000, v29
	s_and_b32 s6, s53, vcc_lo
	s_delay_alu instid0(SALU_CYCLE_1)
	s_and_saveexec_b32 s7, s6
	s_cbranch_execz .LBB67_20
; %bb.19:                               ;   in Loop: Header=BB67_12 Depth=1
	v_mul_f32_e32 v4, 0x3fb8aa3b, v29
	v_cmp_ngt_f32_e32 vcc_lo, 0xc2ce8ed0, v29
	s_delay_alu instid0(VALU_DEP_2) | instskip(SKIP_1) | instid1(VALU_DEP_2)
	v_rndne_f32_e32 v5, v4
	v_fma_f32 v6, 0x3fb8aa3b, v29, -v4
	v_sub_f32_e32 v4, v4, v5
	s_delay_alu instid0(VALU_DEP_2) | instskip(SKIP_1) | instid1(VALU_DEP_2)
	v_fmac_f32_e32 v6, 0x32a5705f, v29
	v_cvt_i32_f32_e32 v5, v5
	v_add_f32_e32 v4, v4, v6
	s_delay_alu instid0(VALU_DEP_1) | instskip(SKIP_2) | instid1(VALU_DEP_1)
	v_exp_f32_e32 v4, v4
	s_waitcnt_depctr 0xfff
	v_ldexp_f32 v4, v4, v5
	v_cndmask_b32_e32 v4, 0, v4, vcc_lo
	v_cmp_nlt_f32_e32 vcc_lo, 0x42b17218, v29
	s_delay_alu instid0(VALU_DEP_2) | instskip(NEXT) | instid1(VALU_DEP_1)
	v_cndmask_b32_e32 v6, 0x7f800000, v4, vcc_lo
	v_add_f32_e32 v7, 1.0, v6
	s_delay_alu instid0(VALU_DEP_1) | instskip(NEXT) | instid1(VALU_DEP_1)
	v_cvt_f64_f32_e32 v[4:5], v7
	v_frexp_exp_i32_f64_e32 v4, v[4:5]
	v_frexp_mant_f32_e32 v5, v7
	s_delay_alu instid0(VALU_DEP_1) | instskip(SKIP_1) | instid1(VALU_DEP_1)
	v_cmp_gt_f32_e32 vcc_lo, 0x3f2aaaab, v5
	v_add_f32_e32 v5, -1.0, v7
	v_sub_f32_e32 v9, v5, v7
	v_sub_f32_e32 v5, v6, v5
	s_delay_alu instid0(VALU_DEP_2) | instskip(NEXT) | instid1(VALU_DEP_1)
	v_add_f32_e32 v9, 1.0, v9
	v_add_f32_e32 v5, v5, v9
	v_cmp_gt_f32_e64 s6, 0x33800000, v6
	v_subrev_co_ci_u32_e32 v4, vcc_lo, 0, v4, vcc_lo
	v_cmp_eq_f32_e32 vcc_lo, 0x7f800000, v6
	s_delay_alu instid0(VALU_DEP_2) | instskip(SKIP_2) | instid1(VALU_DEP_2)
	v_sub_nc_u32_e32 v8, 0, v4
	v_cvt_f32_i32_e32 v4, v4
	s_or_b32 vcc_lo, s6, vcc_lo
	v_ldexp_f32 v7, v7, v8
	v_ldexp_f32 v5, v5, v8
	s_delay_alu instid0(VALU_DEP_2) | instskip(NEXT) | instid1(VALU_DEP_1)
	v_add_f32_e32 v10, 1.0, v7
	v_dual_add_f32 v8, -1.0, v7 :: v_dual_add_f32 v9, -1.0, v10
	s_delay_alu instid0(VALU_DEP_1) | instskip(NEXT) | instid1(VALU_DEP_2)
	v_add_f32_e32 v11, 1.0, v8
	v_sub_f32_e32 v9, v7, v9
	s_delay_alu instid0(VALU_DEP_2) | instskip(NEXT) | instid1(VALU_DEP_2)
	v_sub_f32_e32 v7, v7, v11
	v_add_f32_e32 v9, v5, v9
	s_delay_alu instid0(VALU_DEP_2) | instskip(NEXT) | instid1(VALU_DEP_2)
	v_add_f32_e32 v5, v5, v7
	v_add_f32_e32 v11, v10, v9
	s_delay_alu instid0(VALU_DEP_1) | instskip(NEXT) | instid1(VALU_DEP_2)
	v_rcp_f32_e32 v7, v11
	v_dual_add_f32 v29, v8, v5 :: v_dual_sub_f32 v10, v10, v11
	s_delay_alu instid0(VALU_DEP_1) | instskip(SKIP_3) | instid1(VALU_DEP_2)
	v_sub_f32_e32 v8, v8, v29
	s_waitcnt_depctr 0xfff
	v_mul_f32_e32 v30, v29, v7
	v_add_f32_e32 v5, v5, v8
	v_mul_f32_e32 v31, v11, v30
	v_add_f32_e32 v9, v9, v10
	s_delay_alu instid0(VALU_DEP_2) | instskip(NEXT) | instid1(VALU_DEP_1)
	v_fma_f32 v10, v30, v11, -v31
	v_fmac_f32_e32 v10, v30, v9
	s_delay_alu instid0(VALU_DEP_1) | instskip(NEXT) | instid1(VALU_DEP_1)
	v_add_f32_e32 v32, v31, v10
	v_dual_sub_f32 v8, v32, v31 :: v_dual_sub_f32 v33, v29, v32
	s_delay_alu instid0(VALU_DEP_1) | instskip(NEXT) | instid1(VALU_DEP_1)
	v_dual_sub_f32 v8, v8, v10 :: v_dual_sub_f32 v29, v29, v33
	v_sub_f32_e32 v29, v29, v32
	s_delay_alu instid0(VALU_DEP_1) | instskip(NEXT) | instid1(VALU_DEP_1)
	v_add_f32_e32 v5, v5, v29
	v_add_f32_e32 v5, v8, v5
	s_delay_alu instid0(VALU_DEP_1) | instskip(NEXT) | instid1(VALU_DEP_1)
	v_add_f32_e32 v8, v33, v5
	v_sub_f32_e32 v32, v33, v8
	v_mul_f32_e32 v10, v7, v8
	s_delay_alu instid0(VALU_DEP_2) | instskip(NEXT) | instid1(VALU_DEP_2)
	v_add_f32_e32 v5, v5, v32
	v_mul_f32_e32 v29, v11, v10
	s_delay_alu instid0(VALU_DEP_1) | instskip(NEXT) | instid1(VALU_DEP_1)
	v_fma_f32 v11, v10, v11, -v29
	v_fmac_f32_e32 v11, v10, v9
	s_delay_alu instid0(VALU_DEP_1) | instskip(NEXT) | instid1(VALU_DEP_1)
	v_add_f32_e32 v9, v29, v11
	v_sub_f32_e32 v31, v8, v9
	s_delay_alu instid0(VALU_DEP_1) | instskip(NEXT) | instid1(VALU_DEP_1)
	v_dual_sub_f32 v29, v9, v29 :: v_dual_sub_f32 v8, v8, v31
	v_dual_sub_f32 v8, v8, v9 :: v_dual_sub_f32 v9, v29, v11
	s_delay_alu instid0(VALU_DEP_1) | instskip(NEXT) | instid1(VALU_DEP_1)
	v_dual_add_f32 v5, v5, v8 :: v_dual_add_f32 v8, v30, v10
	v_add_f32_e32 v5, v9, v5
	s_delay_alu instid0(VALU_DEP_2) | instskip(NEXT) | instid1(VALU_DEP_2)
	v_sub_f32_e32 v9, v8, v30
	v_add_f32_e32 v5, v31, v5
	s_delay_alu instid0(VALU_DEP_2) | instskip(NEXT) | instid1(VALU_DEP_2)
	v_sub_f32_e32 v9, v10, v9
	v_mul_f32_e32 v5, v7, v5
	s_delay_alu instid0(VALU_DEP_1) | instskip(NEXT) | instid1(VALU_DEP_1)
	v_add_f32_e32 v5, v9, v5
	v_add_f32_e32 v7, v8, v5
	s_delay_alu instid0(VALU_DEP_1) | instskip(NEXT) | instid1(VALU_DEP_1)
	v_mul_f32_e32 v9, v7, v7
	v_fmaak_f32 v10, s57, v9, 0x3ecc95a3
	v_mul_f32_e32 v11, v7, v9
	s_delay_alu instid0(VALU_DEP_2) | instskip(SKIP_2) | instid1(VALU_DEP_3)
	v_fmaak_f32 v9, v9, v10, 0x3f2aaada
	v_ldexp_f32 v10, v7, 1
	v_sub_f32_e32 v7, v7, v8
	v_mul_f32_e32 v9, v11, v9
	v_mul_f32_e32 v11, 0x3f317218, v4
	s_delay_alu instid0(VALU_DEP_2) | instskip(NEXT) | instid1(VALU_DEP_1)
	v_dual_sub_f32 v5, v5, v7 :: v_dual_add_f32 v8, v10, v9
	v_ldexp_f32 v5, v5, 1
	s_delay_alu instid0(VALU_DEP_2) | instskip(NEXT) | instid1(VALU_DEP_4)
	v_sub_f32_e32 v7, v8, v10
	v_fma_f32 v10, 0x3f317218, v4, -v11
	s_delay_alu instid0(VALU_DEP_1) | instskip(NEXT) | instid1(VALU_DEP_1)
	v_dual_sub_f32 v7, v9, v7 :: v_dual_fmac_f32 v10, 0xb102e308, v4
	v_dual_add_f32 v4, v5, v7 :: v_dual_add_f32 v5, v11, v10
	s_delay_alu instid0(VALU_DEP_1) | instskip(NEXT) | instid1(VALU_DEP_2)
	v_add_f32_e32 v7, v8, v4
	v_sub_f32_e32 v11, v5, v11
	s_delay_alu instid0(VALU_DEP_2) | instskip(NEXT) | instid1(VALU_DEP_1)
	v_dual_add_f32 v9, v5, v7 :: v_dual_sub_f32 v8, v7, v8
	v_dual_sub_f32 v10, v10, v11 :: v_dual_sub_f32 v29, v9, v5
	s_delay_alu instid0(VALU_DEP_2) | instskip(NEXT) | instid1(VALU_DEP_2)
	v_sub_f32_e32 v4, v4, v8
	v_sub_f32_e32 v30, v9, v29
	s_delay_alu instid0(VALU_DEP_2) | instskip(NEXT) | instid1(VALU_DEP_2)
	v_dual_sub_f32 v7, v7, v29 :: v_dual_add_f32 v8, v10, v4
	v_sub_f32_e32 v5, v5, v30
	s_delay_alu instid0(VALU_DEP_1) | instskip(NEXT) | instid1(VALU_DEP_3)
	v_add_f32_e32 v5, v7, v5
	v_sub_f32_e32 v7, v8, v10
	s_delay_alu instid0(VALU_DEP_2) | instskip(NEXT) | instid1(VALU_DEP_2)
	v_add_f32_e32 v5, v8, v5
	v_sub_f32_e32 v8, v8, v7
	s_delay_alu instid0(VALU_DEP_2) | instskip(NEXT) | instid1(VALU_DEP_1)
	v_dual_sub_f32 v4, v4, v7 :: v_dual_add_f32 v11, v9, v5
	v_dual_sub_f32 v8, v10, v8 :: v_dual_sub_f32 v7, v11, v9
	s_delay_alu instid0(VALU_DEP_1) | instskip(NEXT) | instid1(VALU_DEP_1)
	v_dual_add_f32 v4, v4, v8 :: v_dual_sub_f32 v5, v5, v7
	v_add_f32_e32 v4, v4, v5
	s_delay_alu instid0(VALU_DEP_1) | instskip(NEXT) | instid1(VALU_DEP_1)
	v_add_f32_e32 v4, v11, v4
	v_cndmask_b32_e32 v29, v4, v6, vcc_lo
.LBB67_20:                              ;   in Loop: Header=BB67_12 Depth=1
	s_or_b32 exec_lo, exec_lo, s7
	v_cvt_f32_f16_e32 v4, v25
	s_delay_alu instid0(VALU_DEP_1) | instskip(NEXT) | instid1(VALU_DEP_1)
	v_add_f32_e32 v31, s48, v4
	v_cmp_ge_f32_e32 vcc_lo, 0x41a00000, v31
	s_and_b32 s6, s53, vcc_lo
	s_delay_alu instid0(SALU_CYCLE_1)
	s_and_saveexec_b32 s7, s6
	s_cbranch_execz .LBB67_22
; %bb.21:                               ;   in Loop: Header=BB67_12 Depth=1
	v_mul_f32_e32 v4, 0x3fb8aa3b, v31
	v_cmp_ngt_f32_e32 vcc_lo, 0xc2ce8ed0, v31
	s_delay_alu instid0(VALU_DEP_2) | instskip(SKIP_1) | instid1(VALU_DEP_2)
	v_rndne_f32_e32 v5, v4
	v_fma_f32 v6, 0x3fb8aa3b, v31, -v4
	v_sub_f32_e32 v4, v4, v5
	s_delay_alu instid0(VALU_DEP_2) | instskip(SKIP_1) | instid1(VALU_DEP_2)
	v_fmac_f32_e32 v6, 0x32a5705f, v31
	v_cvt_i32_f32_e32 v5, v5
	v_add_f32_e32 v4, v4, v6
	s_delay_alu instid0(VALU_DEP_1) | instskip(SKIP_2) | instid1(VALU_DEP_1)
	v_exp_f32_e32 v4, v4
	s_waitcnt_depctr 0xfff
	v_ldexp_f32 v4, v4, v5
	v_cndmask_b32_e32 v4, 0, v4, vcc_lo
	v_cmp_nlt_f32_e32 vcc_lo, 0x42b17218, v31
	s_delay_alu instid0(VALU_DEP_2) | instskip(NEXT) | instid1(VALU_DEP_1)
	v_cndmask_b32_e32 v6, 0x7f800000, v4, vcc_lo
	v_add_f32_e32 v7, 1.0, v6
	s_delay_alu instid0(VALU_DEP_1) | instskip(NEXT) | instid1(VALU_DEP_1)
	v_cvt_f64_f32_e32 v[4:5], v7
	v_frexp_exp_i32_f64_e32 v4, v[4:5]
	v_frexp_mant_f32_e32 v5, v7
	s_delay_alu instid0(VALU_DEP_1) | instskip(SKIP_1) | instid1(VALU_DEP_1)
	v_cmp_gt_f32_e32 vcc_lo, 0x3f2aaaab, v5
	v_add_f32_e32 v5, -1.0, v7
	v_sub_f32_e32 v9, v5, v7
	v_sub_f32_e32 v5, v6, v5
	s_delay_alu instid0(VALU_DEP_2) | instskip(NEXT) | instid1(VALU_DEP_1)
	v_add_f32_e32 v9, 1.0, v9
	v_add_f32_e32 v5, v5, v9
	v_cmp_gt_f32_e64 s6, 0x33800000, v6
	v_subrev_co_ci_u32_e32 v4, vcc_lo, 0, v4, vcc_lo
	v_cmp_eq_f32_e32 vcc_lo, 0x7f800000, v6
	s_delay_alu instid0(VALU_DEP_2) | instskip(SKIP_2) | instid1(VALU_DEP_2)
	v_sub_nc_u32_e32 v8, 0, v4
	v_cvt_f32_i32_e32 v4, v4
	s_or_b32 vcc_lo, s6, vcc_lo
	v_ldexp_f32 v7, v7, v8
	v_ldexp_f32 v5, v5, v8
	s_delay_alu instid0(VALU_DEP_2) | instskip(NEXT) | instid1(VALU_DEP_1)
	v_add_f32_e32 v10, 1.0, v7
	v_dual_add_f32 v8, -1.0, v7 :: v_dual_add_f32 v9, -1.0, v10
	s_delay_alu instid0(VALU_DEP_1) | instskip(NEXT) | instid1(VALU_DEP_2)
	v_add_f32_e32 v11, 1.0, v8
	v_sub_f32_e32 v9, v7, v9
	s_delay_alu instid0(VALU_DEP_2) | instskip(NEXT) | instid1(VALU_DEP_2)
	v_sub_f32_e32 v7, v7, v11
	v_add_f32_e32 v9, v5, v9
	s_delay_alu instid0(VALU_DEP_2) | instskip(NEXT) | instid1(VALU_DEP_1)
	v_add_f32_e32 v5, v5, v7
	v_add_f32_e32 v30, v8, v5
	s_delay_alu instid0(VALU_DEP_1) | instskip(NEXT) | instid1(VALU_DEP_1)
	v_dual_add_f32 v11, v10, v9 :: v_dual_sub_f32 v8, v8, v30
	v_rcp_f32_e32 v7, v11
	v_sub_f32_e32 v10, v10, v11
	s_delay_alu instid0(VALU_DEP_1) | instskip(SKIP_2) | instid1(VALU_DEP_1)
	v_add_f32_e32 v9, v9, v10
	s_waitcnt_depctr 0xfff
	v_mul_f32_e32 v31, v30, v7
	v_mul_f32_e32 v32, v11, v31
	s_delay_alu instid0(VALU_DEP_1) | instskip(NEXT) | instid1(VALU_DEP_1)
	v_fma_f32 v10, v31, v11, -v32
	v_dual_fmac_f32 v10, v31, v9 :: v_dual_add_f32 v5, v5, v8
	s_delay_alu instid0(VALU_DEP_1) | instskip(NEXT) | instid1(VALU_DEP_1)
	v_add_f32_e32 v33, v32, v10
	v_sub_f32_e32 v34, v30, v33
	v_sub_f32_e32 v8, v33, v32
	s_delay_alu instid0(VALU_DEP_2) | instskip(NEXT) | instid1(VALU_DEP_2)
	v_sub_f32_e32 v30, v30, v34
	v_sub_f32_e32 v8, v8, v10
	s_delay_alu instid0(VALU_DEP_2) | instskip(NEXT) | instid1(VALU_DEP_1)
	v_sub_f32_e32 v30, v30, v33
	v_add_f32_e32 v5, v5, v30
	s_delay_alu instid0(VALU_DEP_1) | instskip(NEXT) | instid1(VALU_DEP_1)
	v_add_f32_e32 v5, v8, v5
	v_add_f32_e32 v8, v34, v5
	s_delay_alu instid0(VALU_DEP_1) | instskip(NEXT) | instid1(VALU_DEP_1)
	v_mul_f32_e32 v10, v7, v8
	v_dual_sub_f32 v33, v34, v8 :: v_dual_mul_f32 v30, v11, v10
	s_delay_alu instid0(VALU_DEP_1) | instskip(NEXT) | instid1(VALU_DEP_2)
	v_add_f32_e32 v5, v5, v33
	v_fma_f32 v11, v10, v11, -v30
	s_delay_alu instid0(VALU_DEP_1) | instskip(NEXT) | instid1(VALU_DEP_1)
	v_fmac_f32_e32 v11, v10, v9
	v_add_f32_e32 v9, v30, v11
	s_delay_alu instid0(VALU_DEP_1) | instskip(NEXT) | instid1(VALU_DEP_1)
	v_sub_f32_e32 v32, v8, v9
	v_sub_f32_e32 v8, v8, v32
	s_delay_alu instid0(VALU_DEP_1) | instskip(NEXT) | instid1(VALU_DEP_1)
	v_sub_f32_e32 v8, v8, v9
	v_dual_add_f32 v5, v5, v8 :: v_dual_add_f32 v8, v31, v10
	v_sub_f32_e32 v30, v9, v30
	s_delay_alu instid0(VALU_DEP_1) | instskip(NEXT) | instid1(VALU_DEP_1)
	v_sub_f32_e32 v9, v30, v11
	v_add_f32_e32 v5, v9, v5
	s_delay_alu instid0(VALU_DEP_4) | instskip(NEXT) | instid1(VALU_DEP_2)
	v_sub_f32_e32 v9, v8, v31
	v_add_f32_e32 v5, v32, v5
	s_delay_alu instid0(VALU_DEP_2) | instskip(NEXT) | instid1(VALU_DEP_2)
	v_sub_f32_e32 v9, v10, v9
	v_mul_f32_e32 v5, v7, v5
	s_delay_alu instid0(VALU_DEP_1) | instskip(NEXT) | instid1(VALU_DEP_1)
	v_add_f32_e32 v5, v9, v5
	v_add_f32_e32 v7, v8, v5
	s_delay_alu instid0(VALU_DEP_1) | instskip(NEXT) | instid1(VALU_DEP_1)
	v_mul_f32_e32 v9, v7, v7
	v_fmaak_f32 v10, s57, v9, 0x3ecc95a3
	v_mul_f32_e32 v11, v7, v9
	s_delay_alu instid0(VALU_DEP_2) | instskip(SKIP_2) | instid1(VALU_DEP_3)
	v_fmaak_f32 v9, v9, v10, 0x3f2aaada
	v_ldexp_f32 v10, v7, 1
	v_sub_f32_e32 v7, v7, v8
	v_mul_f32_e32 v9, v11, v9
	v_mul_f32_e32 v11, 0x3f317218, v4
	s_delay_alu instid0(VALU_DEP_2) | instskip(NEXT) | instid1(VALU_DEP_1)
	v_dual_sub_f32 v5, v5, v7 :: v_dual_add_f32 v8, v10, v9
	v_ldexp_f32 v5, v5, 1
	s_delay_alu instid0(VALU_DEP_2) | instskip(NEXT) | instid1(VALU_DEP_4)
	v_sub_f32_e32 v7, v8, v10
	v_fma_f32 v10, 0x3f317218, v4, -v11
	s_delay_alu instid0(VALU_DEP_1) | instskip(NEXT) | instid1(VALU_DEP_1)
	v_dual_sub_f32 v7, v9, v7 :: v_dual_fmac_f32 v10, 0xb102e308, v4
	v_dual_add_f32 v4, v5, v7 :: v_dual_add_f32 v5, v11, v10
	s_delay_alu instid0(VALU_DEP_1) | instskip(NEXT) | instid1(VALU_DEP_2)
	v_add_f32_e32 v7, v8, v4
	v_sub_f32_e32 v11, v5, v11
	s_delay_alu instid0(VALU_DEP_2) | instskip(NEXT) | instid1(VALU_DEP_2)
	v_dual_add_f32 v9, v5, v7 :: v_dual_sub_f32 v8, v7, v8
	v_sub_f32_e32 v10, v10, v11
	s_delay_alu instid0(VALU_DEP_2) | instskip(NEXT) | instid1(VALU_DEP_1)
	v_sub_f32_e32 v30, v9, v5
	v_dual_sub_f32 v4, v4, v8 :: v_dual_sub_f32 v31, v9, v30
	s_delay_alu instid0(VALU_DEP_1) | instskip(NEXT) | instid1(VALU_DEP_2)
	v_dual_sub_f32 v7, v7, v30 :: v_dual_add_f32 v8, v10, v4
	v_sub_f32_e32 v5, v5, v31
	s_delay_alu instid0(VALU_DEP_1) | instskip(NEXT) | instid1(VALU_DEP_3)
	v_add_f32_e32 v5, v7, v5
	v_sub_f32_e32 v7, v8, v10
	s_delay_alu instid0(VALU_DEP_2) | instskip(NEXT) | instid1(VALU_DEP_2)
	v_add_f32_e32 v5, v8, v5
	v_sub_f32_e32 v8, v8, v7
	s_delay_alu instid0(VALU_DEP_2) | instskip(NEXT) | instid1(VALU_DEP_1)
	v_dual_sub_f32 v4, v4, v7 :: v_dual_add_f32 v11, v9, v5
	v_dual_sub_f32 v8, v10, v8 :: v_dual_sub_f32 v7, v11, v9
	s_delay_alu instid0(VALU_DEP_1) | instskip(NEXT) | instid1(VALU_DEP_1)
	v_dual_add_f32 v4, v4, v8 :: v_dual_sub_f32 v5, v5, v7
	v_add_f32_e32 v4, v4, v5
	s_delay_alu instid0(VALU_DEP_1) | instskip(NEXT) | instid1(VALU_DEP_1)
	v_add_f32_e32 v4, v11, v4
	v_cndmask_b32_e32 v31, v4, v6, vcc_lo
.LBB67_22:                              ;   in Loop: Header=BB67_12 Depth=1
	s_or_b32 exec_lo, exec_lo, s7
	v_cvt_f32_f16_e32 v4, v1
	v_cvt_f32_f16_e32 v5, v23
	;; [unrolled: 1-line block ×4, first 2 shown]
	s_lshl_b32 s20, s59, 8
	s_delay_alu instid0(VALU_DEP_3) | instskip(NEXT) | instid1(VALU_DEP_3)
	v_dual_mul_f32 v30, s49, v4 :: v_dual_mul_f32 v33, s49, v5
	v_mul_f32_e32 v32, s49, v6
	s_delay_alu instid0(VALU_DEP_3)
	v_mul_f32_e32 v34, s49, v7
	s_and_b32 vcc_lo, exec_lo, s54
	s_barrier
	buffer_gl0_inv
	s_cbranch_vccz .LBB67_11
; %bb.23:                               ;   in Loop: Header=BB67_12 Depth=1
	v_dual_mul_f32 v37, v28, v5 :: v_dual_mul_f32 v38, v27, v6
	v_add_nc_u32_e32 v5, -1, v22
	v_dual_mul_f32 v35, v31, v7 :: v_dual_mul_f32 v36, v29, v4
	v_and_b32_e32 v4, 15, v22
	v_and_b32_e32 v6, 16, v22
	s_delay_alu instid0(VALU_DEP_4)
	v_cmp_gt_i32_e32 vcc_lo, 0, v5
	v_and_b32_e32 v7, 1, v22
	s_sub_i32 s13, s34, s20
	v_add_co_u32 v39, s6, s41, v21
	v_cndmask_b32_e32 v5, v5, v22, vcc_lo
	v_add_co_ci_u32_e64 v40, null, s42, 0, s6
	v_add_co_u32 v41, s6, s43, v21
	v_cmp_gt_u32_e32 vcc_lo, s13, v13
	v_cmp_gt_u32_e64 s14, s13, v18
	v_cmp_gt_u32_e64 s15, s13, v19
	v_cmp_gt_u32_e64 s16, s13, v20
	s_cmp_lg_u32 s59, 0
	v_add_co_ci_u32_e64 v42, null, s45, 0, s6
	v_cmp_ne_u32_e64 s6, 0, v4
	v_cmp_lt_u32_e64 s7, 1, v4
	v_cmp_lt_u32_e64 s8, 3, v4
	;; [unrolled: 1-line block ×3, first 2 shown]
	v_cmp_ne_u32_e64 s10, 0, v6
	v_cmp_eq_u32_e64 s11, 0, v7
	v_lshlrev_b32_e32 v43, 2, v5
	v_cmp_eq_u32_e64 s12, 0, v22
	s_mov_b32 s22, 0
	s_cselect_b32 s21, -1, 0
	s_cmp_eq_u32 s59, s56
	s_mov_b32 s24, s22
	s_cselect_b32 s60, -1, 0
	s_or_b32 s13, s55, vcc_lo
	s_or_b32 s14, s55, s14
	s_or_b32 s15, s55, s15
	;; [unrolled: 1-line block ×3, first 2 shown]
	s_mov_b32 s30, s22
	s_mov_b32 s38, s22
	;; [unrolled: 1-line block ×4, first 2 shown]
	s_branch .LBB67_25
.LBB67_24:                              ;   in Loop: Header=BB67_25 Depth=2
	s_or_b32 exec_lo, exec_lo, s17
	v_cndmask_b32_e64 v6, v53, v11, s12
	v_cndmask_b32_e64 v7, v52, v10, s12
	s_add_i32 s61, s61, -1
	s_add_i32 s62, s62, 8
	s_add_i32 s38, s38, s26
	v_fma_f32 v6, v6, v49, v46
	v_mul_f32_e32 v7, v7, v49
	s_add_i32 s30, s30, s44
	s_add_i32 s24, s24, s40
	;; [unrolled: 1-line block ×3, first 2 shown]
	v_cndmask_b32_e64 v6, v6, v46, s5
	v_cndmask_b32_e64 v7, v7, v49, s5
	s_cmp_eq_u32 s61, 0
	s_waitcnt lgkmcnt(0)
	s_delay_alu instid0(VALU_DEP_1) | instskip(NEXT) | instid1(VALU_DEP_1)
	v_fmac_f32_e32 v6, v8, v7
	v_fmac_f32_e32 v44, v6, v50
	s_delay_alu instid0(VALU_DEP_1) | instskip(SKIP_1) | instid1(VALU_DEP_2)
	v_fmac_f32_e32 v45, v44, v51
	v_fma_mix_f32 v33, v44, v4, v33 op_sel:[0,1,0] op_sel_hi:[0,1,0]
	v_fmac_f32_e32 v47, v45, v48
	v_fma_mix_f32 v32, v6, v4, v32 op_sel_hi:[0,1,0]
	v_fma_mix_f32 v30, v45, v5, v30 op_sel_hi:[0,1,0]
	s_delay_alu instid0(VALU_DEP_3)
	v_fma_mix_f32 v34, v47, v5, v34 op_sel:[0,1,0] op_sel_hi:[0,1,0]
	s_cbranch_scc1 .LBB67_11
.LBB67_25:                              ;   Parent Loop BB67_12 Depth=1
                                        ; =>  This Inner Loop Header: Depth=2
	s_lshl_b64 s[18:19], s[22:23], 2
	s_mov_b32 s25, s23
	s_add_u32 s18, s36, s18
	s_addc_u32 s19, s27, s19
	s_lshl_b64 s[64:65], s[24:25], 1
	s_mov_b32 s31, s23
	v_add_co_u32 v4, vcc_lo, v39, s64
	v_add_co_ci_u32_e32 v5, vcc_lo, s65, v40, vcc_lo
	s_lshl_b64 s[64:65], s[30:31], 1
	s_delay_alu instid0(SALU_CYCLE_1)
	v_add_co_u32 v6, vcc_lo, v41, s64
	v_add_co_ci_u32_e32 v7, vcc_lo, s65, v42, vcc_lo
	global_load_b32 v10, v12, s[18:19]
	global_load_b64 v[8:9], v[4:5], off
	global_load_b64 v[4:5], v[6:7], off
	s_and_not1_b32 vcc_lo, exec_lo, s21
	s_cbranch_vccnz .LBB67_27
; %bb.26:                               ;   in Loop: Header=BB67_25 Depth=2
	v_mov_b32_e32 v6, s62
	ds_load_b64 v[6:7], v6
	s_cbranch_execz .LBB67_28
	s_branch .LBB67_31
.LBB67_27:                              ;   in Loop: Header=BB67_25 Depth=2
                                        ; implicit-def: $vgpr6
.LBB67_28:                              ;   in Loop: Header=BB67_25 Depth=2
	s_waitcnt lgkmcnt(0)
	v_mov_b32_e32 v7, 0
	s_and_not1_b32 vcc_lo, exec_lo, s33
	s_cbranch_vccnz .LBB67_30
; %bb.29:                               ;   in Loop: Header=BB67_25 Depth=2
	s_mov_b32 s39, s23
	s_delay_alu instid0(SALU_CYCLE_1) | instskip(NEXT) | instid1(SALU_CYCLE_1)
	s_lshl_b64 s[18:19], s[38:39], 1
	s_add_u32 s18, s50, s18
	s_addc_u32 s19, s51, s19
	global_load_u16 v6, v12, s[18:19]
	s_waitcnt vmcnt(0)
	v_cvt_f32_f16_e32 v7, v6
.LBB67_30:                              ;   in Loop: Header=BB67_25 Depth=2
	v_mov_b32_e32 v6, 1.0
.LBB67_31:                              ;   in Loop: Header=BB67_25 Depth=2
	s_waitcnt vmcnt(1)
	v_lshrrev_b32_e32 v11, 16, v8
	v_cvt_f32_f16_e32 v45, v9
	v_cvt_f32_f16_e32 v8, v8
	v_lshrrev_b32_e32 v9, 16, v9
	s_delay_alu instid0(VALU_DEP_4) | instskip(SKIP_1) | instid1(VALU_DEP_4)
	v_cvt_f32_f16_e32 v11, v11
	v_mul_f32_e32 v10, 0x3fb8aa3b, v10
	v_mul_f32_e32 v8, v38, v8
	s_delay_alu instid0(VALU_DEP_4) | instskip(SKIP_4) | instid1(VALU_DEP_4)
	v_cvt_f32_f16_e32 v9, v9
	v_mul_f32_e32 v45, v36, v45
	v_mul_f32_e32 v11, v37, v11
	;; [unrolled: 1-line block ×4, first 2 shown]
	v_cndmask_b32_e64 v45, 0, v45, s15
	s_delay_alu instid0(VALU_DEP_3) | instskip(NEXT) | instid1(VALU_DEP_3)
	v_cmp_gt_f32_e64 s19, 0xc2fc0000, v48
	v_cmp_gt_f32_e32 vcc_lo, 0xc2fc0000, v44
	s_delay_alu instid0(VALU_DEP_2) | instskip(SKIP_2) | instid1(VALU_DEP_3)
	v_cndmask_b32_e64 v48, 0, 0x42800000, s19
	v_cndmask_b32_e64 v44, 0, 0x42800000, vcc_lo
	v_cndmask_b32_e64 v50, 1.0, 0x1f800000, vcc_lo
	v_fmac_f32_e32 v48, v10, v31
	s_delay_alu instid0(VALU_DEP_3) | instskip(NEXT) | instid1(VALU_DEP_2)
	v_fmac_f32_e32 v44, v10, v27
	v_exp_f32_e32 v48, v48
	v_mul_f32_e32 v46, v10, v28
	s_delay_alu instid0(VALU_DEP_2) | instskip(SKIP_1) | instid1(VALU_DEP_2)
	v_exp_f32_e32 v44, v44
	v_mul_f32_e32 v47, v10, v29
	v_cmp_gt_f32_e64 s17, 0xc2fc0000, v46
	s_delay_alu instid0(VALU_DEP_1) | instskip(SKIP_4) | instid1(VALU_DEP_2)
	v_cndmask_b32_e64 v46, 0, 0x42800000, s17
	s_waitcnt_depctr 0xfff
	v_mul_f32_e32 v44, v44, v50
	v_cmp_gt_f32_e64 s18, 0xc2fc0000, v47
	v_fmac_f32_e32 v46, v10, v28
	v_cndmask_b32_e64 v47, 0, 0x42800000, s18
	s_delay_alu instid0(VALU_DEP_2) | instskip(SKIP_1) | instid1(VALU_DEP_2)
	v_exp_f32_e32 v49, v46
	v_cndmask_b32_e64 v46, 0, v8, s13
	v_fmac_f32_e32 v47, v10, v29
	v_cndmask_b32_e64 v10, 1.0, 0x1f800000, s17
	s_waitcnt_depctr 0xfff
	v_mul_f32_e32 v10, v49, v10
	v_exp_f32_e32 v8, v47
	v_cndmask_b32_e64 v47, 1.0, 0x1f800000, s18
	v_cndmask_b32_e64 v49, 1.0, v44, s13
	v_cndmask_b32_e64 v44, 0, v11, s14
	v_cndmask_b32_e64 v11, 1.0, 0x1f800000, s19
	v_cndmask_b32_e64 v50, 1.0, v10, s14
	s_waitcnt_depctr 0xfff
	v_mul_f32_e32 v8, v8, v47
	v_mul_f32_e32 v10, v50, v49
	s_delay_alu instid0(VALU_DEP_2) | instskip(SKIP_2) | instid1(VALU_DEP_2)
	v_cndmask_b32_e64 v51, 1.0, v8, s15
	v_dual_mul_f32 v8, v35, v9 :: v_dual_mul_f32 v9, v48, v11
	v_fma_f32 v11, v50, v46, v44
	v_cndmask_b32_e64 v47, 0, v8, s16
	s_delay_alu instid0(VALU_DEP_3) | instskip(SKIP_1) | instid1(VALU_DEP_4)
	v_cndmask_b32_e64 v48, 1.0, v9, s16
	v_mul_f32_e32 v8, v10, v51
	v_fma_f32 v9, v11, v51, v45
	s_delay_alu instid0(VALU_DEP_2) | instskip(NEXT) | instid1(VALU_DEP_2)
	v_mul_f32_e32 v8, v8, v48
	v_fma_f32 v9, v9, v48, v47
	s_delay_alu instid0(VALU_DEP_2) | instskip(NEXT) | instid1(VALU_DEP_2)
	v_mov_b32_dpp v11, v8 row_shr:1 row_mask:0xf bank_mask:0xf
	v_mov_b32_dpp v10, v9 row_shr:1 row_mask:0xf bank_mask:0xf
	s_and_saveexec_b32 s17, s6
; %bb.32:                               ;   in Loop: Header=BB67_25 Depth=2
	s_delay_alu instid0(VALU_DEP_2) | instskip(NEXT) | instid1(VALU_DEP_1)
	v_mul_f32_e32 v11, v8, v11
	v_dual_fmac_f32 v9, v8, v10 :: v_dual_mov_b32 v8, v11
; %bb.33:                               ;   in Loop: Header=BB67_25 Depth=2
	s_or_b32 exec_lo, exec_lo, s17
	s_delay_alu instid0(VALU_DEP_1) | instskip(NEXT) | instid1(VALU_DEP_2)
	v_mov_b32_dpp v10, v8 row_shr:2 row_mask:0xf bank_mask:0xf
	v_mov_b32_dpp v11, v9 row_shr:2 row_mask:0xf bank_mask:0xf
	s_and_saveexec_b32 s17, s7
; %bb.34:                               ;   in Loop: Header=BB67_25 Depth=2
	s_delay_alu instid0(VALU_DEP_1) | instskip(NEXT) | instid1(VALU_DEP_3)
	v_fmac_f32_e32 v9, v8, v11
	v_mul_f32_e32 v8, v8, v10
; %bb.35:                               ;   in Loop: Header=BB67_25 Depth=2
	s_or_b32 exec_lo, exec_lo, s17
	s_delay_alu instid0(VALU_DEP_1) | instskip(NEXT) | instid1(VALU_DEP_3)
	v_mov_b32_dpp v10, v8 row_shr:4 row_mask:0xf bank_mask:0xf
	v_mov_b32_dpp v11, v9 row_shr:4 row_mask:0xf bank_mask:0xf
	s_and_saveexec_b32 s17, s8
; %bb.36:                               ;   in Loop: Header=BB67_25 Depth=2
	s_delay_alu instid0(VALU_DEP_1) | instskip(NEXT) | instid1(VALU_DEP_3)
	v_fmac_f32_e32 v9, v8, v11
	v_mul_f32_e32 v8, v8, v10
; %bb.37:                               ;   in Loop: Header=BB67_25 Depth=2
	s_or_b32 exec_lo, exec_lo, s17
	s_delay_alu instid0(VALU_DEP_1) | instskip(NEXT) | instid1(VALU_DEP_3)
	v_mov_b32_dpp v10, v8 row_shr:8 row_mask:0xf bank_mask:0xf
	v_mov_b32_dpp v11, v9 row_shr:8 row_mask:0xf bank_mask:0xf
	s_and_saveexec_b32 s17, s9
; %bb.38:                               ;   in Loop: Header=BB67_25 Depth=2
	s_delay_alu instid0(VALU_DEP_1) | instskip(NEXT) | instid1(VALU_DEP_3)
	v_fmac_f32_e32 v9, v8, v11
	v_mul_f32_e32 v8, v8, v10
; %bb.39:                               ;   in Loop: Header=BB67_25 Depth=2
	s_or_b32 exec_lo, exec_lo, s17
	ds_swizzle_b32 v11, v8 offset:swizzle(BROADCAST,32,15)
	ds_swizzle_b32 v10, v9 offset:swizzle(BROADCAST,32,15)
	s_and_saveexec_b32 s17, s10
	s_cbranch_execz .LBB67_41
; %bb.40:                               ;   in Loop: Header=BB67_25 Depth=2
	s_waitcnt lgkmcnt(1)
	v_mul_f32_e32 v11, v8, v11
	s_waitcnt lgkmcnt(0)
	s_delay_alu instid0(VALU_DEP_1)
	v_dual_fmac_f32 v9, v8, v10 :: v_dual_mov_b32 v8, v11
.LBB67_41:                              ;   in Loop: Header=BB67_25 Depth=2
	s_or_b32 exec_lo, exec_lo, s17
	s_and_saveexec_b32 s17, s1
	s_cbranch_execz .LBB67_43
; %bb.42:                               ;   in Loop: Header=BB67_25 Depth=2
	ds_store_b64 v14, v[8:9] offset:1056
.LBB67_43:                              ;   in Loop: Header=BB67_25 Depth=2
	s_or_b32 exec_lo, exec_lo, s17
	s_waitcnt vmcnt(0) lgkmcnt(0)
	s_waitcnt_vscnt null, 0x0
	s_barrier
	buffer_gl0_inv
	s_and_saveexec_b32 s17, s2
	s_cbranch_execz .LBB67_45
; %bb.44:                               ;   in Loop: Header=BB67_25 Depth=2
	ds_load_b64 v[10:11], v15 offset:1056
	s_waitcnt lgkmcnt(0)
	v_mov_b32_dpp v52, v10 row_shr:1 row_mask:0xf bank_mask:0xf
	v_mov_b32_dpp v53, v11 row_shr:1 row_mask:0xf bank_mask:0xf
	s_delay_alu instid0(VALU_DEP_2) | instskip(NEXT) | instid1(VALU_DEP_2)
	v_mul_f32_e32 v52, v10, v52
	v_fma_f32 v53, v10, v53, v11
	s_delay_alu instid0(VALU_DEP_2) | instskip(NEXT) | instid1(VALU_DEP_2)
	v_cndmask_b32_e64 v10, v52, v10, s11
	v_cndmask_b32_e64 v11, v53, v11, s11
	ds_store_b64 v15, v[10:11] offset:1056
.LBB67_45:                              ;   in Loop: Header=BB67_25 Depth=2
	s_or_b32 exec_lo, exec_lo, s17
	s_waitcnt lgkmcnt(0)
	s_barrier
	buffer_gl0_inv
                                        ; implicit-def: $vgpr11
	s_and_saveexec_b32 s17, s4
	s_cbranch_execz .LBB67_47
; %bb.46:                               ;   in Loop: Header=BB67_25 Depth=2
	ds_load_b64 v[10:11], v14 offset:1048
	s_waitcnt lgkmcnt(0)
	v_mul_f32_e32 v52, v8, v10
	v_fmac_f32_e32 v9, v8, v11
	s_delay_alu instid0(VALU_DEP_2)
	v_mov_b32_e32 v8, v52
.LBB67_47:                              ;   in Loop: Header=BB67_25 Depth=2
	s_or_b32 exec_lo, exec_lo, s17
	ds_bpermute_b32 v52, v43, v8
	ds_bpermute_b32 v53, v43, v9
	s_and_saveexec_b32 s17, s3
	s_cbranch_execz .LBB67_51
; %bb.48:                               ;   in Loop: Header=BB67_25 Depth=2
	ds_load_b64 v[8:9], v12 offset:1064
	s_and_saveexec_b32 s18, s5
	s_cbranch_execz .LBB67_50
; %bb.49:                               ;   in Loop: Header=BB67_25 Depth=2
	ds_store_b64 v12, v[6:7] offset:1064
.LBB67_50:                              ;   in Loop: Header=BB67_25 Depth=2
	s_or_b32 exec_lo, exec_lo, s18
	s_waitcnt lgkmcnt(0)
	v_fmac_f32_e32 v9, v7, v8
	s_delay_alu instid0(VALU_DEP_1)
	v_dual_mul_f32 v6, v6, v8 :: v_dual_mov_b32 v7, v9
.LBB67_51:                              ;   in Loop: Header=BB67_25 Depth=2
	s_or_b32 exec_lo, exec_lo, s17
	s_waitcnt lgkmcnt(0)
	s_barrier
	buffer_gl0_inv
	ds_load_b32 v8, v12 offset:1068
	s_and_saveexec_b32 s17, s5
	s_cbranch_execz .LBB67_24
; %bb.52:                               ;   in Loop: Header=BB67_25 Depth=2
	v_mov_b32_e32 v9, s62
	s_and_not1_b32 vcc_lo, exec_lo, s60
	ds_store_b64 v9, v[6:7]
	s_cbranch_vccnz .LBB67_24
; %bb.53:                               ;   in Loop: Header=BB67_25 Depth=2
	s_mov_b32 s39, s23
	v_cvt_f16_f32_e32 v6, v7
	s_lshl_b64 s[18:19], s[38:39], 1
	s_delay_alu instid0(SALU_CYCLE_1)
	s_add_u32 s18, s50, s18
	s_addc_u32 s19, s51, s19
	global_store_b16 v12, v6, s[18:19]
	s_branch .LBB67_24
.LBB67_54:
	s_nop 0
	s_sendmsg sendmsg(MSG_DEALLOC_VGPRS)
	s_endpgm
	.section	.rodata,"a",@progbits
	.p2align	6, 0x0
	.amdhsa_kernel _Z25selective_scan_fwd_kernelI32Selective_Scan_fwd_kernel_traitsILi64ELi4ELi1ELb1ELb1ELb1ELb0ELb0EN3c104HalfEfS2_EEv13SSMParamsBase
		.amdhsa_group_segment_fixed_size 0
		.amdhsa_private_segment_fixed_size 0
		.amdhsa_kernarg_size 248
		.amdhsa_user_sgpr_count 14
		.amdhsa_user_sgpr_dispatch_ptr 0
		.amdhsa_user_sgpr_queue_ptr 0
		.amdhsa_user_sgpr_kernarg_segment_ptr 1
		.amdhsa_user_sgpr_dispatch_id 0
		.amdhsa_user_sgpr_private_segment_size 0
		.amdhsa_wavefront_size32 1
		.amdhsa_uses_dynamic_stack 0
		.amdhsa_enable_private_segment 0
		.amdhsa_system_sgpr_workgroup_id_x 1
		.amdhsa_system_sgpr_workgroup_id_y 1
		.amdhsa_system_sgpr_workgroup_id_z 0
		.amdhsa_system_sgpr_workgroup_info 0
		.amdhsa_system_vgpr_workitem_id 0
		.amdhsa_next_free_vgpr 54
		.amdhsa_next_free_sgpr 66
		.amdhsa_reserve_vcc 1
		.amdhsa_float_round_mode_32 0
		.amdhsa_float_round_mode_16_64 0
		.amdhsa_float_denorm_mode_32 3
		.amdhsa_float_denorm_mode_16_64 3
		.amdhsa_dx10_clamp 1
		.amdhsa_ieee_mode 1
		.amdhsa_fp16_overflow 0
		.amdhsa_workgroup_processor_mode 1
		.amdhsa_memory_ordered 1
		.amdhsa_forward_progress 0
		.amdhsa_shared_vgpr_count 0
		.amdhsa_exception_fp_ieee_invalid_op 0
		.amdhsa_exception_fp_denorm_src 0
		.amdhsa_exception_fp_ieee_div_zero 0
		.amdhsa_exception_fp_ieee_overflow 0
		.amdhsa_exception_fp_ieee_underflow 0
		.amdhsa_exception_fp_ieee_inexact 0
		.amdhsa_exception_int_div_zero 0
	.end_amdhsa_kernel
	.section	.text._Z25selective_scan_fwd_kernelI32Selective_Scan_fwd_kernel_traitsILi64ELi4ELi1ELb1ELb1ELb1ELb0ELb0EN3c104HalfEfS2_EEv13SSMParamsBase,"axG",@progbits,_Z25selective_scan_fwd_kernelI32Selective_Scan_fwd_kernel_traitsILi64ELi4ELi1ELb1ELb1ELb1ELb0ELb0EN3c104HalfEfS2_EEv13SSMParamsBase,comdat
.Lfunc_end67:
	.size	_Z25selective_scan_fwd_kernelI32Selective_Scan_fwd_kernel_traitsILi64ELi4ELi1ELb1ELb1ELb1ELb0ELb0EN3c104HalfEfS2_EEv13SSMParamsBase, .Lfunc_end67-_Z25selective_scan_fwd_kernelI32Selective_Scan_fwd_kernel_traitsILi64ELi4ELi1ELb1ELb1ELb1ELb0ELb0EN3c104HalfEfS2_EEv13SSMParamsBase
                                        ; -- End function
	.section	.AMDGPU.csdata,"",@progbits
; Kernel info:
; codeLenInByte = 5856
; NumSgprs: 68
; NumVgprs: 54
; ScratchSize: 0
; MemoryBound: 0
; FloatMode: 240
; IeeeMode: 1
; LDSByteSize: 0 bytes/workgroup (compile time only)
; SGPRBlocks: 8
; VGPRBlocks: 6
; NumSGPRsForWavesPerEU: 68
; NumVGPRsForWavesPerEU: 54
; Occupancy: 16
; WaveLimiterHint : 0
; COMPUTE_PGM_RSRC2:SCRATCH_EN: 0
; COMPUTE_PGM_RSRC2:USER_SGPR: 14
; COMPUTE_PGM_RSRC2:TRAP_HANDLER: 0
; COMPUTE_PGM_RSRC2:TGID_X_EN: 1
; COMPUTE_PGM_RSRC2:TGID_Y_EN: 1
; COMPUTE_PGM_RSRC2:TGID_Z_EN: 0
; COMPUTE_PGM_RSRC2:TIDIG_COMP_CNT: 0
	.section	.text._Z25selective_scan_fwd_kernelI32Selective_Scan_fwd_kernel_traitsILi64ELi4ELi1ELb0ELb1ELb1ELb1ELb1EN3c104HalfEfS2_EEv13SSMParamsBase,"axG",@progbits,_Z25selective_scan_fwd_kernelI32Selective_Scan_fwd_kernel_traitsILi64ELi4ELi1ELb0ELb1ELb1ELb1ELb1EN3c104HalfEfS2_EEv13SSMParamsBase,comdat
	.protected	_Z25selective_scan_fwd_kernelI32Selective_Scan_fwd_kernel_traitsILi64ELi4ELi1ELb0ELb1ELb1ELb1ELb1EN3c104HalfEfS2_EEv13SSMParamsBase ; -- Begin function _Z25selective_scan_fwd_kernelI32Selective_Scan_fwd_kernel_traitsILi64ELi4ELi1ELb0ELb1ELb1ELb1ELb1EN3c104HalfEfS2_EEv13SSMParamsBase
	.globl	_Z25selective_scan_fwd_kernelI32Selective_Scan_fwd_kernel_traitsILi64ELi4ELi1ELb0ELb1ELb1ELb1ELb1EN3c104HalfEfS2_EEv13SSMParamsBase
	.p2align	8
	.type	_Z25selective_scan_fwd_kernelI32Selective_Scan_fwd_kernel_traitsILi64ELi4ELi1ELb0ELb1ELb1ELb1ELb1EN3c104HalfEfS2_EEv13SSMParamsBase,@function
_Z25selective_scan_fwd_kernelI32Selective_Scan_fwd_kernel_traitsILi64ELi4ELi1ELb0ELb1ELb1ELb1ELb1EN3c104HalfEfS2_EEv13SSMParamsBase: ; @_Z25selective_scan_fwd_kernelI32Selective_Scan_fwd_kernel_traitsILi64ELi4ELi1ELb0ELb1ELb1ELb1ELb1EN3c104HalfEfS2_EEv13SSMParamsBase
; %bb.0:
	s_clause 0x2
	s_load_b32 s11, s[0:1], 0x18
	s_load_b256 s[52:59], s[0:1], 0xc8
	s_load_b128 s[4:7], s[0:1], 0xe8
	s_mov_b32 s12, s15
	s_ashr_i32 s15, s14, 31
	s_mov_b32 s33, 0
	s_lshl_b64 s[8:9], s[14:15], 2
	s_waitcnt lgkmcnt(0)
	s_abs_i32 s10, s11
	s_add_u32 s2, s58, s8
	v_cvt_f32_u32_e32 v1, s10
	s_addc_u32 s3, s59, s9
	s_cmp_eq_u64 s[6:7], 0
	s_delay_alu instid0(VALU_DEP_1) | instskip(SKIP_2) | instid1(VALU_DEP_1)
	v_rcp_iflag_f32_e32 v1, v1
	s_waitcnt_depctr 0xfff
	v_mul_f32_e32 v1, 0x4f7ffffe, v1
	v_cvt_u32_f32_e32 v1, v1
	s_delay_alu instid0(VALU_DEP_1)
	v_readfirstlane_b32 s60, v1
	s_cbranch_scc1 .LBB68_2
; %bb.1:
	v_mov_b32_e32 v1, 0
	s_add_u32 s6, s6, s14
	s_addc_u32 s7, s7, s15
	global_load_u8 v1, v1, s[6:7]
	s_waitcnt vmcnt(0)
	v_and_b32_e32 v1, 1, v1
	s_delay_alu instid0(VALU_DEP_1)
	v_cmp_eq_u32_e64 s33, 1, v1
.LBB68_2:
	s_load_b64 s[6:7], s[0:1], 0x20
	s_cmp_eq_u64 s[4:5], 0
	s_cbranch_scc1 .LBB68_4
; %bb.3:
	s_add_u32 s4, s4, s8
	s_addc_u32 s5, s5, s9
	s_load_b32 s14, s[4:5], 0x0
	s_waitcnt lgkmcnt(0)
	s_ashr_i32 s15, s14, 31
.LBB68_4:
	s_waitcnt lgkmcnt(0)
	s_cmp_eq_u64 s[6:7], s[14:15]
	s_cbranch_scc1 .LBB68_108
; %bb.5:
	s_load_b512 s[16:31], s[0:1], 0x88
	s_load_b64 s[34:35], s[2:3], 0x0
	s_mov_b32 s58, 0
	s_mov_b32 s59, 0
	s_waitcnt lgkmcnt(0)
	s_cmp_eq_u64 s[22:23], 0
	s_cbranch_scc1 .LBB68_7
; %bb.6:
	s_ashr_i32 s13, s12, 31
	s_delay_alu instid0(SALU_CYCLE_1) | instskip(NEXT) | instid1(SALU_CYCLE_1)
	s_lshl_b64 s[2:3], s[12:13], 2
	s_add_u32 s2, s22, s2
	s_addc_u32 s3, s23, s3
	s_load_b32 s59, s[2:3], 0x0
.LBB68_7:
	s_cmp_eq_u64 s[28:29], 0
	s_cbranch_scc1 .LBB68_9
; %bb.8:
	s_ashr_i32 s13, s12, 31
	s_delay_alu instid0(SALU_CYCLE_1) | instskip(NEXT) | instid1(SALU_CYCLE_1)
	s_lshl_b64 s[2:3], s[12:13], 2
	s_add_u32 s2, s28, s2
	s_addc_u32 s3, s29, s3
	s_load_b32 s58, s[2:3], 0x0
.LBB68_9:
	s_sub_i32 s23, s35, s34
	s_delay_alu instid0(SALU_CYCLE_1)
	s_cmp_lt_i32 s23, 1
	s_cbranch_scc1 .LBB68_108
; %bb.10:
	s_sub_i32 s2, 0, s10
	s_load_b256 s[36:43], s[0:1], 0x4c
	s_mul_i32 s2, s2, s60
	s_abs_i32 s3, s12
	s_mul_hi_u32 s2, s60, s2
	s_ashr_i32 s5, s11, 31
	s_add_i32 s60, s60, s2
	s_ashr_i32 s2, s12, 31
	s_mul_hi_u32 s4, s3, s60
	s_xor_b32 s5, s2, s5
	s_mul_i32 s6, s4, s10
	s_load_b256 s[44:51], s[0:1], 0x2c
	s_sub_i32 s2, s3, s6
	s_add_i32 s3, s4, 1
	s_sub_i32 s6, s2, s10
	s_cmp_ge_u32 s2, s10
	s_mov_b32 s29, 0
	s_cselect_b32 s3, s3, s4
	s_cselect_b32 s2, s6, s2
	s_add_i32 s4, s3, 1
	s_cmp_ge_u32 s2, s10
	s_waitcnt lgkmcnt(0)
	s_mul_i32 s28, s34, s38
	s_cselect_b32 s4, s4, s3
	s_lshl_b64 s[2:3], s[28:29], 1
	s_xor_b32 s4, s4, s5
	s_mul_i32 s28, s39, s12
	s_sub_i32 s6, s4, s5
	s_add_u32 s4, s24, s2
	s_addc_u32 s5, s25, s3
	s_lshl_b64 s[2:3], s[28:29], 1
	s_mul_i32 s28, s34, s40
	s_add_u32 s38, s4, s2
	s_addc_u32 s39, s5, s3
	s_lshl_b64 s[2:3], s[28:29], 1
	s_mul_i32 s28, s41, s12
	;; [unrolled: 4-line block ×3, first 2 shown]
	s_add_u32 s40, s4, s2
	s_addc_u32 s41, s5, s3
	s_load_b64 s[4:5], s[0:1], 0x7c
	s_lshl_b64 s[2:3], s[28:29], 2
	v_lshlrev_b32_e32 v8, 2, v0
	s_mul_i32 s28, s34, s46
	s_add_u32 s44, s16, s2
	s_addc_u32 s46, s17, s3
	s_lshl_b64 s[2:3], s[28:29], 1
	s_mul_i32 s28, s6, s49
	s_add_u32 s7, s18, s2
	v_mbcnt_lo_u32_b32 v1, -1, 0
	v_and_b32_e32 v2, 0x80, v8
	v_dual_mov_b32 v12, 0 :: v_dual_and_b32 v3, 32, v0
	s_addc_u32 s8, s19, s3
	s_lshl_b64 s[2:3], s[28:29], 1
	s_mul_i32 s28, s34, s50
	s_add_u32 s47, s7, s2
	s_addc_u32 s49, s8, s3
	s_lshl_b64 s[2:3], s[28:29], 1
	s_mul_i32 s28, s6, s37
	s_clause 0x1
	s_load_b32 s37, s[0:1], 0xc
	s_load_b32 s8, s[0:1], 0x28
	v_or_b32_e32 v9, v1, v2
	v_or_b32_e32 v4, v1, v3
	s_add_u32 s7, s20, s2
	s_load_b128 s[16:19], s[0:1], 0x6c
	s_addc_u32 s6, s21, s3
	v_or_b32_e32 v11, 0x60, v9
	v_lshrrev_b32_e32 v14, 3, v4
	s_lshl_b64 s[2:3], s[28:29], 1
	s_waitcnt lgkmcnt(0)
	s_mul_i32 s28, s14, s4
	s_add_u32 s51, s7, s2
	s_load_b32 s50, s[0:1], 0x84
	s_addc_u32 s60, s6, s3
	s_lshl_b64 s[0:1], s[28:29], 1
	v_or_b32_e32 v10, 64, v9
	v_lshrrev_b32_e32 v7, 5, v11
	v_and_b32_e32 v16, 6, v14
	s_mul_i32 s28, s5, s12
	s_add_u32 s2, s52, s0
	s_addc_u32 s3, s53, s1
	s_lshl_b64 s[0:1], s[28:29], 1
	v_lshrrev_b32_e32 v5, 5, v2
	s_add_u32 s52, s2, s0
	v_lshrrev_b32_e32 v6, 5, v10
	v_and_b32_e32 v7, 6, v7
	v_lshl_add_u32 v4, v4, 2, v16
	s_addc_u32 s53, s3, s1
	s_add_i32 s0, s23, 0x7ff
	v_add_lshl_u32 v5, v5, v9, 1
	s_lshr_b32 s61, s0, 11
	s_bitcmp1_b32 s8, 0
	v_add_lshl_u32 v6, v6, v9, 1
	v_add_lshl_u32 v7, v7, v9, 1
	v_lshl_add_u32 v17, v4, 1, 0
	v_and_b32_e32 v4, 15, v1
	s_cselect_b32 s62, -1, 0
	s_cmp_gt_i32 s37, 0
	s_mul_i32 s28, s34, s16
	s_cselect_b32 s63, -1, 0
	s_add_i32 s0, 0, 0x210
	s_and_b32 s1, s23, 0xff
	v_add_nc_u32_e32 v18, s0, v5
	v_add_nc_u32_e32 v19, s0, v6
	s_cmp_eq_u32 s1, 0
	v_add_nc_u32_e32 v20, s0, v7
	v_cmp_ne_u32_e64 s0, 0, v4
	v_cmp_lt_u32_e64 s1, 1, v4
	v_cmp_lt_u32_e64 s2, 3, v4
	;; [unrolled: 1-line block ×3, first 2 shown]
	v_add_nc_u32_e32 v4, -1, v1
	v_or_b32_e32 v3, 31, v3
	s_cselect_b32 s64, -1, 0
	s_lshl_b64 s[14:15], s[28:29], 1
	s_add_i32 s65, s61, -1
	v_cmp_gt_i32_e32 vcc_lo, 0, v4
	s_mul_i32 s28, s17, s12
	v_add_nc_u32_e32 v14, 0, v5
	v_lshrrev_b32_e32 v5, 2, v0
	s_add_u32 s13, s30, s14
	v_cndmask_b32_e32 v4, v4, v1, vcc_lo
	s_addc_u32 s16, s31, s15
	s_lshl_b64 s[14:15], s[28:29], 1
	v_cmp_eq_u32_e64 s5, v3, v0
	v_and_b32_e32 v3, 1, v1
	v_cmp_gt_u32_e64 s6, 2, v0
	v_lshl_add_u32 v22, v0, 3, 0
	v_cmp_gt_u32_e64 s8, 32, v0
	v_cmp_lt_u32_e64 s9, 31, v0
	v_cmp_eq_u32_e64 s10, 0, v0
	s_mul_i32 s28, s34, s42
	v_lshlrev_b32_e32 v0, 1, v1
	s_add_u32 s13, s13, s14
	s_addc_u32 s16, s16, s15
	s_lshl_b64 s[14:15], s[28:29], 1
	v_and_b32_e32 v5, 8, v5
	s_mul_i32 s28, s43, s12
	s_add_u32 s17, s54, s14
	v_cmp_eq_u32_e64 s7, 0, v3
	s_addc_u32 s20, s55, s15
	s_lshl_b64 s[14:15], s[28:29], 1
	v_add_co_u32 v3, s13, s13, v0
	s_mul_i32 s28, s34, s18
	v_lshlrev_b32_e32 v23, 2, v4
	v_add_co_ci_u32_e64 v4, null, s16, 0, s13
	s_add_u32 s16, s17, s14
	v_add_nc_u32_e32 v21, 0, v5
	s_addc_u32 s17, s20, s15
	s_lshl_b64 s[14:15], s[28:29], 1
	v_lshlrev_b32_e32 v5, 1, v2
	s_mul_i32 s28, s19, s12
	s_add_u32 s14, s56, s14
	s_addc_u32 s15, s57, s15
	s_lshl_b64 s[12:13], s[28:29], 1
	v_add_nc_u32_e32 v15, 0, v6
	v_and_b32_e32 v6, 16, v1
	v_add_co_u32 v24, vcc_lo, v3, v5
	s_add_u32 s12, s14, s12
	v_add_co_u32 v3, s14, s16, v0
	v_add_co_ci_u32_e32 v25, vcc_lo, 0, v4, vcc_lo
	v_add_co_ci_u32_e64 v4, null, s17, 0, s14
	s_addc_u32 s13, s15, s13
	v_add_co_u32 v0, s12, s12, v0
	v_cmp_ne_u32_e64 s4, 0, v6
	v_add_co_ci_u32_e64 v6, null, s13, 0, s12
	v_add_co_u32 v26, vcc_lo, v3, v5
	v_add_co_ci_u32_e32 v27, vcc_lo, 0, v4, vcc_lo
	v_add_co_u32 v28, vcc_lo, v0, v5
	v_or_b32_e32 v13, 32, v9
	v_add_nc_u32_e32 v16, 0, v7
	v_cmp_eq_u32_e64 s11, 0, v1
	v_add_co_ci_u32_e32 v29, vcc_lo, 0, v6, vcc_lo
	v_or_b32_e32 v30, 1, v8
	v_or_b32_e32 v31, 2, v8
	;; [unrolled: 1-line block ×3, first 2 shown]
	v_lshlrev_b32_e32 v33, 1, v1
	v_lshlrev_b32_e32 v34, 1, v2
	s_mov_b32 s42, 0x3e9b6dac
	s_add_i32 s43, 0, 0x430
	s_mov_b32 s54, 0xbfb8aa3b
	s_mov_b32 s55, 0xb2a5705f
	s_mov_b32 s56, 0
	s_branch .LBB68_12
.LBB68_11:                              ;   in Loop: Header=BB68_12 Depth=1
	s_or_b32 exec_lo, exec_lo, s12
	s_add_u32 s40, s40, 0x200
	s_addc_u32 s41, s41, 0
	s_add_u32 s38, s38, 0x200
	s_addc_u32 s39, s39, 0
	;; [unrolled: 2-line block ×4, first 2 shown]
	s_add_i32 s56, s56, 1
	s_delay_alu instid0(SALU_CYCLE_1)
	s_cmp_lg_u32 s56, s61
	s_cbranch_scc0 .LBB68_108
.LBB68_12:                              ; =>This Loop Header: Depth=1
                                        ;     Child Loop BB68_37 Depth 2
	v_add_co_u32 v0, s12, s38, v33
	s_delay_alu instid0(VALU_DEP_1) | instskip(SKIP_1) | instid1(VALU_DEP_2)
	v_add_co_ci_u32_e64 v1, null, s39, 0, s12
	s_lshl_b32 s24, s56, 8
	v_add_co_u32 v0, vcc_lo, v0, v34
	s_sub_i32 s19, s23, s24
	s_delay_alu instid0(VALU_DEP_2)
	v_add_co_ci_u32_e32 v1, vcc_lo, 0, v1, vcc_lo
	v_cmp_gt_u32_e64 s12, s19, v9
	s_waitcnt lgkmcnt(0)
	v_mov_b32_e32 v2, 0
	s_waitcnt lgkmcnt(0)
	s_waitcnt_vscnt null, 0x0
	s_barrier
	buffer_gl0_inv
	s_and_saveexec_b32 s13, s12
	s_cbranch_execz .LBB68_14
; %bb.13:                               ;   in Loop: Header=BB68_12 Depth=1
	global_load_u16 v2, v[0:1], off
.LBB68_14:                              ;   in Loop: Header=BB68_12 Depth=1
	s_or_b32 exec_lo, exec_lo, s13
	v_cmp_gt_u32_e64 s13, s19, v13
	v_mov_b32_e32 v3, 0
	v_mov_b32_e32 v5, 0
	s_delay_alu instid0(VALU_DEP_3)
	s_and_saveexec_b32 s14, s13
	s_cbranch_execz .LBB68_16
; %bb.15:                               ;   in Loop: Header=BB68_12 Depth=1
	global_load_u16 v5, v[0:1], off offset:64
.LBB68_16:                              ;   in Loop: Header=BB68_12 Depth=1
	s_or_b32 exec_lo, exec_lo, s14
	v_cmp_gt_u32_e64 s14, s19, v10
	s_delay_alu instid0(VALU_DEP_1)
	s_and_saveexec_b32 s15, s14
	s_cbranch_execz .LBB68_18
; %bb.17:                               ;   in Loop: Header=BB68_12 Depth=1
	global_load_u16 v3, v[0:1], off offset:128
.LBB68_18:                              ;   in Loop: Header=BB68_12 Depth=1
	s_or_b32 exec_lo, exec_lo, s15
	v_cmp_gt_u32_e64 s15, s19, v11
	v_mov_b32_e32 v4, 0
	v_mov_b32_e32 v6, 0
	s_delay_alu instid0(VALU_DEP_3)
	s_and_saveexec_b32 s16, s15
	s_cbranch_execz .LBB68_20
; %bb.19:                               ;   in Loop: Header=BB68_12 Depth=1
	global_load_u16 v6, v[0:1], off offset:192
.LBB68_20:                              ;   in Loop: Header=BB68_12 Depth=1
	s_or_b32 exec_lo, exec_lo, s16
	s_waitcnt vmcnt(0)
	ds_store_b16 v14, v2
	ds_store_b16 v14, v5 offset:64
	ds_store_b16 v15, v3 offset:128
	;; [unrolled: 1-line block ×3, first 2 shown]
	; wave barrier
	ds_load_b64 v[0:1], v17
	v_add_co_u32 v2, s16, s40, v33
	s_delay_alu instid0(VALU_DEP_1) | instskip(SKIP_1) | instid1(VALU_DEP_2)
	v_add_co_ci_u32_e64 v3, null, s41, 0, s16
	s_waitcnt lgkmcnt(0)
	v_add_co_u32 v2, vcc_lo, v2, v34
	s_delay_alu instid0(VALU_DEP_2)
	v_add_co_ci_u32_e32 v3, vcc_lo, 0, v3, vcc_lo
	s_barrier
	buffer_gl0_inv
	s_and_saveexec_b32 s16, s12
	s_cbranch_execz .LBB68_22
; %bb.21:                               ;   in Loop: Header=BB68_12 Depth=1
	global_load_u16 v4, v[2:3], off
.LBB68_22:                              ;   in Loop: Header=BB68_12 Depth=1
	s_or_b32 exec_lo, exec_lo, s16
	v_dual_mov_b32 v5, 0 :: v_dual_mov_b32 v6, 0
	s_and_saveexec_b32 s16, s13
	s_cbranch_execnz .LBB68_99
; %bb.23:                               ;   in Loop: Header=BB68_12 Depth=1
	s_or_b32 exec_lo, exec_lo, s16
	s_and_saveexec_b32 s16, s14
	s_cbranch_execnz .LBB68_100
.LBB68_24:                              ;   in Loop: Header=BB68_12 Depth=1
	s_or_b32 exec_lo, exec_lo, s16
	v_mov_b32_e32 v7, 0
	s_and_saveexec_b32 s16, s15
	s_cbranch_execz .LBB68_26
.LBB68_25:                              ;   in Loop: Header=BB68_12 Depth=1
	global_load_u16 v7, v[2:3], off offset:192
.LBB68_26:                              ;   in Loop: Header=BB68_12 Depth=1
	s_or_b32 exec_lo, exec_lo, s16
	s_waitcnt vmcnt(0)
	ds_store_b16 v14, v4
	ds_store_b16 v14, v6 offset:64
	ds_store_b16 v15, v5 offset:128
	;; [unrolled: 1-line block ×3, first 2 shown]
	; wave barrier
	ds_load_b64 v[2:3], v17
	s_waitcnt lgkmcnt(0)
	v_cvt_f32_f16_e32 v4, v2
	s_delay_alu instid0(VALU_DEP_1) | instskip(NEXT) | instid1(VALU_DEP_1)
	v_add_f32_e32 v35, s58, v4
	v_cmp_ge_f32_e32 vcc_lo, 0x41a00000, v35
	s_and_b32 s16, s62, vcc_lo
	s_delay_alu instid0(SALU_CYCLE_1)
	s_and_saveexec_b32 s17, s16
	s_cbranch_execz .LBB68_28
; %bb.27:                               ;   in Loop: Header=BB68_12 Depth=1
	v_mul_f32_e32 v4, 0x3fb8aa3b, v35
	v_cmp_ngt_f32_e32 vcc_lo, 0xc2ce8ed0, v35
	s_delay_alu instid0(VALU_DEP_2) | instskip(SKIP_1) | instid1(VALU_DEP_2)
	v_rndne_f32_e32 v5, v4
	v_fma_f32 v6, 0x3fb8aa3b, v35, -v4
	v_sub_f32_e32 v4, v4, v5
	s_delay_alu instid0(VALU_DEP_2) | instskip(SKIP_1) | instid1(VALU_DEP_2)
	v_fmac_f32_e32 v6, 0x32a5705f, v35
	v_cvt_i32_f32_e32 v5, v5
	v_add_f32_e32 v4, v4, v6
	s_delay_alu instid0(VALU_DEP_1) | instskip(SKIP_2) | instid1(VALU_DEP_1)
	v_exp_f32_e32 v4, v4
	s_waitcnt_depctr 0xfff
	v_ldexp_f32 v4, v4, v5
	v_cndmask_b32_e32 v4, 0, v4, vcc_lo
	v_cmp_nlt_f32_e32 vcc_lo, 0x42b17218, v35
	s_delay_alu instid0(VALU_DEP_2) | instskip(NEXT) | instid1(VALU_DEP_1)
	v_cndmask_b32_e32 v6, 0x7f800000, v4, vcc_lo
	v_add_f32_e32 v7, 1.0, v6
	s_delay_alu instid0(VALU_DEP_1) | instskip(NEXT) | instid1(VALU_DEP_1)
	v_cvt_f64_f32_e32 v[4:5], v7
	v_frexp_exp_i32_f64_e32 v4, v[4:5]
	v_frexp_mant_f32_e32 v5, v7
	s_delay_alu instid0(VALU_DEP_1) | instskip(SKIP_1) | instid1(VALU_DEP_1)
	v_cmp_gt_f32_e32 vcc_lo, 0x3f2aaaab, v5
	v_add_f32_e32 v5, -1.0, v7
	v_dual_sub_f32 v36, v5, v7 :: v_dual_sub_f32 v5, v6, v5
	s_delay_alu instid0(VALU_DEP_1) | instskip(NEXT) | instid1(VALU_DEP_1)
	v_add_f32_e32 v36, 1.0, v36
	v_add_f32_e32 v5, v5, v36
	v_subrev_co_ci_u32_e32 v4, vcc_lo, 0, v4, vcc_lo
	s_delay_alu instid0(VALU_DEP_1) | instskip(SKIP_1) | instid1(VALU_DEP_2)
	v_sub_nc_u32_e32 v35, 0, v4
	v_cvt_f32_i32_e32 v4, v4
	v_ldexp_f32 v7, v7, v35
	v_ldexp_f32 v5, v5, v35
	s_delay_alu instid0(VALU_DEP_2) | instskip(SKIP_3) | instid1(VALU_DEP_4)
	v_add_f32_e32 v37, 1.0, v7
	v_add_f32_e32 v35, -1.0, v7
	v_cmp_eq_f32_e32 vcc_lo, 0x7f800000, v6
	v_cmp_gt_f32_e64 s16, 0x33800000, v6
	v_add_f32_e32 v36, -1.0, v37
	s_delay_alu instid0(VALU_DEP_4) | instskip(NEXT) | instid1(VALU_DEP_3)
	v_add_f32_e32 v38, 1.0, v35
	s_or_b32 vcc_lo, s16, vcc_lo
	s_delay_alu instid0(VALU_DEP_2) | instskip(NEXT) | instid1(VALU_DEP_1)
	v_sub_f32_e32 v36, v7, v36
	v_dual_sub_f32 v7, v7, v38 :: v_dual_add_f32 v36, v5, v36
	s_delay_alu instid0(VALU_DEP_1) | instskip(NEXT) | instid1(VALU_DEP_1)
	v_add_f32_e32 v5, v5, v7
	v_dual_add_f32 v39, v35, v5 :: v_dual_add_f32 v38, v37, v36
	s_delay_alu instid0(VALU_DEP_1) | instskip(NEXT) | instid1(VALU_DEP_2)
	v_sub_f32_e32 v35, v35, v39
	v_rcp_f32_e32 v7, v38
	v_sub_f32_e32 v37, v37, v38
	s_delay_alu instid0(VALU_DEP_1) | instskip(SKIP_2) | instid1(VALU_DEP_1)
	v_dual_add_f32 v5, v5, v35 :: v_dual_add_f32 v36, v36, v37
	s_waitcnt_depctr 0xfff
	v_mul_f32_e32 v40, v39, v7
	v_mul_f32_e32 v41, v38, v40
	s_delay_alu instid0(VALU_DEP_1) | instskip(NEXT) | instid1(VALU_DEP_1)
	v_fma_f32 v37, v40, v38, -v41
	v_fmac_f32_e32 v37, v40, v36
	s_delay_alu instid0(VALU_DEP_1) | instskip(NEXT) | instid1(VALU_DEP_1)
	v_add_f32_e32 v42, v41, v37
	v_sub_f32_e32 v43, v39, v42
	s_delay_alu instid0(VALU_DEP_1) | instskip(SKIP_1) | instid1(VALU_DEP_2)
	v_sub_f32_e32 v39, v39, v43
	v_sub_f32_e32 v35, v42, v41
	;; [unrolled: 1-line block ×3, first 2 shown]
	s_delay_alu instid0(VALU_DEP_2) | instskip(NEXT) | instid1(VALU_DEP_2)
	v_sub_f32_e32 v35, v35, v37
	v_add_f32_e32 v5, v5, v39
	s_delay_alu instid0(VALU_DEP_1) | instskip(NEXT) | instid1(VALU_DEP_1)
	v_add_f32_e32 v5, v35, v5
	v_add_f32_e32 v35, v43, v5
	s_delay_alu instid0(VALU_DEP_1) | instskip(NEXT) | instid1(VALU_DEP_1)
	v_mul_f32_e32 v37, v7, v35
	v_dual_sub_f32 v42, v43, v35 :: v_dual_mul_f32 v39, v38, v37
	s_delay_alu instid0(VALU_DEP_1) | instskip(NEXT) | instid1(VALU_DEP_2)
	v_add_f32_e32 v5, v5, v42
	v_fma_f32 v38, v37, v38, -v39
	s_delay_alu instid0(VALU_DEP_1) | instskip(NEXT) | instid1(VALU_DEP_1)
	v_fmac_f32_e32 v38, v37, v36
	v_add_f32_e32 v36, v39, v38
	s_delay_alu instid0(VALU_DEP_1) | instskip(SKIP_1) | instid1(VALU_DEP_2)
	v_sub_f32_e32 v41, v35, v36
	v_sub_f32_e32 v39, v36, v39
	;; [unrolled: 1-line block ×3, first 2 shown]
	s_delay_alu instid0(VALU_DEP_1) | instskip(NEXT) | instid1(VALU_DEP_1)
	v_sub_f32_e32 v35, v35, v36
	v_dual_sub_f32 v36, v39, v38 :: v_dual_add_f32 v5, v5, v35
	v_add_f32_e32 v35, v40, v37
	s_delay_alu instid0(VALU_DEP_1) | instskip(NEXT) | instid1(VALU_DEP_1)
	v_dual_add_f32 v5, v36, v5 :: v_dual_sub_f32 v36, v35, v40
	v_add_f32_e32 v5, v41, v5
	s_delay_alu instid0(VALU_DEP_1) | instskip(NEXT) | instid1(VALU_DEP_1)
	v_dual_sub_f32 v36, v37, v36 :: v_dual_mul_f32 v5, v7, v5
	v_add_f32_e32 v5, v36, v5
	s_delay_alu instid0(VALU_DEP_1) | instskip(NEXT) | instid1(VALU_DEP_1)
	v_add_f32_e32 v7, v35, v5
	v_mul_f32_e32 v36, v7, v7
	s_delay_alu instid0(VALU_DEP_1) | instskip(SKIP_1) | instid1(VALU_DEP_2)
	v_fmaak_f32 v37, s42, v36, 0x3ecc95a3
	v_mul_f32_e32 v38, v7, v36
	v_fmaak_f32 v36, v36, v37, 0x3f2aaada
	v_ldexp_f32 v37, v7, 1
	s_delay_alu instid0(VALU_DEP_2) | instskip(NEXT) | instid1(VALU_DEP_1)
	v_dual_sub_f32 v7, v7, v35 :: v_dual_mul_f32 v36, v38, v36
	v_dual_mul_f32 v38, 0x3f317218, v4 :: v_dual_sub_f32 v5, v5, v7
	s_delay_alu instid0(VALU_DEP_2) | instskip(NEXT) | instid1(VALU_DEP_2)
	v_add_f32_e32 v35, v37, v36
	v_ldexp_f32 v5, v5, 1
	s_delay_alu instid0(VALU_DEP_2) | instskip(NEXT) | instid1(VALU_DEP_4)
	v_sub_f32_e32 v7, v35, v37
	v_fma_f32 v37, 0x3f317218, v4, -v38
	s_delay_alu instid0(VALU_DEP_2) | instskip(NEXT) | instid1(VALU_DEP_1)
	v_sub_f32_e32 v7, v36, v7
	v_dual_fmac_f32 v37, 0xb102e308, v4 :: v_dual_add_f32 v4, v5, v7
	s_delay_alu instid0(VALU_DEP_1) | instskip(NEXT) | instid1(VALU_DEP_1)
	v_add_f32_e32 v5, v38, v37
	v_dual_add_f32 v7, v35, v4 :: v_dual_sub_f32 v38, v5, v38
	s_delay_alu instid0(VALU_DEP_1) | instskip(SKIP_1) | instid1(VALU_DEP_3)
	v_add_f32_e32 v36, v5, v7
	v_sub_f32_e32 v35, v7, v35
	v_sub_f32_e32 v37, v37, v38
	s_delay_alu instid0(VALU_DEP_3) | instskip(NEXT) | instid1(VALU_DEP_3)
	v_sub_f32_e32 v39, v36, v5
	v_sub_f32_e32 v4, v4, v35
	s_delay_alu instid0(VALU_DEP_2) | instskip(SKIP_1) | instid1(VALU_DEP_3)
	v_sub_f32_e32 v40, v36, v39
	v_sub_f32_e32 v7, v7, v39
	v_add_f32_e32 v35, v37, v4
	s_delay_alu instid0(VALU_DEP_3) | instskip(NEXT) | instid1(VALU_DEP_1)
	v_sub_f32_e32 v5, v5, v40
	v_add_f32_e32 v5, v7, v5
	s_delay_alu instid0(VALU_DEP_3) | instskip(NEXT) | instid1(VALU_DEP_1)
	v_sub_f32_e32 v7, v35, v37
	v_dual_add_f32 v5, v35, v5 :: v_dual_sub_f32 v4, v4, v7
	s_delay_alu instid0(VALU_DEP_1) | instskip(NEXT) | instid1(VALU_DEP_1)
	v_dual_sub_f32 v35, v35, v7 :: v_dual_add_f32 v38, v36, v5
	v_sub_f32_e32 v35, v37, v35
	s_delay_alu instid0(VALU_DEP_1) | instskip(NEXT) | instid1(VALU_DEP_1)
	v_dual_sub_f32 v7, v38, v36 :: v_dual_add_f32 v4, v4, v35
	v_sub_f32_e32 v5, v5, v7
	s_delay_alu instid0(VALU_DEP_1) | instskip(NEXT) | instid1(VALU_DEP_1)
	v_add_f32_e32 v4, v4, v5
	v_add_f32_e32 v4, v38, v4
	s_delay_alu instid0(VALU_DEP_1)
	v_cndmask_b32_e32 v35, v4, v6, vcc_lo
.LBB68_28:                              ;   in Loop: Header=BB68_12 Depth=1
	s_or_b32 exec_lo, exec_lo, s17
	v_lshrrev_b32_e32 v2, 16, v2
	s_delay_alu instid0(VALU_DEP_1) | instskip(NEXT) | instid1(VALU_DEP_1)
	v_cvt_f32_f16_e32 v2, v2
	v_add_f32_e32 v36, s58, v2
	s_delay_alu instid0(VALU_DEP_1) | instskip(SKIP_1) | instid1(SALU_CYCLE_1)
	v_cmp_ge_f32_e32 vcc_lo, 0x41a00000, v36
	s_and_b32 s16, s62, vcc_lo
	s_and_saveexec_b32 s17, s16
	s_cbranch_execz .LBB68_30
; %bb.29:                               ;   in Loop: Header=BB68_12 Depth=1
	v_mul_f32_e32 v2, 0x3fb8aa3b, v36
	v_cmp_ngt_f32_e32 vcc_lo, 0xc2ce8ed0, v36
	s_delay_alu instid0(VALU_DEP_2) | instskip(SKIP_1) | instid1(VALU_DEP_2)
	v_rndne_f32_e32 v4, v2
	v_fma_f32 v5, 0x3fb8aa3b, v36, -v2
	v_sub_f32_e32 v2, v2, v4
	s_delay_alu instid0(VALU_DEP_2) | instskip(SKIP_1) | instid1(VALU_DEP_2)
	v_fmac_f32_e32 v5, 0x32a5705f, v36
	v_cvt_i32_f32_e32 v4, v4
	v_add_f32_e32 v2, v2, v5
	s_delay_alu instid0(VALU_DEP_1) | instskip(SKIP_2) | instid1(VALU_DEP_1)
	v_exp_f32_e32 v2, v2
	s_waitcnt_depctr 0xfff
	v_ldexp_f32 v2, v2, v4
	v_cndmask_b32_e32 v2, 0, v2, vcc_lo
	v_cmp_nlt_f32_e32 vcc_lo, 0x42b17218, v36
	s_delay_alu instid0(VALU_DEP_2) | instskip(NEXT) | instid1(VALU_DEP_1)
	v_cndmask_b32_e32 v2, 0x7f800000, v2, vcc_lo
	v_add_f32_e32 v6, 1.0, v2
	s_delay_alu instid0(VALU_DEP_1) | instskip(NEXT) | instid1(VALU_DEP_1)
	v_cvt_f64_f32_e32 v[4:5], v6
	v_frexp_exp_i32_f64_e32 v4, v[4:5]
	v_frexp_mant_f32_e32 v5, v6
	s_delay_alu instid0(VALU_DEP_1) | instskip(SKIP_1) | instid1(VALU_DEP_1)
	v_cmp_gt_f32_e32 vcc_lo, 0x3f2aaaab, v5
	v_add_f32_e32 v5, -1.0, v6
	v_dual_sub_f32 v36, v5, v6 :: v_dual_sub_f32 v5, v2, v5
	v_subrev_co_ci_u32_e32 v4, vcc_lo, 0, v4, vcc_lo
	s_delay_alu instid0(VALU_DEP_1) | instskip(SKIP_1) | instid1(VALU_DEP_2)
	v_sub_nc_u32_e32 v7, 0, v4
	v_cvt_f32_i32_e32 v4, v4
	v_ldexp_f32 v6, v6, v7
	s_delay_alu instid0(VALU_DEP_1) | instskip(NEXT) | instid1(VALU_DEP_1)
	v_dual_add_f32 v36, 1.0, v36 :: v_dual_add_f32 v37, 1.0, v6
	v_add_f32_e32 v5, v5, v36
	s_delay_alu instid0(VALU_DEP_1) | instskip(NEXT) | instid1(VALU_DEP_3)
	v_ldexp_f32 v5, v5, v7
	v_dual_add_f32 v7, -1.0, v6 :: v_dual_add_f32 v36, -1.0, v37
	s_delay_alu instid0(VALU_DEP_1) | instskip(NEXT) | instid1(VALU_DEP_2)
	v_add_f32_e32 v38, 1.0, v7
	v_sub_f32_e32 v36, v6, v36
	s_delay_alu instid0(VALU_DEP_2) | instskip(NEXT) | instid1(VALU_DEP_2)
	v_sub_f32_e32 v6, v6, v38
	v_add_f32_e32 v36, v5, v36
	s_delay_alu instid0(VALU_DEP_2) | instskip(NEXT) | instid1(VALU_DEP_1)
	v_add_f32_e32 v5, v5, v6
	v_dual_add_f32 v39, v7, v5 :: v_dual_add_f32 v38, v37, v36
	v_cmp_eq_f32_e32 vcc_lo, 0x7f800000, v2
	v_cmp_gt_f32_e64 s16, 0x33800000, v2
	s_delay_alu instid0(VALU_DEP_3) | instskip(NEXT) | instid1(VALU_DEP_4)
	v_sub_f32_e32 v7, v7, v39
	v_rcp_f32_e32 v6, v38
	v_sub_f32_e32 v37, v37, v38
	s_delay_alu instid0(VALU_DEP_3) | instskip(NEXT) | instid1(VALU_DEP_1)
	s_or_b32 vcc_lo, s16, vcc_lo
	v_dual_add_f32 v5, v5, v7 :: v_dual_add_f32 v36, v36, v37
	s_waitcnt_depctr 0xfff
	v_mul_f32_e32 v40, v39, v6
	s_delay_alu instid0(VALU_DEP_1) | instskip(NEXT) | instid1(VALU_DEP_1)
	v_mul_f32_e32 v41, v38, v40
	v_fma_f32 v37, v40, v38, -v41
	s_delay_alu instid0(VALU_DEP_1) | instskip(NEXT) | instid1(VALU_DEP_1)
	v_fmac_f32_e32 v37, v40, v36
	v_add_f32_e32 v42, v41, v37
	s_delay_alu instid0(VALU_DEP_1) | instskip(NEXT) | instid1(VALU_DEP_1)
	v_sub_f32_e32 v43, v39, v42
	v_sub_f32_e32 v39, v39, v43
	s_delay_alu instid0(VALU_DEP_1) | instskip(SKIP_1) | instid1(VALU_DEP_2)
	v_sub_f32_e32 v39, v39, v42
	v_sub_f32_e32 v7, v42, v41
	v_add_f32_e32 v5, v5, v39
	s_delay_alu instid0(VALU_DEP_2) | instskip(NEXT) | instid1(VALU_DEP_1)
	v_sub_f32_e32 v7, v7, v37
	v_add_f32_e32 v5, v7, v5
	s_delay_alu instid0(VALU_DEP_1) | instskip(NEXT) | instid1(VALU_DEP_1)
	v_add_f32_e32 v7, v43, v5
	v_mul_f32_e32 v37, v6, v7
	s_delay_alu instid0(VALU_DEP_1) | instskip(NEXT) | instid1(VALU_DEP_1)
	v_dual_sub_f32 v42, v43, v7 :: v_dual_mul_f32 v39, v38, v37
	v_add_f32_e32 v5, v5, v42
	s_delay_alu instid0(VALU_DEP_2) | instskip(NEXT) | instid1(VALU_DEP_1)
	v_fma_f32 v38, v37, v38, -v39
	v_fmac_f32_e32 v38, v37, v36
	s_delay_alu instid0(VALU_DEP_1) | instskip(NEXT) | instid1(VALU_DEP_1)
	v_add_f32_e32 v36, v39, v38
	v_sub_f32_e32 v41, v7, v36
	s_delay_alu instid0(VALU_DEP_1) | instskip(NEXT) | instid1(VALU_DEP_1)
	v_sub_f32_e32 v7, v7, v41
	v_sub_f32_e32 v7, v7, v36
	s_delay_alu instid0(VALU_DEP_1) | instskip(SKIP_2) | instid1(VALU_DEP_1)
	v_add_f32_e32 v5, v5, v7
	v_add_f32_e32 v7, v40, v37
	v_sub_f32_e32 v39, v36, v39
	v_sub_f32_e32 v36, v39, v38
	s_delay_alu instid0(VALU_DEP_1) | instskip(NEXT) | instid1(VALU_DEP_1)
	v_dual_add_f32 v5, v36, v5 :: v_dual_sub_f32 v36, v7, v40
	v_add_f32_e32 v5, v41, v5
	s_delay_alu instid0(VALU_DEP_1) | instskip(NEXT) | instid1(VALU_DEP_1)
	v_dual_sub_f32 v36, v37, v36 :: v_dual_mul_f32 v5, v6, v5
	v_add_f32_e32 v5, v36, v5
	s_delay_alu instid0(VALU_DEP_1) | instskip(NEXT) | instid1(VALU_DEP_1)
	v_add_f32_e32 v6, v7, v5
	v_mul_f32_e32 v36, v6, v6
	s_delay_alu instid0(VALU_DEP_1) | instskip(SKIP_1) | instid1(VALU_DEP_2)
	v_fmaak_f32 v37, s42, v36, 0x3ecc95a3
	v_mul_f32_e32 v38, v6, v36
	v_fmaak_f32 v36, v36, v37, 0x3f2aaada
	v_ldexp_f32 v37, v6, 1
	v_sub_f32_e32 v6, v6, v7
	s_delay_alu instid0(VALU_DEP_3) | instskip(SKIP_1) | instid1(VALU_DEP_2)
	v_mul_f32_e32 v36, v38, v36
	v_mul_f32_e32 v38, 0x3f317218, v4
	v_add_f32_e32 v7, v37, v36
	s_delay_alu instid0(VALU_DEP_1) | instskip(NEXT) | instid1(VALU_DEP_3)
	v_dual_sub_f32 v5, v5, v6 :: v_dual_sub_f32 v6, v7, v37
	v_fma_f32 v37, 0x3f317218, v4, -v38
	s_delay_alu instid0(VALU_DEP_2) | instskip(NEXT) | instid1(VALU_DEP_2)
	v_ldexp_f32 v5, v5, 1
	v_dual_sub_f32 v6, v36, v6 :: v_dual_fmac_f32 v37, 0xb102e308, v4
	s_delay_alu instid0(VALU_DEP_1) | instskip(NEXT) | instid1(VALU_DEP_1)
	v_dual_add_f32 v4, v5, v6 :: v_dual_add_f32 v5, v38, v37
	v_add_f32_e32 v6, v7, v4
	s_delay_alu instid0(VALU_DEP_1) | instskip(NEXT) | instid1(VALU_DEP_1)
	v_add_f32_e32 v36, v5, v6
	v_sub_f32_e32 v39, v36, v5
	s_delay_alu instid0(VALU_DEP_1) | instskip(SKIP_2) | instid1(VALU_DEP_2)
	v_sub_f32_e32 v40, v36, v39
	v_sub_f32_e32 v7, v6, v7
	v_sub_f32_e32 v6, v6, v39
	v_sub_f32_e32 v4, v4, v7
	v_sub_f32_e32 v38, v5, v38
	s_delay_alu instid0(VALU_DEP_1) | instskip(NEXT) | instid1(VALU_DEP_1)
	v_sub_f32_e32 v37, v37, v38
	v_add_f32_e32 v7, v37, v4
	v_sub_f32_e32 v5, v5, v40
	s_delay_alu instid0(VALU_DEP_1) | instskip(NEXT) | instid1(VALU_DEP_3)
	v_add_f32_e32 v5, v6, v5
	v_sub_f32_e32 v6, v7, v37
	s_delay_alu instid0(VALU_DEP_1) | instskip(NEXT) | instid1(VALU_DEP_1)
	v_dual_sub_f32 v4, v4, v6 :: v_dual_add_f32 v5, v7, v5
	v_dual_sub_f32 v7, v7, v6 :: v_dual_add_f32 v38, v36, v5
	s_delay_alu instid0(VALU_DEP_1) | instskip(NEXT) | instid1(VALU_DEP_1)
	v_dual_sub_f32 v7, v37, v7 :: v_dual_sub_f32 v6, v38, v36
	v_dual_add_f32 v4, v4, v7 :: v_dual_sub_f32 v5, v5, v6
	s_delay_alu instid0(VALU_DEP_1) | instskip(NEXT) | instid1(VALU_DEP_1)
	v_add_f32_e32 v4, v4, v5
	v_add_f32_e32 v4, v38, v4
	s_delay_alu instid0(VALU_DEP_1)
	v_cndmask_b32_e32 v36, v4, v2, vcc_lo
.LBB68_30:                              ;   in Loop: Header=BB68_12 Depth=1
	s_or_b32 exec_lo, exec_lo, s17
	v_cvt_f32_f16_e32 v2, v3
	s_delay_alu instid0(VALU_DEP_1) | instskip(NEXT) | instid1(VALU_DEP_1)
	v_add_f32_e32 v41, s58, v2
	v_cmp_ge_f32_e32 vcc_lo, 0x41a00000, v41
	s_and_b32 s16, s62, vcc_lo
	s_delay_alu instid0(SALU_CYCLE_1)
	s_and_saveexec_b32 s17, s16
	s_cbranch_execz .LBB68_32
; %bb.31:                               ;   in Loop: Header=BB68_12 Depth=1
	v_mul_f32_e32 v2, 0x3fb8aa3b, v41
	v_cmp_ngt_f32_e32 vcc_lo, 0xc2ce8ed0, v41
	s_delay_alu instid0(VALU_DEP_2) | instskip(SKIP_1) | instid1(VALU_DEP_1)
	v_rndne_f32_e32 v4, v2
	v_fma_f32 v5, 0x3fb8aa3b, v41, -v2
	v_dual_sub_f32 v2, v2, v4 :: v_dual_fmac_f32 v5, 0x32a5705f, v41
	v_cvt_i32_f32_e32 v4, v4
	s_delay_alu instid0(VALU_DEP_2) | instskip(NEXT) | instid1(VALU_DEP_1)
	v_add_f32_e32 v2, v2, v5
	v_exp_f32_e32 v2, v2
	s_waitcnt_depctr 0xfff
	v_ldexp_f32 v2, v2, v4
	s_delay_alu instid0(VALU_DEP_1) | instskip(SKIP_1) | instid1(VALU_DEP_2)
	v_cndmask_b32_e32 v2, 0, v2, vcc_lo
	v_cmp_nlt_f32_e32 vcc_lo, 0x42b17218, v41
	v_cndmask_b32_e32 v2, 0x7f800000, v2, vcc_lo
	s_delay_alu instid0(VALU_DEP_1) | instskip(NEXT) | instid1(VALU_DEP_1)
	v_add_f32_e32 v6, 1.0, v2
	v_cvt_f64_f32_e32 v[4:5], v6
	s_delay_alu instid0(VALU_DEP_1) | instskip(SKIP_1) | instid1(VALU_DEP_1)
	v_frexp_exp_i32_f64_e32 v4, v[4:5]
	v_frexp_mant_f32_e32 v5, v6
	v_cmp_gt_f32_e32 vcc_lo, 0x3f2aaaab, v5
	v_add_f32_e32 v5, -1.0, v6
	s_delay_alu instid0(VALU_DEP_1) | instskip(SKIP_1) | instid1(VALU_DEP_2)
	v_sub_f32_e32 v37, v5, v6
	v_sub_f32_e32 v5, v2, v5
	v_add_f32_e32 v37, 1.0, v37
	s_delay_alu instid0(VALU_DEP_1) | instskip(SKIP_3) | instid1(VALU_DEP_2)
	v_add_f32_e32 v5, v5, v37
	v_cmp_gt_f32_e64 s16, 0x33800000, v2
	v_subrev_co_ci_u32_e32 v4, vcc_lo, 0, v4, vcc_lo
	v_cmp_eq_f32_e32 vcc_lo, 0x7f800000, v2
	v_sub_nc_u32_e32 v7, 0, v4
	v_cvt_f32_i32_e32 v4, v4
	s_or_b32 vcc_lo, s16, vcc_lo
	s_delay_alu instid0(VALU_DEP_2) | instskip(SKIP_1) | instid1(VALU_DEP_2)
	v_ldexp_f32 v6, v6, v7
	v_ldexp_f32 v5, v5, v7
	v_add_f32_e32 v38, 1.0, v6
	v_add_f32_e32 v7, -1.0, v6
	s_delay_alu instid0(VALU_DEP_1) | instskip(NEXT) | instid1(VALU_DEP_3)
	v_add_f32_e32 v39, 1.0, v7
	v_add_f32_e32 v37, -1.0, v38
	s_delay_alu instid0(VALU_DEP_1) | instskip(NEXT) | instid1(VALU_DEP_1)
	v_sub_f32_e32 v37, v6, v37
	v_dual_sub_f32 v6, v6, v39 :: v_dual_add_f32 v37, v5, v37
	s_delay_alu instid0(VALU_DEP_1) | instskip(NEXT) | instid1(VALU_DEP_2)
	v_add_f32_e32 v39, v38, v37
	v_add_f32_e32 v5, v5, v6
	s_delay_alu instid0(VALU_DEP_2) | instskip(SKIP_1) | instid1(VALU_DEP_1)
	v_rcp_f32_e32 v6, v39
	v_sub_f32_e32 v38, v38, v39
	v_dual_add_f32 v40, v7, v5 :: v_dual_add_f32 v37, v37, v38
	s_delay_alu instid0(VALU_DEP_1) | instskip(SKIP_2) | instid1(VALU_DEP_1)
	v_sub_f32_e32 v7, v7, v40
	s_waitcnt_depctr 0xfff
	v_mul_f32_e32 v41, v40, v6
	v_mul_f32_e32 v42, v39, v41
	s_delay_alu instid0(VALU_DEP_1) | instskip(NEXT) | instid1(VALU_DEP_1)
	v_fma_f32 v38, v41, v39, -v42
	v_fmac_f32_e32 v38, v41, v37
	s_delay_alu instid0(VALU_DEP_1) | instskip(NEXT) | instid1(VALU_DEP_1)
	v_add_f32_e32 v43, v42, v38
	v_sub_f32_e32 v44, v40, v43
	s_delay_alu instid0(VALU_DEP_1) | instskip(NEXT) | instid1(VALU_DEP_1)
	v_dual_sub_f32 v40, v40, v44 :: v_dual_add_f32 v5, v5, v7
	v_dual_sub_f32 v7, v43, v42 :: v_dual_sub_f32 v40, v40, v43
	s_delay_alu instid0(VALU_DEP_1) | instskip(NEXT) | instid1(VALU_DEP_2)
	v_sub_f32_e32 v7, v7, v38
	v_add_f32_e32 v5, v5, v40
	s_delay_alu instid0(VALU_DEP_1) | instskip(NEXT) | instid1(VALU_DEP_1)
	v_add_f32_e32 v5, v7, v5
	v_add_f32_e32 v7, v44, v5
	s_delay_alu instid0(VALU_DEP_1) | instskip(NEXT) | instid1(VALU_DEP_1)
	v_mul_f32_e32 v38, v6, v7
	v_dual_sub_f32 v43, v44, v7 :: v_dual_mul_f32 v40, v39, v38
	s_delay_alu instid0(VALU_DEP_1) | instskip(NEXT) | instid1(VALU_DEP_2)
	v_add_f32_e32 v5, v5, v43
	v_fma_f32 v39, v38, v39, -v40
	s_delay_alu instid0(VALU_DEP_1) | instskip(NEXT) | instid1(VALU_DEP_1)
	v_fmac_f32_e32 v39, v38, v37
	v_add_f32_e32 v37, v40, v39
	s_delay_alu instid0(VALU_DEP_1) | instskip(NEXT) | instid1(VALU_DEP_1)
	v_sub_f32_e32 v42, v7, v37
	v_dual_sub_f32 v40, v37, v40 :: v_dual_sub_f32 v7, v7, v42
	s_delay_alu instid0(VALU_DEP_1) | instskip(NEXT) | instid1(VALU_DEP_2)
	v_sub_f32_e32 v7, v7, v37
	v_sub_f32_e32 v37, v40, v39
	s_delay_alu instid0(VALU_DEP_2) | instskip(SKIP_1) | instid1(VALU_DEP_2)
	v_add_f32_e32 v5, v5, v7
	v_add_f32_e32 v7, v41, v38
	;; [unrolled: 1-line block ×3, first 2 shown]
	s_delay_alu instid0(VALU_DEP_2) | instskip(NEXT) | instid1(VALU_DEP_2)
	v_sub_f32_e32 v37, v7, v41
	v_add_f32_e32 v5, v42, v5
	s_delay_alu instid0(VALU_DEP_2) | instskip(NEXT) | instid1(VALU_DEP_2)
	v_sub_f32_e32 v37, v38, v37
	v_mul_f32_e32 v5, v6, v5
	s_delay_alu instid0(VALU_DEP_1) | instskip(NEXT) | instid1(VALU_DEP_1)
	v_add_f32_e32 v5, v37, v5
	v_add_f32_e32 v6, v7, v5
	s_delay_alu instid0(VALU_DEP_1) | instskip(NEXT) | instid1(VALU_DEP_1)
	v_mul_f32_e32 v37, v6, v6
	v_fmaak_f32 v38, s42, v37, 0x3ecc95a3
	v_mul_f32_e32 v39, v6, v37
	s_delay_alu instid0(VALU_DEP_2) | instskip(SKIP_1) | instid1(VALU_DEP_2)
	v_fmaak_f32 v37, v37, v38, 0x3f2aaada
	v_ldexp_f32 v38, v6, 1
	v_dual_sub_f32 v6, v6, v7 :: v_dual_mul_f32 v37, v39, v37
	v_mul_f32_e32 v39, 0x3f317218, v4
	s_delay_alu instid0(VALU_DEP_2) | instskip(NEXT) | instid1(VALU_DEP_3)
	v_sub_f32_e32 v5, v5, v6
	v_add_f32_e32 v7, v38, v37
	s_delay_alu instid0(VALU_DEP_2) | instskip(NEXT) | instid1(VALU_DEP_2)
	v_ldexp_f32 v5, v5, 1
	v_sub_f32_e32 v6, v7, v38
	v_fma_f32 v38, 0x3f317218, v4, -v39
	s_delay_alu instid0(VALU_DEP_2) | instskip(NEXT) | instid1(VALU_DEP_2)
	v_sub_f32_e32 v6, v37, v6
	v_fmac_f32_e32 v38, 0xb102e308, v4
	s_delay_alu instid0(VALU_DEP_2) | instskip(NEXT) | instid1(VALU_DEP_2)
	v_add_f32_e32 v4, v5, v6
	v_add_f32_e32 v5, v39, v38
	s_delay_alu instid0(VALU_DEP_1) | instskip(NEXT) | instid1(VALU_DEP_1)
	v_dual_add_f32 v6, v7, v4 :: v_dual_sub_f32 v39, v5, v39
	v_add_f32_e32 v37, v5, v6
	v_sub_f32_e32 v7, v6, v7
	s_delay_alu instid0(VALU_DEP_3) | instskip(NEXT) | instid1(VALU_DEP_3)
	v_sub_f32_e32 v38, v38, v39
	v_sub_f32_e32 v40, v37, v5
	s_delay_alu instid0(VALU_DEP_1) | instskip(SKIP_1) | instid1(VALU_DEP_2)
	v_dual_sub_f32 v4, v4, v7 :: v_dual_sub_f32 v41, v37, v40
	v_sub_f32_e32 v6, v6, v40
	v_add_f32_e32 v7, v38, v4
	s_delay_alu instid0(VALU_DEP_3) | instskip(NEXT) | instid1(VALU_DEP_1)
	v_sub_f32_e32 v5, v5, v41
	v_dual_add_f32 v5, v6, v5 :: v_dual_sub_f32 v6, v7, v38
	s_delay_alu instid0(VALU_DEP_1) | instskip(NEXT) | instid1(VALU_DEP_2)
	v_add_f32_e32 v5, v7, v5
	v_sub_f32_e32 v7, v7, v6
	s_delay_alu instid0(VALU_DEP_2) | instskip(NEXT) | instid1(VALU_DEP_1)
	v_dual_sub_f32 v4, v4, v6 :: v_dual_add_f32 v39, v37, v5
	v_dual_sub_f32 v7, v38, v7 :: v_dual_sub_f32 v6, v39, v37
	s_delay_alu instid0(VALU_DEP_1) | instskip(NEXT) | instid1(VALU_DEP_1)
	v_dual_add_f32 v4, v4, v7 :: v_dual_sub_f32 v5, v5, v6
	v_add_f32_e32 v4, v4, v5
	s_delay_alu instid0(VALU_DEP_1) | instskip(NEXT) | instid1(VALU_DEP_1)
	v_add_f32_e32 v4, v39, v4
	v_cndmask_b32_e32 v41, v4, v2, vcc_lo
.LBB68_32:                              ;   in Loop: Header=BB68_12 Depth=1
	s_or_b32 exec_lo, exec_lo, s17
	v_lshrrev_b32_e32 v2, 16, v3
	s_delay_alu instid0(VALU_DEP_1) | instskip(NEXT) | instid1(VALU_DEP_1)
	v_cvt_f32_f16_e32 v2, v2
	v_add_f32_e32 v42, s58, v2
	s_delay_alu instid0(VALU_DEP_1) | instskip(SKIP_1) | instid1(SALU_CYCLE_1)
	v_cmp_ge_f32_e32 vcc_lo, 0x41a00000, v42
	s_and_b32 s16, s62, vcc_lo
	s_and_saveexec_b32 s17, s16
	s_cbranch_execz .LBB68_34
; %bb.33:                               ;   in Loop: Header=BB68_12 Depth=1
	v_mul_f32_e32 v2, 0x3fb8aa3b, v42
	v_cmp_ngt_f32_e32 vcc_lo, 0xc2ce8ed0, v42
	s_delay_alu instid0(VALU_DEP_2) | instskip(SKIP_1) | instid1(VALU_DEP_2)
	v_rndne_f32_e32 v3, v2
	v_fma_f32 v4, 0x3fb8aa3b, v42, -v2
	v_sub_f32_e32 v2, v2, v3
	s_delay_alu instid0(VALU_DEP_2) | instskip(SKIP_1) | instid1(VALU_DEP_2)
	v_fmac_f32_e32 v4, 0x32a5705f, v42
	v_cvt_i32_f32_e32 v3, v3
	v_add_f32_e32 v2, v2, v4
	s_delay_alu instid0(VALU_DEP_1) | instskip(SKIP_2) | instid1(VALU_DEP_1)
	v_exp_f32_e32 v2, v2
	s_waitcnt_depctr 0xfff
	v_ldexp_f32 v2, v2, v3
	v_cndmask_b32_e32 v2, 0, v2, vcc_lo
	v_cmp_nlt_f32_e32 vcc_lo, 0x42b17218, v42
	s_delay_alu instid0(VALU_DEP_2) | instskip(NEXT) | instid1(VALU_DEP_1)
	v_cndmask_b32_e32 v4, 0x7f800000, v2, vcc_lo
	v_add_f32_e32 v5, 1.0, v4
	s_delay_alu instid0(VALU_DEP_1) | instskip(NEXT) | instid1(VALU_DEP_1)
	v_cvt_f64_f32_e32 v[2:3], v5
	v_frexp_exp_i32_f64_e32 v2, v[2:3]
	v_frexp_mant_f32_e32 v3, v5
	s_delay_alu instid0(VALU_DEP_1) | instskip(SKIP_1) | instid1(VALU_DEP_1)
	v_cmp_gt_f32_e32 vcc_lo, 0x3f2aaaab, v3
	v_add_f32_e32 v3, -1.0, v5
	v_sub_f32_e32 v7, v3, v5
	s_delay_alu instid0(VALU_DEP_1) | instskip(SKIP_1) | instid1(VALU_DEP_1)
	v_add_f32_e32 v7, 1.0, v7
	v_subrev_co_ci_u32_e32 v2, vcc_lo, 0, v2, vcc_lo
	v_sub_nc_u32_e32 v6, 0, v2
	v_cvt_f32_i32_e32 v2, v2
	s_delay_alu instid0(VALU_DEP_2) | instskip(NEXT) | instid1(VALU_DEP_1)
	v_ldexp_f32 v5, v5, v6
	v_add_f32_e32 v37, 1.0, v5
	v_sub_f32_e32 v3, v4, v3
	v_cmp_eq_f32_e32 vcc_lo, 0x7f800000, v4
	v_cmp_gt_f32_e64 s16, 0x33800000, v4
	s_delay_alu instid0(VALU_DEP_3) | instskip(NEXT) | instid1(VALU_DEP_2)
	v_add_f32_e32 v3, v3, v7
	s_or_b32 vcc_lo, s16, vcc_lo
	s_delay_alu instid0(VALU_DEP_1) | instskip(SKIP_1) | instid1(VALU_DEP_1)
	v_ldexp_f32 v3, v3, v6
	v_add_f32_e32 v6, -1.0, v5
	v_dual_add_f32 v7, -1.0, v37 :: v_dual_add_f32 v38, 1.0, v6
	s_delay_alu instid0(VALU_DEP_1) | instskip(NEXT) | instid1(VALU_DEP_2)
	v_sub_f32_e32 v7, v5, v7
	v_sub_f32_e32 v5, v5, v38
	s_delay_alu instid0(VALU_DEP_2) | instskip(NEXT) | instid1(VALU_DEP_1)
	v_add_f32_e32 v7, v3, v7
	v_dual_add_f32 v3, v3, v5 :: v_dual_add_f32 v38, v37, v7
	s_delay_alu instid0(VALU_DEP_1) | instskip(NEXT) | instid1(VALU_DEP_2)
	v_add_f32_e32 v39, v6, v3
	v_rcp_f32_e32 v5, v38
	s_delay_alu instid0(VALU_DEP_1) | instskip(NEXT) | instid1(VALU_DEP_1)
	v_dual_sub_f32 v37, v37, v38 :: v_dual_sub_f32 v6, v6, v39
	v_add_f32_e32 v3, v3, v6
	s_waitcnt_depctr 0xfff
	v_mul_f32_e32 v40, v39, v5
	s_delay_alu instid0(VALU_DEP_1) | instskip(NEXT) | instid1(VALU_DEP_1)
	v_dual_mul_f32 v42, v38, v40 :: v_dual_add_f32 v7, v7, v37
	v_fma_f32 v37, v40, v38, -v42
	s_delay_alu instid0(VALU_DEP_1) | instskip(NEXT) | instid1(VALU_DEP_1)
	v_fmac_f32_e32 v37, v40, v7
	v_add_f32_e32 v43, v42, v37
	s_delay_alu instid0(VALU_DEP_1) | instskip(SKIP_1) | instid1(VALU_DEP_1)
	v_sub_f32_e32 v6, v43, v42
	v_sub_f32_e32 v44, v39, v43
	v_dual_sub_f32 v6, v6, v37 :: v_dual_sub_f32 v39, v39, v44
	s_delay_alu instid0(VALU_DEP_1) | instskip(NEXT) | instid1(VALU_DEP_1)
	v_sub_f32_e32 v39, v39, v43
	v_add_f32_e32 v3, v3, v39
	s_delay_alu instid0(VALU_DEP_1) | instskip(NEXT) | instid1(VALU_DEP_1)
	v_add_f32_e32 v3, v6, v3
	v_add_f32_e32 v6, v44, v3
	s_delay_alu instid0(VALU_DEP_1) | instskip(SKIP_1) | instid1(VALU_DEP_2)
	v_mul_f32_e32 v37, v5, v6
	v_sub_f32_e32 v43, v44, v6
	v_mul_f32_e32 v39, v38, v37
	s_delay_alu instid0(VALU_DEP_2) | instskip(NEXT) | instid1(VALU_DEP_2)
	v_add_f32_e32 v3, v3, v43
	v_fma_f32 v38, v37, v38, -v39
	s_delay_alu instid0(VALU_DEP_1) | instskip(NEXT) | instid1(VALU_DEP_1)
	v_fmac_f32_e32 v38, v37, v7
	v_add_f32_e32 v7, v39, v38
	s_delay_alu instid0(VALU_DEP_1) | instskip(NEXT) | instid1(VALU_DEP_1)
	v_sub_f32_e32 v42, v6, v7
	v_dual_sub_f32 v39, v7, v39 :: v_dual_sub_f32 v6, v6, v42
	s_delay_alu instid0(VALU_DEP_1) | instskip(NEXT) | instid1(VALU_DEP_1)
	v_dual_sub_f32 v6, v6, v7 :: v_dual_sub_f32 v7, v39, v38
	v_dual_add_f32 v3, v3, v6 :: v_dual_add_f32 v6, v40, v37
	s_delay_alu instid0(VALU_DEP_1) | instskip(NEXT) | instid1(VALU_DEP_2)
	v_add_f32_e32 v3, v7, v3
	v_sub_f32_e32 v7, v6, v40
	s_delay_alu instid0(VALU_DEP_2) | instskip(NEXT) | instid1(VALU_DEP_2)
	v_add_f32_e32 v3, v42, v3
	v_sub_f32_e32 v7, v37, v7
	s_delay_alu instid0(VALU_DEP_2) | instskip(NEXT) | instid1(VALU_DEP_1)
	v_mul_f32_e32 v3, v5, v3
	v_add_f32_e32 v3, v7, v3
	s_delay_alu instid0(VALU_DEP_1) | instskip(NEXT) | instid1(VALU_DEP_1)
	v_add_f32_e32 v5, v6, v3
	v_mul_f32_e32 v7, v5, v5
	s_delay_alu instid0(VALU_DEP_1) | instskip(NEXT) | instid1(VALU_DEP_1)
	v_fmaak_f32 v37, s42, v7, 0x3ecc95a3
	v_dual_mul_f32 v38, v5, v7 :: v_dual_fmaak_f32 v7, v7, v37, 0x3f2aaada
	v_ldexp_f32 v37, v5, 1
	v_sub_f32_e32 v5, v5, v6
	s_delay_alu instid0(VALU_DEP_3) | instskip(NEXT) | instid1(VALU_DEP_1)
	v_dual_mul_f32 v7, v38, v7 :: v_dual_mul_f32 v38, 0x3f317218, v2
	v_dual_sub_f32 v3, v3, v5 :: v_dual_add_f32 v6, v37, v7
	s_delay_alu instid0(VALU_DEP_1) | instskip(NEXT) | instid1(VALU_DEP_2)
	v_ldexp_f32 v3, v3, 1
	v_sub_f32_e32 v5, v6, v37
	s_delay_alu instid0(VALU_DEP_4) | instskip(NEXT) | instid1(VALU_DEP_2)
	v_fma_f32 v37, 0x3f317218, v2, -v38
	v_sub_f32_e32 v5, v7, v5
	s_delay_alu instid0(VALU_DEP_1) | instskip(NEXT) | instid1(VALU_DEP_1)
	v_dual_fmac_f32 v37, 0xb102e308, v2 :: v_dual_add_f32 v2, v3, v5
	v_add_f32_e32 v3, v38, v37
	s_delay_alu instid0(VALU_DEP_2) | instskip(NEXT) | instid1(VALU_DEP_2)
	v_add_f32_e32 v5, v6, v2
	v_sub_f32_e32 v38, v3, v38
	s_delay_alu instid0(VALU_DEP_2) | instskip(NEXT) | instid1(VALU_DEP_2)
	v_dual_add_f32 v7, v3, v5 :: v_dual_sub_f32 v6, v5, v6
	v_sub_f32_e32 v37, v37, v38
	s_delay_alu instid0(VALU_DEP_2) | instskip(NEXT) | instid1(VALU_DEP_1)
	v_dual_sub_f32 v39, v7, v3 :: v_dual_sub_f32 v2, v2, v6
	v_sub_f32_e32 v40, v7, v39
	v_sub_f32_e32 v5, v5, v39
	s_delay_alu instid0(VALU_DEP_2) | instskip(NEXT) | instid1(VALU_DEP_1)
	v_dual_add_f32 v6, v37, v2 :: v_dual_sub_f32 v3, v3, v40
	v_add_f32_e32 v3, v5, v3
	s_delay_alu instid0(VALU_DEP_2) | instskip(NEXT) | instid1(VALU_DEP_2)
	v_sub_f32_e32 v5, v6, v37
	v_add_f32_e32 v3, v6, v3
	s_delay_alu instid0(VALU_DEP_2) | instskip(SKIP_1) | instid1(VALU_DEP_3)
	v_sub_f32_e32 v6, v6, v5
	v_sub_f32_e32 v2, v2, v5
	v_add_f32_e32 v38, v7, v3
	s_delay_alu instid0(VALU_DEP_1) | instskip(NEXT) | instid1(VALU_DEP_1)
	v_dual_sub_f32 v6, v37, v6 :: v_dual_sub_f32 v5, v38, v7
	v_dual_add_f32 v2, v2, v6 :: v_dual_sub_f32 v3, v3, v5
	s_delay_alu instid0(VALU_DEP_1) | instskip(NEXT) | instid1(VALU_DEP_1)
	v_add_f32_e32 v2, v2, v3
	v_add_f32_e32 v2, v38, v2
	s_delay_alu instid0(VALU_DEP_1)
	v_cndmask_b32_e32 v42, v2, v4, vcc_lo
.LBB68_34:                              ;   in Loop: Header=BB68_12 Depth=1
	s_or_b32 exec_lo, exec_lo, s17
	v_lshrrev_b32_e32 v2, 16, v0
	v_lshrrev_b32_e32 v3, 16, v1
	v_cvt_f32_f16_e32 v1, v1
	v_cvt_f32_f16_e32 v0, v0
	s_and_b32 vcc_lo, exec_lo, s63
	v_cvt_f32_f16_e32 v2, v2
	v_cvt_f32_f16_e32 v3, v3
	v_mul_f32_e32 v38, s59, v1
	v_mul_f32_e32 v40, s59, v0
	s_delay_alu instid0(VALU_DEP_4) | instskip(NEXT) | instid1(VALU_DEP_4)
	v_mul_f32_e32 v37, s59, v2
	v_mul_f32_e32 v39, s59, v3
	s_barrier
	buffer_gl0_inv
	s_cbranch_vccz .LBB68_82
; %bb.35:                               ;   in Loop: Header=BB68_12 Depth=1
	v_dual_mul_f32 v43, v42, v3 :: v_dual_mul_f32 v48, v41, v1
	v_add_co_u32 v3, s16, s47, v33
	s_delay_alu instid0(VALU_DEP_1) | instskip(SKIP_1) | instid1(VALU_DEP_1)
	v_add_co_ci_u32_e64 v4, null, s49, 0, s16
	v_add_co_u32 v5, s16, s51, v33
	v_add_co_ci_u32_e64 v6, null, s60, 0, s16
	s_delay_alu instid0(VALU_DEP_4) | instskip(NEXT) | instid1(VALU_DEP_4)
	v_add_co_u32 v44, vcc_lo, v3, v34
	v_add_co_ci_u32_e32 v45, vcc_lo, 0, v4, vcc_lo
	s_delay_alu instid0(VALU_DEP_4) | instskip(NEXT) | instid1(VALU_DEP_4)
	v_add_co_u32 v46, vcc_lo, v5, v34
	v_add_co_ci_u32_e32 v47, vcc_lo, 0, v6, vcc_lo
	v_cmp_gt_u32_e32 vcc_lo, s19, v8
	v_cmp_gt_u32_e64 s17, s19, v30
	v_cmp_gt_u32_e64 s18, s19, v31
	;; [unrolled: 1-line block ×3, first 2 shown]
	s_cmp_lg_u32 s56, 0
	v_dual_mul_f32 v49, v36, v2 :: v_dual_mul_f32 v50, v35, v0
	s_mov_b32 s28, 0
	s_cselect_b32 s25, -1, 0
	s_cmp_eq_u32 s56, s65
	s_mov_b32 s26, s28
	s_cselect_b32 s57, -1, 0
	s_or_b32 s16, s64, vcc_lo
	s_or_b32 s17, s64, s17
	s_or_b32 s18, s64, s18
	;; [unrolled: 1-line block ×3, first 2 shown]
	s_mov_b32 s30, s28
	s_mov_b32 s34, s28
	;; [unrolled: 1-line block ×4, first 2 shown]
	s_branch .LBB68_37
.LBB68_36:                              ;   in Loop: Header=BB68_37 Depth=2
	s_or_b32 exec_lo, exec_lo, s20
	v_cndmask_b32_e64 v2, v60, v7, s11
	v_cndmask_b32_e64 v3, v59, v6, s11
	s_add_i32 s66, s66, -1
	s_add_i32 s67, s67, 8
	s_add_i32 s34, s34, s50
	v_fma_f32 v2, v2, v56, v53
	v_mul_f32_e32 v3, v3, v56
	s_add_i32 s30, s30, s36
	s_add_i32 s26, s26, s48
	;; [unrolled: 1-line block ×3, first 2 shown]
	v_cndmask_b32_e64 v2, v2, v53, s10
	v_cndmask_b32_e64 v3, v3, v56, s10
	s_cmp_eq_u32 s66, 0
	s_waitcnt lgkmcnt(0)
	s_delay_alu instid0(VALU_DEP_1) | instskip(NEXT) | instid1(VALU_DEP_1)
	v_fmac_f32_e32 v2, v4, v3
	v_fmac_f32_e32 v51, v2, v57
	v_fma_mix_f32 v40, v2, v0, v40 op_sel_hi:[0,1,0]
	s_delay_alu instid0(VALU_DEP_2) | instskip(SKIP_1) | instid1(VALU_DEP_2)
	v_fmac_f32_e32 v52, v51, v58
	v_fma_mix_f32 v37, v51, v0, v37 op_sel:[0,1,0] op_sel_hi:[0,1,0]
	v_fmac_f32_e32 v54, v52, v55
	v_fma_mix_f32 v38, v52, v1, v38 op_sel_hi:[0,1,0]
	s_delay_alu instid0(VALU_DEP_2)
	v_fma_mix_f32 v39, v54, v1, v39 op_sel:[0,1,0] op_sel_hi:[0,1,0]
	s_cbranch_scc1 .LBB68_82
.LBB68_37:                              ;   Parent Loop BB68_12 Depth=1
                                        ; =>  This Inner Loop Header: Depth=2
	s_lshl_b64 s[20:21], s[28:29], 2
	s_mov_b32 s27, s29
	s_add_u32 s20, s44, s20
	s_addc_u32 s21, s46, s21
	v_dual_mov_b32 v2, 0 :: v_dual_mov_b32 v3, 0
	global_load_b32 v6, v12, s[20:21]
	s_lshl_b64 s[20:21], s[26:27], 1
	s_delay_alu instid0(SALU_CYCLE_1)
	v_add_co_u32 v0, vcc_lo, v44, s20
	v_add_co_ci_u32_e32 v1, vcc_lo, s21, v45, vcc_lo
	s_and_saveexec_b32 s20, s12
	s_cbranch_execnz .LBB68_49
; %bb.38:                               ;   in Loop: Header=BB68_37 Depth=2
	s_or_b32 exec_lo, exec_lo, s20
	s_and_saveexec_b32 s20, s13
	s_cbranch_execnz .LBB68_50
.LBB68_39:                              ;   in Loop: Header=BB68_37 Depth=2
	s_or_b32 exec_lo, exec_lo, s20
	v_mov_b32_e32 v4, 0
	s_and_saveexec_b32 s20, s14
	s_cbranch_execnz .LBB68_51
.LBB68_40:                              ;   in Loop: Header=BB68_37 Depth=2
	s_or_b32 exec_lo, exec_lo, s20
	s_and_saveexec_b32 s20, s15
	s_cbranch_execz .LBB68_42
.LBB68_41:                              ;   in Loop: Header=BB68_37 Depth=2
	global_load_u16 v0, v[0:1], off offset:192
	s_waitcnt vmcnt(0)
	v_lshl_or_b32 v4, v0, 16, v4
.LBB68_42:                              ;   in Loop: Header=BB68_37 Depth=2
	s_or_b32 exec_lo, exec_lo, s20
	s_waitcnt vmcnt(0)
	ds_store_b16 v14, v3
	ds_store_b16 v14, v2 offset:64
	ds_store_b16 v15, v4 offset:128
	ds_store_b16_d16_hi v16, v4 offset:192
	; wave barrier
	ds_load_b64 v[4:5], v17
	s_mov_b32 s31, s29
	v_dual_mov_b32 v2, 0 :: v_dual_mov_b32 v3, 0
	s_lshl_b64 s[20:21], s[30:31], 1
	s_delay_alu instid0(SALU_CYCLE_1)
	v_add_co_u32 v0, vcc_lo, v46, s20
	v_add_co_ci_u32_e32 v1, vcc_lo, s21, v47, vcc_lo
	s_and_saveexec_b32 s20, s12
	s_cbranch_execnz .LBB68_52
; %bb.43:                               ;   in Loop: Header=BB68_37 Depth=2
	s_or_b32 exec_lo, exec_lo, s20
	s_and_saveexec_b32 s20, s13
	s_cbranch_execnz .LBB68_53
.LBB68_44:                              ;   in Loop: Header=BB68_37 Depth=2
	s_or_b32 exec_lo, exec_lo, s20
	v_mov_b32_e32 v7, 0
	s_and_saveexec_b32 s20, s14
	s_cbranch_execnz .LBB68_54
.LBB68_45:                              ;   in Loop: Header=BB68_37 Depth=2
	s_or_b32 exec_lo, exec_lo, s20
	s_and_saveexec_b32 s20, s15
	s_cbranch_execz .LBB68_47
.LBB68_46:                              ;   in Loop: Header=BB68_37 Depth=2
	global_load_u16 v0, v[0:1], off offset:192
	s_waitcnt vmcnt(0)
	v_lshl_or_b32 v7, v0, 16, v7
.LBB68_47:                              ;   in Loop: Header=BB68_37 Depth=2
	s_or_b32 exec_lo, exec_lo, s20
	s_waitcnt vmcnt(0)
	ds_store_b16 v14, v3 offset:528
	ds_store_b16 v18, v2 offset:64
	;; [unrolled: 1-line block ×3, first 2 shown]
	ds_store_b16_d16_hi v20, v7 offset:192
	; wave barrier
	ds_load_b64 v[0:1], v17 offset:528
	s_and_not1_b32 vcc_lo, exec_lo, s25
	s_cbranch_vccnz .LBB68_55
; %bb.48:                               ;   in Loop: Header=BB68_37 Depth=2
	v_mov_b32_e32 v2, s67
	ds_load_b64 v[2:3], v2
	s_cbranch_execz .LBB68_56
	s_branch .LBB68_59
.LBB68_49:                              ;   in Loop: Header=BB68_37 Depth=2
	global_load_u16 v3, v[0:1], off
	s_or_b32 exec_lo, exec_lo, s20
	s_and_saveexec_b32 s20, s13
	s_cbranch_execz .LBB68_39
.LBB68_50:                              ;   in Loop: Header=BB68_37 Depth=2
	global_load_u16 v2, v[0:1], off offset:64
	s_or_b32 exec_lo, exec_lo, s20
	v_mov_b32_e32 v4, 0
	s_and_saveexec_b32 s20, s14
	s_cbranch_execz .LBB68_40
.LBB68_51:                              ;   in Loop: Header=BB68_37 Depth=2
	global_load_u16 v4, v[0:1], off offset:128
	s_or_b32 exec_lo, exec_lo, s20
	s_and_saveexec_b32 s20, s15
	s_cbranch_execnz .LBB68_41
	s_branch .LBB68_42
.LBB68_52:                              ;   in Loop: Header=BB68_37 Depth=2
	global_load_u16 v3, v[0:1], off
	s_or_b32 exec_lo, exec_lo, s20
	s_and_saveexec_b32 s20, s13
	s_cbranch_execz .LBB68_44
.LBB68_53:                              ;   in Loop: Header=BB68_37 Depth=2
	global_load_u16 v2, v[0:1], off offset:64
	s_or_b32 exec_lo, exec_lo, s20
	v_mov_b32_e32 v7, 0
	s_and_saveexec_b32 s20, s14
	s_cbranch_execz .LBB68_45
.LBB68_54:                              ;   in Loop: Header=BB68_37 Depth=2
	global_load_u16 v7, v[0:1], off offset:128
	s_or_b32 exec_lo, exec_lo, s20
	s_and_saveexec_b32 s20, s15
	s_cbranch_execnz .LBB68_46
	s_branch .LBB68_47
.LBB68_55:                              ;   in Loop: Header=BB68_37 Depth=2
                                        ; implicit-def: $vgpr2
.LBB68_56:                              ;   in Loop: Header=BB68_37 Depth=2
	s_waitcnt lgkmcnt(0)
	v_mov_b32_e32 v3, 0
	s_and_not1_b32 vcc_lo, exec_lo, s33
	s_cbranch_vccnz .LBB68_58
; %bb.57:                               ;   in Loop: Header=BB68_37 Depth=2
	s_mov_b32 s35, s29
	s_delay_alu instid0(SALU_CYCLE_1) | instskip(NEXT) | instid1(SALU_CYCLE_1)
	s_lshl_b64 s[20:21], s[34:35], 1
	s_add_u32 s20, s52, s20
	s_addc_u32 s21, s53, s21
	global_load_u16 v2, v12, s[20:21]
	s_waitcnt vmcnt(0)
	v_cvt_f32_f16_e32 v3, v2
.LBB68_58:                              ;   in Loop: Header=BB68_37 Depth=2
	v_mov_b32_e32 v2, 1.0
.LBB68_59:                              ;   in Loop: Header=BB68_37 Depth=2
	s_waitcnt lgkmcnt(5)
	v_lshrrev_b32_e32 v7, 16, v4
	v_lshrrev_b32_e32 v51, 16, v5
	v_cvt_f32_f16_e32 v5, v5
	v_cvt_f32_f16_e32 v4, v4
	s_delay_alu instid0(VALU_DEP_4) | instskip(SKIP_2) | instid1(VALU_DEP_4)
	v_cvt_f32_f16_e32 v7, v7
	v_mul_f32_e32 v6, 0x3fb8aa3b, v6
	v_cvt_f32_f16_e32 v55, v51
	v_dual_mul_f32 v4, v50, v4 :: v_dual_mul_f32 v5, v48, v5
	s_delay_alu instid0(VALU_DEP_4) | instskip(NEXT) | instid1(VALU_DEP_4)
	v_mul_f32_e32 v7, v49, v7
	v_mul_f32_e32 v52, v6, v35
	s_delay_alu instid0(VALU_DEP_1) | instskip(SKIP_2) | instid1(VALU_DEP_2)
	v_cmp_gt_f32_e32 vcc_lo, 0xc2fc0000, v52
	v_cndmask_b32_e64 v52, 0, 0x42800000, vcc_lo
	v_cndmask_b32_e64 v57, 1.0, 0x1f800000, vcc_lo
	v_fmac_f32_e32 v52, v6, v35
	s_delay_alu instid0(VALU_DEP_1) | instskip(SKIP_2) | instid1(VALU_DEP_1)
	v_exp_f32_e32 v52, v52
	s_waitcnt_depctr 0xfff
	v_dual_mul_f32 v53, v6, v36 :: v_dual_mul_f32 v52, v52, v57
	v_cmp_gt_f32_e64 s20, 0xc2fc0000, v53
	v_mul_f32_e32 v53, v6, v42
	s_delay_alu instid0(VALU_DEP_2) | instskip(NEXT) | instid1(VALU_DEP_2)
	v_cndmask_b32_e64 v51, 0, 0x42800000, s20
	v_cmp_gt_f32_e64 s22, 0xc2fc0000, v53
	v_cndmask_b32_e64 v53, 0, v4, s16
	s_delay_alu instid0(VALU_DEP_2) | instskip(NEXT) | instid1(VALU_DEP_1)
	v_cndmask_b32_e64 v56, 0, 0x42800000, s22
	v_fmac_f32_e32 v56, v6, v42
	s_delay_alu instid0(VALU_DEP_1) | instskip(SKIP_3) | instid1(VALU_DEP_3)
	v_exp_f32_e32 v59, v56
	v_mul_f32_e32 v54, v6, v41
	v_cndmask_b32_e64 v56, 1.0, v52, s16
	v_cndmask_b32_e64 v52, 0, v5, s18
	v_cmp_gt_f32_e64 s21, 0xc2fc0000, v54
	s_delay_alu instid0(VALU_DEP_1) | instskip(NEXT) | instid1(VALU_DEP_1)
	v_cndmask_b32_e64 v54, 0, 0x42800000, s21
	v_fmac_f32_e32 v54, v6, v41
	s_delay_alu instid0(VALU_DEP_1)
	v_exp_f32_e32 v4, v54
	v_cndmask_b32_e64 v54, 1.0, 0x1f800000, s21
	v_fmac_f32_e32 v51, v6, v36
	v_cndmask_b32_e64 v6, 1.0, 0x1f800000, s20
	s_waitcnt_depctr 0xfff
	v_mul_f32_e32 v4, v4, v54
	v_exp_f32_e32 v51, v51
	s_delay_alu instid0(VALU_DEP_1)
	v_cndmask_b32_e64 v58, 1.0, v4, s18
	v_mul_f32_e32 v4, v43, v55
	s_waitcnt_depctr 0xfff
	v_mul_f32_e32 v6, v51, v6
	v_cndmask_b32_e64 v51, 0, v7, s17
	v_cndmask_b32_e64 v7, 1.0, 0x1f800000, s22
	v_cndmask_b32_e64 v54, 0, v4, s19
	s_delay_alu instid0(VALU_DEP_4) | instskip(NEXT) | instid1(VALU_DEP_1)
	v_cndmask_b32_e64 v57, 1.0, v6, s17
	v_dual_mul_f32 v5, v59, v7 :: v_dual_mul_f32 v6, v57, v56
	v_fma_f32 v7, v57, v53, v51
	s_delay_alu instid0(VALU_DEP_2) | instskip(NEXT) | instid1(VALU_DEP_3)
	v_cndmask_b32_e64 v55, 1.0, v5, s19
	v_mul_f32_e32 v4, v6, v58
	s_delay_alu instid0(VALU_DEP_3) | instskip(NEXT) | instid1(VALU_DEP_2)
	v_fma_f32 v5, v7, v58, v52
	v_mul_f32_e32 v4, v4, v55
	s_delay_alu instid0(VALU_DEP_2) | instskip(NEXT) | instid1(VALU_DEP_2)
	v_fma_f32 v5, v5, v55, v54
	v_mov_b32_dpp v7, v4 row_shr:1 row_mask:0xf bank_mask:0xf
	s_delay_alu instid0(VALU_DEP_2)
	v_mov_b32_dpp v6, v5 row_shr:1 row_mask:0xf bank_mask:0xf
	s_and_saveexec_b32 s20, s0
; %bb.60:                               ;   in Loop: Header=BB68_37 Depth=2
	s_delay_alu instid0(VALU_DEP_2) | instskip(NEXT) | instid1(VALU_DEP_1)
	v_mul_f32_e32 v7, v4, v7
	v_dual_fmac_f32 v5, v4, v6 :: v_dual_mov_b32 v4, v7
; %bb.61:                               ;   in Loop: Header=BB68_37 Depth=2
	s_or_b32 exec_lo, exec_lo, s20
	s_delay_alu instid0(VALU_DEP_1) | instskip(NEXT) | instid1(VALU_DEP_2)
	v_mov_b32_dpp v6, v4 row_shr:2 row_mask:0xf bank_mask:0xf
	v_mov_b32_dpp v7, v5 row_shr:2 row_mask:0xf bank_mask:0xf
	s_and_saveexec_b32 s20, s1
; %bb.62:                               ;   in Loop: Header=BB68_37 Depth=2
	s_delay_alu instid0(VALU_DEP_1) | instskip(NEXT) | instid1(VALU_DEP_3)
	v_fmac_f32_e32 v5, v4, v7
	v_mul_f32_e32 v4, v4, v6
; %bb.63:                               ;   in Loop: Header=BB68_37 Depth=2
	s_or_b32 exec_lo, exec_lo, s20
	s_delay_alu instid0(VALU_DEP_1) | instskip(NEXT) | instid1(VALU_DEP_3)
	v_mov_b32_dpp v6, v4 row_shr:4 row_mask:0xf bank_mask:0xf
	v_mov_b32_dpp v7, v5 row_shr:4 row_mask:0xf bank_mask:0xf
	s_and_saveexec_b32 s20, s2
; %bb.64:                               ;   in Loop: Header=BB68_37 Depth=2
	s_delay_alu instid0(VALU_DEP_1) | instskip(NEXT) | instid1(VALU_DEP_3)
	v_fmac_f32_e32 v5, v4, v7
	v_mul_f32_e32 v4, v4, v6
; %bb.65:                               ;   in Loop: Header=BB68_37 Depth=2
	s_or_b32 exec_lo, exec_lo, s20
	s_delay_alu instid0(VALU_DEP_1) | instskip(NEXT) | instid1(VALU_DEP_3)
	v_mov_b32_dpp v6, v4 row_shr:8 row_mask:0xf bank_mask:0xf
	v_mov_b32_dpp v7, v5 row_shr:8 row_mask:0xf bank_mask:0xf
	s_and_saveexec_b32 s20, s3
; %bb.66:                               ;   in Loop: Header=BB68_37 Depth=2
	s_delay_alu instid0(VALU_DEP_1) | instskip(NEXT) | instid1(VALU_DEP_3)
	v_fmac_f32_e32 v5, v4, v7
	v_mul_f32_e32 v4, v4, v6
; %bb.67:                               ;   in Loop: Header=BB68_37 Depth=2
	s_or_b32 exec_lo, exec_lo, s20
	ds_swizzle_b32 v7, v4 offset:swizzle(BROADCAST,32,15)
	ds_swizzle_b32 v6, v5 offset:swizzle(BROADCAST,32,15)
	s_and_saveexec_b32 s20, s4
	s_cbranch_execz .LBB68_69
; %bb.68:                               ;   in Loop: Header=BB68_37 Depth=2
	s_waitcnt lgkmcnt(1)
	v_mul_f32_e32 v7, v4, v7
	s_waitcnt lgkmcnt(0)
	s_delay_alu instid0(VALU_DEP_1)
	v_dual_fmac_f32 v5, v4, v6 :: v_dual_mov_b32 v4, v7
.LBB68_69:                              ;   in Loop: Header=BB68_37 Depth=2
	s_or_b32 exec_lo, exec_lo, s20
	s_and_saveexec_b32 s20, s5
	s_cbranch_execz .LBB68_71
; %bb.70:                               ;   in Loop: Header=BB68_37 Depth=2
	ds_store_b64 v21, v[4:5] offset:1056
.LBB68_71:                              ;   in Loop: Header=BB68_37 Depth=2
	s_or_b32 exec_lo, exec_lo, s20
	s_waitcnt lgkmcnt(0)
	s_waitcnt_vscnt null, 0x0
	s_barrier
	buffer_gl0_inv
	s_and_saveexec_b32 s20, s6
	s_cbranch_execz .LBB68_73
; %bb.72:                               ;   in Loop: Header=BB68_37 Depth=2
	ds_load_b64 v[6:7], v22 offset:1056
	s_waitcnt lgkmcnt(0)
	v_mov_b32_dpp v59, v6 row_shr:1 row_mask:0xf bank_mask:0xf
	v_mov_b32_dpp v60, v7 row_shr:1 row_mask:0xf bank_mask:0xf
	s_delay_alu instid0(VALU_DEP_2) | instskip(NEXT) | instid1(VALU_DEP_2)
	v_mul_f32_e32 v59, v6, v59
	v_fma_f32 v60, v6, v60, v7
	s_delay_alu instid0(VALU_DEP_2) | instskip(NEXT) | instid1(VALU_DEP_2)
	v_cndmask_b32_e64 v6, v59, v6, s7
	v_cndmask_b32_e64 v7, v60, v7, s7
	ds_store_b64 v22, v[6:7] offset:1056
.LBB68_73:                              ;   in Loop: Header=BB68_37 Depth=2
	s_or_b32 exec_lo, exec_lo, s20
	s_waitcnt lgkmcnt(0)
	s_barrier
	buffer_gl0_inv
                                        ; implicit-def: $vgpr7
	s_and_saveexec_b32 s20, s9
	s_cbranch_execz .LBB68_75
; %bb.74:                               ;   in Loop: Header=BB68_37 Depth=2
	ds_load_b64 v[6:7], v21 offset:1048
	s_waitcnt lgkmcnt(0)
	v_mul_f32_e32 v59, v4, v6
	s_delay_alu instid0(VALU_DEP_1)
	v_dual_fmac_f32 v5, v4, v7 :: v_dual_mov_b32 v4, v59
.LBB68_75:                              ;   in Loop: Header=BB68_37 Depth=2
	s_or_b32 exec_lo, exec_lo, s20
	ds_bpermute_b32 v59, v23, v4
	ds_bpermute_b32 v60, v23, v5
	s_and_saveexec_b32 s20, s8
	s_cbranch_execz .LBB68_79
; %bb.76:                               ;   in Loop: Header=BB68_37 Depth=2
	ds_load_b64 v[4:5], v12 offset:1064
	s_and_saveexec_b32 s21, s10
	s_cbranch_execz .LBB68_78
; %bb.77:                               ;   in Loop: Header=BB68_37 Depth=2
	ds_store_b64 v12, v[2:3] offset:1064
.LBB68_78:                              ;   in Loop: Header=BB68_37 Depth=2
	s_or_b32 exec_lo, exec_lo, s21
	s_waitcnt lgkmcnt(0)
	v_fmac_f32_e32 v5, v3, v4
	s_delay_alu instid0(VALU_DEP_1)
	v_dual_mul_f32 v2, v2, v4 :: v_dual_mov_b32 v3, v5
.LBB68_79:                              ;   in Loop: Header=BB68_37 Depth=2
	s_or_b32 exec_lo, exec_lo, s20
	s_waitcnt lgkmcnt(0)
	s_barrier
	buffer_gl0_inv
	ds_load_b32 v4, v12 offset:1068
	s_and_saveexec_b32 s20, s10
	s_cbranch_execz .LBB68_36
; %bb.80:                               ;   in Loop: Header=BB68_37 Depth=2
	v_mov_b32_e32 v5, s67
	s_and_not1_b32 vcc_lo, exec_lo, s57
	ds_store_b64 v5, v[2:3]
	s_cbranch_vccnz .LBB68_36
; %bb.81:                               ;   in Loop: Header=BB68_37 Depth=2
	s_mov_b32 s35, s29
	v_cvt_f16_f32_e32 v2, v3
	s_lshl_b64 s[68:69], s[34:35], 1
	s_delay_alu instid0(SALU_CYCLE_1)
	s_add_u32 s68, s52, s68
	s_addc_u32 s69, s53, s69
	global_store_b16 v12, v2, s[68:69]
	s_branch .LBB68_36
.LBB68_82:                              ;   in Loop: Header=BB68_12 Depth=1
	v_cvt_f16_f32_e32 v0, v40
	s_delay_alu instid0(VALU_DEP_3) | instskip(NEXT) | instid1(VALU_DEP_3)
	v_cvt_f16_f32_e32 v1, v38
	v_cvt_f16_f32_e32 v2, v39
	;; [unrolled: 1-line block ×3, first 2 shown]
	s_waitcnt_vscnt null, 0x0
	s_barrier
	buffer_gl0_inv
	v_pack_b32_f16 v1, v1, v2
	v_pack_b32_f16 v0, v0, v3
	s_mov_b32 s25, s29
	s_delay_alu instid0(SALU_CYCLE_1)
	s_lshl_b64 s[20:21], s[24:25], 1
	ds_store_b64 v17, v[0:1]
	; wave barrier
	ds_load_u16 v4, v14 offset:64
	ds_load_u16 v3, v15 offset:128
	;; [unrolled: 1-line block ×3, first 2 shown]
	v_add_co_u32 v0, vcc_lo, v24, s20
	v_add_co_ci_u32_e32 v1, vcc_lo, s21, v25, vcc_lo
	s_and_saveexec_b32 s16, s12
	s_cbranch_execnz .LBB68_101
; %bb.83:                               ;   in Loop: Header=BB68_12 Depth=1
	s_or_b32 exec_lo, exec_lo, s16
	s_and_saveexec_b32 s16, s13
	s_cbranch_execnz .LBB68_102
.LBB68_84:                              ;   in Loop: Header=BB68_12 Depth=1
	s_or_b32 exec_lo, exec_lo, s16
	s_and_saveexec_b32 s16, s14
	s_cbranch_execnz .LBB68_103
.LBB68_85:                              ;   in Loop: Header=BB68_12 Depth=1
	s_or_b32 exec_lo, exec_lo, s16
	s_and_saveexec_b32 s16, s15
	s_cbranch_execz .LBB68_87
.LBB68_86:                              ;   in Loop: Header=BB68_12 Depth=1
	s_waitcnt lgkmcnt(0)
	global_store_b16 v[0:1], v2, off offset:192
.LBB68_87:                              ;   in Loop: Header=BB68_12 Depth=1
	s_or_b32 exec_lo, exec_lo, s16
	v_add_co_u32 v0, vcc_lo, v26, s20
	v_add_co_ci_u32_e32 v1, vcc_lo, s21, v27, vcc_lo
	s_waitcnt lgkmcnt(0)
	v_dual_mov_b32 v2, 0 :: v_dual_mov_b32 v3, 0
	s_waitcnt_vscnt null, 0x0
	s_barrier
	buffer_gl0_inv
	s_and_saveexec_b32 s16, s12
	s_cbranch_execz .LBB68_89
; %bb.88:                               ;   in Loop: Header=BB68_12 Depth=1
	global_load_u16 v3, v[0:1], off
.LBB68_89:                              ;   in Loop: Header=BB68_12 Depth=1
	s_or_b32 exec_lo, exec_lo, s16
	s_and_saveexec_b32 s16, s13
	s_cbranch_execz .LBB68_91
; %bb.90:                               ;   in Loop: Header=BB68_12 Depth=1
	global_load_u16 v2, v[0:1], off offset:64
.LBB68_91:                              ;   in Loop: Header=BB68_12 Depth=1
	s_or_b32 exec_lo, exec_lo, s16
	v_dual_mov_b32 v4, 0 :: v_dual_mov_b32 v5, 0
	s_and_saveexec_b32 s16, s14
	s_cbranch_execz .LBB68_93
; %bb.92:                               ;   in Loop: Header=BB68_12 Depth=1
	global_load_u16 v5, v[0:1], off offset:128
.LBB68_93:                              ;   in Loop: Header=BB68_12 Depth=1
	s_or_b32 exec_lo, exec_lo, s16
	s_and_saveexec_b32 s16, s15
	s_cbranch_execz .LBB68_95
; %bb.94:                               ;   in Loop: Header=BB68_12 Depth=1
	global_load_u16 v4, v[0:1], off offset:192
.LBB68_95:                              ;   in Loop: Header=BB68_12 Depth=1
	s_or_b32 exec_lo, exec_lo, s16
	s_waitcnt vmcnt(0)
	ds_store_b16 v14, v3
	ds_store_b16 v14, v2 offset:64
	ds_store_b16 v15, v5 offset:128
	;; [unrolled: 1-line block ×3, first 2 shown]
	; wave barrier
	ds_load_b64 v[0:1], v17
	s_waitcnt lgkmcnt(0)
	s_barrier
	buffer_gl0_inv
	v_cvt_f32_f16_e32 v3, v0
	v_lshrrev_b32_e32 v2, 16, v0
	v_cvt_f32_f16_e32 v5, v1
	v_lshrrev_b32_e32 v4, 16, v1
	s_delay_alu instid0(VALU_DEP_4) | instskip(NEXT) | instid1(VALU_DEP_4)
	v_mul_f32_e32 v6, 0xbfb8aa3b, v3
	v_cvt_f32_f16_e32 v2, v2
	s_delay_alu instid0(VALU_DEP_4) | instskip(NEXT) | instid1(VALU_DEP_4)
	v_mul_f32_e32 v7, 0xbfb8aa3b, v5
	v_cvt_f32_f16_e32 v4, v4
	v_cmp_nlt_f32_e32 vcc_lo, 0x42ce8ed0, v3
	v_rndne_f32_e32 v36, v6
	v_fma_mix_f32 v41, v0, s54, -v6 op_sel_hi:[1,0,0]
	s_delay_alu instid0(VALU_DEP_4)
	v_dual_mul_f32 v35, 0xbfb8aa3b, v2 :: v_dual_mul_f32 v42, 0xbfb8aa3b, v4
	v_rndne_f32_e32 v43, v7
	v_fma_mix_f32 v44, v1, s54, -v7 op_sel_hi:[1,0,0]
	v_sub_f32_e32 v6, v6, v36
	v_fma_mix_f32 v41, v0, s55, v41 op_sel_hi:[1,0,0]
	v_rndne_f32_e32 v45, v35
	v_sub_f32_e32 v7, v7, v43
	v_fma_mix_f32 v46, v0, s54, -v35 op_sel:[1,0,0] op_sel_hi:[1,0,0]
	v_fma_mix_f32 v44, v1, s55, v44 op_sel_hi:[1,0,0]
	v_add_f32_e32 v6, v6, v41
	v_rndne_f32_e32 v47, v42
	v_sub_f32_e32 v35, v35, v45
	v_fma_mix_f32 v0, v0, s55, v46 op_sel:[1,0,0] op_sel_hi:[1,0,0]
	v_add_f32_e32 v7, v7, v44
	v_exp_f32_e32 v6, v6
	v_sub_f32_e32 v41, v42, v47
	v_fma_mix_f32 v48, v1, s54, -v42 op_sel:[1,0,0] op_sel_hi:[1,0,0]
	v_add_f32_e32 v0, v35, v0
	v_exp_f32_e32 v7, v7
	v_cvt_i32_f32_e32 v35, v36
	v_cvt_i32_f32_e32 v36, v43
	v_fma_mix_f32 v1, v1, s55, v48 op_sel:[1,0,0] op_sel_hi:[1,0,0]
	v_exp_f32_e32 v0, v0
	s_delay_alu instid0(TRANS32_DEP_3) | instid1(VALU_DEP_3)
	v_ldexp_f32 v6, v6, v35
	v_cvt_i32_f32_e32 v35, v47
	s_delay_alu instid0(TRANS32_DEP_2) | instskip(NEXT) | instid1(VALU_DEP_3)
	v_ldexp_f32 v7, v7, v36
	v_cndmask_b32_e32 v6, 0, v6, vcc_lo
	v_cmp_nlt_f32_e32 vcc_lo, 0x42ce8ed0, v5
	s_delay_alu instid0(VALU_DEP_3) | instskip(SKIP_3) | instid1(VALU_DEP_1)
	v_cndmask_b32_e32 v7, 0, v7, vcc_lo
	v_cmp_nlt_f32_e32 vcc_lo, 0x42ce8ed0, v2
	v_add_f32_e32 v1, v41, v1
	v_cvt_i32_f32_e32 v41, v45
	v_ldexp_f32 v0, v0, v41
	s_delay_alu instid0(VALU_DEP_1) | instskip(NEXT) | instid1(VALU_DEP_4)
	v_cndmask_b32_e32 v0, 0, v0, vcc_lo
	v_exp_f32_e32 v1, v1
	v_cmp_nlt_f32_e32 vcc_lo, 0x42ce8ed0, v4
	s_waitcnt_depctr 0xfff
	v_ldexp_f32 v1, v1, v35
	s_delay_alu instid0(VALU_DEP_1) | instskip(SKIP_3) | instid1(VALU_DEP_2)
	v_cndmask_b32_e32 v1, 0, v1, vcc_lo
	v_cmp_ngt_f32_e32 vcc_lo, 0xc2b17218, v3
	v_cndmask_b32_e32 v6, 0x7f800000, v6, vcc_lo
	v_cmp_ngt_f32_e32 vcc_lo, 0xc2b17218, v5
	v_dual_add_f32 v6, 1.0, v6 :: v_dual_cndmask_b32 v7, 0x7f800000, v7
	v_cmp_ngt_f32_e32 vcc_lo, 0xc2b17218, v4
	s_delay_alu instid0(VALU_DEP_2) | instskip(SKIP_3) | instid1(VALU_DEP_4)
	v_div_scale_f32 v35, null, v6, v6, v3
	v_cndmask_b32_e32 v1, 0x7f800000, v1, vcc_lo
	v_cmp_ngt_f32_e32 vcc_lo, 0xc2b17218, v2
	v_add_f32_e32 v7, 1.0, v7
	v_rcp_f32_e32 v43, v35
	v_div_scale_f32 v47, s16, v3, v6, v3
	v_dual_cndmask_b32 v0, 0x7f800000, v0 :: v_dual_add_f32 v1, 1.0, v1
	s_delay_alu instid0(VALU_DEP_3) | instskip(SKIP_1) | instid1(VALU_DEP_3)
	v_div_scale_f32 v36, null, v7, v7, v5
	v_div_scale_f32 v48, s17, v5, v7, v5
	v_add_f32_e32 v0, 1.0, v0
	s_delay_alu instid0(VALU_DEP_3) | instskip(SKIP_1) | instid1(TRANS32_DEP_2)
	v_rcp_f32_e32 v44, v36
	v_div_scale_f32 v42, null, v1, v1, v4
	v_fma_f32 v50, -v35, v43, 1.0
	s_delay_alu instid0(VALU_DEP_3) | instskip(NEXT) | instid1(VALU_DEP_3)
	v_div_scale_f32 v41, null, v0, v0, v2
	v_rcp_f32_e32 v46, v42
	v_div_scale_f32 v49, vcc_lo, v2, v0, v2
	s_delay_alu instid0(VALU_DEP_2) | instskip(NEXT) | instid1(TRANS32_DEP_3)
	v_rcp_f32_e32 v45, v41
	v_fma_f32 v51, -v36, v44, 1.0
	v_div_scale_f32 v54, s18, v4, v1, v4
	s_delay_alu instid0(VALU_DEP_2) | instskip(SKIP_3) | instid1(VALU_DEP_1)
	v_dual_fmac_f32 v44, v51, v44 :: v_dual_fmac_f32 v43, v50, v43
	s_waitcnt_depctr 0xfff
	v_fma_f32 v53, -v42, v46, 1.0
	v_fma_f32 v52, -v41, v45, 1.0
	v_dual_fmac_f32 v46, v53, v46 :: v_dual_fmac_f32 v45, v52, v45
	v_mul_f32_e32 v52, v48, v44
	v_mul_f32_e32 v50, v47, v43
	s_delay_alu instid0(VALU_DEP_2) | instskip(NEXT) | instid1(VALU_DEP_2)
	v_fma_f32 v57, -v36, v52, v48
	v_fma_f32 v55, -v35, v50, v47
	v_mul_f32_e32 v51, v49, v45
	s_delay_alu instid0(VALU_DEP_3) | instskip(NEXT) | instid1(VALU_DEP_3)
	v_dual_mul_f32 v53, v54, v46 :: v_dual_fmac_f32 v52, v57, v44
	v_fmac_f32_e32 v50, v55, v43
	s_delay_alu instid0(VALU_DEP_3) | instskip(NEXT) | instid1(VALU_DEP_3)
	v_fma_f32 v56, -v41, v51, v49
	v_fma_f32 v58, -v42, v53, v54
	s_delay_alu instid0(VALU_DEP_4) | instskip(NEXT) | instid1(VALU_DEP_4)
	v_fma_f32 v36, -v36, v52, v48
	v_fma_f32 v35, -v35, v50, v47
	s_delay_alu instid0(VALU_DEP_4) | instskip(NEXT) | instid1(VALU_DEP_4)
	v_fmac_f32_e32 v51, v56, v45
	v_fmac_f32_e32 v53, v58, v46
	s_delay_alu instid0(VALU_DEP_2) | instskip(NEXT) | instid1(VALU_DEP_2)
	v_fma_f32 v41, -v41, v51, v49
	v_fma_f32 v42, -v42, v53, v54
	s_delay_alu instid0(VALU_DEP_2) | instskip(SKIP_3) | instid1(VALU_DEP_2)
	v_div_fmas_f32 v41, v41, v45, v51
	s_mov_b32 vcc_lo, s16
	v_div_fmas_f32 v35, v35, v43, v50
	s_mov_b32 vcc_lo, s18
	v_div_fixup_f32 v2, v41, v0, v2
	v_div_fmas_f32 v42, v42, v46, v53
	s_mov_b32 vcc_lo, s17
	v_div_fixup_f32 v3, v35, v6, v3
	v_div_fmas_f32 v36, v36, v44, v52
	s_delay_alu instid0(VALU_DEP_3) | instskip(NEXT) | instid1(VALU_DEP_3)
	v_div_fixup_f32 v4, v42, v1, v4
	v_fma_mixlo_f16 v0, v40, v3, 0
	s_delay_alu instid0(VALU_DEP_3) | instskip(NEXT) | instid1(VALU_DEP_2)
	v_div_fixup_f32 v5, v36, v7, v5
	v_fma_mixhi_f16 v0, v37, v2, 0
	s_delay_alu instid0(VALU_DEP_2) | instskip(NEXT) | instid1(VALU_DEP_1)
	v_fma_mixlo_f16 v1, v38, v5, 0
	v_fma_mixhi_f16 v1, v39, v4, 0
	ds_store_b64 v17, v[0:1]
	; wave barrier
	ds_load_u16 v4, v14 offset:64
	ds_load_u16 v3, v15 offset:128
	;; [unrolled: 1-line block ×3, first 2 shown]
	v_add_co_u32 v0, vcc_lo, v28, s20
	v_add_co_ci_u32_e32 v1, vcc_lo, s21, v29, vcc_lo
	s_and_saveexec_b32 s16, s12
	s_cbranch_execnz .LBB68_104
; %bb.96:                               ;   in Loop: Header=BB68_12 Depth=1
	s_or_b32 exec_lo, exec_lo, s16
	s_and_saveexec_b32 s12, s13
	s_cbranch_execnz .LBB68_105
.LBB68_97:                              ;   in Loop: Header=BB68_12 Depth=1
	s_or_b32 exec_lo, exec_lo, s12
	s_and_saveexec_b32 s12, s14
	s_cbranch_execnz .LBB68_106
.LBB68_98:                              ;   in Loop: Header=BB68_12 Depth=1
	s_or_b32 exec_lo, exec_lo, s12
	s_and_saveexec_b32 s12, s15
	s_cbranch_execz .LBB68_11
	s_branch .LBB68_107
.LBB68_99:                              ;   in Loop: Header=BB68_12 Depth=1
	global_load_u16 v6, v[2:3], off offset:64
	s_or_b32 exec_lo, exec_lo, s16
	s_and_saveexec_b32 s16, s14
	s_cbranch_execz .LBB68_24
.LBB68_100:                             ;   in Loop: Header=BB68_12 Depth=1
	global_load_u16 v5, v[2:3], off offset:128
	s_or_b32 exec_lo, exec_lo, s16
	v_mov_b32_e32 v7, 0
	s_and_saveexec_b32 s16, s15
	s_cbranch_execnz .LBB68_25
	s_branch .LBB68_26
.LBB68_101:                             ;   in Loop: Header=BB68_12 Depth=1
	ds_load_u16 v5, v14
	s_waitcnt lgkmcnt(0)
	global_store_b16 v[0:1], v5, off
	s_or_b32 exec_lo, exec_lo, s16
	s_and_saveexec_b32 s16, s13
	s_cbranch_execz .LBB68_84
.LBB68_102:                             ;   in Loop: Header=BB68_12 Depth=1
	s_waitcnt lgkmcnt(2)
	global_store_b16 v[0:1], v4, off offset:64
	s_or_b32 exec_lo, exec_lo, s16
	s_and_saveexec_b32 s16, s14
	s_cbranch_execz .LBB68_85
.LBB68_103:                             ;   in Loop: Header=BB68_12 Depth=1
	s_waitcnt lgkmcnt(1)
	global_store_b16 v[0:1], v3, off offset:128
	s_or_b32 exec_lo, exec_lo, s16
	s_and_saveexec_b32 s16, s15
	s_cbranch_execnz .LBB68_86
	s_branch .LBB68_87
.LBB68_104:                             ;   in Loop: Header=BB68_12 Depth=1
	ds_load_u16 v5, v14
	s_waitcnt lgkmcnt(0)
	global_store_b16 v[0:1], v5, off
	s_or_b32 exec_lo, exec_lo, s16
	s_and_saveexec_b32 s12, s13
	s_cbranch_execz .LBB68_97
.LBB68_105:                             ;   in Loop: Header=BB68_12 Depth=1
	s_waitcnt lgkmcnt(2)
	global_store_b16 v[0:1], v4, off offset:64
	s_or_b32 exec_lo, exec_lo, s12
	s_and_saveexec_b32 s12, s14
	s_cbranch_execz .LBB68_98
.LBB68_106:                             ;   in Loop: Header=BB68_12 Depth=1
	s_waitcnt lgkmcnt(1)
	global_store_b16 v[0:1], v3, off offset:128
	s_or_b32 exec_lo, exec_lo, s12
	s_and_saveexec_b32 s12, s15
	s_cbranch_execz .LBB68_11
.LBB68_107:                             ;   in Loop: Header=BB68_12 Depth=1
	s_waitcnt lgkmcnt(0)
	global_store_b16 v[0:1], v2, off offset:192
	s_branch .LBB68_11
.LBB68_108:
	s_nop 0
	s_sendmsg sendmsg(MSG_DEALLOC_VGPRS)
	s_endpgm
	.section	.rodata,"a",@progbits
	.p2align	6, 0x0
	.amdhsa_kernel _Z25selective_scan_fwd_kernelI32Selective_Scan_fwd_kernel_traitsILi64ELi4ELi1ELb0ELb1ELb1ELb1ELb1EN3c104HalfEfS2_EEv13SSMParamsBase
		.amdhsa_group_segment_fixed_size 0
		.amdhsa_private_segment_fixed_size 0
		.amdhsa_kernarg_size 248
		.amdhsa_user_sgpr_count 14
		.amdhsa_user_sgpr_dispatch_ptr 0
		.amdhsa_user_sgpr_queue_ptr 0
		.amdhsa_user_sgpr_kernarg_segment_ptr 1
		.amdhsa_user_sgpr_dispatch_id 0
		.amdhsa_user_sgpr_private_segment_size 0
		.amdhsa_wavefront_size32 1
		.amdhsa_uses_dynamic_stack 0
		.amdhsa_enable_private_segment 0
		.amdhsa_system_sgpr_workgroup_id_x 1
		.amdhsa_system_sgpr_workgroup_id_y 1
		.amdhsa_system_sgpr_workgroup_id_z 0
		.amdhsa_system_sgpr_workgroup_info 0
		.amdhsa_system_vgpr_workitem_id 0
		.amdhsa_next_free_vgpr 61
		.amdhsa_next_free_sgpr 70
		.amdhsa_reserve_vcc 1
		.amdhsa_float_round_mode_32 0
		.amdhsa_float_round_mode_16_64 0
		.amdhsa_float_denorm_mode_32 3
		.amdhsa_float_denorm_mode_16_64 3
		.amdhsa_dx10_clamp 1
		.amdhsa_ieee_mode 1
		.amdhsa_fp16_overflow 0
		.amdhsa_workgroup_processor_mode 1
		.amdhsa_memory_ordered 1
		.amdhsa_forward_progress 0
		.amdhsa_shared_vgpr_count 0
		.amdhsa_exception_fp_ieee_invalid_op 0
		.amdhsa_exception_fp_denorm_src 0
		.amdhsa_exception_fp_ieee_div_zero 0
		.amdhsa_exception_fp_ieee_overflow 0
		.amdhsa_exception_fp_ieee_underflow 0
		.amdhsa_exception_fp_ieee_inexact 0
		.amdhsa_exception_int_div_zero 0
	.end_amdhsa_kernel
	.section	.text._Z25selective_scan_fwd_kernelI32Selective_Scan_fwd_kernel_traitsILi64ELi4ELi1ELb0ELb1ELb1ELb1ELb1EN3c104HalfEfS2_EEv13SSMParamsBase,"axG",@progbits,_Z25selective_scan_fwd_kernelI32Selective_Scan_fwd_kernel_traitsILi64ELi4ELi1ELb0ELb1ELb1ELb1ELb1EN3c104HalfEfS2_EEv13SSMParamsBase,comdat
.Lfunc_end68:
	.size	_Z25selective_scan_fwd_kernelI32Selective_Scan_fwd_kernel_traitsILi64ELi4ELi1ELb0ELb1ELb1ELb1ELb1EN3c104HalfEfS2_EEv13SSMParamsBase, .Lfunc_end68-_Z25selective_scan_fwd_kernelI32Selective_Scan_fwd_kernel_traitsILi64ELi4ELi1ELb0ELb1ELb1ELb1ELb1EN3c104HalfEfS2_EEv13SSMParamsBase
                                        ; -- End function
	.section	.AMDGPU.csdata,"",@progbits
; Kernel info:
; codeLenInByte = 8300
; NumSgprs: 72
; NumVgprs: 61
; ScratchSize: 0
; MemoryBound: 0
; FloatMode: 240
; IeeeMode: 1
; LDSByteSize: 0 bytes/workgroup (compile time only)
; SGPRBlocks: 8
; VGPRBlocks: 7
; NumSGPRsForWavesPerEU: 72
; NumVGPRsForWavesPerEU: 61
; Occupancy: 16
; WaveLimiterHint : 1
; COMPUTE_PGM_RSRC2:SCRATCH_EN: 0
; COMPUTE_PGM_RSRC2:USER_SGPR: 14
; COMPUTE_PGM_RSRC2:TRAP_HANDLER: 0
; COMPUTE_PGM_RSRC2:TGID_X_EN: 1
; COMPUTE_PGM_RSRC2:TGID_Y_EN: 1
; COMPUTE_PGM_RSRC2:TGID_Z_EN: 0
; COMPUTE_PGM_RSRC2:TIDIG_COMP_CNT: 0
	.section	.text._Z25selective_scan_fwd_kernelI32Selective_Scan_fwd_kernel_traitsILi64ELi4ELi1ELb0ELb1ELb1ELb1ELb0EN3c104HalfEfS2_EEv13SSMParamsBase,"axG",@progbits,_Z25selective_scan_fwd_kernelI32Selective_Scan_fwd_kernel_traitsILi64ELi4ELi1ELb0ELb1ELb1ELb1ELb0EN3c104HalfEfS2_EEv13SSMParamsBase,comdat
	.protected	_Z25selective_scan_fwd_kernelI32Selective_Scan_fwd_kernel_traitsILi64ELi4ELi1ELb0ELb1ELb1ELb1ELb0EN3c104HalfEfS2_EEv13SSMParamsBase ; -- Begin function _Z25selective_scan_fwd_kernelI32Selective_Scan_fwd_kernel_traitsILi64ELi4ELi1ELb0ELb1ELb1ELb1ELb0EN3c104HalfEfS2_EEv13SSMParamsBase
	.globl	_Z25selective_scan_fwd_kernelI32Selective_Scan_fwd_kernel_traitsILi64ELi4ELi1ELb0ELb1ELb1ELb1ELb0EN3c104HalfEfS2_EEv13SSMParamsBase
	.p2align	8
	.type	_Z25selective_scan_fwd_kernelI32Selective_Scan_fwd_kernel_traitsILi64ELi4ELi1ELb0ELb1ELb1ELb1ELb0EN3c104HalfEfS2_EEv13SSMParamsBase,@function
_Z25selective_scan_fwd_kernelI32Selective_Scan_fwd_kernel_traitsILi64ELi4ELi1ELb0ELb1ELb1ELb1ELb0EN3c104HalfEfS2_EEv13SSMParamsBase: ; @_Z25selective_scan_fwd_kernelI32Selective_Scan_fwd_kernel_traitsILi64ELi4ELi1ELb0ELb1ELb1ELb1ELb0EN3c104HalfEfS2_EEv13SSMParamsBase
; %bb.0:
	s_clause 0x1
	s_load_b32 s9, s[0:1], 0x18
	s_load_b128 s[4:7], s[0:1], 0xe8
	s_mov_b32 s12, s15
	s_mov_b32 s33, 0
	s_waitcnt lgkmcnt(0)
	s_abs_i32 s8, s9
	s_cmp_eq_u64 s[6:7], 0
	v_cvt_f32_u32_e32 v1, s8
	s_delay_alu instid0(VALU_DEP_1) | instskip(SKIP_2) | instid1(VALU_DEP_1)
	v_rcp_iflag_f32_e32 v1, v1
	s_waitcnt_depctr 0xfff
	v_mul_f32_e32 v1, 0x4f7ffffe, v1
	v_cvt_u32_f32_e32 v1, v1
	s_delay_alu instid0(VALU_DEP_1)
	v_readfirstlane_b32 s10, v1
	s_cbranch_scc1 .LBB69_2
; %bb.1:
	v_mov_b32_e32 v1, 0
	s_ashr_i32 s3, s14, 31
	s_add_u32 s2, s6, s14
	s_addc_u32 s3, s7, s3
	global_load_u8 v1, v1, s[2:3]
	s_waitcnt vmcnt(0)
	v_and_b32_e32 v1, 1, v1
	s_delay_alu instid0(VALU_DEP_1)
	v_cmp_eq_u32_e64 s33, 1, v1
.LBB69_2:
	s_load_b64 s[6:7], s[0:1], 0x20
	s_cmp_eq_u64 s[4:5], 0
	s_cbranch_scc1 .LBB69_4
; %bb.3:
	s_ashr_i32 s15, s14, 31
	s_delay_alu instid0(SALU_CYCLE_1) | instskip(NEXT) | instid1(SALU_CYCLE_1)
	s_lshl_b64 s[2:3], s[14:15], 2
	s_add_u32 s2, s4, s2
	s_addc_u32 s3, s5, s3
	s_load_b32 s2, s[2:3], 0x0
	s_waitcnt lgkmcnt(0)
	s_ashr_i32 s3, s2, 31
	s_delay_alu instid0(SALU_CYCLE_1)
	s_cmp_eq_u64 s[6:7], s[2:3]
	s_cbranch_scc0 .LBB69_5
	s_branch .LBB69_108
.LBB69_4:
	s_mov_b32 s2, s14
	s_delay_alu instid0(SALU_CYCLE_1)
	s_ashr_i32 s3, s2, 31
	s_waitcnt lgkmcnt(0)
	s_cmp_eq_u64 s[6:7], s[2:3]
	s_cbranch_scc1 .LBB69_108
.LBB69_5:
	s_clause 0x1
	s_load_b512 s[16:31], s[0:1], 0x88
	s_load_b64 s[34:35], s[0:1], 0x8
	s_mov_b32 s52, 0
	s_mov_b32 s53, 0
	s_waitcnt lgkmcnt(0)
	s_cmp_eq_u64 s[22:23], 0
	s_cbranch_scc1 .LBB69_7
; %bb.6:
	s_ashr_i32 s13, s12, 31
	s_delay_alu instid0(SALU_CYCLE_1) | instskip(NEXT) | instid1(SALU_CYCLE_1)
	s_lshl_b64 s[4:5], s[12:13], 2
	s_add_u32 s4, s22, s4
	s_addc_u32 s5, s23, s5
	s_load_b32 s53, s[4:5], 0x0
.LBB69_7:
	s_cmp_eq_u64 s[28:29], 0
	s_cbranch_scc1 .LBB69_9
; %bb.8:
	s_ashr_i32 s13, s12, 31
	s_delay_alu instid0(SALU_CYCLE_1) | instskip(NEXT) | instid1(SALU_CYCLE_1)
	s_lshl_b64 s[4:5], s[12:13], 2
	s_add_u32 s4, s28, s4
	s_addc_u32 s5, s29, s5
	s_load_b32 s52, s[4:5], 0x0
.LBB69_9:
	s_cmp_lt_i32 s34, 1
	s_cbranch_scc1 .LBB69_108
; %bb.10:
	s_sub_i32 s3, 0, s8
	s_load_b256 s[36:43], s[0:1], 0x4c
	s_mul_i32 s3, s3, s10
	s_abs_i32 s4, s12
	s_mul_hi_u32 s3, s10, s3
	s_ashr_i32 s6, s9, 31
	s_add_i32 s10, s10, s3
	s_ashr_i32 s3, s12, 31
	s_mul_hi_u32 s5, s4, s10
	s_xor_b32 s3, s3, s6
	s_mul_i32 s7, s5, s8
	s_add_i32 s6, s5, 1
	s_sub_i32 s4, s4, s7
	s_load_b256 s[44:51], s[0:1], 0x2c
	s_sub_i32 s7, s4, s8
	s_cmp_ge_u32 s4, s8
	s_mov_b32 s29, 0
	s_cselect_b32 s5, s6, s5
	s_cselect_b32 s4, s7, s4
	s_add_i32 s6, s5, 1
	s_cmp_ge_u32 s4, s8
	s_waitcnt lgkmcnt(0)
	s_mul_i32 s28, s38, s14
	s_cselect_b32 s6, s6, s5
	s_lshl_b64 s[4:5], s[28:29], 1
	s_xor_b32 s6, s6, s3
	s_mul_i32 s28, s39, s12
	s_sub_i32 s3, s6, s3
	s_add_u32 s6, s24, s4
	s_addc_u32 s7, s25, s5
	s_lshl_b64 s[4:5], s[28:29], 1
	s_mul_i32 s28, s40, s14
	s_add_u32 s47, s6, s4
	s_addc_u32 s40, s7, s5
	s_lshl_b64 s[4:5], s[28:29], 1
	s_mul_i32 s28, s41, s12
	;; [unrolled: 4-line block ×4, first 2 shown]
	s_add_u32 s51, s16, s4
	s_addc_u32 s46, s17, s5
	s_lshl_b64 s[4:5], s[28:29], 1
	s_clause 0x1
	s_load_b64 s[6:7], s[0:1], 0x7c
	s_load_b128 s[24:27], s[0:1], 0x6c
	v_lshlrev_b32_e32 v8, 2, v0
	s_add_u32 s8, s18, s4
	s_addc_u32 s9, s19, s5
	s_clause 0x1
	s_load_b128 s[16:19], s[0:1], 0xc8
	s_load_b64 s[22:23], s[0:1], 0xd8
	s_mul_i32 s28, s3, s49
	v_mbcnt_lo_u32_b32 v1, -1, 0
	v_and_b32_e32 v2, 0x80, v8
	v_dual_mov_b32 v12, 0 :: v_dual_and_b32 v3, 32, v0
	s_lshl_b64 s[4:5], s[28:29], 1
	s_mul_i32 s28, s50, s14
	s_add_u32 s49, s8, s4
	s_addc_u32 s50, s9, s5
	s_clause 0x1
	s_load_b32 s54, s[0:1], 0x84
	s_load_b32 s9, s[0:1], 0x28
	v_or_b32_e32 v9, v1, v2
	v_or_b32_e32 v4, v1, v3
	s_lshl_b64 s[4:5], s[28:29], 1
	s_mul_i32 s28, s3, s37
	s_add_u32 s8, s20, s4
	v_or_b32_e32 v11, 0x60, v9
	v_lshrrev_b32_e32 v14, 3, v4
	s_addc_u32 s3, s21, s5
	s_lshl_b64 s[4:5], s[28:29], 1
	s_waitcnt lgkmcnt(0)
	s_mul_i32 s28, s2, s6
	s_add_u32 s37, s8, s4
	s_addc_u32 s55, s3, s5
	s_lshl_b64 s[0:1], s[28:29], 1
	v_or_b32_e32 v10, 64, v9
	v_lshrrev_b32_e32 v7, 5, v11
	v_and_b32_e32 v16, 6, v14
	s_mul_i32 s28, s7, s12
	s_add_u32 s2, s16, s0
	s_addc_u32 s3, s17, s1
	s_lshl_b64 s[0:1], s[28:29], 1
	v_lshrrev_b32_e32 v5, 5, v2
	s_add_u32 s56, s2, s0
	v_lshrrev_b32_e32 v6, 5, v10
	v_and_b32_e32 v7, 6, v7
	v_lshl_add_u32 v4, v4, 2, v16
	s_addc_u32 s57, s3, s1
	s_add_i32 s0, s34, 0x7ff
	v_add_lshl_u32 v5, v5, v9, 1
	s_lshr_b32 s58, s0, 11
	s_bitcmp1_b32 s9, 0
	v_add_lshl_u32 v6, v6, v9, 1
	v_add_lshl_u32 v7, v7, v9, 1
	v_lshl_add_u32 v17, v4, 1, 0
	v_and_b32_e32 v4, 15, v1
	s_cselect_b32 s59, -1, 0
	s_cmp_gt_i32 s35, 0
	s_mul_i32 s28, s24, s14
	s_cselect_b32 s60, -1, 0
	s_add_i32 s0, 0, 0x210
	s_and_b32 s1, s34, 0xff
	v_add_nc_u32_e32 v18, s0, v5
	v_add_nc_u32_e32 v19, s0, v6
	s_cmp_eq_u32 s1, 0
	v_add_nc_u32_e32 v20, s0, v7
	v_cmp_ne_u32_e64 s0, 0, v4
	v_cmp_lt_u32_e64 s1, 1, v4
	v_cmp_lt_u32_e64 s2, 3, v4
	;; [unrolled: 1-line block ×3, first 2 shown]
	v_add_nc_u32_e32 v4, -1, v1
	s_cselect_b32 s61, -1, 0
	v_or_b32_e32 v3, 31, v3
	s_lshl_b64 s[16:17], s[28:29], 1
	s_add_i32 s62, s58, -1
	s_mul_i32 s28, s25, s12
	v_add_nc_u32_e32 v14, 0, v5
	v_lshrrev_b32_e32 v5, 2, v0
	v_cmp_gt_i32_e32 vcc_lo, 0, v4
	s_add_u32 s13, s30, s16
	s_addc_u32 s15, s31, s17
	s_lshl_b64 s[16:17], s[28:29], 1
	s_mul_i32 s28, s42, s14
	v_cndmask_b32_e32 v4, v4, v1, vcc_lo
	v_cmp_eq_u32_e64 s5, v3, v0
	v_and_b32_e32 v3, 1, v1
	v_cmp_gt_u32_e64 s6, 2, v0
	v_lshl_add_u32 v22, v0, 3, 0
	v_cmp_gt_u32_e64 s8, 32, v0
	v_cmp_lt_u32_e64 s9, 31, v0
	v_cmp_eq_u32_e64 s10, 0, v0
	s_add_u32 s13, s13, s16
	v_lshlrev_b32_e32 v0, 1, v1
	s_addc_u32 s15, s15, s17
	s_lshl_b64 s[16:17], s[28:29], 1
	v_and_b32_e32 v5, 8, v5
	s_mul_i32 s28, s43, s12
	s_add_u32 s18, s18, s16
	s_addc_u32 s19, s19, s17
	s_lshl_b64 s[16:17], s[28:29], 1
	v_cmp_eq_u32_e64 s7, 0, v3
	v_add_co_u32 v3, s13, s13, v0
	s_mul_i32 s28, s26, s14
	s_add_u32 s16, s18, s16
	v_add_nc_u32_e32 v21, 0, v5
	v_lshlrev_b32_e32 v23, 2, v4
	v_add_co_ci_u32_e64 v4, null, s15, 0, s13
	s_addc_u32 s17, s19, s17
	s_lshl_b64 s[14:15], s[28:29], 1
	v_lshlrev_b32_e32 v5, 1, v2
	s_mul_i32 s28, s27, s12
	s_add_u32 s14, s22, s14
	s_addc_u32 s15, s23, s15
	s_lshl_b64 s[12:13], s[28:29], 1
	v_add_nc_u32_e32 v15, 0, v6
	v_and_b32_e32 v6, 16, v1
	v_add_co_u32 v24, vcc_lo, v3, v5
	s_add_u32 s12, s14, s12
	v_add_co_u32 v3, s14, s16, v0
	v_add_co_ci_u32_e32 v25, vcc_lo, 0, v4, vcc_lo
	v_add_co_ci_u32_e64 v4, null, s17, 0, s14
	s_addc_u32 s13, s15, s13
	v_add_co_u32 v0, s12, s12, v0
	v_cmp_ne_u32_e64 s4, 0, v6
	v_add_co_ci_u32_e64 v6, null, s13, 0, s12
	v_add_co_u32 v26, vcc_lo, v3, v5
	v_add_co_ci_u32_e32 v27, vcc_lo, 0, v4, vcc_lo
	v_add_co_u32 v28, vcc_lo, v0, v5
	v_or_b32_e32 v13, 32, v9
	v_add_nc_u32_e32 v16, 0, v7
	v_cmp_eq_u32_e64 s11, 0, v1
	v_add_co_ci_u32_e32 v29, vcc_lo, 0, v6, vcc_lo
	v_or_b32_e32 v30, 1, v8
	v_or_b32_e32 v31, 2, v8
	v_or_b32_e32 v32, 3, v8
	v_lshlrev_b32_e32 v33, 1, v1
	v_lshlrev_b32_e32 v34, 1, v2
	s_mov_b32 s23, 0x3e9b6dac
	s_add_i32 s42, 0, 0x430
	s_mov_b32 s43, 0xbfb8aa3b
	s_mov_b32 s63, 0xb2a5705f
	;; [unrolled: 1-line block ×3, first 2 shown]
	s_branch .LBB69_12
.LBB69_11:                              ;   in Loop: Header=BB69_12 Depth=1
	s_or_b32 exec_lo, exec_lo, s12
	s_add_u32 s41, s41, 0x200
	s_addc_u32 s44, s44, 0
	s_add_u32 s47, s47, 0x200
	s_addc_u32 s40, s40, 0
	;; [unrolled: 2-line block ×4, first 2 shown]
	s_add_i32 s64, s64, 1
	s_delay_alu instid0(SALU_CYCLE_1)
	s_cmp_lg_u32 s64, s58
	s_cbranch_scc0 .LBB69_108
.LBB69_12:                              ; =>This Loop Header: Depth=1
                                        ;     Child Loop BB69_37 Depth 2
	v_add_co_u32 v0, s12, s47, v33
	s_delay_alu instid0(VALU_DEP_1) | instskip(SKIP_1) | instid1(VALU_DEP_2)
	v_add_co_ci_u32_e64 v1, null, s40, 0, s12
	s_lshl_b32 s24, s64, 8
	v_add_co_u32 v0, vcc_lo, v0, v34
	s_sub_i32 s19, s34, s24
	s_delay_alu instid0(VALU_DEP_2)
	v_add_co_ci_u32_e32 v1, vcc_lo, 0, v1, vcc_lo
	v_cmp_gt_u32_e64 s12, s19, v9
	s_waitcnt lgkmcnt(0)
	v_mov_b32_e32 v2, 0
	s_waitcnt_vscnt null, 0x0
	s_barrier
	buffer_gl0_inv
	s_and_saveexec_b32 s13, s12
	s_cbranch_execz .LBB69_14
; %bb.13:                               ;   in Loop: Header=BB69_12 Depth=1
	global_load_u16 v2, v[0:1], off
.LBB69_14:                              ;   in Loop: Header=BB69_12 Depth=1
	s_or_b32 exec_lo, exec_lo, s13
	v_cmp_gt_u32_e64 s13, s19, v13
	v_mov_b32_e32 v3, 0
	v_mov_b32_e32 v5, 0
	s_delay_alu instid0(VALU_DEP_3)
	s_and_saveexec_b32 s14, s13
	s_cbranch_execz .LBB69_16
; %bb.15:                               ;   in Loop: Header=BB69_12 Depth=1
	global_load_u16 v5, v[0:1], off offset:64
.LBB69_16:                              ;   in Loop: Header=BB69_12 Depth=1
	s_or_b32 exec_lo, exec_lo, s14
	v_cmp_gt_u32_e64 s14, s19, v10
	s_delay_alu instid0(VALU_DEP_1)
	s_and_saveexec_b32 s15, s14
	s_cbranch_execz .LBB69_18
; %bb.17:                               ;   in Loop: Header=BB69_12 Depth=1
	global_load_u16 v3, v[0:1], off offset:128
.LBB69_18:                              ;   in Loop: Header=BB69_12 Depth=1
	s_or_b32 exec_lo, exec_lo, s15
	v_cmp_gt_u32_e64 s15, s19, v11
	v_mov_b32_e32 v4, 0
	v_mov_b32_e32 v6, 0
	s_delay_alu instid0(VALU_DEP_3)
	s_and_saveexec_b32 s16, s15
	s_cbranch_execz .LBB69_20
; %bb.19:                               ;   in Loop: Header=BB69_12 Depth=1
	global_load_u16 v6, v[0:1], off offset:192
.LBB69_20:                              ;   in Loop: Header=BB69_12 Depth=1
	s_or_b32 exec_lo, exec_lo, s16
	s_waitcnt vmcnt(0)
	ds_store_b16 v14, v2
	ds_store_b16 v14, v5 offset:64
	ds_store_b16 v15, v3 offset:128
	;; [unrolled: 1-line block ×3, first 2 shown]
	; wave barrier
	ds_load_b64 v[0:1], v17
	v_add_co_u32 v2, s16, s41, v33
	s_delay_alu instid0(VALU_DEP_1) | instskip(SKIP_1) | instid1(VALU_DEP_2)
	v_add_co_ci_u32_e64 v3, null, s44, 0, s16
	s_waitcnt lgkmcnt(0)
	v_add_co_u32 v2, vcc_lo, v2, v34
	s_delay_alu instid0(VALU_DEP_2)
	v_add_co_ci_u32_e32 v3, vcc_lo, 0, v3, vcc_lo
	s_barrier
	buffer_gl0_inv
	s_and_saveexec_b32 s16, s12
	s_cbranch_execz .LBB69_22
; %bb.21:                               ;   in Loop: Header=BB69_12 Depth=1
	global_load_u16 v4, v[2:3], off
.LBB69_22:                              ;   in Loop: Header=BB69_12 Depth=1
	s_or_b32 exec_lo, exec_lo, s16
	v_dual_mov_b32 v5, 0 :: v_dual_mov_b32 v6, 0
	s_and_saveexec_b32 s16, s13
	s_cbranch_execnz .LBB69_99
; %bb.23:                               ;   in Loop: Header=BB69_12 Depth=1
	s_or_b32 exec_lo, exec_lo, s16
	s_and_saveexec_b32 s16, s14
	s_cbranch_execnz .LBB69_100
.LBB69_24:                              ;   in Loop: Header=BB69_12 Depth=1
	s_or_b32 exec_lo, exec_lo, s16
	v_mov_b32_e32 v7, 0
	s_and_saveexec_b32 s16, s15
	s_cbranch_execz .LBB69_26
.LBB69_25:                              ;   in Loop: Header=BB69_12 Depth=1
	global_load_u16 v7, v[2:3], off offset:192
.LBB69_26:                              ;   in Loop: Header=BB69_12 Depth=1
	s_or_b32 exec_lo, exec_lo, s16
	s_waitcnt vmcnt(0)
	ds_store_b16 v14, v4
	ds_store_b16 v14, v6 offset:64
	ds_store_b16 v15, v5 offset:128
	;; [unrolled: 1-line block ×3, first 2 shown]
	; wave barrier
	ds_load_b64 v[2:3], v17
	s_waitcnt lgkmcnt(0)
	v_cvt_f32_f16_e32 v4, v2
	s_delay_alu instid0(VALU_DEP_1) | instskip(NEXT) | instid1(VALU_DEP_1)
	v_add_f32_e32 v35, s52, v4
	v_cmp_ge_f32_e32 vcc_lo, 0x41a00000, v35
	s_and_b32 s16, s59, vcc_lo
	s_delay_alu instid0(SALU_CYCLE_1)
	s_and_saveexec_b32 s17, s16
	s_cbranch_execz .LBB69_28
; %bb.27:                               ;   in Loop: Header=BB69_12 Depth=1
	v_mul_f32_e32 v4, 0x3fb8aa3b, v35
	v_cmp_ngt_f32_e32 vcc_lo, 0xc2ce8ed0, v35
	s_delay_alu instid0(VALU_DEP_2) | instskip(SKIP_1) | instid1(VALU_DEP_2)
	v_rndne_f32_e32 v5, v4
	v_fma_f32 v6, 0x3fb8aa3b, v35, -v4
	v_sub_f32_e32 v4, v4, v5
	s_delay_alu instid0(VALU_DEP_2) | instskip(SKIP_1) | instid1(VALU_DEP_2)
	v_fmac_f32_e32 v6, 0x32a5705f, v35
	v_cvt_i32_f32_e32 v5, v5
	v_add_f32_e32 v4, v4, v6
	s_delay_alu instid0(VALU_DEP_1) | instskip(SKIP_2) | instid1(VALU_DEP_1)
	v_exp_f32_e32 v4, v4
	s_waitcnt_depctr 0xfff
	v_ldexp_f32 v4, v4, v5
	v_cndmask_b32_e32 v4, 0, v4, vcc_lo
	v_cmp_nlt_f32_e32 vcc_lo, 0x42b17218, v35
	s_delay_alu instid0(VALU_DEP_2) | instskip(NEXT) | instid1(VALU_DEP_1)
	v_cndmask_b32_e32 v6, 0x7f800000, v4, vcc_lo
	v_add_f32_e32 v7, 1.0, v6
	s_delay_alu instid0(VALU_DEP_1) | instskip(NEXT) | instid1(VALU_DEP_1)
	v_cvt_f64_f32_e32 v[4:5], v7
	v_frexp_exp_i32_f64_e32 v4, v[4:5]
	v_frexp_mant_f32_e32 v5, v7
	s_delay_alu instid0(VALU_DEP_1) | instskip(SKIP_1) | instid1(VALU_DEP_1)
	v_cmp_gt_f32_e32 vcc_lo, 0x3f2aaaab, v5
	v_add_f32_e32 v5, -1.0, v7
	v_dual_sub_f32 v36, v5, v7 :: v_dual_sub_f32 v5, v6, v5
	s_delay_alu instid0(VALU_DEP_1) | instskip(NEXT) | instid1(VALU_DEP_1)
	v_add_f32_e32 v36, 1.0, v36
	v_add_f32_e32 v5, v5, v36
	v_subrev_co_ci_u32_e32 v4, vcc_lo, 0, v4, vcc_lo
	s_delay_alu instid0(VALU_DEP_1) | instskip(SKIP_1) | instid1(VALU_DEP_2)
	v_sub_nc_u32_e32 v35, 0, v4
	v_cvt_f32_i32_e32 v4, v4
	v_ldexp_f32 v7, v7, v35
	v_ldexp_f32 v5, v5, v35
	s_delay_alu instid0(VALU_DEP_2) | instskip(SKIP_3) | instid1(VALU_DEP_4)
	v_add_f32_e32 v37, 1.0, v7
	v_add_f32_e32 v35, -1.0, v7
	v_cmp_eq_f32_e32 vcc_lo, 0x7f800000, v6
	v_cmp_gt_f32_e64 s16, 0x33800000, v6
	v_add_f32_e32 v36, -1.0, v37
	s_delay_alu instid0(VALU_DEP_4) | instskip(NEXT) | instid1(VALU_DEP_3)
	v_add_f32_e32 v38, 1.0, v35
	s_or_b32 vcc_lo, s16, vcc_lo
	s_delay_alu instid0(VALU_DEP_2) | instskip(NEXT) | instid1(VALU_DEP_1)
	v_sub_f32_e32 v36, v7, v36
	v_dual_sub_f32 v7, v7, v38 :: v_dual_add_f32 v36, v5, v36
	s_delay_alu instid0(VALU_DEP_1) | instskip(NEXT) | instid1(VALU_DEP_1)
	v_add_f32_e32 v5, v5, v7
	v_dual_add_f32 v39, v35, v5 :: v_dual_add_f32 v38, v37, v36
	s_delay_alu instid0(VALU_DEP_1) | instskip(NEXT) | instid1(VALU_DEP_2)
	v_sub_f32_e32 v35, v35, v39
	v_rcp_f32_e32 v7, v38
	v_sub_f32_e32 v37, v37, v38
	s_delay_alu instid0(VALU_DEP_1) | instskip(SKIP_2) | instid1(VALU_DEP_1)
	v_dual_add_f32 v5, v5, v35 :: v_dual_add_f32 v36, v36, v37
	s_waitcnt_depctr 0xfff
	v_mul_f32_e32 v40, v39, v7
	v_mul_f32_e32 v41, v38, v40
	s_delay_alu instid0(VALU_DEP_1) | instskip(NEXT) | instid1(VALU_DEP_1)
	v_fma_f32 v37, v40, v38, -v41
	v_fmac_f32_e32 v37, v40, v36
	s_delay_alu instid0(VALU_DEP_1) | instskip(NEXT) | instid1(VALU_DEP_1)
	v_add_f32_e32 v42, v41, v37
	v_sub_f32_e32 v43, v39, v42
	s_delay_alu instid0(VALU_DEP_1) | instskip(SKIP_1) | instid1(VALU_DEP_2)
	v_sub_f32_e32 v39, v39, v43
	v_sub_f32_e32 v35, v42, v41
	;; [unrolled: 1-line block ×3, first 2 shown]
	s_delay_alu instid0(VALU_DEP_2) | instskip(NEXT) | instid1(VALU_DEP_2)
	v_sub_f32_e32 v35, v35, v37
	v_add_f32_e32 v5, v5, v39
	s_delay_alu instid0(VALU_DEP_1) | instskip(NEXT) | instid1(VALU_DEP_1)
	v_add_f32_e32 v5, v35, v5
	v_add_f32_e32 v35, v43, v5
	s_delay_alu instid0(VALU_DEP_1) | instskip(NEXT) | instid1(VALU_DEP_1)
	v_mul_f32_e32 v37, v7, v35
	v_dual_sub_f32 v42, v43, v35 :: v_dual_mul_f32 v39, v38, v37
	s_delay_alu instid0(VALU_DEP_1) | instskip(NEXT) | instid1(VALU_DEP_2)
	v_add_f32_e32 v5, v5, v42
	v_fma_f32 v38, v37, v38, -v39
	s_delay_alu instid0(VALU_DEP_1) | instskip(NEXT) | instid1(VALU_DEP_1)
	v_fmac_f32_e32 v38, v37, v36
	v_add_f32_e32 v36, v39, v38
	s_delay_alu instid0(VALU_DEP_1) | instskip(SKIP_1) | instid1(VALU_DEP_2)
	v_sub_f32_e32 v41, v35, v36
	v_sub_f32_e32 v39, v36, v39
	;; [unrolled: 1-line block ×3, first 2 shown]
	s_delay_alu instid0(VALU_DEP_1) | instskip(NEXT) | instid1(VALU_DEP_1)
	v_sub_f32_e32 v35, v35, v36
	v_dual_sub_f32 v36, v39, v38 :: v_dual_add_f32 v5, v5, v35
	v_add_f32_e32 v35, v40, v37
	s_delay_alu instid0(VALU_DEP_1) | instskip(NEXT) | instid1(VALU_DEP_1)
	v_dual_add_f32 v5, v36, v5 :: v_dual_sub_f32 v36, v35, v40
	v_add_f32_e32 v5, v41, v5
	s_delay_alu instid0(VALU_DEP_1) | instskip(NEXT) | instid1(VALU_DEP_1)
	v_dual_sub_f32 v36, v37, v36 :: v_dual_mul_f32 v5, v7, v5
	v_add_f32_e32 v5, v36, v5
	s_delay_alu instid0(VALU_DEP_1) | instskip(NEXT) | instid1(VALU_DEP_1)
	v_add_f32_e32 v7, v35, v5
	v_mul_f32_e32 v36, v7, v7
	s_delay_alu instid0(VALU_DEP_1) | instskip(SKIP_1) | instid1(VALU_DEP_2)
	v_fmaak_f32 v37, s23, v36, 0x3ecc95a3
	v_mul_f32_e32 v38, v7, v36
	v_fmaak_f32 v36, v36, v37, 0x3f2aaada
	v_ldexp_f32 v37, v7, 1
	s_delay_alu instid0(VALU_DEP_2) | instskip(NEXT) | instid1(VALU_DEP_1)
	v_dual_sub_f32 v7, v7, v35 :: v_dual_mul_f32 v36, v38, v36
	v_dual_mul_f32 v38, 0x3f317218, v4 :: v_dual_sub_f32 v5, v5, v7
	s_delay_alu instid0(VALU_DEP_2) | instskip(NEXT) | instid1(VALU_DEP_2)
	v_add_f32_e32 v35, v37, v36
	v_ldexp_f32 v5, v5, 1
	s_delay_alu instid0(VALU_DEP_2) | instskip(NEXT) | instid1(VALU_DEP_4)
	v_sub_f32_e32 v7, v35, v37
	v_fma_f32 v37, 0x3f317218, v4, -v38
	s_delay_alu instid0(VALU_DEP_2) | instskip(NEXT) | instid1(VALU_DEP_1)
	v_sub_f32_e32 v7, v36, v7
	v_dual_fmac_f32 v37, 0xb102e308, v4 :: v_dual_add_f32 v4, v5, v7
	s_delay_alu instid0(VALU_DEP_1) | instskip(NEXT) | instid1(VALU_DEP_1)
	v_add_f32_e32 v5, v38, v37
	v_dual_add_f32 v7, v35, v4 :: v_dual_sub_f32 v38, v5, v38
	s_delay_alu instid0(VALU_DEP_1) | instskip(SKIP_1) | instid1(VALU_DEP_3)
	v_add_f32_e32 v36, v5, v7
	v_sub_f32_e32 v35, v7, v35
	v_sub_f32_e32 v37, v37, v38
	s_delay_alu instid0(VALU_DEP_3) | instskip(NEXT) | instid1(VALU_DEP_3)
	v_sub_f32_e32 v39, v36, v5
	v_sub_f32_e32 v4, v4, v35
	s_delay_alu instid0(VALU_DEP_2) | instskip(SKIP_1) | instid1(VALU_DEP_3)
	v_sub_f32_e32 v40, v36, v39
	v_sub_f32_e32 v7, v7, v39
	v_add_f32_e32 v35, v37, v4
	s_delay_alu instid0(VALU_DEP_3) | instskip(NEXT) | instid1(VALU_DEP_1)
	v_sub_f32_e32 v5, v5, v40
	v_add_f32_e32 v5, v7, v5
	s_delay_alu instid0(VALU_DEP_3) | instskip(NEXT) | instid1(VALU_DEP_1)
	v_sub_f32_e32 v7, v35, v37
	v_dual_add_f32 v5, v35, v5 :: v_dual_sub_f32 v4, v4, v7
	s_delay_alu instid0(VALU_DEP_1) | instskip(NEXT) | instid1(VALU_DEP_1)
	v_dual_sub_f32 v35, v35, v7 :: v_dual_add_f32 v38, v36, v5
	v_sub_f32_e32 v35, v37, v35
	s_delay_alu instid0(VALU_DEP_1) | instskip(NEXT) | instid1(VALU_DEP_1)
	v_dual_sub_f32 v7, v38, v36 :: v_dual_add_f32 v4, v4, v35
	v_sub_f32_e32 v5, v5, v7
	s_delay_alu instid0(VALU_DEP_1) | instskip(NEXT) | instid1(VALU_DEP_1)
	v_add_f32_e32 v4, v4, v5
	v_add_f32_e32 v4, v38, v4
	s_delay_alu instid0(VALU_DEP_1)
	v_cndmask_b32_e32 v35, v4, v6, vcc_lo
.LBB69_28:                              ;   in Loop: Header=BB69_12 Depth=1
	s_or_b32 exec_lo, exec_lo, s17
	v_lshrrev_b32_e32 v2, 16, v2
	s_delay_alu instid0(VALU_DEP_1) | instskip(NEXT) | instid1(VALU_DEP_1)
	v_cvt_f32_f16_e32 v2, v2
	v_add_f32_e32 v36, s52, v2
	s_delay_alu instid0(VALU_DEP_1) | instskip(SKIP_1) | instid1(SALU_CYCLE_1)
	v_cmp_ge_f32_e32 vcc_lo, 0x41a00000, v36
	s_and_b32 s16, s59, vcc_lo
	s_and_saveexec_b32 s17, s16
	s_cbranch_execz .LBB69_30
; %bb.29:                               ;   in Loop: Header=BB69_12 Depth=1
	v_mul_f32_e32 v2, 0x3fb8aa3b, v36
	v_cmp_ngt_f32_e32 vcc_lo, 0xc2ce8ed0, v36
	s_delay_alu instid0(VALU_DEP_2) | instskip(SKIP_1) | instid1(VALU_DEP_2)
	v_rndne_f32_e32 v4, v2
	v_fma_f32 v5, 0x3fb8aa3b, v36, -v2
	v_sub_f32_e32 v2, v2, v4
	s_delay_alu instid0(VALU_DEP_2) | instskip(SKIP_1) | instid1(VALU_DEP_2)
	v_fmac_f32_e32 v5, 0x32a5705f, v36
	v_cvt_i32_f32_e32 v4, v4
	v_add_f32_e32 v2, v2, v5
	s_delay_alu instid0(VALU_DEP_1) | instskip(SKIP_2) | instid1(VALU_DEP_1)
	v_exp_f32_e32 v2, v2
	s_waitcnt_depctr 0xfff
	v_ldexp_f32 v2, v2, v4
	v_cndmask_b32_e32 v2, 0, v2, vcc_lo
	v_cmp_nlt_f32_e32 vcc_lo, 0x42b17218, v36
	s_delay_alu instid0(VALU_DEP_2) | instskip(NEXT) | instid1(VALU_DEP_1)
	v_cndmask_b32_e32 v2, 0x7f800000, v2, vcc_lo
	v_add_f32_e32 v6, 1.0, v2
	s_delay_alu instid0(VALU_DEP_1) | instskip(NEXT) | instid1(VALU_DEP_1)
	v_cvt_f64_f32_e32 v[4:5], v6
	v_frexp_exp_i32_f64_e32 v4, v[4:5]
	v_frexp_mant_f32_e32 v5, v6
	s_delay_alu instid0(VALU_DEP_1) | instskip(SKIP_1) | instid1(VALU_DEP_1)
	v_cmp_gt_f32_e32 vcc_lo, 0x3f2aaaab, v5
	v_add_f32_e32 v5, -1.0, v6
	v_dual_sub_f32 v36, v5, v6 :: v_dual_sub_f32 v5, v2, v5
	v_subrev_co_ci_u32_e32 v4, vcc_lo, 0, v4, vcc_lo
	s_delay_alu instid0(VALU_DEP_1) | instskip(SKIP_1) | instid1(VALU_DEP_2)
	v_sub_nc_u32_e32 v7, 0, v4
	v_cvt_f32_i32_e32 v4, v4
	v_ldexp_f32 v6, v6, v7
	s_delay_alu instid0(VALU_DEP_1) | instskip(NEXT) | instid1(VALU_DEP_1)
	v_dual_add_f32 v36, 1.0, v36 :: v_dual_add_f32 v37, 1.0, v6
	v_add_f32_e32 v5, v5, v36
	s_delay_alu instid0(VALU_DEP_1) | instskip(NEXT) | instid1(VALU_DEP_3)
	v_ldexp_f32 v5, v5, v7
	v_dual_add_f32 v7, -1.0, v6 :: v_dual_add_f32 v36, -1.0, v37
	s_delay_alu instid0(VALU_DEP_1) | instskip(NEXT) | instid1(VALU_DEP_2)
	v_add_f32_e32 v38, 1.0, v7
	v_sub_f32_e32 v36, v6, v36
	s_delay_alu instid0(VALU_DEP_2) | instskip(NEXT) | instid1(VALU_DEP_2)
	v_sub_f32_e32 v6, v6, v38
	v_add_f32_e32 v36, v5, v36
	s_delay_alu instid0(VALU_DEP_2) | instskip(NEXT) | instid1(VALU_DEP_1)
	v_add_f32_e32 v5, v5, v6
	v_dual_add_f32 v39, v7, v5 :: v_dual_add_f32 v38, v37, v36
	v_cmp_eq_f32_e32 vcc_lo, 0x7f800000, v2
	v_cmp_gt_f32_e64 s16, 0x33800000, v2
	s_delay_alu instid0(VALU_DEP_3) | instskip(NEXT) | instid1(VALU_DEP_4)
	v_sub_f32_e32 v7, v7, v39
	v_rcp_f32_e32 v6, v38
	v_sub_f32_e32 v37, v37, v38
	s_delay_alu instid0(VALU_DEP_3) | instskip(NEXT) | instid1(VALU_DEP_1)
	s_or_b32 vcc_lo, s16, vcc_lo
	v_dual_add_f32 v5, v5, v7 :: v_dual_add_f32 v36, v36, v37
	s_waitcnt_depctr 0xfff
	v_mul_f32_e32 v40, v39, v6
	s_delay_alu instid0(VALU_DEP_1) | instskip(NEXT) | instid1(VALU_DEP_1)
	v_mul_f32_e32 v41, v38, v40
	v_fma_f32 v37, v40, v38, -v41
	s_delay_alu instid0(VALU_DEP_1) | instskip(NEXT) | instid1(VALU_DEP_1)
	v_fmac_f32_e32 v37, v40, v36
	v_add_f32_e32 v42, v41, v37
	s_delay_alu instid0(VALU_DEP_1) | instskip(NEXT) | instid1(VALU_DEP_1)
	v_sub_f32_e32 v43, v39, v42
	v_sub_f32_e32 v39, v39, v43
	s_delay_alu instid0(VALU_DEP_1) | instskip(SKIP_1) | instid1(VALU_DEP_2)
	v_sub_f32_e32 v39, v39, v42
	v_sub_f32_e32 v7, v42, v41
	v_add_f32_e32 v5, v5, v39
	s_delay_alu instid0(VALU_DEP_2) | instskip(NEXT) | instid1(VALU_DEP_1)
	v_sub_f32_e32 v7, v7, v37
	v_add_f32_e32 v5, v7, v5
	s_delay_alu instid0(VALU_DEP_1) | instskip(NEXT) | instid1(VALU_DEP_1)
	v_add_f32_e32 v7, v43, v5
	v_mul_f32_e32 v37, v6, v7
	s_delay_alu instid0(VALU_DEP_1) | instskip(NEXT) | instid1(VALU_DEP_1)
	v_dual_sub_f32 v42, v43, v7 :: v_dual_mul_f32 v39, v38, v37
	v_add_f32_e32 v5, v5, v42
	s_delay_alu instid0(VALU_DEP_2) | instskip(NEXT) | instid1(VALU_DEP_1)
	v_fma_f32 v38, v37, v38, -v39
	v_fmac_f32_e32 v38, v37, v36
	s_delay_alu instid0(VALU_DEP_1) | instskip(NEXT) | instid1(VALU_DEP_1)
	v_add_f32_e32 v36, v39, v38
	v_sub_f32_e32 v41, v7, v36
	s_delay_alu instid0(VALU_DEP_1) | instskip(NEXT) | instid1(VALU_DEP_1)
	v_sub_f32_e32 v7, v7, v41
	v_sub_f32_e32 v7, v7, v36
	s_delay_alu instid0(VALU_DEP_1) | instskip(SKIP_2) | instid1(VALU_DEP_1)
	v_add_f32_e32 v5, v5, v7
	v_add_f32_e32 v7, v40, v37
	v_sub_f32_e32 v39, v36, v39
	v_sub_f32_e32 v36, v39, v38
	s_delay_alu instid0(VALU_DEP_1) | instskip(NEXT) | instid1(VALU_DEP_1)
	v_dual_add_f32 v5, v36, v5 :: v_dual_sub_f32 v36, v7, v40
	v_add_f32_e32 v5, v41, v5
	s_delay_alu instid0(VALU_DEP_1) | instskip(NEXT) | instid1(VALU_DEP_1)
	v_dual_sub_f32 v36, v37, v36 :: v_dual_mul_f32 v5, v6, v5
	v_add_f32_e32 v5, v36, v5
	s_delay_alu instid0(VALU_DEP_1) | instskip(NEXT) | instid1(VALU_DEP_1)
	v_add_f32_e32 v6, v7, v5
	v_mul_f32_e32 v36, v6, v6
	s_delay_alu instid0(VALU_DEP_1) | instskip(SKIP_1) | instid1(VALU_DEP_2)
	v_fmaak_f32 v37, s23, v36, 0x3ecc95a3
	v_mul_f32_e32 v38, v6, v36
	v_fmaak_f32 v36, v36, v37, 0x3f2aaada
	v_ldexp_f32 v37, v6, 1
	v_sub_f32_e32 v6, v6, v7
	s_delay_alu instid0(VALU_DEP_3) | instskip(SKIP_1) | instid1(VALU_DEP_2)
	v_mul_f32_e32 v36, v38, v36
	v_mul_f32_e32 v38, 0x3f317218, v4
	v_add_f32_e32 v7, v37, v36
	s_delay_alu instid0(VALU_DEP_1) | instskip(NEXT) | instid1(VALU_DEP_3)
	v_dual_sub_f32 v5, v5, v6 :: v_dual_sub_f32 v6, v7, v37
	v_fma_f32 v37, 0x3f317218, v4, -v38
	s_delay_alu instid0(VALU_DEP_2) | instskip(NEXT) | instid1(VALU_DEP_2)
	v_ldexp_f32 v5, v5, 1
	v_dual_sub_f32 v6, v36, v6 :: v_dual_fmac_f32 v37, 0xb102e308, v4
	s_delay_alu instid0(VALU_DEP_1) | instskip(NEXT) | instid1(VALU_DEP_1)
	v_dual_add_f32 v4, v5, v6 :: v_dual_add_f32 v5, v38, v37
	v_add_f32_e32 v6, v7, v4
	s_delay_alu instid0(VALU_DEP_1) | instskip(NEXT) | instid1(VALU_DEP_1)
	v_add_f32_e32 v36, v5, v6
	v_sub_f32_e32 v39, v36, v5
	s_delay_alu instid0(VALU_DEP_1) | instskip(SKIP_2) | instid1(VALU_DEP_2)
	v_sub_f32_e32 v40, v36, v39
	v_sub_f32_e32 v7, v6, v7
	;; [unrolled: 1-line block ×5, first 2 shown]
	s_delay_alu instid0(VALU_DEP_1) | instskip(NEXT) | instid1(VALU_DEP_1)
	v_sub_f32_e32 v37, v37, v38
	v_add_f32_e32 v7, v37, v4
	v_sub_f32_e32 v5, v5, v40
	s_delay_alu instid0(VALU_DEP_1) | instskip(NEXT) | instid1(VALU_DEP_3)
	v_add_f32_e32 v5, v6, v5
	v_sub_f32_e32 v6, v7, v37
	s_delay_alu instid0(VALU_DEP_1) | instskip(NEXT) | instid1(VALU_DEP_1)
	v_dual_sub_f32 v4, v4, v6 :: v_dual_add_f32 v5, v7, v5
	v_dual_sub_f32 v7, v7, v6 :: v_dual_add_f32 v38, v36, v5
	s_delay_alu instid0(VALU_DEP_1) | instskip(NEXT) | instid1(VALU_DEP_1)
	v_dual_sub_f32 v7, v37, v7 :: v_dual_sub_f32 v6, v38, v36
	v_dual_add_f32 v4, v4, v7 :: v_dual_sub_f32 v5, v5, v6
	s_delay_alu instid0(VALU_DEP_1) | instskip(NEXT) | instid1(VALU_DEP_1)
	v_add_f32_e32 v4, v4, v5
	v_add_f32_e32 v4, v38, v4
	s_delay_alu instid0(VALU_DEP_1)
	v_cndmask_b32_e32 v36, v4, v2, vcc_lo
.LBB69_30:                              ;   in Loop: Header=BB69_12 Depth=1
	s_or_b32 exec_lo, exec_lo, s17
	v_cvt_f32_f16_e32 v2, v3
	s_delay_alu instid0(VALU_DEP_1) | instskip(NEXT) | instid1(VALU_DEP_1)
	v_add_f32_e32 v41, s52, v2
	v_cmp_ge_f32_e32 vcc_lo, 0x41a00000, v41
	s_and_b32 s16, s59, vcc_lo
	s_delay_alu instid0(SALU_CYCLE_1)
	s_and_saveexec_b32 s17, s16
	s_cbranch_execz .LBB69_32
; %bb.31:                               ;   in Loop: Header=BB69_12 Depth=1
	v_mul_f32_e32 v2, 0x3fb8aa3b, v41
	v_cmp_ngt_f32_e32 vcc_lo, 0xc2ce8ed0, v41
	s_delay_alu instid0(VALU_DEP_2) | instskip(SKIP_1) | instid1(VALU_DEP_1)
	v_rndne_f32_e32 v4, v2
	v_fma_f32 v5, 0x3fb8aa3b, v41, -v2
	v_dual_sub_f32 v2, v2, v4 :: v_dual_fmac_f32 v5, 0x32a5705f, v41
	v_cvt_i32_f32_e32 v4, v4
	s_delay_alu instid0(VALU_DEP_2) | instskip(NEXT) | instid1(VALU_DEP_1)
	v_add_f32_e32 v2, v2, v5
	v_exp_f32_e32 v2, v2
	s_waitcnt_depctr 0xfff
	v_ldexp_f32 v2, v2, v4
	s_delay_alu instid0(VALU_DEP_1) | instskip(SKIP_1) | instid1(VALU_DEP_2)
	v_cndmask_b32_e32 v2, 0, v2, vcc_lo
	v_cmp_nlt_f32_e32 vcc_lo, 0x42b17218, v41
	v_cndmask_b32_e32 v2, 0x7f800000, v2, vcc_lo
	s_delay_alu instid0(VALU_DEP_1) | instskip(NEXT) | instid1(VALU_DEP_1)
	v_add_f32_e32 v6, 1.0, v2
	v_cvt_f64_f32_e32 v[4:5], v6
	s_delay_alu instid0(VALU_DEP_1) | instskip(SKIP_1) | instid1(VALU_DEP_1)
	v_frexp_exp_i32_f64_e32 v4, v[4:5]
	v_frexp_mant_f32_e32 v5, v6
	v_cmp_gt_f32_e32 vcc_lo, 0x3f2aaaab, v5
	v_add_f32_e32 v5, -1.0, v6
	s_delay_alu instid0(VALU_DEP_1) | instskip(SKIP_1) | instid1(VALU_DEP_2)
	v_sub_f32_e32 v37, v5, v6
	v_sub_f32_e32 v5, v2, v5
	v_add_f32_e32 v37, 1.0, v37
	s_delay_alu instid0(VALU_DEP_1) | instskip(SKIP_3) | instid1(VALU_DEP_2)
	v_add_f32_e32 v5, v5, v37
	v_cmp_gt_f32_e64 s16, 0x33800000, v2
	v_subrev_co_ci_u32_e32 v4, vcc_lo, 0, v4, vcc_lo
	v_cmp_eq_f32_e32 vcc_lo, 0x7f800000, v2
	v_sub_nc_u32_e32 v7, 0, v4
	v_cvt_f32_i32_e32 v4, v4
	s_or_b32 vcc_lo, s16, vcc_lo
	s_delay_alu instid0(VALU_DEP_2) | instskip(SKIP_1) | instid1(VALU_DEP_2)
	v_ldexp_f32 v6, v6, v7
	v_ldexp_f32 v5, v5, v7
	v_add_f32_e32 v38, 1.0, v6
	v_add_f32_e32 v7, -1.0, v6
	s_delay_alu instid0(VALU_DEP_1) | instskip(NEXT) | instid1(VALU_DEP_3)
	v_add_f32_e32 v39, 1.0, v7
	v_add_f32_e32 v37, -1.0, v38
	s_delay_alu instid0(VALU_DEP_1) | instskip(NEXT) | instid1(VALU_DEP_1)
	v_sub_f32_e32 v37, v6, v37
	v_dual_sub_f32 v6, v6, v39 :: v_dual_add_f32 v37, v5, v37
	s_delay_alu instid0(VALU_DEP_1) | instskip(NEXT) | instid1(VALU_DEP_2)
	v_add_f32_e32 v39, v38, v37
	v_add_f32_e32 v5, v5, v6
	s_delay_alu instid0(VALU_DEP_2) | instskip(SKIP_1) | instid1(VALU_DEP_1)
	v_rcp_f32_e32 v6, v39
	v_sub_f32_e32 v38, v38, v39
	v_dual_add_f32 v40, v7, v5 :: v_dual_add_f32 v37, v37, v38
	s_delay_alu instid0(VALU_DEP_1) | instskip(SKIP_2) | instid1(VALU_DEP_1)
	v_sub_f32_e32 v7, v7, v40
	s_waitcnt_depctr 0xfff
	v_mul_f32_e32 v41, v40, v6
	v_mul_f32_e32 v42, v39, v41
	s_delay_alu instid0(VALU_DEP_1) | instskip(NEXT) | instid1(VALU_DEP_1)
	v_fma_f32 v38, v41, v39, -v42
	v_fmac_f32_e32 v38, v41, v37
	s_delay_alu instid0(VALU_DEP_1) | instskip(NEXT) | instid1(VALU_DEP_1)
	v_add_f32_e32 v43, v42, v38
	v_sub_f32_e32 v44, v40, v43
	s_delay_alu instid0(VALU_DEP_1) | instskip(NEXT) | instid1(VALU_DEP_1)
	v_dual_sub_f32 v40, v40, v44 :: v_dual_add_f32 v5, v5, v7
	v_dual_sub_f32 v7, v43, v42 :: v_dual_sub_f32 v40, v40, v43
	s_delay_alu instid0(VALU_DEP_1) | instskip(NEXT) | instid1(VALU_DEP_2)
	v_sub_f32_e32 v7, v7, v38
	v_add_f32_e32 v5, v5, v40
	s_delay_alu instid0(VALU_DEP_1) | instskip(NEXT) | instid1(VALU_DEP_1)
	v_add_f32_e32 v5, v7, v5
	v_add_f32_e32 v7, v44, v5
	s_delay_alu instid0(VALU_DEP_1) | instskip(NEXT) | instid1(VALU_DEP_1)
	v_mul_f32_e32 v38, v6, v7
	v_dual_sub_f32 v43, v44, v7 :: v_dual_mul_f32 v40, v39, v38
	s_delay_alu instid0(VALU_DEP_1) | instskip(NEXT) | instid1(VALU_DEP_2)
	v_add_f32_e32 v5, v5, v43
	v_fma_f32 v39, v38, v39, -v40
	s_delay_alu instid0(VALU_DEP_1) | instskip(NEXT) | instid1(VALU_DEP_1)
	v_fmac_f32_e32 v39, v38, v37
	v_add_f32_e32 v37, v40, v39
	s_delay_alu instid0(VALU_DEP_1) | instskip(NEXT) | instid1(VALU_DEP_1)
	v_sub_f32_e32 v42, v7, v37
	v_dual_sub_f32 v40, v37, v40 :: v_dual_sub_f32 v7, v7, v42
	s_delay_alu instid0(VALU_DEP_1) | instskip(NEXT) | instid1(VALU_DEP_2)
	v_sub_f32_e32 v7, v7, v37
	v_sub_f32_e32 v37, v40, v39
	s_delay_alu instid0(VALU_DEP_2) | instskip(SKIP_1) | instid1(VALU_DEP_2)
	v_add_f32_e32 v5, v5, v7
	v_add_f32_e32 v7, v41, v38
	;; [unrolled: 1-line block ×3, first 2 shown]
	s_delay_alu instid0(VALU_DEP_2) | instskip(NEXT) | instid1(VALU_DEP_2)
	v_sub_f32_e32 v37, v7, v41
	v_add_f32_e32 v5, v42, v5
	s_delay_alu instid0(VALU_DEP_2) | instskip(NEXT) | instid1(VALU_DEP_2)
	v_sub_f32_e32 v37, v38, v37
	v_mul_f32_e32 v5, v6, v5
	s_delay_alu instid0(VALU_DEP_1) | instskip(NEXT) | instid1(VALU_DEP_1)
	v_add_f32_e32 v5, v37, v5
	v_add_f32_e32 v6, v7, v5
	s_delay_alu instid0(VALU_DEP_1) | instskip(NEXT) | instid1(VALU_DEP_1)
	v_mul_f32_e32 v37, v6, v6
	v_fmaak_f32 v38, s23, v37, 0x3ecc95a3
	v_mul_f32_e32 v39, v6, v37
	s_delay_alu instid0(VALU_DEP_2) | instskip(SKIP_1) | instid1(VALU_DEP_2)
	v_fmaak_f32 v37, v37, v38, 0x3f2aaada
	v_ldexp_f32 v38, v6, 1
	v_dual_sub_f32 v6, v6, v7 :: v_dual_mul_f32 v37, v39, v37
	v_mul_f32_e32 v39, 0x3f317218, v4
	s_delay_alu instid0(VALU_DEP_2) | instskip(NEXT) | instid1(VALU_DEP_3)
	v_sub_f32_e32 v5, v5, v6
	v_add_f32_e32 v7, v38, v37
	s_delay_alu instid0(VALU_DEP_2) | instskip(NEXT) | instid1(VALU_DEP_2)
	v_ldexp_f32 v5, v5, 1
	v_sub_f32_e32 v6, v7, v38
	v_fma_f32 v38, 0x3f317218, v4, -v39
	s_delay_alu instid0(VALU_DEP_2) | instskip(NEXT) | instid1(VALU_DEP_2)
	v_sub_f32_e32 v6, v37, v6
	v_fmac_f32_e32 v38, 0xb102e308, v4
	s_delay_alu instid0(VALU_DEP_2) | instskip(NEXT) | instid1(VALU_DEP_2)
	v_add_f32_e32 v4, v5, v6
	v_add_f32_e32 v5, v39, v38
	s_delay_alu instid0(VALU_DEP_1) | instskip(NEXT) | instid1(VALU_DEP_1)
	v_dual_add_f32 v6, v7, v4 :: v_dual_sub_f32 v39, v5, v39
	v_add_f32_e32 v37, v5, v6
	v_sub_f32_e32 v7, v6, v7
	s_delay_alu instid0(VALU_DEP_3) | instskip(NEXT) | instid1(VALU_DEP_3)
	v_sub_f32_e32 v38, v38, v39
	v_sub_f32_e32 v40, v37, v5
	s_delay_alu instid0(VALU_DEP_1) | instskip(SKIP_1) | instid1(VALU_DEP_2)
	v_dual_sub_f32 v4, v4, v7 :: v_dual_sub_f32 v41, v37, v40
	v_sub_f32_e32 v6, v6, v40
	v_add_f32_e32 v7, v38, v4
	s_delay_alu instid0(VALU_DEP_3) | instskip(NEXT) | instid1(VALU_DEP_1)
	v_sub_f32_e32 v5, v5, v41
	v_dual_add_f32 v5, v6, v5 :: v_dual_sub_f32 v6, v7, v38
	s_delay_alu instid0(VALU_DEP_1) | instskip(NEXT) | instid1(VALU_DEP_2)
	v_add_f32_e32 v5, v7, v5
	v_sub_f32_e32 v7, v7, v6
	s_delay_alu instid0(VALU_DEP_2) | instskip(NEXT) | instid1(VALU_DEP_1)
	v_dual_sub_f32 v4, v4, v6 :: v_dual_add_f32 v39, v37, v5
	v_dual_sub_f32 v7, v38, v7 :: v_dual_sub_f32 v6, v39, v37
	s_delay_alu instid0(VALU_DEP_1) | instskip(NEXT) | instid1(VALU_DEP_1)
	v_dual_add_f32 v4, v4, v7 :: v_dual_sub_f32 v5, v5, v6
	v_add_f32_e32 v4, v4, v5
	s_delay_alu instid0(VALU_DEP_1) | instskip(NEXT) | instid1(VALU_DEP_1)
	v_add_f32_e32 v4, v39, v4
	v_cndmask_b32_e32 v41, v4, v2, vcc_lo
.LBB69_32:                              ;   in Loop: Header=BB69_12 Depth=1
	s_or_b32 exec_lo, exec_lo, s17
	v_lshrrev_b32_e32 v2, 16, v3
	s_delay_alu instid0(VALU_DEP_1) | instskip(NEXT) | instid1(VALU_DEP_1)
	v_cvt_f32_f16_e32 v2, v2
	v_add_f32_e32 v42, s52, v2
	s_delay_alu instid0(VALU_DEP_1) | instskip(SKIP_1) | instid1(SALU_CYCLE_1)
	v_cmp_ge_f32_e32 vcc_lo, 0x41a00000, v42
	s_and_b32 s16, s59, vcc_lo
	s_and_saveexec_b32 s17, s16
	s_cbranch_execz .LBB69_34
; %bb.33:                               ;   in Loop: Header=BB69_12 Depth=1
	v_mul_f32_e32 v2, 0x3fb8aa3b, v42
	v_cmp_ngt_f32_e32 vcc_lo, 0xc2ce8ed0, v42
	s_delay_alu instid0(VALU_DEP_2) | instskip(SKIP_1) | instid1(VALU_DEP_2)
	v_rndne_f32_e32 v3, v2
	v_fma_f32 v4, 0x3fb8aa3b, v42, -v2
	v_sub_f32_e32 v2, v2, v3
	s_delay_alu instid0(VALU_DEP_2) | instskip(SKIP_1) | instid1(VALU_DEP_2)
	v_fmac_f32_e32 v4, 0x32a5705f, v42
	v_cvt_i32_f32_e32 v3, v3
	v_add_f32_e32 v2, v2, v4
	s_delay_alu instid0(VALU_DEP_1) | instskip(SKIP_2) | instid1(VALU_DEP_1)
	v_exp_f32_e32 v2, v2
	s_waitcnt_depctr 0xfff
	v_ldexp_f32 v2, v2, v3
	v_cndmask_b32_e32 v2, 0, v2, vcc_lo
	v_cmp_nlt_f32_e32 vcc_lo, 0x42b17218, v42
	s_delay_alu instid0(VALU_DEP_2) | instskip(NEXT) | instid1(VALU_DEP_1)
	v_cndmask_b32_e32 v4, 0x7f800000, v2, vcc_lo
	v_add_f32_e32 v5, 1.0, v4
	s_delay_alu instid0(VALU_DEP_1) | instskip(NEXT) | instid1(VALU_DEP_1)
	v_cvt_f64_f32_e32 v[2:3], v5
	v_frexp_exp_i32_f64_e32 v2, v[2:3]
	v_frexp_mant_f32_e32 v3, v5
	s_delay_alu instid0(VALU_DEP_1) | instskip(SKIP_1) | instid1(VALU_DEP_1)
	v_cmp_gt_f32_e32 vcc_lo, 0x3f2aaaab, v3
	v_add_f32_e32 v3, -1.0, v5
	v_sub_f32_e32 v7, v3, v5
	s_delay_alu instid0(VALU_DEP_1) | instskip(SKIP_1) | instid1(VALU_DEP_1)
	v_add_f32_e32 v7, 1.0, v7
	v_subrev_co_ci_u32_e32 v2, vcc_lo, 0, v2, vcc_lo
	v_sub_nc_u32_e32 v6, 0, v2
	v_cvt_f32_i32_e32 v2, v2
	s_delay_alu instid0(VALU_DEP_2) | instskip(NEXT) | instid1(VALU_DEP_1)
	v_ldexp_f32 v5, v5, v6
	v_add_f32_e32 v37, 1.0, v5
	v_sub_f32_e32 v3, v4, v3
	v_cmp_eq_f32_e32 vcc_lo, 0x7f800000, v4
	v_cmp_gt_f32_e64 s16, 0x33800000, v4
	s_delay_alu instid0(VALU_DEP_3) | instskip(NEXT) | instid1(VALU_DEP_2)
	v_add_f32_e32 v3, v3, v7
	s_or_b32 vcc_lo, s16, vcc_lo
	s_delay_alu instid0(VALU_DEP_1) | instskip(SKIP_1) | instid1(VALU_DEP_1)
	v_ldexp_f32 v3, v3, v6
	v_add_f32_e32 v6, -1.0, v5
	v_dual_add_f32 v7, -1.0, v37 :: v_dual_add_f32 v38, 1.0, v6
	s_delay_alu instid0(VALU_DEP_1) | instskip(NEXT) | instid1(VALU_DEP_2)
	v_sub_f32_e32 v7, v5, v7
	v_sub_f32_e32 v5, v5, v38
	s_delay_alu instid0(VALU_DEP_2) | instskip(NEXT) | instid1(VALU_DEP_1)
	v_add_f32_e32 v7, v3, v7
	v_dual_add_f32 v3, v3, v5 :: v_dual_add_f32 v38, v37, v7
	s_delay_alu instid0(VALU_DEP_1) | instskip(NEXT) | instid1(VALU_DEP_2)
	v_add_f32_e32 v39, v6, v3
	v_rcp_f32_e32 v5, v38
	s_delay_alu instid0(VALU_DEP_1) | instskip(NEXT) | instid1(VALU_DEP_1)
	v_dual_sub_f32 v37, v37, v38 :: v_dual_sub_f32 v6, v6, v39
	v_add_f32_e32 v3, v3, v6
	s_waitcnt_depctr 0xfff
	v_mul_f32_e32 v40, v39, v5
	s_delay_alu instid0(VALU_DEP_1) | instskip(NEXT) | instid1(VALU_DEP_1)
	v_dual_mul_f32 v42, v38, v40 :: v_dual_add_f32 v7, v7, v37
	v_fma_f32 v37, v40, v38, -v42
	s_delay_alu instid0(VALU_DEP_1) | instskip(NEXT) | instid1(VALU_DEP_1)
	v_fmac_f32_e32 v37, v40, v7
	v_add_f32_e32 v43, v42, v37
	s_delay_alu instid0(VALU_DEP_1) | instskip(SKIP_1) | instid1(VALU_DEP_1)
	v_sub_f32_e32 v6, v43, v42
	v_sub_f32_e32 v44, v39, v43
	v_dual_sub_f32 v6, v6, v37 :: v_dual_sub_f32 v39, v39, v44
	s_delay_alu instid0(VALU_DEP_1) | instskip(NEXT) | instid1(VALU_DEP_1)
	v_sub_f32_e32 v39, v39, v43
	v_add_f32_e32 v3, v3, v39
	s_delay_alu instid0(VALU_DEP_1) | instskip(NEXT) | instid1(VALU_DEP_1)
	v_add_f32_e32 v3, v6, v3
	v_add_f32_e32 v6, v44, v3
	s_delay_alu instid0(VALU_DEP_1) | instskip(SKIP_1) | instid1(VALU_DEP_2)
	v_mul_f32_e32 v37, v5, v6
	v_sub_f32_e32 v43, v44, v6
	v_mul_f32_e32 v39, v38, v37
	s_delay_alu instid0(VALU_DEP_2) | instskip(NEXT) | instid1(VALU_DEP_2)
	v_add_f32_e32 v3, v3, v43
	v_fma_f32 v38, v37, v38, -v39
	s_delay_alu instid0(VALU_DEP_1) | instskip(NEXT) | instid1(VALU_DEP_1)
	v_fmac_f32_e32 v38, v37, v7
	v_add_f32_e32 v7, v39, v38
	s_delay_alu instid0(VALU_DEP_1) | instskip(NEXT) | instid1(VALU_DEP_1)
	v_sub_f32_e32 v42, v6, v7
	v_dual_sub_f32 v39, v7, v39 :: v_dual_sub_f32 v6, v6, v42
	s_delay_alu instid0(VALU_DEP_1) | instskip(NEXT) | instid1(VALU_DEP_1)
	v_dual_sub_f32 v6, v6, v7 :: v_dual_sub_f32 v7, v39, v38
	v_dual_add_f32 v3, v3, v6 :: v_dual_add_f32 v6, v40, v37
	s_delay_alu instid0(VALU_DEP_1) | instskip(NEXT) | instid1(VALU_DEP_2)
	v_add_f32_e32 v3, v7, v3
	v_sub_f32_e32 v7, v6, v40
	s_delay_alu instid0(VALU_DEP_2) | instskip(NEXT) | instid1(VALU_DEP_2)
	v_add_f32_e32 v3, v42, v3
	v_sub_f32_e32 v7, v37, v7
	s_delay_alu instid0(VALU_DEP_2) | instskip(NEXT) | instid1(VALU_DEP_1)
	v_mul_f32_e32 v3, v5, v3
	v_add_f32_e32 v3, v7, v3
	s_delay_alu instid0(VALU_DEP_1) | instskip(NEXT) | instid1(VALU_DEP_1)
	v_add_f32_e32 v5, v6, v3
	v_mul_f32_e32 v7, v5, v5
	s_delay_alu instid0(VALU_DEP_1) | instskip(NEXT) | instid1(VALU_DEP_1)
	v_fmaak_f32 v37, s23, v7, 0x3ecc95a3
	v_dual_mul_f32 v38, v5, v7 :: v_dual_fmaak_f32 v7, v7, v37, 0x3f2aaada
	v_ldexp_f32 v37, v5, 1
	v_sub_f32_e32 v5, v5, v6
	s_delay_alu instid0(VALU_DEP_3) | instskip(NEXT) | instid1(VALU_DEP_1)
	v_dual_mul_f32 v7, v38, v7 :: v_dual_mul_f32 v38, 0x3f317218, v2
	v_dual_sub_f32 v3, v3, v5 :: v_dual_add_f32 v6, v37, v7
	s_delay_alu instid0(VALU_DEP_1) | instskip(NEXT) | instid1(VALU_DEP_2)
	v_ldexp_f32 v3, v3, 1
	v_sub_f32_e32 v5, v6, v37
	s_delay_alu instid0(VALU_DEP_4) | instskip(NEXT) | instid1(VALU_DEP_2)
	v_fma_f32 v37, 0x3f317218, v2, -v38
	v_sub_f32_e32 v5, v7, v5
	s_delay_alu instid0(VALU_DEP_1) | instskip(NEXT) | instid1(VALU_DEP_1)
	v_dual_fmac_f32 v37, 0xb102e308, v2 :: v_dual_add_f32 v2, v3, v5
	v_add_f32_e32 v3, v38, v37
	s_delay_alu instid0(VALU_DEP_2) | instskip(NEXT) | instid1(VALU_DEP_2)
	v_add_f32_e32 v5, v6, v2
	v_sub_f32_e32 v38, v3, v38
	s_delay_alu instid0(VALU_DEP_2) | instskip(NEXT) | instid1(VALU_DEP_2)
	v_dual_add_f32 v7, v3, v5 :: v_dual_sub_f32 v6, v5, v6
	v_sub_f32_e32 v37, v37, v38
	s_delay_alu instid0(VALU_DEP_2) | instskip(NEXT) | instid1(VALU_DEP_1)
	v_dual_sub_f32 v39, v7, v3 :: v_dual_sub_f32 v2, v2, v6
	v_sub_f32_e32 v40, v7, v39
	v_sub_f32_e32 v5, v5, v39
	s_delay_alu instid0(VALU_DEP_2) | instskip(NEXT) | instid1(VALU_DEP_1)
	v_dual_add_f32 v6, v37, v2 :: v_dual_sub_f32 v3, v3, v40
	v_add_f32_e32 v3, v5, v3
	s_delay_alu instid0(VALU_DEP_2) | instskip(NEXT) | instid1(VALU_DEP_2)
	v_sub_f32_e32 v5, v6, v37
	v_add_f32_e32 v3, v6, v3
	s_delay_alu instid0(VALU_DEP_2) | instskip(SKIP_1) | instid1(VALU_DEP_3)
	v_sub_f32_e32 v6, v6, v5
	v_sub_f32_e32 v2, v2, v5
	v_add_f32_e32 v38, v7, v3
	s_delay_alu instid0(VALU_DEP_1) | instskip(NEXT) | instid1(VALU_DEP_1)
	v_dual_sub_f32 v6, v37, v6 :: v_dual_sub_f32 v5, v38, v7
	v_dual_add_f32 v2, v2, v6 :: v_dual_sub_f32 v3, v3, v5
	s_delay_alu instid0(VALU_DEP_1) | instskip(NEXT) | instid1(VALU_DEP_1)
	v_add_f32_e32 v2, v2, v3
	v_add_f32_e32 v2, v38, v2
	s_delay_alu instid0(VALU_DEP_1)
	v_cndmask_b32_e32 v42, v2, v4, vcc_lo
.LBB69_34:                              ;   in Loop: Header=BB69_12 Depth=1
	s_or_b32 exec_lo, exec_lo, s17
	v_lshrrev_b32_e32 v2, 16, v0
	v_lshrrev_b32_e32 v3, 16, v1
	v_cvt_f32_f16_e32 v1, v1
	v_cvt_f32_f16_e32 v0, v0
	s_and_b32 vcc_lo, exec_lo, s60
	v_cvt_f32_f16_e32 v2, v2
	v_cvt_f32_f16_e32 v3, v3
	v_mul_f32_e32 v38, s53, v1
	v_mul_f32_e32 v40, s53, v0
	s_delay_alu instid0(VALU_DEP_4) | instskip(NEXT) | instid1(VALU_DEP_4)
	v_mul_f32_e32 v37, s53, v2
	v_mul_f32_e32 v39, s53, v3
	s_barrier
	buffer_gl0_inv
	s_cbranch_vccz .LBB69_82
; %bb.35:                               ;   in Loop: Header=BB69_12 Depth=1
	v_dual_mul_f32 v43, v42, v3 :: v_dual_mul_f32 v48, v41, v1
	v_add_co_u32 v3, s16, s49, v33
	s_delay_alu instid0(VALU_DEP_1) | instskip(SKIP_1) | instid1(VALU_DEP_1)
	v_add_co_ci_u32_e64 v4, null, s50, 0, s16
	v_add_co_u32 v5, s16, s37, v33
	v_add_co_ci_u32_e64 v6, null, s55, 0, s16
	s_delay_alu instid0(VALU_DEP_4) | instskip(NEXT) | instid1(VALU_DEP_4)
	v_add_co_u32 v44, vcc_lo, v3, v34
	v_add_co_ci_u32_e32 v45, vcc_lo, 0, v4, vcc_lo
	s_delay_alu instid0(VALU_DEP_4) | instskip(NEXT) | instid1(VALU_DEP_4)
	v_add_co_u32 v46, vcc_lo, v5, v34
	v_add_co_ci_u32_e32 v47, vcc_lo, 0, v6, vcc_lo
	v_cmp_gt_u32_e32 vcc_lo, s19, v8
	v_cmp_gt_u32_e64 s17, s19, v30
	v_cmp_gt_u32_e64 s18, s19, v31
	;; [unrolled: 1-line block ×3, first 2 shown]
	s_cmp_lg_u32 s64, 0
	v_dual_mul_f32 v49, v36, v2 :: v_dual_mul_f32 v50, v35, v0
	s_mov_b32 s28, 0
	s_cselect_b32 s25, -1, 0
	s_cmp_eq_u32 s64, s62
	s_mov_b32 s26, s28
	s_cselect_b32 s65, -1, 0
	s_or_b32 s16, s61, vcc_lo
	s_or_b32 s17, s61, s17
	s_or_b32 s18, s61, s18
	;; [unrolled: 1-line block ×3, first 2 shown]
	s_mov_b32 s30, s28
	s_mov_b32 s38, s28
	;; [unrolled: 1-line block ×4, first 2 shown]
	s_branch .LBB69_37
.LBB69_36:                              ;   in Loop: Header=BB69_37 Depth=2
	s_or_b32 exec_lo, exec_lo, s20
	v_cndmask_b32_e64 v2, v60, v7, s11
	v_cndmask_b32_e64 v3, v59, v6, s11
	s_add_i32 s66, s66, -1
	s_add_i32 s67, s67, 8
	s_add_i32 s38, s38, s54
	v_fma_f32 v2, v2, v56, v53
	v_mul_f32_e32 v3, v3, v56
	s_add_i32 s30, s30, s36
	s_add_i32 s26, s26, s48
	;; [unrolled: 1-line block ×3, first 2 shown]
	v_cndmask_b32_e64 v2, v2, v53, s10
	v_cndmask_b32_e64 v3, v3, v56, s10
	s_cmp_eq_u32 s66, 0
	s_waitcnt lgkmcnt(0)
	s_delay_alu instid0(VALU_DEP_1) | instskip(NEXT) | instid1(VALU_DEP_1)
	v_fmac_f32_e32 v2, v4, v3
	v_fmac_f32_e32 v51, v2, v57
	v_fma_mix_f32 v40, v2, v0, v40 op_sel_hi:[0,1,0]
	s_delay_alu instid0(VALU_DEP_2) | instskip(SKIP_1) | instid1(VALU_DEP_2)
	v_fmac_f32_e32 v52, v51, v58
	v_fma_mix_f32 v37, v51, v0, v37 op_sel:[0,1,0] op_sel_hi:[0,1,0]
	v_fmac_f32_e32 v54, v52, v55
	v_fma_mix_f32 v38, v52, v1, v38 op_sel_hi:[0,1,0]
	s_delay_alu instid0(VALU_DEP_2)
	v_fma_mix_f32 v39, v54, v1, v39 op_sel:[0,1,0] op_sel_hi:[0,1,0]
	s_cbranch_scc1 .LBB69_82
.LBB69_37:                              ;   Parent Loop BB69_12 Depth=1
                                        ; =>  This Inner Loop Header: Depth=2
	s_lshl_b64 s[20:21], s[28:29], 2
	s_mov_b32 s27, s29
	s_add_u32 s20, s51, s20
	s_addc_u32 s21, s46, s21
	v_dual_mov_b32 v2, 0 :: v_dual_mov_b32 v3, 0
	global_load_b32 v6, v12, s[20:21]
	s_lshl_b64 s[20:21], s[26:27], 1
	s_delay_alu instid0(SALU_CYCLE_1)
	v_add_co_u32 v0, vcc_lo, v44, s20
	v_add_co_ci_u32_e32 v1, vcc_lo, s21, v45, vcc_lo
	s_and_saveexec_b32 s20, s12
	s_cbranch_execnz .LBB69_49
; %bb.38:                               ;   in Loop: Header=BB69_37 Depth=2
	s_or_b32 exec_lo, exec_lo, s20
	s_and_saveexec_b32 s20, s13
	s_cbranch_execnz .LBB69_50
.LBB69_39:                              ;   in Loop: Header=BB69_37 Depth=2
	s_or_b32 exec_lo, exec_lo, s20
	v_mov_b32_e32 v4, 0
	s_and_saveexec_b32 s20, s14
	s_cbranch_execnz .LBB69_51
.LBB69_40:                              ;   in Loop: Header=BB69_37 Depth=2
	s_or_b32 exec_lo, exec_lo, s20
	s_and_saveexec_b32 s20, s15
	s_cbranch_execz .LBB69_42
.LBB69_41:                              ;   in Loop: Header=BB69_37 Depth=2
	global_load_u16 v0, v[0:1], off offset:192
	s_waitcnt vmcnt(0)
	v_lshl_or_b32 v4, v0, 16, v4
.LBB69_42:                              ;   in Loop: Header=BB69_37 Depth=2
	s_or_b32 exec_lo, exec_lo, s20
	s_waitcnt vmcnt(0)
	ds_store_b16 v14, v3
	ds_store_b16 v14, v2 offset:64
	ds_store_b16 v15, v4 offset:128
	ds_store_b16_d16_hi v16, v4 offset:192
	; wave barrier
	ds_load_b64 v[4:5], v17
	s_mov_b32 s31, s29
	v_dual_mov_b32 v2, 0 :: v_dual_mov_b32 v3, 0
	s_lshl_b64 s[20:21], s[30:31], 1
	s_delay_alu instid0(SALU_CYCLE_1)
	v_add_co_u32 v0, vcc_lo, v46, s20
	v_add_co_ci_u32_e32 v1, vcc_lo, s21, v47, vcc_lo
	s_and_saveexec_b32 s20, s12
	s_cbranch_execnz .LBB69_52
; %bb.43:                               ;   in Loop: Header=BB69_37 Depth=2
	s_or_b32 exec_lo, exec_lo, s20
	s_and_saveexec_b32 s20, s13
	s_cbranch_execnz .LBB69_53
.LBB69_44:                              ;   in Loop: Header=BB69_37 Depth=2
	s_or_b32 exec_lo, exec_lo, s20
	v_mov_b32_e32 v7, 0
	s_and_saveexec_b32 s20, s14
	s_cbranch_execnz .LBB69_54
.LBB69_45:                              ;   in Loop: Header=BB69_37 Depth=2
	s_or_b32 exec_lo, exec_lo, s20
	s_and_saveexec_b32 s20, s15
	s_cbranch_execz .LBB69_47
.LBB69_46:                              ;   in Loop: Header=BB69_37 Depth=2
	global_load_u16 v0, v[0:1], off offset:192
	s_waitcnt vmcnt(0)
	v_lshl_or_b32 v7, v0, 16, v7
.LBB69_47:                              ;   in Loop: Header=BB69_37 Depth=2
	s_or_b32 exec_lo, exec_lo, s20
	s_waitcnt vmcnt(0)
	ds_store_b16 v14, v3 offset:528
	ds_store_b16 v18, v2 offset:64
	;; [unrolled: 1-line block ×3, first 2 shown]
	ds_store_b16_d16_hi v20, v7 offset:192
	; wave barrier
	ds_load_b64 v[0:1], v17 offset:528
	s_and_not1_b32 vcc_lo, exec_lo, s25
	s_cbranch_vccnz .LBB69_55
; %bb.48:                               ;   in Loop: Header=BB69_37 Depth=2
	v_mov_b32_e32 v2, s67
	ds_load_b64 v[2:3], v2
	s_cbranch_execz .LBB69_56
	s_branch .LBB69_59
.LBB69_49:                              ;   in Loop: Header=BB69_37 Depth=2
	global_load_u16 v3, v[0:1], off
	s_or_b32 exec_lo, exec_lo, s20
	s_and_saveexec_b32 s20, s13
	s_cbranch_execz .LBB69_39
.LBB69_50:                              ;   in Loop: Header=BB69_37 Depth=2
	global_load_u16 v2, v[0:1], off offset:64
	s_or_b32 exec_lo, exec_lo, s20
	v_mov_b32_e32 v4, 0
	s_and_saveexec_b32 s20, s14
	s_cbranch_execz .LBB69_40
.LBB69_51:                              ;   in Loop: Header=BB69_37 Depth=2
	global_load_u16 v4, v[0:1], off offset:128
	s_or_b32 exec_lo, exec_lo, s20
	s_and_saveexec_b32 s20, s15
	s_cbranch_execnz .LBB69_41
	s_branch .LBB69_42
.LBB69_52:                              ;   in Loop: Header=BB69_37 Depth=2
	global_load_u16 v3, v[0:1], off
	s_or_b32 exec_lo, exec_lo, s20
	s_and_saveexec_b32 s20, s13
	s_cbranch_execz .LBB69_44
.LBB69_53:                              ;   in Loop: Header=BB69_37 Depth=2
	global_load_u16 v2, v[0:1], off offset:64
	s_or_b32 exec_lo, exec_lo, s20
	v_mov_b32_e32 v7, 0
	s_and_saveexec_b32 s20, s14
	s_cbranch_execz .LBB69_45
.LBB69_54:                              ;   in Loop: Header=BB69_37 Depth=2
	global_load_u16 v7, v[0:1], off offset:128
	s_or_b32 exec_lo, exec_lo, s20
	s_and_saveexec_b32 s20, s15
	s_cbranch_execnz .LBB69_46
	s_branch .LBB69_47
.LBB69_55:                              ;   in Loop: Header=BB69_37 Depth=2
                                        ; implicit-def: $vgpr2
.LBB69_56:                              ;   in Loop: Header=BB69_37 Depth=2
	s_waitcnt lgkmcnt(0)
	v_mov_b32_e32 v3, 0
	s_and_not1_b32 vcc_lo, exec_lo, s33
	s_cbranch_vccnz .LBB69_58
; %bb.57:                               ;   in Loop: Header=BB69_37 Depth=2
	s_mov_b32 s39, s29
	s_delay_alu instid0(SALU_CYCLE_1) | instskip(NEXT) | instid1(SALU_CYCLE_1)
	s_lshl_b64 s[20:21], s[38:39], 1
	s_add_u32 s20, s56, s20
	s_addc_u32 s21, s57, s21
	global_load_u16 v2, v12, s[20:21]
	s_waitcnt vmcnt(0)
	v_cvt_f32_f16_e32 v3, v2
.LBB69_58:                              ;   in Loop: Header=BB69_37 Depth=2
	v_mov_b32_e32 v2, 1.0
.LBB69_59:                              ;   in Loop: Header=BB69_37 Depth=2
	s_waitcnt lgkmcnt(5)
	v_lshrrev_b32_e32 v7, 16, v4
	v_lshrrev_b32_e32 v51, 16, v5
	v_cvt_f32_f16_e32 v5, v5
	v_cvt_f32_f16_e32 v4, v4
	s_delay_alu instid0(VALU_DEP_4) | instskip(SKIP_2) | instid1(VALU_DEP_4)
	v_cvt_f32_f16_e32 v7, v7
	v_mul_f32_e32 v6, 0x3fb8aa3b, v6
	v_cvt_f32_f16_e32 v55, v51
	v_dual_mul_f32 v4, v50, v4 :: v_dual_mul_f32 v5, v48, v5
	s_delay_alu instid0(VALU_DEP_4) | instskip(NEXT) | instid1(VALU_DEP_4)
	v_mul_f32_e32 v7, v49, v7
	v_mul_f32_e32 v52, v6, v35
	s_delay_alu instid0(VALU_DEP_1) | instskip(SKIP_2) | instid1(VALU_DEP_2)
	v_cmp_gt_f32_e32 vcc_lo, 0xc2fc0000, v52
	v_cndmask_b32_e64 v52, 0, 0x42800000, vcc_lo
	v_cndmask_b32_e64 v57, 1.0, 0x1f800000, vcc_lo
	v_fmac_f32_e32 v52, v6, v35
	s_delay_alu instid0(VALU_DEP_1) | instskip(SKIP_2) | instid1(VALU_DEP_1)
	v_exp_f32_e32 v52, v52
	s_waitcnt_depctr 0xfff
	v_dual_mul_f32 v53, v6, v36 :: v_dual_mul_f32 v52, v52, v57
	v_cmp_gt_f32_e64 s20, 0xc2fc0000, v53
	v_mul_f32_e32 v53, v6, v42
	s_delay_alu instid0(VALU_DEP_2) | instskip(NEXT) | instid1(VALU_DEP_2)
	v_cndmask_b32_e64 v51, 0, 0x42800000, s20
	v_cmp_gt_f32_e64 s22, 0xc2fc0000, v53
	v_cndmask_b32_e64 v53, 0, v4, s16
	s_delay_alu instid0(VALU_DEP_2) | instskip(NEXT) | instid1(VALU_DEP_1)
	v_cndmask_b32_e64 v56, 0, 0x42800000, s22
	v_fmac_f32_e32 v56, v6, v42
	s_delay_alu instid0(VALU_DEP_1) | instskip(SKIP_3) | instid1(VALU_DEP_3)
	v_exp_f32_e32 v59, v56
	v_mul_f32_e32 v54, v6, v41
	v_cndmask_b32_e64 v56, 1.0, v52, s16
	v_cndmask_b32_e64 v52, 0, v5, s18
	v_cmp_gt_f32_e64 s21, 0xc2fc0000, v54
	s_delay_alu instid0(VALU_DEP_1) | instskip(NEXT) | instid1(VALU_DEP_1)
	v_cndmask_b32_e64 v54, 0, 0x42800000, s21
	v_fmac_f32_e32 v54, v6, v41
	s_delay_alu instid0(VALU_DEP_1)
	v_exp_f32_e32 v4, v54
	v_cndmask_b32_e64 v54, 1.0, 0x1f800000, s21
	v_fmac_f32_e32 v51, v6, v36
	v_cndmask_b32_e64 v6, 1.0, 0x1f800000, s20
	s_waitcnt_depctr 0xfff
	v_mul_f32_e32 v4, v4, v54
	v_exp_f32_e32 v51, v51
	s_delay_alu instid0(VALU_DEP_1)
	v_cndmask_b32_e64 v58, 1.0, v4, s18
	v_mul_f32_e32 v4, v43, v55
	s_waitcnt_depctr 0xfff
	v_mul_f32_e32 v6, v51, v6
	v_cndmask_b32_e64 v51, 0, v7, s17
	v_cndmask_b32_e64 v7, 1.0, 0x1f800000, s22
	v_cndmask_b32_e64 v54, 0, v4, s19
	s_delay_alu instid0(VALU_DEP_4) | instskip(NEXT) | instid1(VALU_DEP_1)
	v_cndmask_b32_e64 v57, 1.0, v6, s17
	v_dual_mul_f32 v5, v59, v7 :: v_dual_mul_f32 v6, v57, v56
	v_fma_f32 v7, v57, v53, v51
	s_delay_alu instid0(VALU_DEP_2) | instskip(NEXT) | instid1(VALU_DEP_3)
	v_cndmask_b32_e64 v55, 1.0, v5, s19
	v_mul_f32_e32 v4, v6, v58
	s_delay_alu instid0(VALU_DEP_3) | instskip(NEXT) | instid1(VALU_DEP_2)
	v_fma_f32 v5, v7, v58, v52
	v_mul_f32_e32 v4, v4, v55
	s_delay_alu instid0(VALU_DEP_2) | instskip(NEXT) | instid1(VALU_DEP_2)
	v_fma_f32 v5, v5, v55, v54
	v_mov_b32_dpp v7, v4 row_shr:1 row_mask:0xf bank_mask:0xf
	s_delay_alu instid0(VALU_DEP_2)
	v_mov_b32_dpp v6, v5 row_shr:1 row_mask:0xf bank_mask:0xf
	s_and_saveexec_b32 s20, s0
; %bb.60:                               ;   in Loop: Header=BB69_37 Depth=2
	s_delay_alu instid0(VALU_DEP_2) | instskip(NEXT) | instid1(VALU_DEP_1)
	v_mul_f32_e32 v7, v4, v7
	v_dual_fmac_f32 v5, v4, v6 :: v_dual_mov_b32 v4, v7
; %bb.61:                               ;   in Loop: Header=BB69_37 Depth=2
	s_or_b32 exec_lo, exec_lo, s20
	s_delay_alu instid0(VALU_DEP_1) | instskip(NEXT) | instid1(VALU_DEP_2)
	v_mov_b32_dpp v6, v4 row_shr:2 row_mask:0xf bank_mask:0xf
	v_mov_b32_dpp v7, v5 row_shr:2 row_mask:0xf bank_mask:0xf
	s_and_saveexec_b32 s20, s1
; %bb.62:                               ;   in Loop: Header=BB69_37 Depth=2
	s_delay_alu instid0(VALU_DEP_1) | instskip(NEXT) | instid1(VALU_DEP_3)
	v_fmac_f32_e32 v5, v4, v7
	v_mul_f32_e32 v4, v4, v6
; %bb.63:                               ;   in Loop: Header=BB69_37 Depth=2
	s_or_b32 exec_lo, exec_lo, s20
	s_delay_alu instid0(VALU_DEP_1) | instskip(NEXT) | instid1(VALU_DEP_3)
	v_mov_b32_dpp v6, v4 row_shr:4 row_mask:0xf bank_mask:0xf
	v_mov_b32_dpp v7, v5 row_shr:4 row_mask:0xf bank_mask:0xf
	s_and_saveexec_b32 s20, s2
; %bb.64:                               ;   in Loop: Header=BB69_37 Depth=2
	s_delay_alu instid0(VALU_DEP_1) | instskip(NEXT) | instid1(VALU_DEP_3)
	v_fmac_f32_e32 v5, v4, v7
	v_mul_f32_e32 v4, v4, v6
; %bb.65:                               ;   in Loop: Header=BB69_37 Depth=2
	s_or_b32 exec_lo, exec_lo, s20
	s_delay_alu instid0(VALU_DEP_1) | instskip(NEXT) | instid1(VALU_DEP_3)
	v_mov_b32_dpp v6, v4 row_shr:8 row_mask:0xf bank_mask:0xf
	v_mov_b32_dpp v7, v5 row_shr:8 row_mask:0xf bank_mask:0xf
	s_and_saveexec_b32 s20, s3
; %bb.66:                               ;   in Loop: Header=BB69_37 Depth=2
	s_delay_alu instid0(VALU_DEP_1) | instskip(NEXT) | instid1(VALU_DEP_3)
	v_fmac_f32_e32 v5, v4, v7
	v_mul_f32_e32 v4, v4, v6
; %bb.67:                               ;   in Loop: Header=BB69_37 Depth=2
	s_or_b32 exec_lo, exec_lo, s20
	ds_swizzle_b32 v7, v4 offset:swizzle(BROADCAST,32,15)
	ds_swizzle_b32 v6, v5 offset:swizzle(BROADCAST,32,15)
	s_and_saveexec_b32 s20, s4
	s_cbranch_execz .LBB69_69
; %bb.68:                               ;   in Loop: Header=BB69_37 Depth=2
	s_waitcnt lgkmcnt(1)
	v_mul_f32_e32 v7, v4, v7
	s_waitcnt lgkmcnt(0)
	s_delay_alu instid0(VALU_DEP_1)
	v_dual_fmac_f32 v5, v4, v6 :: v_dual_mov_b32 v4, v7
.LBB69_69:                              ;   in Loop: Header=BB69_37 Depth=2
	s_or_b32 exec_lo, exec_lo, s20
	s_and_saveexec_b32 s20, s5
	s_cbranch_execz .LBB69_71
; %bb.70:                               ;   in Loop: Header=BB69_37 Depth=2
	ds_store_b64 v21, v[4:5] offset:1056
.LBB69_71:                              ;   in Loop: Header=BB69_37 Depth=2
	s_or_b32 exec_lo, exec_lo, s20
	s_waitcnt lgkmcnt(0)
	s_waitcnt_vscnt null, 0x0
	s_barrier
	buffer_gl0_inv
	s_and_saveexec_b32 s20, s6
	s_cbranch_execz .LBB69_73
; %bb.72:                               ;   in Loop: Header=BB69_37 Depth=2
	ds_load_b64 v[6:7], v22 offset:1056
	s_waitcnt lgkmcnt(0)
	v_mov_b32_dpp v59, v6 row_shr:1 row_mask:0xf bank_mask:0xf
	v_mov_b32_dpp v60, v7 row_shr:1 row_mask:0xf bank_mask:0xf
	s_delay_alu instid0(VALU_DEP_2) | instskip(NEXT) | instid1(VALU_DEP_2)
	v_mul_f32_e32 v59, v6, v59
	v_fma_f32 v60, v6, v60, v7
	s_delay_alu instid0(VALU_DEP_2) | instskip(NEXT) | instid1(VALU_DEP_2)
	v_cndmask_b32_e64 v6, v59, v6, s7
	v_cndmask_b32_e64 v7, v60, v7, s7
	ds_store_b64 v22, v[6:7] offset:1056
.LBB69_73:                              ;   in Loop: Header=BB69_37 Depth=2
	s_or_b32 exec_lo, exec_lo, s20
	s_waitcnt lgkmcnt(0)
	s_barrier
	buffer_gl0_inv
                                        ; implicit-def: $vgpr7
	s_and_saveexec_b32 s20, s9
	s_cbranch_execz .LBB69_75
; %bb.74:                               ;   in Loop: Header=BB69_37 Depth=2
	ds_load_b64 v[6:7], v21 offset:1048
	s_waitcnt lgkmcnt(0)
	v_mul_f32_e32 v59, v4, v6
	s_delay_alu instid0(VALU_DEP_1)
	v_dual_fmac_f32 v5, v4, v7 :: v_dual_mov_b32 v4, v59
.LBB69_75:                              ;   in Loop: Header=BB69_37 Depth=2
	s_or_b32 exec_lo, exec_lo, s20
	ds_bpermute_b32 v59, v23, v4
	ds_bpermute_b32 v60, v23, v5
	s_and_saveexec_b32 s20, s8
	s_cbranch_execz .LBB69_79
; %bb.76:                               ;   in Loop: Header=BB69_37 Depth=2
	ds_load_b64 v[4:5], v12 offset:1064
	s_and_saveexec_b32 s21, s10
	s_cbranch_execz .LBB69_78
; %bb.77:                               ;   in Loop: Header=BB69_37 Depth=2
	ds_store_b64 v12, v[2:3] offset:1064
.LBB69_78:                              ;   in Loop: Header=BB69_37 Depth=2
	s_or_b32 exec_lo, exec_lo, s21
	s_waitcnt lgkmcnt(0)
	v_fmac_f32_e32 v5, v3, v4
	s_delay_alu instid0(VALU_DEP_1)
	v_dual_mul_f32 v2, v2, v4 :: v_dual_mov_b32 v3, v5
.LBB69_79:                              ;   in Loop: Header=BB69_37 Depth=2
	s_or_b32 exec_lo, exec_lo, s20
	s_waitcnt lgkmcnt(0)
	s_barrier
	buffer_gl0_inv
	ds_load_b32 v4, v12 offset:1068
	s_and_saveexec_b32 s20, s10
	s_cbranch_execz .LBB69_36
; %bb.80:                               ;   in Loop: Header=BB69_37 Depth=2
	v_mov_b32_e32 v5, s67
	s_and_not1_b32 vcc_lo, exec_lo, s65
	ds_store_b64 v5, v[2:3]
	s_cbranch_vccnz .LBB69_36
; %bb.81:                               ;   in Loop: Header=BB69_37 Depth=2
	s_mov_b32 s39, s29
	v_cvt_f16_f32_e32 v2, v3
	s_lshl_b64 s[68:69], s[38:39], 1
	s_delay_alu instid0(SALU_CYCLE_1)
	s_add_u32 s68, s56, s68
	s_addc_u32 s69, s57, s69
	global_store_b16 v12, v2, s[68:69]
	s_branch .LBB69_36
.LBB69_82:                              ;   in Loop: Header=BB69_12 Depth=1
	v_cvt_f16_f32_e32 v0, v40
	s_delay_alu instid0(VALU_DEP_3) | instskip(NEXT) | instid1(VALU_DEP_3)
	v_cvt_f16_f32_e32 v1, v38
	v_cvt_f16_f32_e32 v2, v39
	;; [unrolled: 1-line block ×3, first 2 shown]
	s_waitcnt_vscnt null, 0x0
	s_barrier
	buffer_gl0_inv
	v_pack_b32_f16 v1, v1, v2
	v_pack_b32_f16 v0, v0, v3
	s_mov_b32 s25, s29
	s_delay_alu instid0(SALU_CYCLE_1)
	s_lshl_b64 s[20:21], s[24:25], 1
	ds_store_b64 v17, v[0:1]
	; wave barrier
	ds_load_u16 v4, v14 offset:64
	ds_load_u16 v3, v15 offset:128
	;; [unrolled: 1-line block ×3, first 2 shown]
	v_add_co_u32 v0, vcc_lo, v24, s20
	v_add_co_ci_u32_e32 v1, vcc_lo, s21, v25, vcc_lo
	s_and_saveexec_b32 s16, s12
	s_cbranch_execnz .LBB69_101
; %bb.83:                               ;   in Loop: Header=BB69_12 Depth=1
	s_or_b32 exec_lo, exec_lo, s16
	s_and_saveexec_b32 s16, s13
	s_cbranch_execnz .LBB69_102
.LBB69_84:                              ;   in Loop: Header=BB69_12 Depth=1
	s_or_b32 exec_lo, exec_lo, s16
	s_and_saveexec_b32 s16, s14
	s_cbranch_execnz .LBB69_103
.LBB69_85:                              ;   in Loop: Header=BB69_12 Depth=1
	s_or_b32 exec_lo, exec_lo, s16
	s_and_saveexec_b32 s16, s15
	s_cbranch_execz .LBB69_87
.LBB69_86:                              ;   in Loop: Header=BB69_12 Depth=1
	s_waitcnt lgkmcnt(0)
	global_store_b16 v[0:1], v2, off offset:192
.LBB69_87:                              ;   in Loop: Header=BB69_12 Depth=1
	s_or_b32 exec_lo, exec_lo, s16
	v_add_co_u32 v0, vcc_lo, v26, s20
	v_add_co_ci_u32_e32 v1, vcc_lo, s21, v27, vcc_lo
	s_waitcnt lgkmcnt(0)
	v_dual_mov_b32 v2, 0 :: v_dual_mov_b32 v3, 0
	s_waitcnt_vscnt null, 0x0
	s_barrier
	buffer_gl0_inv
	s_and_saveexec_b32 s16, s12
	s_cbranch_execz .LBB69_89
; %bb.88:                               ;   in Loop: Header=BB69_12 Depth=1
	global_load_u16 v3, v[0:1], off
.LBB69_89:                              ;   in Loop: Header=BB69_12 Depth=1
	s_or_b32 exec_lo, exec_lo, s16
	s_and_saveexec_b32 s16, s13
	s_cbranch_execz .LBB69_91
; %bb.90:                               ;   in Loop: Header=BB69_12 Depth=1
	global_load_u16 v2, v[0:1], off offset:64
.LBB69_91:                              ;   in Loop: Header=BB69_12 Depth=1
	s_or_b32 exec_lo, exec_lo, s16
	v_dual_mov_b32 v4, 0 :: v_dual_mov_b32 v5, 0
	s_and_saveexec_b32 s16, s14
	s_cbranch_execz .LBB69_93
; %bb.92:                               ;   in Loop: Header=BB69_12 Depth=1
	global_load_u16 v5, v[0:1], off offset:128
.LBB69_93:                              ;   in Loop: Header=BB69_12 Depth=1
	s_or_b32 exec_lo, exec_lo, s16
	s_and_saveexec_b32 s16, s15
	s_cbranch_execz .LBB69_95
; %bb.94:                               ;   in Loop: Header=BB69_12 Depth=1
	global_load_u16 v4, v[0:1], off offset:192
.LBB69_95:                              ;   in Loop: Header=BB69_12 Depth=1
	s_or_b32 exec_lo, exec_lo, s16
	s_waitcnt vmcnt(0)
	ds_store_b16 v14, v3
	ds_store_b16 v14, v2 offset:64
	ds_store_b16 v15, v5 offset:128
	;; [unrolled: 1-line block ×3, first 2 shown]
	; wave barrier
	ds_load_b64 v[0:1], v17
	s_waitcnt lgkmcnt(0)
	s_barrier
	buffer_gl0_inv
	v_cvt_f32_f16_e32 v3, v0
	v_lshrrev_b32_e32 v2, 16, v0
	v_cvt_f32_f16_e32 v5, v1
	v_lshrrev_b32_e32 v4, 16, v1
	s_delay_alu instid0(VALU_DEP_4) | instskip(NEXT) | instid1(VALU_DEP_4)
	v_mul_f32_e32 v6, 0xbfb8aa3b, v3
	v_cvt_f32_f16_e32 v2, v2
	s_delay_alu instid0(VALU_DEP_4) | instskip(NEXT) | instid1(VALU_DEP_4)
	v_mul_f32_e32 v7, 0xbfb8aa3b, v5
	v_cvt_f32_f16_e32 v4, v4
	v_cmp_nlt_f32_e32 vcc_lo, 0x42ce8ed0, v3
	v_rndne_f32_e32 v36, v6
	v_fma_mix_f32 v41, v0, s43, -v6 op_sel_hi:[1,0,0]
	s_delay_alu instid0(VALU_DEP_4)
	v_dual_mul_f32 v35, 0xbfb8aa3b, v2 :: v_dual_mul_f32 v42, 0xbfb8aa3b, v4
	v_rndne_f32_e32 v43, v7
	v_fma_mix_f32 v44, v1, s43, -v7 op_sel_hi:[1,0,0]
	v_sub_f32_e32 v6, v6, v36
	v_fma_mix_f32 v41, v0, s63, v41 op_sel_hi:[1,0,0]
	v_rndne_f32_e32 v45, v35
	v_sub_f32_e32 v7, v7, v43
	v_fma_mix_f32 v46, v0, s43, -v35 op_sel:[1,0,0] op_sel_hi:[1,0,0]
	v_fma_mix_f32 v44, v1, s63, v44 op_sel_hi:[1,0,0]
	v_add_f32_e32 v6, v6, v41
	v_rndne_f32_e32 v47, v42
	v_sub_f32_e32 v35, v35, v45
	v_fma_mix_f32 v0, v0, s63, v46 op_sel:[1,0,0] op_sel_hi:[1,0,0]
	v_add_f32_e32 v7, v7, v44
	v_exp_f32_e32 v6, v6
	v_sub_f32_e32 v41, v42, v47
	v_fma_mix_f32 v48, v1, s43, -v42 op_sel:[1,0,0] op_sel_hi:[1,0,0]
	v_add_f32_e32 v0, v35, v0
	v_exp_f32_e32 v7, v7
	v_cvt_i32_f32_e32 v35, v36
	v_cvt_i32_f32_e32 v36, v43
	v_fma_mix_f32 v1, v1, s63, v48 op_sel:[1,0,0] op_sel_hi:[1,0,0]
	v_exp_f32_e32 v0, v0
	s_delay_alu instid0(TRANS32_DEP_3) | instid1(VALU_DEP_3)
	v_ldexp_f32 v6, v6, v35
	v_cvt_i32_f32_e32 v35, v47
	s_delay_alu instid0(TRANS32_DEP_2) | instskip(NEXT) | instid1(VALU_DEP_3)
	v_ldexp_f32 v7, v7, v36
	v_cndmask_b32_e32 v6, 0, v6, vcc_lo
	v_cmp_nlt_f32_e32 vcc_lo, 0x42ce8ed0, v5
	s_delay_alu instid0(VALU_DEP_3) | instskip(SKIP_3) | instid1(VALU_DEP_1)
	v_cndmask_b32_e32 v7, 0, v7, vcc_lo
	v_cmp_nlt_f32_e32 vcc_lo, 0x42ce8ed0, v2
	v_add_f32_e32 v1, v41, v1
	v_cvt_i32_f32_e32 v41, v45
	v_ldexp_f32 v0, v0, v41
	s_delay_alu instid0(VALU_DEP_1) | instskip(NEXT) | instid1(VALU_DEP_4)
	v_cndmask_b32_e32 v0, 0, v0, vcc_lo
	v_exp_f32_e32 v1, v1
	v_cmp_nlt_f32_e32 vcc_lo, 0x42ce8ed0, v4
	s_waitcnt_depctr 0xfff
	v_ldexp_f32 v1, v1, v35
	s_delay_alu instid0(VALU_DEP_1) | instskip(SKIP_3) | instid1(VALU_DEP_2)
	v_cndmask_b32_e32 v1, 0, v1, vcc_lo
	v_cmp_ngt_f32_e32 vcc_lo, 0xc2b17218, v3
	v_cndmask_b32_e32 v6, 0x7f800000, v6, vcc_lo
	v_cmp_ngt_f32_e32 vcc_lo, 0xc2b17218, v5
	v_dual_add_f32 v6, 1.0, v6 :: v_dual_cndmask_b32 v7, 0x7f800000, v7
	v_cmp_ngt_f32_e32 vcc_lo, 0xc2b17218, v4
	s_delay_alu instid0(VALU_DEP_2) | instskip(SKIP_3) | instid1(VALU_DEP_4)
	v_div_scale_f32 v35, null, v6, v6, v3
	v_cndmask_b32_e32 v1, 0x7f800000, v1, vcc_lo
	v_cmp_ngt_f32_e32 vcc_lo, 0xc2b17218, v2
	v_add_f32_e32 v7, 1.0, v7
	v_rcp_f32_e32 v43, v35
	v_div_scale_f32 v47, s16, v3, v6, v3
	v_dual_cndmask_b32 v0, 0x7f800000, v0 :: v_dual_add_f32 v1, 1.0, v1
	s_delay_alu instid0(VALU_DEP_3) | instskip(SKIP_1) | instid1(VALU_DEP_3)
	v_div_scale_f32 v36, null, v7, v7, v5
	v_div_scale_f32 v48, s17, v5, v7, v5
	v_add_f32_e32 v0, 1.0, v0
	s_delay_alu instid0(VALU_DEP_3) | instskip(SKIP_1) | instid1(TRANS32_DEP_2)
	v_rcp_f32_e32 v44, v36
	v_div_scale_f32 v42, null, v1, v1, v4
	v_fma_f32 v50, -v35, v43, 1.0
	s_delay_alu instid0(VALU_DEP_3) | instskip(NEXT) | instid1(VALU_DEP_3)
	v_div_scale_f32 v41, null, v0, v0, v2
	v_rcp_f32_e32 v46, v42
	v_div_scale_f32 v49, vcc_lo, v2, v0, v2
	s_delay_alu instid0(VALU_DEP_2) | instskip(NEXT) | instid1(TRANS32_DEP_3)
	v_rcp_f32_e32 v45, v41
	v_fma_f32 v51, -v36, v44, 1.0
	v_div_scale_f32 v54, s18, v4, v1, v4
	s_delay_alu instid0(VALU_DEP_2) | instskip(SKIP_3) | instid1(VALU_DEP_1)
	v_dual_fmac_f32 v44, v51, v44 :: v_dual_fmac_f32 v43, v50, v43
	s_waitcnt_depctr 0xfff
	v_fma_f32 v53, -v42, v46, 1.0
	v_fma_f32 v52, -v41, v45, 1.0
	v_dual_fmac_f32 v46, v53, v46 :: v_dual_fmac_f32 v45, v52, v45
	v_mul_f32_e32 v52, v48, v44
	v_mul_f32_e32 v50, v47, v43
	s_delay_alu instid0(VALU_DEP_2) | instskip(NEXT) | instid1(VALU_DEP_2)
	v_fma_f32 v57, -v36, v52, v48
	v_fma_f32 v55, -v35, v50, v47
	v_mul_f32_e32 v51, v49, v45
	s_delay_alu instid0(VALU_DEP_3) | instskip(NEXT) | instid1(VALU_DEP_3)
	v_dual_mul_f32 v53, v54, v46 :: v_dual_fmac_f32 v52, v57, v44
	v_fmac_f32_e32 v50, v55, v43
	s_delay_alu instid0(VALU_DEP_3) | instskip(NEXT) | instid1(VALU_DEP_3)
	v_fma_f32 v56, -v41, v51, v49
	v_fma_f32 v58, -v42, v53, v54
	s_delay_alu instid0(VALU_DEP_4) | instskip(NEXT) | instid1(VALU_DEP_4)
	v_fma_f32 v36, -v36, v52, v48
	v_fma_f32 v35, -v35, v50, v47
	s_delay_alu instid0(VALU_DEP_4) | instskip(NEXT) | instid1(VALU_DEP_4)
	v_fmac_f32_e32 v51, v56, v45
	v_fmac_f32_e32 v53, v58, v46
	s_delay_alu instid0(VALU_DEP_2) | instskip(NEXT) | instid1(VALU_DEP_2)
	v_fma_f32 v41, -v41, v51, v49
	v_fma_f32 v42, -v42, v53, v54
	s_delay_alu instid0(VALU_DEP_2) | instskip(SKIP_3) | instid1(VALU_DEP_2)
	v_div_fmas_f32 v41, v41, v45, v51
	s_mov_b32 vcc_lo, s16
	v_div_fmas_f32 v35, v35, v43, v50
	s_mov_b32 vcc_lo, s18
	v_div_fixup_f32 v2, v41, v0, v2
	v_div_fmas_f32 v42, v42, v46, v53
	s_mov_b32 vcc_lo, s17
	v_div_fixup_f32 v3, v35, v6, v3
	v_div_fmas_f32 v36, v36, v44, v52
	s_delay_alu instid0(VALU_DEP_3) | instskip(NEXT) | instid1(VALU_DEP_3)
	v_div_fixup_f32 v4, v42, v1, v4
	v_fma_mixlo_f16 v0, v40, v3, 0
	s_delay_alu instid0(VALU_DEP_3) | instskip(NEXT) | instid1(VALU_DEP_2)
	v_div_fixup_f32 v5, v36, v7, v5
	v_fma_mixhi_f16 v0, v37, v2, 0
	s_delay_alu instid0(VALU_DEP_2) | instskip(NEXT) | instid1(VALU_DEP_1)
	v_fma_mixlo_f16 v1, v38, v5, 0
	v_fma_mixhi_f16 v1, v39, v4, 0
	ds_store_b64 v17, v[0:1]
	; wave barrier
	ds_load_u16 v4, v14 offset:64
	ds_load_u16 v3, v15 offset:128
	;; [unrolled: 1-line block ×3, first 2 shown]
	v_add_co_u32 v0, vcc_lo, v28, s20
	v_add_co_ci_u32_e32 v1, vcc_lo, s21, v29, vcc_lo
	s_and_saveexec_b32 s16, s12
	s_cbranch_execnz .LBB69_104
; %bb.96:                               ;   in Loop: Header=BB69_12 Depth=1
	s_or_b32 exec_lo, exec_lo, s16
	s_and_saveexec_b32 s12, s13
	s_cbranch_execnz .LBB69_105
.LBB69_97:                              ;   in Loop: Header=BB69_12 Depth=1
	s_or_b32 exec_lo, exec_lo, s12
	s_and_saveexec_b32 s12, s14
	s_cbranch_execnz .LBB69_106
.LBB69_98:                              ;   in Loop: Header=BB69_12 Depth=1
	s_or_b32 exec_lo, exec_lo, s12
	s_and_saveexec_b32 s12, s15
	s_cbranch_execz .LBB69_11
	s_branch .LBB69_107
.LBB69_99:                              ;   in Loop: Header=BB69_12 Depth=1
	global_load_u16 v6, v[2:3], off offset:64
	s_or_b32 exec_lo, exec_lo, s16
	s_and_saveexec_b32 s16, s14
	s_cbranch_execz .LBB69_24
.LBB69_100:                             ;   in Loop: Header=BB69_12 Depth=1
	global_load_u16 v5, v[2:3], off offset:128
	s_or_b32 exec_lo, exec_lo, s16
	v_mov_b32_e32 v7, 0
	s_and_saveexec_b32 s16, s15
	s_cbranch_execnz .LBB69_25
	s_branch .LBB69_26
.LBB69_101:                             ;   in Loop: Header=BB69_12 Depth=1
	ds_load_u16 v5, v14
	s_waitcnt lgkmcnt(0)
	global_store_b16 v[0:1], v5, off
	s_or_b32 exec_lo, exec_lo, s16
	s_and_saveexec_b32 s16, s13
	s_cbranch_execz .LBB69_84
.LBB69_102:                             ;   in Loop: Header=BB69_12 Depth=1
	s_waitcnt lgkmcnt(2)
	global_store_b16 v[0:1], v4, off offset:64
	s_or_b32 exec_lo, exec_lo, s16
	s_and_saveexec_b32 s16, s14
	s_cbranch_execz .LBB69_85
.LBB69_103:                             ;   in Loop: Header=BB69_12 Depth=1
	s_waitcnt lgkmcnt(1)
	global_store_b16 v[0:1], v3, off offset:128
	s_or_b32 exec_lo, exec_lo, s16
	s_and_saveexec_b32 s16, s15
	s_cbranch_execnz .LBB69_86
	s_branch .LBB69_87
.LBB69_104:                             ;   in Loop: Header=BB69_12 Depth=1
	ds_load_u16 v5, v14
	s_waitcnt lgkmcnt(0)
	global_store_b16 v[0:1], v5, off
	s_or_b32 exec_lo, exec_lo, s16
	s_and_saveexec_b32 s12, s13
	s_cbranch_execz .LBB69_97
.LBB69_105:                             ;   in Loop: Header=BB69_12 Depth=1
	s_waitcnt lgkmcnt(2)
	global_store_b16 v[0:1], v4, off offset:64
	s_or_b32 exec_lo, exec_lo, s12
	s_and_saveexec_b32 s12, s14
	s_cbranch_execz .LBB69_98
.LBB69_106:                             ;   in Loop: Header=BB69_12 Depth=1
	s_waitcnt lgkmcnt(1)
	global_store_b16 v[0:1], v3, off offset:128
	s_or_b32 exec_lo, exec_lo, s12
	s_and_saveexec_b32 s12, s15
	s_cbranch_execz .LBB69_11
.LBB69_107:                             ;   in Loop: Header=BB69_12 Depth=1
	s_waitcnt lgkmcnt(0)
	global_store_b16 v[0:1], v2, off offset:192
	s_branch .LBB69_11
.LBB69_108:
	s_nop 0
	s_sendmsg sendmsg(MSG_DEALLOC_VGPRS)
	s_endpgm
	.section	.rodata,"a",@progbits
	.p2align	6, 0x0
	.amdhsa_kernel _Z25selective_scan_fwd_kernelI32Selective_Scan_fwd_kernel_traitsILi64ELi4ELi1ELb0ELb1ELb1ELb1ELb0EN3c104HalfEfS2_EEv13SSMParamsBase
		.amdhsa_group_segment_fixed_size 0
		.amdhsa_private_segment_fixed_size 0
		.amdhsa_kernarg_size 248
		.amdhsa_user_sgpr_count 14
		.amdhsa_user_sgpr_dispatch_ptr 0
		.amdhsa_user_sgpr_queue_ptr 0
		.amdhsa_user_sgpr_kernarg_segment_ptr 1
		.amdhsa_user_sgpr_dispatch_id 0
		.amdhsa_user_sgpr_private_segment_size 0
		.amdhsa_wavefront_size32 1
		.amdhsa_uses_dynamic_stack 0
		.amdhsa_enable_private_segment 0
		.amdhsa_system_sgpr_workgroup_id_x 1
		.amdhsa_system_sgpr_workgroup_id_y 1
		.amdhsa_system_sgpr_workgroup_id_z 0
		.amdhsa_system_sgpr_workgroup_info 0
		.amdhsa_system_vgpr_workitem_id 0
		.amdhsa_next_free_vgpr 61
		.amdhsa_next_free_sgpr 70
		.amdhsa_reserve_vcc 1
		.amdhsa_float_round_mode_32 0
		.amdhsa_float_round_mode_16_64 0
		.amdhsa_float_denorm_mode_32 3
		.amdhsa_float_denorm_mode_16_64 3
		.amdhsa_dx10_clamp 1
		.amdhsa_ieee_mode 1
		.amdhsa_fp16_overflow 0
		.amdhsa_workgroup_processor_mode 1
		.amdhsa_memory_ordered 1
		.amdhsa_forward_progress 0
		.amdhsa_shared_vgpr_count 0
		.amdhsa_exception_fp_ieee_invalid_op 0
		.amdhsa_exception_fp_denorm_src 0
		.amdhsa_exception_fp_ieee_div_zero 0
		.amdhsa_exception_fp_ieee_overflow 0
		.amdhsa_exception_fp_ieee_underflow 0
		.amdhsa_exception_fp_ieee_inexact 0
		.amdhsa_exception_int_div_zero 0
	.end_amdhsa_kernel
	.section	.text._Z25selective_scan_fwd_kernelI32Selective_Scan_fwd_kernel_traitsILi64ELi4ELi1ELb0ELb1ELb1ELb1ELb0EN3c104HalfEfS2_EEv13SSMParamsBase,"axG",@progbits,_Z25selective_scan_fwd_kernelI32Selective_Scan_fwd_kernel_traitsILi64ELi4ELi1ELb0ELb1ELb1ELb1ELb0EN3c104HalfEfS2_EEv13SSMParamsBase,comdat
.Lfunc_end69:
	.size	_Z25selective_scan_fwd_kernelI32Selective_Scan_fwd_kernel_traitsILi64ELi4ELi1ELb0ELb1ELb1ELb1ELb0EN3c104HalfEfS2_EEv13SSMParamsBase, .Lfunc_end69-_Z25selective_scan_fwd_kernelI32Selective_Scan_fwd_kernel_traitsILi64ELi4ELi1ELb0ELb1ELb1ELb1ELb0EN3c104HalfEfS2_EEv13SSMParamsBase
                                        ; -- End function
	.section	.AMDGPU.csdata,"",@progbits
; Kernel info:
; codeLenInByte = 8328
; NumSgprs: 72
; NumVgprs: 61
; ScratchSize: 0
; MemoryBound: 0
; FloatMode: 240
; IeeeMode: 1
; LDSByteSize: 0 bytes/workgroup (compile time only)
; SGPRBlocks: 8
; VGPRBlocks: 7
; NumSGPRsForWavesPerEU: 72
; NumVGPRsForWavesPerEU: 61
; Occupancy: 16
; WaveLimiterHint : 0
; COMPUTE_PGM_RSRC2:SCRATCH_EN: 0
; COMPUTE_PGM_RSRC2:USER_SGPR: 14
; COMPUTE_PGM_RSRC2:TRAP_HANDLER: 0
; COMPUTE_PGM_RSRC2:TGID_X_EN: 1
; COMPUTE_PGM_RSRC2:TGID_Y_EN: 1
; COMPUTE_PGM_RSRC2:TGID_Z_EN: 0
; COMPUTE_PGM_RSRC2:TIDIG_COMP_CNT: 0
	.section	.text._Z25selective_scan_fwd_kernelI32Selective_Scan_fwd_kernel_traitsILi64ELi4ELi1ELb0ELb1ELb1ELb0ELb1EN3c104HalfEfS2_EEv13SSMParamsBase,"axG",@progbits,_Z25selective_scan_fwd_kernelI32Selective_Scan_fwd_kernel_traitsILi64ELi4ELi1ELb0ELb1ELb1ELb0ELb1EN3c104HalfEfS2_EEv13SSMParamsBase,comdat
	.protected	_Z25selective_scan_fwd_kernelI32Selective_Scan_fwd_kernel_traitsILi64ELi4ELi1ELb0ELb1ELb1ELb0ELb1EN3c104HalfEfS2_EEv13SSMParamsBase ; -- Begin function _Z25selective_scan_fwd_kernelI32Selective_Scan_fwd_kernel_traitsILi64ELi4ELi1ELb0ELb1ELb1ELb0ELb1EN3c104HalfEfS2_EEv13SSMParamsBase
	.globl	_Z25selective_scan_fwd_kernelI32Selective_Scan_fwd_kernel_traitsILi64ELi4ELi1ELb0ELb1ELb1ELb0ELb1EN3c104HalfEfS2_EEv13SSMParamsBase
	.p2align	8
	.type	_Z25selective_scan_fwd_kernelI32Selective_Scan_fwd_kernel_traitsILi64ELi4ELi1ELb0ELb1ELb1ELb0ELb1EN3c104HalfEfS2_EEv13SSMParamsBase,@function
_Z25selective_scan_fwd_kernelI32Selective_Scan_fwd_kernel_traitsILi64ELi4ELi1ELb0ELb1ELb1ELb0ELb1EN3c104HalfEfS2_EEv13SSMParamsBase: ; @_Z25selective_scan_fwd_kernelI32Selective_Scan_fwd_kernel_traitsILi64ELi4ELi1ELb0ELb1ELb1ELb0ELb1EN3c104HalfEfS2_EEv13SSMParamsBase
; %bb.0:
	s_clause 0x2
	s_load_b32 s35, s[0:1], 0x18
	s_load_b128 s[4:7], s[0:1], 0xe0
	s_load_b64 s[10:11], s[0:1], 0xf0
	s_mov_b32 s12, s15
	s_ashr_i32 s15, s14, 31
	s_mov_b32 s33, 0
	s_lshl_b64 s[8:9], s[14:15], 2
	s_waitcnt lgkmcnt(0)
	s_abs_i32 s34, s35
	s_add_u32 s2, s4, s8
	v_cvt_f32_u32_e32 v1, s34
	s_addc_u32 s3, s5, s9
	s_cmp_eq_u64 s[10:11], 0
	s_delay_alu instid0(VALU_DEP_1) | instskip(SKIP_2) | instid1(VALU_DEP_1)
	v_rcp_iflag_f32_e32 v1, v1
	s_waitcnt_depctr 0xfff
	v_mul_f32_e32 v1, 0x4f7ffffe, v1
	v_cvt_u32_f32_e32 v1, v1
	s_delay_alu instid0(VALU_DEP_1)
	v_readfirstlane_b32 s36, v1
	s_cbranch_scc1 .LBB70_2
; %bb.1:
	v_mov_b32_e32 v1, 0
	s_add_u32 s4, s10, s14
	s_addc_u32 s5, s11, s15
	global_load_u8 v1, v1, s[4:5]
	s_waitcnt vmcnt(0)
	v_and_b32_e32 v1, 1, v1
	s_delay_alu instid0(VALU_DEP_1)
	v_cmp_eq_u32_e64 s33, 1, v1
.LBB70_2:
	s_load_b64 s[4:5], s[0:1], 0x20
	s_cmp_eq_u64 s[6:7], 0
	s_cbranch_scc1 .LBB70_4
; %bb.3:
	s_add_u32 s6, s6, s8
	s_addc_u32 s7, s7, s9
	s_load_b32 s14, s[6:7], 0x0
	s_waitcnt lgkmcnt(0)
	s_ashr_i32 s15, s14, 31
.LBB70_4:
	s_waitcnt lgkmcnt(0)
	s_cmp_eq_u64 s[4:5], s[14:15]
	s_cbranch_scc1 .LBB70_92
; %bb.5:
	s_load_b512 s[16:31], s[0:1], 0x88
	s_load_b64 s[10:11], s[2:3], 0x0
	s_mov_b32 s48, 0
	s_mov_b32 s49, 0
	s_waitcnt lgkmcnt(0)
	s_cmp_eq_u64 s[22:23], 0
	s_cbranch_scc1 .LBB70_7
; %bb.6:
	s_ashr_i32 s13, s12, 31
	s_delay_alu instid0(SALU_CYCLE_1) | instskip(NEXT) | instid1(SALU_CYCLE_1)
	s_lshl_b64 s[2:3], s[12:13], 2
	s_add_u32 s2, s22, s2
	s_addc_u32 s3, s23, s3
	s_load_b32 s49, s[2:3], 0x0
.LBB70_7:
	s_cmp_eq_u64 s[28:29], 0
	s_cbranch_scc1 .LBB70_9
; %bb.8:
	s_ashr_i32 s13, s12, 31
	s_delay_alu instid0(SALU_CYCLE_1) | instskip(NEXT) | instid1(SALU_CYCLE_1)
	s_lshl_b64 s[2:3], s[12:13], 2
	s_add_u32 s2, s28, s2
	s_addc_u32 s3, s29, s3
	s_load_b32 s48, s[2:3], 0x0
.LBB70_9:
	s_sub_i32 s23, s11, s10
	s_delay_alu instid0(SALU_CYCLE_1)
	s_cmp_lt_i32 s23, 1
	s_cbranch_scc1 .LBB70_92
; %bb.10:
	s_sub_i32 s2, 0, s34
	s_abs_i32 s5, s12
	s_mul_i32 s4, s2, s36
	s_clause 0x1
	s_load_b64 s[2:3], s[0:1], 0x5c
	s_load_b128 s[44:47], s[0:1], 0x4c
	s_mul_hi_u32 s4, s36, s4
	s_ashr_i32 s7, s35, 31
	s_add_i32 s36, s36, s4
	s_ashr_i32 s4, s12, 31
	s_mul_hi_u32 s6, s5, s36
	s_xor_b32 s7, s4, s7
	s_mul_i32 s8, s6, s34
	s_load_b256 s[36:43], s[0:1], 0x2c
	s_sub_i32 s4, s5, s8
	s_add_i32 s5, s6, 1
	s_sub_i32 s8, s4, s34
	s_cmp_ge_u32 s4, s34
	s_mov_b32 s29, 0
	s_cselect_b32 s5, s5, s6
	s_cselect_b32 s4, s8, s4
	s_add_i32 s6, s5, 1
	s_cmp_ge_u32 s4, s34
	v_lshlrev_b32_e32 v8, 2, v0
	s_cselect_b32 s4, s6, s5
	s_waitcnt lgkmcnt(0)
	s_mul_i32 s28, s10, s46
	s_xor_b32 s6, s4, s7
	s_lshl_b64 s[4:5], s[28:29], 1
	s_sub_i32 s6, s6, s7
	s_mul_i32 s28, s47, s12
	s_add_u32 s7, s24, s4
	s_addc_u32 s8, s25, s5
	s_lshl_b64 s[4:5], s[28:29], 1
	s_mul_i32 s28, s10, s2
	s_add_u32 s43, s7, s4
	s_addc_u32 s46, s8, s5
	s_lshl_b64 s[4:5], s[28:29], 1
	;; [unrolled: 4-line block ×3, first 2 shown]
	s_mul_i32 s28, s36, s12
	s_add_u32 s47, s4, s2
	s_addc_u32 s36, s5, s3
	s_clause 0x1
	s_load_b128 s[24:27], s[0:1], 0x7c
	s_load_b64 s[4:5], s[0:1], 0xc8
	s_lshl_b64 s[2:3], s[28:29], 2
	s_mul_i32 s28, s10, s38
	s_add_u32 s50, s16, s2
	s_addc_u32 s51, s17, s3
	s_lshl_b64 s[2:3], s[28:29], 1
	s_mul_i32 s28, s6, s41
	s_add_u32 s7, s18, s2
	v_mbcnt_lo_u32_b32 v1, -1, 0
	v_and_b32_e32 v2, 0x80, v8
	v_dual_mov_b32 v12, 0 :: v_dual_and_b32 v3, 32, v0
	s_addc_u32 s8, s19, s3
	s_lshl_b64 s[2:3], s[28:29], 1
	s_mul_i32 s28, s10, s42
	s_waitcnt lgkmcnt(0)
	s_add_u32 s27, s7, s2
	s_addc_u32 s41, s8, s3
	s_clause 0x1
	s_load_b32 s42, s[0:1], 0xc
	s_load_b32 s8, s[0:1], 0x28
	v_or_b32_e32 v9, v1, v2
	v_or_b32_e32 v4, v1, v3
	s_lshl_b64 s[2:3], s[28:29], 1
	s_mul_i32 s28, s6, s45
	s_add_u32 s7, s20, s2
	v_or_b32_e32 v11, 0x60, v9
	v_lshrrev_b32_e32 v14, 3, v4
	s_addc_u32 s6, s21, s3
	s_lshl_b64 s[2:3], s[28:29], 1
	s_mul_i32 s28, s14, s24
	s_load_b64 s[16:17], s[0:1], 0x6c
	s_add_u32 s45, s7, s2
	s_addc_u32 s52, s6, s3
	s_lshl_b64 s[0:1], s[28:29], 1
	v_or_b32_e32 v10, 64, v9
	v_lshrrev_b32_e32 v7, 5, v11
	v_and_b32_e32 v16, 6, v14
	s_mul_i32 s28, s25, s12
	s_add_u32 s2, s4, s0
	s_addc_u32 s3, s5, s1
	s_lshl_b64 s[0:1], s[28:29], 1
	v_lshrrev_b32_e32 v5, 5, v2
	s_add_u32 s53, s2, s0
	v_lshrrev_b32_e32 v6, 5, v10
	v_and_b32_e32 v7, 6, v7
	v_lshl_add_u32 v4, v4, 2, v16
	s_addc_u32 s54, s3, s1
	s_add_i32 s0, s23, 0x7ff
	v_add_lshl_u32 v5, v5, v9, 1
	s_lshr_b32 s55, s0, 11
	s_waitcnt lgkmcnt(0)
	s_bitcmp1_b32 s8, 0
	v_add_lshl_u32 v6, v6, v9, 1
	v_add_lshl_u32 v7, v7, v9, 1
	v_lshl_add_u32 v17, v4, 1, 0
	v_and_b32_e32 v4, 15, v1
	s_cselect_b32 s56, -1, 0
	s_cmp_gt_i32 s42, 0
	v_or_b32_e32 v3, 31, v3
	s_cselect_b32 s57, -1, 0
	s_add_i32 s0, 0, 0x210
	s_and_b32 s1, s23, 0xff
	v_add_nc_u32_e32 v18, s0, v5
	v_add_nc_u32_e32 v19, s0, v6
	s_cmp_eq_u32 s1, 0
	v_add_nc_u32_e32 v20, s0, v7
	v_cmp_ne_u32_e64 s0, 0, v4
	v_cmp_lt_u32_e64 s1, 1, v4
	v_cmp_lt_u32_e64 s2, 3, v4
	;; [unrolled: 1-line block ×3, first 2 shown]
	v_add_nc_u32_e32 v4, -1, v1
	s_mul_i32 s28, s10, s16
	s_cselect_b32 s58, -1, 0
	s_lshl_b64 s[14:15], s[28:29], 1
	s_add_i32 s59, s55, -1
	v_cmp_gt_i32_e32 vcc_lo, 0, v4
	s_mul_i32 s28, s17, s12
	v_add_nc_u32_e32 v14, 0, v5
	v_lshrrev_b32_e32 v5, 2, v0
	v_cmp_eq_u32_e64 s5, v3, v0
	v_cndmask_b32_e32 v4, v4, v1, vcc_lo
	v_and_b32_e32 v3, 1, v1
	v_cmp_gt_u32_e64 s6, 2, v0
	v_lshl_add_u32 v22, v0, 3, 0
	v_cmp_gt_u32_e64 s8, 32, v0
	v_cmp_lt_u32_e64 s9, 31, v0
	v_cmp_eq_u32_e64 s10, 0, v0
	s_add_u32 s11, s30, s14
	v_lshlrev_b32_e32 v0, 1, v1
	s_addc_u32 s14, s31, s15
	s_lshl_b64 s[12:13], s[28:29], 1
	v_cmp_eq_u32_e64 s7, 0, v3
	s_add_u32 s11, s11, s12
	s_addc_u32 s12, s14, s13
	v_lshlrev_b32_e32 v3, 1, v2
	v_add_co_u32 v0, s11, s11, v0
	v_add_nc_u32_e32 v15, 0, v6
	v_and_b32_e32 v6, 16, v1
	v_and_b32_e32 v5, 8, v5
	v_lshlrev_b32_e32 v23, 2, v4
	v_add_co_ci_u32_e64 v4, null, s12, 0, s11
	v_add_co_u32 v24, vcc_lo, v0, v3
	v_or_b32_e32 v13, 32, v9
	v_add_nc_u32_e32 v16, 0, v7
	v_cmp_ne_u32_e64 s4, 0, v6
	v_add_nc_u32_e32 v21, 0, v5
	v_cmp_eq_u32_e64 s11, 0, v1
	v_add_co_ci_u32_e32 v25, vcc_lo, 0, v4, vcc_lo
	v_or_b32_e32 v26, 1, v8
	v_or_b32_e32 v27, 2, v8
	v_or_b32_e32 v28, 3, v8
	v_lshlrev_b32_e32 v29, 1, v1
	v_lshlrev_b32_e32 v30, 1, v2
	s_mov_b32 s60, 0x3e9b6dac
	s_add_i32 s61, 0, 0x430
	s_mov_b32 s62, 0
	s_branch .LBB70_12
.LBB70_11:                              ;   in Loop: Header=BB70_12 Depth=1
	s_or_b32 exec_lo, exec_lo, s12
	s_add_u32 s47, s47, 0x200
	s_addc_u32 s36, s36, 0
	s_add_u32 s43, s43, 0x200
	s_addc_u32 s46, s46, 0
	;; [unrolled: 2-line block ×4, first 2 shown]
	s_add_i32 s62, s62, 1
	s_delay_alu instid0(SALU_CYCLE_1)
	s_cmp_eq_u32 s62, s55
	s_cbranch_scc1 .LBB70_92
.LBB70_12:                              ; =>This Loop Header: Depth=1
                                        ;     Child Loop BB70_37 Depth 2
	v_add_co_u32 v0, s12, s43, v29
	s_delay_alu instid0(VALU_DEP_1) | instskip(SKIP_1) | instid1(VALU_DEP_2)
	v_add_co_ci_u32_e64 v1, null, s46, 0, s12
	s_lshl_b32 s24, s62, 8
	v_add_co_u32 v0, vcc_lo, v0, v30
	s_sub_i32 s19, s23, s24
	s_delay_alu instid0(VALU_DEP_2)
	v_add_co_ci_u32_e32 v1, vcc_lo, 0, v1, vcc_lo
	v_cmp_gt_u32_e64 s12, s19, v9
	s_waitcnt lgkmcnt(0)
	v_mov_b32_e32 v2, 0
	s_waitcnt_vscnt null, 0x0
	s_barrier
	buffer_gl0_inv
	s_and_saveexec_b32 s13, s12
	s_cbranch_execz .LBB70_14
; %bb.13:                               ;   in Loop: Header=BB70_12 Depth=1
	global_load_u16 v2, v[0:1], off
.LBB70_14:                              ;   in Loop: Header=BB70_12 Depth=1
	s_or_b32 exec_lo, exec_lo, s13
	v_cmp_gt_u32_e64 s13, s19, v13
	v_mov_b32_e32 v3, 0
	v_mov_b32_e32 v5, 0
	s_delay_alu instid0(VALU_DEP_3)
	s_and_saveexec_b32 s14, s13
	s_cbranch_execz .LBB70_16
; %bb.15:                               ;   in Loop: Header=BB70_12 Depth=1
	global_load_u16 v5, v[0:1], off offset:64
.LBB70_16:                              ;   in Loop: Header=BB70_12 Depth=1
	s_or_b32 exec_lo, exec_lo, s14
	v_cmp_gt_u32_e64 s14, s19, v10
	s_delay_alu instid0(VALU_DEP_1)
	s_and_saveexec_b32 s15, s14
	s_cbranch_execz .LBB70_18
; %bb.17:                               ;   in Loop: Header=BB70_12 Depth=1
	global_load_u16 v3, v[0:1], off offset:128
.LBB70_18:                              ;   in Loop: Header=BB70_12 Depth=1
	s_or_b32 exec_lo, exec_lo, s15
	v_cmp_gt_u32_e64 s15, s19, v11
	v_mov_b32_e32 v4, 0
	v_mov_b32_e32 v6, 0
	s_delay_alu instid0(VALU_DEP_3)
	s_and_saveexec_b32 s16, s15
	s_cbranch_execz .LBB70_20
; %bb.19:                               ;   in Loop: Header=BB70_12 Depth=1
	global_load_u16 v6, v[0:1], off offset:192
.LBB70_20:                              ;   in Loop: Header=BB70_12 Depth=1
	s_or_b32 exec_lo, exec_lo, s16
	s_waitcnt vmcnt(0)
	ds_store_b16 v14, v2
	ds_store_b16 v14, v5 offset:64
	ds_store_b16 v15, v3 offset:128
	;; [unrolled: 1-line block ×3, first 2 shown]
	; wave barrier
	ds_load_b64 v[0:1], v17
	v_add_co_u32 v2, s16, s47, v29
	s_delay_alu instid0(VALU_DEP_1) | instskip(SKIP_1) | instid1(VALU_DEP_2)
	v_add_co_ci_u32_e64 v3, null, s36, 0, s16
	s_waitcnt lgkmcnt(0)
	v_add_co_u32 v2, vcc_lo, v2, v30
	s_delay_alu instid0(VALU_DEP_2)
	v_add_co_ci_u32_e32 v3, vcc_lo, 0, v3, vcc_lo
	s_barrier
	buffer_gl0_inv
	s_and_saveexec_b32 s16, s12
	s_cbranch_execz .LBB70_22
; %bb.21:                               ;   in Loop: Header=BB70_12 Depth=1
	global_load_u16 v4, v[2:3], off
.LBB70_22:                              ;   in Loop: Header=BB70_12 Depth=1
	s_or_b32 exec_lo, exec_lo, s16
	v_dual_mov_b32 v5, 0 :: v_dual_mov_b32 v6, 0
	s_and_saveexec_b32 s16, s13
	s_cbranch_execnz .LBB70_86
; %bb.23:                               ;   in Loop: Header=BB70_12 Depth=1
	s_or_b32 exec_lo, exec_lo, s16
	s_and_saveexec_b32 s16, s14
	s_cbranch_execnz .LBB70_87
.LBB70_24:                              ;   in Loop: Header=BB70_12 Depth=1
	s_or_b32 exec_lo, exec_lo, s16
	v_mov_b32_e32 v7, 0
	s_and_saveexec_b32 s16, s15
	s_cbranch_execz .LBB70_26
.LBB70_25:                              ;   in Loop: Header=BB70_12 Depth=1
	global_load_u16 v7, v[2:3], off offset:192
.LBB70_26:                              ;   in Loop: Header=BB70_12 Depth=1
	s_or_b32 exec_lo, exec_lo, s16
	s_waitcnt vmcnt(0)
	ds_store_b16 v14, v4
	ds_store_b16 v14, v6 offset:64
	ds_store_b16 v15, v5 offset:128
	;; [unrolled: 1-line block ×3, first 2 shown]
	; wave barrier
	ds_load_b64 v[2:3], v17
	s_waitcnt lgkmcnt(0)
	v_cvt_f32_f16_e32 v4, v2
	s_delay_alu instid0(VALU_DEP_1) | instskip(NEXT) | instid1(VALU_DEP_1)
	v_add_f32_e32 v31, s48, v4
	v_cmp_ge_f32_e32 vcc_lo, 0x41a00000, v31
	s_and_b32 s16, s56, vcc_lo
	s_delay_alu instid0(SALU_CYCLE_1)
	s_and_saveexec_b32 s17, s16
	s_cbranch_execz .LBB70_28
; %bb.27:                               ;   in Loop: Header=BB70_12 Depth=1
	v_mul_f32_e32 v4, 0x3fb8aa3b, v31
	v_cmp_ngt_f32_e32 vcc_lo, 0xc2ce8ed0, v31
	s_delay_alu instid0(VALU_DEP_2) | instskip(SKIP_1) | instid1(VALU_DEP_2)
	v_rndne_f32_e32 v5, v4
	v_fma_f32 v6, 0x3fb8aa3b, v31, -v4
	v_sub_f32_e32 v4, v4, v5
	s_delay_alu instid0(VALU_DEP_2) | instskip(SKIP_1) | instid1(VALU_DEP_2)
	v_fmac_f32_e32 v6, 0x32a5705f, v31
	v_cvt_i32_f32_e32 v5, v5
	v_add_f32_e32 v4, v4, v6
	s_delay_alu instid0(VALU_DEP_1) | instskip(SKIP_2) | instid1(VALU_DEP_1)
	v_exp_f32_e32 v4, v4
	s_waitcnt_depctr 0xfff
	v_ldexp_f32 v4, v4, v5
	v_cndmask_b32_e32 v4, 0, v4, vcc_lo
	v_cmp_nlt_f32_e32 vcc_lo, 0x42b17218, v31
	s_delay_alu instid0(VALU_DEP_2) | instskip(NEXT) | instid1(VALU_DEP_1)
	v_cndmask_b32_e32 v6, 0x7f800000, v4, vcc_lo
	v_add_f32_e32 v7, 1.0, v6
	s_delay_alu instid0(VALU_DEP_1) | instskip(NEXT) | instid1(VALU_DEP_1)
	v_cvt_f64_f32_e32 v[4:5], v7
	v_frexp_exp_i32_f64_e32 v4, v[4:5]
	v_frexp_mant_f32_e32 v5, v7
	s_delay_alu instid0(VALU_DEP_1) | instskip(SKIP_1) | instid1(VALU_DEP_1)
	v_cmp_gt_f32_e32 vcc_lo, 0x3f2aaaab, v5
	v_add_f32_e32 v5, -1.0, v7
	v_dual_sub_f32 v32, v5, v7 :: v_dual_sub_f32 v5, v6, v5
	s_delay_alu instid0(VALU_DEP_1) | instskip(NEXT) | instid1(VALU_DEP_1)
	v_add_f32_e32 v32, 1.0, v32
	v_add_f32_e32 v5, v5, v32
	v_subrev_co_ci_u32_e32 v4, vcc_lo, 0, v4, vcc_lo
	s_delay_alu instid0(VALU_DEP_1) | instskip(SKIP_1) | instid1(VALU_DEP_2)
	v_sub_nc_u32_e32 v31, 0, v4
	v_cvt_f32_i32_e32 v4, v4
	v_ldexp_f32 v7, v7, v31
	v_ldexp_f32 v5, v5, v31
	s_delay_alu instid0(VALU_DEP_2) | instskip(SKIP_3) | instid1(VALU_DEP_4)
	v_add_f32_e32 v33, 1.0, v7
	v_add_f32_e32 v31, -1.0, v7
	v_cmp_eq_f32_e32 vcc_lo, 0x7f800000, v6
	v_cmp_gt_f32_e64 s16, 0x33800000, v6
	v_add_f32_e32 v32, -1.0, v33
	s_delay_alu instid0(VALU_DEP_4) | instskip(NEXT) | instid1(VALU_DEP_3)
	v_add_f32_e32 v34, 1.0, v31
	s_or_b32 vcc_lo, s16, vcc_lo
	s_delay_alu instid0(VALU_DEP_2) | instskip(NEXT) | instid1(VALU_DEP_1)
	v_sub_f32_e32 v32, v7, v32
	v_dual_sub_f32 v7, v7, v34 :: v_dual_add_f32 v32, v5, v32
	s_delay_alu instid0(VALU_DEP_1) | instskip(NEXT) | instid1(VALU_DEP_1)
	v_add_f32_e32 v5, v5, v7
	v_dual_add_f32 v35, v31, v5 :: v_dual_add_f32 v34, v33, v32
	s_delay_alu instid0(VALU_DEP_1) | instskip(NEXT) | instid1(VALU_DEP_2)
	v_sub_f32_e32 v31, v31, v35
	v_rcp_f32_e32 v7, v34
	v_sub_f32_e32 v33, v33, v34
	s_delay_alu instid0(VALU_DEP_1) | instskip(SKIP_2) | instid1(VALU_DEP_1)
	v_dual_add_f32 v5, v5, v31 :: v_dual_add_f32 v32, v32, v33
	s_waitcnt_depctr 0xfff
	v_mul_f32_e32 v36, v35, v7
	v_mul_f32_e32 v37, v34, v36
	s_delay_alu instid0(VALU_DEP_1) | instskip(NEXT) | instid1(VALU_DEP_1)
	v_fma_f32 v33, v36, v34, -v37
	v_fmac_f32_e32 v33, v36, v32
	s_delay_alu instid0(VALU_DEP_1) | instskip(NEXT) | instid1(VALU_DEP_1)
	v_add_f32_e32 v38, v37, v33
	v_sub_f32_e32 v39, v35, v38
	s_delay_alu instid0(VALU_DEP_1) | instskip(SKIP_1) | instid1(VALU_DEP_2)
	v_sub_f32_e32 v35, v35, v39
	v_sub_f32_e32 v31, v38, v37
	;; [unrolled: 1-line block ×3, first 2 shown]
	s_delay_alu instid0(VALU_DEP_2) | instskip(NEXT) | instid1(VALU_DEP_2)
	v_sub_f32_e32 v31, v31, v33
	v_add_f32_e32 v5, v5, v35
	s_delay_alu instid0(VALU_DEP_1) | instskip(NEXT) | instid1(VALU_DEP_1)
	v_add_f32_e32 v5, v31, v5
	v_add_f32_e32 v31, v39, v5
	s_delay_alu instid0(VALU_DEP_1) | instskip(NEXT) | instid1(VALU_DEP_1)
	v_mul_f32_e32 v33, v7, v31
	v_dual_sub_f32 v38, v39, v31 :: v_dual_mul_f32 v35, v34, v33
	s_delay_alu instid0(VALU_DEP_1) | instskip(NEXT) | instid1(VALU_DEP_2)
	v_add_f32_e32 v5, v5, v38
	v_fma_f32 v34, v33, v34, -v35
	s_delay_alu instid0(VALU_DEP_1) | instskip(NEXT) | instid1(VALU_DEP_1)
	v_fmac_f32_e32 v34, v33, v32
	v_add_f32_e32 v32, v35, v34
	s_delay_alu instid0(VALU_DEP_1) | instskip(SKIP_1) | instid1(VALU_DEP_2)
	v_sub_f32_e32 v37, v31, v32
	v_sub_f32_e32 v35, v32, v35
	;; [unrolled: 1-line block ×3, first 2 shown]
	s_delay_alu instid0(VALU_DEP_1) | instskip(NEXT) | instid1(VALU_DEP_1)
	v_sub_f32_e32 v31, v31, v32
	v_dual_sub_f32 v32, v35, v34 :: v_dual_add_f32 v5, v5, v31
	v_add_f32_e32 v31, v36, v33
	s_delay_alu instid0(VALU_DEP_1) | instskip(NEXT) | instid1(VALU_DEP_1)
	v_dual_add_f32 v5, v32, v5 :: v_dual_sub_f32 v32, v31, v36
	v_add_f32_e32 v5, v37, v5
	s_delay_alu instid0(VALU_DEP_1) | instskip(NEXT) | instid1(VALU_DEP_1)
	v_dual_sub_f32 v32, v33, v32 :: v_dual_mul_f32 v5, v7, v5
	v_add_f32_e32 v5, v32, v5
	s_delay_alu instid0(VALU_DEP_1) | instskip(NEXT) | instid1(VALU_DEP_1)
	v_add_f32_e32 v7, v31, v5
	v_mul_f32_e32 v32, v7, v7
	s_delay_alu instid0(VALU_DEP_1) | instskip(SKIP_1) | instid1(VALU_DEP_2)
	v_fmaak_f32 v33, s60, v32, 0x3ecc95a3
	v_mul_f32_e32 v34, v7, v32
	v_fmaak_f32 v32, v32, v33, 0x3f2aaada
	v_ldexp_f32 v33, v7, 1
	s_delay_alu instid0(VALU_DEP_2) | instskip(NEXT) | instid1(VALU_DEP_1)
	v_dual_sub_f32 v7, v7, v31 :: v_dual_mul_f32 v32, v34, v32
	v_dual_mul_f32 v34, 0x3f317218, v4 :: v_dual_sub_f32 v5, v5, v7
	s_delay_alu instid0(VALU_DEP_2) | instskip(NEXT) | instid1(VALU_DEP_2)
	v_add_f32_e32 v31, v33, v32
	v_ldexp_f32 v5, v5, 1
	s_delay_alu instid0(VALU_DEP_2) | instskip(NEXT) | instid1(VALU_DEP_4)
	v_sub_f32_e32 v7, v31, v33
	v_fma_f32 v33, 0x3f317218, v4, -v34
	s_delay_alu instid0(VALU_DEP_2) | instskip(NEXT) | instid1(VALU_DEP_1)
	v_sub_f32_e32 v7, v32, v7
	v_dual_fmac_f32 v33, 0xb102e308, v4 :: v_dual_add_f32 v4, v5, v7
	s_delay_alu instid0(VALU_DEP_1) | instskip(NEXT) | instid1(VALU_DEP_1)
	v_add_f32_e32 v5, v34, v33
	v_dual_add_f32 v7, v31, v4 :: v_dual_sub_f32 v34, v5, v34
	s_delay_alu instid0(VALU_DEP_1) | instskip(SKIP_1) | instid1(VALU_DEP_3)
	v_add_f32_e32 v32, v5, v7
	v_sub_f32_e32 v31, v7, v31
	v_sub_f32_e32 v33, v33, v34
	s_delay_alu instid0(VALU_DEP_3) | instskip(NEXT) | instid1(VALU_DEP_3)
	v_sub_f32_e32 v35, v32, v5
	v_sub_f32_e32 v4, v4, v31
	s_delay_alu instid0(VALU_DEP_2) | instskip(SKIP_1) | instid1(VALU_DEP_3)
	v_sub_f32_e32 v36, v32, v35
	v_sub_f32_e32 v7, v7, v35
	v_add_f32_e32 v31, v33, v4
	s_delay_alu instid0(VALU_DEP_3) | instskip(NEXT) | instid1(VALU_DEP_1)
	v_sub_f32_e32 v5, v5, v36
	v_add_f32_e32 v5, v7, v5
	s_delay_alu instid0(VALU_DEP_3) | instskip(NEXT) | instid1(VALU_DEP_1)
	v_sub_f32_e32 v7, v31, v33
	v_dual_add_f32 v5, v31, v5 :: v_dual_sub_f32 v4, v4, v7
	s_delay_alu instid0(VALU_DEP_1) | instskip(NEXT) | instid1(VALU_DEP_1)
	v_dual_sub_f32 v31, v31, v7 :: v_dual_add_f32 v34, v32, v5
	v_sub_f32_e32 v31, v33, v31
	s_delay_alu instid0(VALU_DEP_1) | instskip(NEXT) | instid1(VALU_DEP_1)
	v_dual_sub_f32 v7, v34, v32 :: v_dual_add_f32 v4, v4, v31
	v_sub_f32_e32 v5, v5, v7
	s_delay_alu instid0(VALU_DEP_1) | instskip(NEXT) | instid1(VALU_DEP_1)
	v_add_f32_e32 v4, v4, v5
	v_add_f32_e32 v4, v34, v4
	s_delay_alu instid0(VALU_DEP_1)
	v_cndmask_b32_e32 v31, v4, v6, vcc_lo
.LBB70_28:                              ;   in Loop: Header=BB70_12 Depth=1
	s_or_b32 exec_lo, exec_lo, s17
	v_lshrrev_b32_e32 v2, 16, v2
	s_delay_alu instid0(VALU_DEP_1) | instskip(NEXT) | instid1(VALU_DEP_1)
	v_cvt_f32_f16_e32 v2, v2
	v_add_f32_e32 v32, s48, v2
	s_delay_alu instid0(VALU_DEP_1) | instskip(SKIP_1) | instid1(SALU_CYCLE_1)
	v_cmp_ge_f32_e32 vcc_lo, 0x41a00000, v32
	s_and_b32 s16, s56, vcc_lo
	s_and_saveexec_b32 s17, s16
	s_cbranch_execz .LBB70_30
; %bb.29:                               ;   in Loop: Header=BB70_12 Depth=1
	v_mul_f32_e32 v2, 0x3fb8aa3b, v32
	v_cmp_ngt_f32_e32 vcc_lo, 0xc2ce8ed0, v32
	s_delay_alu instid0(VALU_DEP_2) | instskip(SKIP_1) | instid1(VALU_DEP_2)
	v_rndne_f32_e32 v4, v2
	v_fma_f32 v5, 0x3fb8aa3b, v32, -v2
	v_sub_f32_e32 v2, v2, v4
	s_delay_alu instid0(VALU_DEP_2) | instskip(SKIP_1) | instid1(VALU_DEP_2)
	v_fmac_f32_e32 v5, 0x32a5705f, v32
	v_cvt_i32_f32_e32 v4, v4
	v_add_f32_e32 v2, v2, v5
	s_delay_alu instid0(VALU_DEP_1) | instskip(SKIP_2) | instid1(VALU_DEP_1)
	v_exp_f32_e32 v2, v2
	s_waitcnt_depctr 0xfff
	v_ldexp_f32 v2, v2, v4
	v_cndmask_b32_e32 v2, 0, v2, vcc_lo
	v_cmp_nlt_f32_e32 vcc_lo, 0x42b17218, v32
	s_delay_alu instid0(VALU_DEP_2) | instskip(NEXT) | instid1(VALU_DEP_1)
	v_cndmask_b32_e32 v2, 0x7f800000, v2, vcc_lo
	v_add_f32_e32 v6, 1.0, v2
	s_delay_alu instid0(VALU_DEP_1) | instskip(NEXT) | instid1(VALU_DEP_1)
	v_cvt_f64_f32_e32 v[4:5], v6
	v_frexp_exp_i32_f64_e32 v4, v[4:5]
	v_frexp_mant_f32_e32 v5, v6
	s_delay_alu instid0(VALU_DEP_1) | instskip(SKIP_1) | instid1(VALU_DEP_1)
	v_cmp_gt_f32_e32 vcc_lo, 0x3f2aaaab, v5
	v_add_f32_e32 v5, -1.0, v6
	v_dual_sub_f32 v32, v5, v6 :: v_dual_sub_f32 v5, v2, v5
	v_subrev_co_ci_u32_e32 v4, vcc_lo, 0, v4, vcc_lo
	s_delay_alu instid0(VALU_DEP_1) | instskip(SKIP_1) | instid1(VALU_DEP_2)
	v_sub_nc_u32_e32 v7, 0, v4
	v_cvt_f32_i32_e32 v4, v4
	v_ldexp_f32 v6, v6, v7
	s_delay_alu instid0(VALU_DEP_1) | instskip(NEXT) | instid1(VALU_DEP_1)
	v_dual_add_f32 v32, 1.0, v32 :: v_dual_add_f32 v33, 1.0, v6
	v_add_f32_e32 v5, v5, v32
	s_delay_alu instid0(VALU_DEP_1) | instskip(NEXT) | instid1(VALU_DEP_3)
	v_ldexp_f32 v5, v5, v7
	v_dual_add_f32 v7, -1.0, v6 :: v_dual_add_f32 v32, -1.0, v33
	s_delay_alu instid0(VALU_DEP_1) | instskip(NEXT) | instid1(VALU_DEP_2)
	v_add_f32_e32 v34, 1.0, v7
	v_sub_f32_e32 v32, v6, v32
	s_delay_alu instid0(VALU_DEP_2) | instskip(NEXT) | instid1(VALU_DEP_2)
	v_sub_f32_e32 v6, v6, v34
	v_add_f32_e32 v32, v5, v32
	s_delay_alu instid0(VALU_DEP_2) | instskip(NEXT) | instid1(VALU_DEP_1)
	v_add_f32_e32 v5, v5, v6
	v_dual_add_f32 v35, v7, v5 :: v_dual_add_f32 v34, v33, v32
	v_cmp_eq_f32_e32 vcc_lo, 0x7f800000, v2
	v_cmp_gt_f32_e64 s16, 0x33800000, v2
	s_delay_alu instid0(VALU_DEP_3) | instskip(NEXT) | instid1(VALU_DEP_4)
	v_sub_f32_e32 v7, v7, v35
	v_rcp_f32_e32 v6, v34
	v_sub_f32_e32 v33, v33, v34
	s_delay_alu instid0(VALU_DEP_3) | instskip(NEXT) | instid1(VALU_DEP_1)
	s_or_b32 vcc_lo, s16, vcc_lo
	v_dual_add_f32 v5, v5, v7 :: v_dual_add_f32 v32, v32, v33
	s_waitcnt_depctr 0xfff
	v_mul_f32_e32 v36, v35, v6
	s_delay_alu instid0(VALU_DEP_1) | instskip(NEXT) | instid1(VALU_DEP_1)
	v_mul_f32_e32 v37, v34, v36
	v_fma_f32 v33, v36, v34, -v37
	s_delay_alu instid0(VALU_DEP_1) | instskip(NEXT) | instid1(VALU_DEP_1)
	v_fmac_f32_e32 v33, v36, v32
	v_add_f32_e32 v38, v37, v33
	s_delay_alu instid0(VALU_DEP_1) | instskip(NEXT) | instid1(VALU_DEP_1)
	v_sub_f32_e32 v39, v35, v38
	v_sub_f32_e32 v35, v35, v39
	s_delay_alu instid0(VALU_DEP_1) | instskip(SKIP_1) | instid1(VALU_DEP_2)
	v_sub_f32_e32 v35, v35, v38
	v_sub_f32_e32 v7, v38, v37
	v_add_f32_e32 v5, v5, v35
	s_delay_alu instid0(VALU_DEP_2) | instskip(NEXT) | instid1(VALU_DEP_1)
	v_sub_f32_e32 v7, v7, v33
	v_add_f32_e32 v5, v7, v5
	s_delay_alu instid0(VALU_DEP_1) | instskip(NEXT) | instid1(VALU_DEP_1)
	v_add_f32_e32 v7, v39, v5
	v_mul_f32_e32 v33, v6, v7
	s_delay_alu instid0(VALU_DEP_1) | instskip(NEXT) | instid1(VALU_DEP_1)
	v_dual_sub_f32 v38, v39, v7 :: v_dual_mul_f32 v35, v34, v33
	v_add_f32_e32 v5, v5, v38
	s_delay_alu instid0(VALU_DEP_2) | instskip(NEXT) | instid1(VALU_DEP_1)
	v_fma_f32 v34, v33, v34, -v35
	v_fmac_f32_e32 v34, v33, v32
	s_delay_alu instid0(VALU_DEP_1) | instskip(NEXT) | instid1(VALU_DEP_1)
	v_add_f32_e32 v32, v35, v34
	v_sub_f32_e32 v37, v7, v32
	s_delay_alu instid0(VALU_DEP_1) | instskip(NEXT) | instid1(VALU_DEP_1)
	v_sub_f32_e32 v7, v7, v37
	v_sub_f32_e32 v7, v7, v32
	s_delay_alu instid0(VALU_DEP_1) | instskip(SKIP_2) | instid1(VALU_DEP_1)
	v_add_f32_e32 v5, v5, v7
	v_add_f32_e32 v7, v36, v33
	v_sub_f32_e32 v35, v32, v35
	v_sub_f32_e32 v32, v35, v34
	s_delay_alu instid0(VALU_DEP_1) | instskip(NEXT) | instid1(VALU_DEP_1)
	v_dual_add_f32 v5, v32, v5 :: v_dual_sub_f32 v32, v7, v36
	v_add_f32_e32 v5, v37, v5
	s_delay_alu instid0(VALU_DEP_1) | instskip(NEXT) | instid1(VALU_DEP_1)
	v_dual_sub_f32 v32, v33, v32 :: v_dual_mul_f32 v5, v6, v5
	v_add_f32_e32 v5, v32, v5
	s_delay_alu instid0(VALU_DEP_1) | instskip(NEXT) | instid1(VALU_DEP_1)
	v_add_f32_e32 v6, v7, v5
	v_mul_f32_e32 v32, v6, v6
	s_delay_alu instid0(VALU_DEP_1) | instskip(SKIP_1) | instid1(VALU_DEP_2)
	v_fmaak_f32 v33, s60, v32, 0x3ecc95a3
	v_mul_f32_e32 v34, v6, v32
	v_fmaak_f32 v32, v32, v33, 0x3f2aaada
	v_ldexp_f32 v33, v6, 1
	v_sub_f32_e32 v6, v6, v7
	s_delay_alu instid0(VALU_DEP_3) | instskip(SKIP_1) | instid1(VALU_DEP_2)
	v_mul_f32_e32 v32, v34, v32
	v_mul_f32_e32 v34, 0x3f317218, v4
	v_add_f32_e32 v7, v33, v32
	s_delay_alu instid0(VALU_DEP_1) | instskip(NEXT) | instid1(VALU_DEP_3)
	v_dual_sub_f32 v5, v5, v6 :: v_dual_sub_f32 v6, v7, v33
	v_fma_f32 v33, 0x3f317218, v4, -v34
	s_delay_alu instid0(VALU_DEP_2) | instskip(NEXT) | instid1(VALU_DEP_2)
	v_ldexp_f32 v5, v5, 1
	v_dual_sub_f32 v6, v32, v6 :: v_dual_fmac_f32 v33, 0xb102e308, v4
	s_delay_alu instid0(VALU_DEP_1) | instskip(NEXT) | instid1(VALU_DEP_1)
	v_dual_add_f32 v4, v5, v6 :: v_dual_add_f32 v5, v34, v33
	v_add_f32_e32 v6, v7, v4
	s_delay_alu instid0(VALU_DEP_1) | instskip(NEXT) | instid1(VALU_DEP_1)
	v_add_f32_e32 v32, v5, v6
	v_sub_f32_e32 v35, v32, v5
	s_delay_alu instid0(VALU_DEP_1) | instskip(SKIP_2) | instid1(VALU_DEP_2)
	v_sub_f32_e32 v36, v32, v35
	v_sub_f32_e32 v7, v6, v7
	;; [unrolled: 1-line block ×5, first 2 shown]
	s_delay_alu instid0(VALU_DEP_1) | instskip(NEXT) | instid1(VALU_DEP_1)
	v_sub_f32_e32 v33, v33, v34
	v_add_f32_e32 v7, v33, v4
	v_sub_f32_e32 v5, v5, v36
	s_delay_alu instid0(VALU_DEP_1) | instskip(NEXT) | instid1(VALU_DEP_3)
	v_add_f32_e32 v5, v6, v5
	v_sub_f32_e32 v6, v7, v33
	s_delay_alu instid0(VALU_DEP_1) | instskip(NEXT) | instid1(VALU_DEP_1)
	v_dual_sub_f32 v4, v4, v6 :: v_dual_add_f32 v5, v7, v5
	v_dual_sub_f32 v7, v7, v6 :: v_dual_add_f32 v34, v32, v5
	s_delay_alu instid0(VALU_DEP_1) | instskip(NEXT) | instid1(VALU_DEP_1)
	v_dual_sub_f32 v7, v33, v7 :: v_dual_sub_f32 v6, v34, v32
	v_dual_add_f32 v4, v4, v7 :: v_dual_sub_f32 v5, v5, v6
	s_delay_alu instid0(VALU_DEP_1) | instskip(NEXT) | instid1(VALU_DEP_1)
	v_add_f32_e32 v4, v4, v5
	v_add_f32_e32 v4, v34, v4
	s_delay_alu instid0(VALU_DEP_1)
	v_cndmask_b32_e32 v32, v4, v2, vcc_lo
.LBB70_30:                              ;   in Loop: Header=BB70_12 Depth=1
	s_or_b32 exec_lo, exec_lo, s17
	v_cvt_f32_f16_e32 v2, v3
	s_delay_alu instid0(VALU_DEP_1) | instskip(NEXT) | instid1(VALU_DEP_1)
	v_add_f32_e32 v33, s48, v2
	v_cmp_ge_f32_e32 vcc_lo, 0x41a00000, v33
	s_and_b32 s16, s56, vcc_lo
	s_delay_alu instid0(SALU_CYCLE_1)
	s_and_saveexec_b32 s17, s16
	s_cbranch_execz .LBB70_32
; %bb.31:                               ;   in Loop: Header=BB70_12 Depth=1
	v_mul_f32_e32 v2, 0x3fb8aa3b, v33
	v_cmp_ngt_f32_e32 vcc_lo, 0xc2ce8ed0, v33
	s_delay_alu instid0(VALU_DEP_2) | instskip(SKIP_1) | instid1(VALU_DEP_1)
	v_rndne_f32_e32 v4, v2
	v_fma_f32 v5, 0x3fb8aa3b, v33, -v2
	v_dual_sub_f32 v2, v2, v4 :: v_dual_fmac_f32 v5, 0x32a5705f, v33
	v_cvt_i32_f32_e32 v4, v4
	s_delay_alu instid0(VALU_DEP_2) | instskip(NEXT) | instid1(VALU_DEP_1)
	v_add_f32_e32 v2, v2, v5
	v_exp_f32_e32 v2, v2
	s_waitcnt_depctr 0xfff
	v_ldexp_f32 v2, v2, v4
	s_delay_alu instid0(VALU_DEP_1) | instskip(SKIP_1) | instid1(VALU_DEP_2)
	v_cndmask_b32_e32 v2, 0, v2, vcc_lo
	v_cmp_nlt_f32_e32 vcc_lo, 0x42b17218, v33
	v_cndmask_b32_e32 v2, 0x7f800000, v2, vcc_lo
	s_delay_alu instid0(VALU_DEP_1) | instskip(NEXT) | instid1(VALU_DEP_1)
	v_add_f32_e32 v6, 1.0, v2
	v_cvt_f64_f32_e32 v[4:5], v6
	s_delay_alu instid0(VALU_DEP_1) | instskip(SKIP_1) | instid1(VALU_DEP_1)
	v_frexp_exp_i32_f64_e32 v4, v[4:5]
	v_frexp_mant_f32_e32 v5, v6
	v_cmp_gt_f32_e32 vcc_lo, 0x3f2aaaab, v5
	v_add_f32_e32 v5, -1.0, v6
	s_delay_alu instid0(VALU_DEP_1) | instskip(SKIP_1) | instid1(VALU_DEP_2)
	v_sub_f32_e32 v33, v5, v6
	v_sub_f32_e32 v5, v2, v5
	v_add_f32_e32 v33, 1.0, v33
	s_delay_alu instid0(VALU_DEP_1) | instskip(SKIP_3) | instid1(VALU_DEP_2)
	v_add_f32_e32 v5, v5, v33
	v_cmp_gt_f32_e64 s16, 0x33800000, v2
	v_subrev_co_ci_u32_e32 v4, vcc_lo, 0, v4, vcc_lo
	v_cmp_eq_f32_e32 vcc_lo, 0x7f800000, v2
	v_sub_nc_u32_e32 v7, 0, v4
	v_cvt_f32_i32_e32 v4, v4
	s_or_b32 vcc_lo, s16, vcc_lo
	s_delay_alu instid0(VALU_DEP_2) | instskip(SKIP_1) | instid1(VALU_DEP_2)
	v_ldexp_f32 v6, v6, v7
	v_ldexp_f32 v5, v5, v7
	v_add_f32_e32 v34, 1.0, v6
	v_add_f32_e32 v7, -1.0, v6
	s_delay_alu instid0(VALU_DEP_1) | instskip(NEXT) | instid1(VALU_DEP_3)
	v_add_f32_e32 v35, 1.0, v7
	v_add_f32_e32 v33, -1.0, v34
	s_delay_alu instid0(VALU_DEP_1) | instskip(NEXT) | instid1(VALU_DEP_1)
	v_sub_f32_e32 v33, v6, v33
	v_dual_sub_f32 v6, v6, v35 :: v_dual_add_f32 v33, v5, v33
	s_delay_alu instid0(VALU_DEP_1) | instskip(NEXT) | instid1(VALU_DEP_2)
	v_add_f32_e32 v35, v34, v33
	v_add_f32_e32 v5, v5, v6
	s_delay_alu instid0(VALU_DEP_2) | instskip(SKIP_1) | instid1(VALU_DEP_1)
	v_rcp_f32_e32 v6, v35
	v_sub_f32_e32 v34, v34, v35
	v_dual_add_f32 v36, v7, v5 :: v_dual_add_f32 v33, v33, v34
	s_delay_alu instid0(VALU_DEP_1) | instskip(SKIP_2) | instid1(VALU_DEP_1)
	v_sub_f32_e32 v7, v7, v36
	s_waitcnt_depctr 0xfff
	v_mul_f32_e32 v37, v36, v6
	v_mul_f32_e32 v38, v35, v37
	s_delay_alu instid0(VALU_DEP_1) | instskip(NEXT) | instid1(VALU_DEP_1)
	v_fma_f32 v34, v37, v35, -v38
	v_fmac_f32_e32 v34, v37, v33
	s_delay_alu instid0(VALU_DEP_1) | instskip(NEXT) | instid1(VALU_DEP_1)
	v_add_f32_e32 v39, v38, v34
	v_sub_f32_e32 v40, v36, v39
	s_delay_alu instid0(VALU_DEP_1) | instskip(NEXT) | instid1(VALU_DEP_1)
	v_dual_sub_f32 v36, v36, v40 :: v_dual_add_f32 v5, v5, v7
	v_dual_sub_f32 v7, v39, v38 :: v_dual_sub_f32 v36, v36, v39
	s_delay_alu instid0(VALU_DEP_1) | instskip(NEXT) | instid1(VALU_DEP_2)
	v_sub_f32_e32 v7, v7, v34
	v_add_f32_e32 v5, v5, v36
	s_delay_alu instid0(VALU_DEP_1) | instskip(NEXT) | instid1(VALU_DEP_1)
	v_add_f32_e32 v5, v7, v5
	v_add_f32_e32 v7, v40, v5
	s_delay_alu instid0(VALU_DEP_1) | instskip(NEXT) | instid1(VALU_DEP_1)
	v_mul_f32_e32 v34, v6, v7
	v_dual_sub_f32 v39, v40, v7 :: v_dual_mul_f32 v36, v35, v34
	s_delay_alu instid0(VALU_DEP_1) | instskip(NEXT) | instid1(VALU_DEP_2)
	v_add_f32_e32 v5, v5, v39
	v_fma_f32 v35, v34, v35, -v36
	s_delay_alu instid0(VALU_DEP_1) | instskip(NEXT) | instid1(VALU_DEP_1)
	v_fmac_f32_e32 v35, v34, v33
	v_add_f32_e32 v33, v36, v35
	s_delay_alu instid0(VALU_DEP_1) | instskip(NEXT) | instid1(VALU_DEP_1)
	v_sub_f32_e32 v38, v7, v33
	v_dual_sub_f32 v36, v33, v36 :: v_dual_sub_f32 v7, v7, v38
	s_delay_alu instid0(VALU_DEP_1) | instskip(NEXT) | instid1(VALU_DEP_2)
	v_sub_f32_e32 v7, v7, v33
	v_sub_f32_e32 v33, v36, v35
	s_delay_alu instid0(VALU_DEP_2) | instskip(SKIP_1) | instid1(VALU_DEP_2)
	v_add_f32_e32 v5, v5, v7
	v_add_f32_e32 v7, v37, v34
	v_add_f32_e32 v5, v33, v5
	s_delay_alu instid0(VALU_DEP_2) | instskip(NEXT) | instid1(VALU_DEP_2)
	v_sub_f32_e32 v33, v7, v37
	v_add_f32_e32 v5, v38, v5
	s_delay_alu instid0(VALU_DEP_2) | instskip(NEXT) | instid1(VALU_DEP_2)
	v_sub_f32_e32 v33, v34, v33
	v_mul_f32_e32 v5, v6, v5
	s_delay_alu instid0(VALU_DEP_1) | instskip(NEXT) | instid1(VALU_DEP_1)
	v_add_f32_e32 v5, v33, v5
	v_add_f32_e32 v6, v7, v5
	s_delay_alu instid0(VALU_DEP_1) | instskip(NEXT) | instid1(VALU_DEP_1)
	v_mul_f32_e32 v33, v6, v6
	v_fmaak_f32 v34, s60, v33, 0x3ecc95a3
	v_mul_f32_e32 v35, v6, v33
	s_delay_alu instid0(VALU_DEP_2) | instskip(SKIP_1) | instid1(VALU_DEP_2)
	v_fmaak_f32 v33, v33, v34, 0x3f2aaada
	v_ldexp_f32 v34, v6, 1
	v_dual_sub_f32 v6, v6, v7 :: v_dual_mul_f32 v33, v35, v33
	v_mul_f32_e32 v35, 0x3f317218, v4
	s_delay_alu instid0(VALU_DEP_2) | instskip(NEXT) | instid1(VALU_DEP_3)
	v_sub_f32_e32 v5, v5, v6
	v_add_f32_e32 v7, v34, v33
	s_delay_alu instid0(VALU_DEP_2) | instskip(NEXT) | instid1(VALU_DEP_2)
	v_ldexp_f32 v5, v5, 1
	v_sub_f32_e32 v6, v7, v34
	v_fma_f32 v34, 0x3f317218, v4, -v35
	s_delay_alu instid0(VALU_DEP_2) | instskip(NEXT) | instid1(VALU_DEP_2)
	v_sub_f32_e32 v6, v33, v6
	v_fmac_f32_e32 v34, 0xb102e308, v4
	s_delay_alu instid0(VALU_DEP_2) | instskip(NEXT) | instid1(VALU_DEP_2)
	v_add_f32_e32 v4, v5, v6
	v_add_f32_e32 v5, v35, v34
	s_delay_alu instid0(VALU_DEP_1) | instskip(NEXT) | instid1(VALU_DEP_1)
	v_dual_add_f32 v6, v7, v4 :: v_dual_sub_f32 v35, v5, v35
	v_add_f32_e32 v33, v5, v6
	v_sub_f32_e32 v7, v6, v7
	s_delay_alu instid0(VALU_DEP_3) | instskip(NEXT) | instid1(VALU_DEP_3)
	v_sub_f32_e32 v34, v34, v35
	v_sub_f32_e32 v36, v33, v5
	s_delay_alu instid0(VALU_DEP_1) | instskip(SKIP_1) | instid1(VALU_DEP_2)
	v_dual_sub_f32 v4, v4, v7 :: v_dual_sub_f32 v37, v33, v36
	v_sub_f32_e32 v6, v6, v36
	v_add_f32_e32 v7, v34, v4
	s_delay_alu instid0(VALU_DEP_3) | instskip(NEXT) | instid1(VALU_DEP_1)
	v_sub_f32_e32 v5, v5, v37
	v_dual_add_f32 v5, v6, v5 :: v_dual_sub_f32 v6, v7, v34
	s_delay_alu instid0(VALU_DEP_1) | instskip(NEXT) | instid1(VALU_DEP_2)
	v_add_f32_e32 v5, v7, v5
	v_sub_f32_e32 v7, v7, v6
	s_delay_alu instid0(VALU_DEP_2) | instskip(NEXT) | instid1(VALU_DEP_1)
	v_dual_sub_f32 v4, v4, v6 :: v_dual_add_f32 v35, v33, v5
	v_dual_sub_f32 v7, v34, v7 :: v_dual_sub_f32 v6, v35, v33
	s_delay_alu instid0(VALU_DEP_1) | instskip(NEXT) | instid1(VALU_DEP_1)
	v_dual_add_f32 v4, v4, v7 :: v_dual_sub_f32 v5, v5, v6
	v_add_f32_e32 v4, v4, v5
	s_delay_alu instid0(VALU_DEP_1) | instskip(NEXT) | instid1(VALU_DEP_1)
	v_add_f32_e32 v4, v35, v4
	v_cndmask_b32_e32 v33, v4, v2, vcc_lo
.LBB70_32:                              ;   in Loop: Header=BB70_12 Depth=1
	s_or_b32 exec_lo, exec_lo, s17
	v_lshrrev_b32_e32 v2, 16, v3
	s_delay_alu instid0(VALU_DEP_1) | instskip(NEXT) | instid1(VALU_DEP_1)
	v_cvt_f32_f16_e32 v2, v2
	v_add_f32_e32 v34, s48, v2
	s_delay_alu instid0(VALU_DEP_1) | instskip(SKIP_1) | instid1(SALU_CYCLE_1)
	v_cmp_ge_f32_e32 vcc_lo, 0x41a00000, v34
	s_and_b32 s16, s56, vcc_lo
	s_and_saveexec_b32 s17, s16
	s_cbranch_execz .LBB70_34
; %bb.33:                               ;   in Loop: Header=BB70_12 Depth=1
	v_mul_f32_e32 v2, 0x3fb8aa3b, v34
	v_cmp_ngt_f32_e32 vcc_lo, 0xc2ce8ed0, v34
	s_delay_alu instid0(VALU_DEP_2) | instskip(SKIP_1) | instid1(VALU_DEP_2)
	v_rndne_f32_e32 v3, v2
	v_fma_f32 v4, 0x3fb8aa3b, v34, -v2
	v_sub_f32_e32 v2, v2, v3
	s_delay_alu instid0(VALU_DEP_2) | instskip(SKIP_1) | instid1(VALU_DEP_2)
	v_fmac_f32_e32 v4, 0x32a5705f, v34
	v_cvt_i32_f32_e32 v3, v3
	v_add_f32_e32 v2, v2, v4
	s_delay_alu instid0(VALU_DEP_1) | instskip(SKIP_2) | instid1(VALU_DEP_1)
	v_exp_f32_e32 v2, v2
	s_waitcnt_depctr 0xfff
	v_ldexp_f32 v2, v2, v3
	v_cndmask_b32_e32 v2, 0, v2, vcc_lo
	v_cmp_nlt_f32_e32 vcc_lo, 0x42b17218, v34
	s_delay_alu instid0(VALU_DEP_2) | instskip(NEXT) | instid1(VALU_DEP_1)
	v_cndmask_b32_e32 v4, 0x7f800000, v2, vcc_lo
	v_add_f32_e32 v5, 1.0, v4
	s_delay_alu instid0(VALU_DEP_1) | instskip(NEXT) | instid1(VALU_DEP_1)
	v_cvt_f64_f32_e32 v[2:3], v5
	v_frexp_exp_i32_f64_e32 v2, v[2:3]
	v_frexp_mant_f32_e32 v3, v5
	s_delay_alu instid0(VALU_DEP_1) | instskip(SKIP_1) | instid1(VALU_DEP_1)
	v_cmp_gt_f32_e32 vcc_lo, 0x3f2aaaab, v3
	v_add_f32_e32 v3, -1.0, v5
	v_sub_f32_e32 v7, v3, v5
	v_sub_f32_e32 v3, v4, v3
	s_delay_alu instid0(VALU_DEP_2) | instskip(NEXT) | instid1(VALU_DEP_1)
	v_add_f32_e32 v7, 1.0, v7
	v_add_f32_e32 v3, v3, v7
	v_cmp_gt_f32_e64 s16, 0x33800000, v4
	v_subrev_co_ci_u32_e32 v2, vcc_lo, 0, v2, vcc_lo
	v_cmp_eq_f32_e32 vcc_lo, 0x7f800000, v4
	s_delay_alu instid0(VALU_DEP_2) | instskip(SKIP_2) | instid1(VALU_DEP_2)
	v_sub_nc_u32_e32 v6, 0, v2
	v_cvt_f32_i32_e32 v2, v2
	s_or_b32 vcc_lo, s16, vcc_lo
	v_ldexp_f32 v5, v5, v6
	v_ldexp_f32 v3, v3, v6
	s_delay_alu instid0(VALU_DEP_2) | instskip(NEXT) | instid1(VALU_DEP_1)
	v_add_f32_e32 v34, 1.0, v5
	v_dual_add_f32 v6, -1.0, v5 :: v_dual_add_f32 v7, -1.0, v34
	s_delay_alu instid0(VALU_DEP_1) | instskip(NEXT) | instid1(VALU_DEP_2)
	v_add_f32_e32 v35, 1.0, v6
	v_sub_f32_e32 v7, v5, v7
	s_delay_alu instid0(VALU_DEP_2) | instskip(NEXT) | instid1(VALU_DEP_2)
	v_sub_f32_e32 v5, v5, v35
	v_add_f32_e32 v7, v3, v7
	s_delay_alu instid0(VALU_DEP_2) | instskip(NEXT) | instid1(VALU_DEP_1)
	v_add_f32_e32 v3, v3, v5
	v_add_f32_e32 v36, v6, v3
	s_delay_alu instid0(VALU_DEP_1) | instskip(NEXT) | instid1(VALU_DEP_4)
	v_sub_f32_e32 v6, v6, v36
	v_add_f32_e32 v35, v34, v7
	s_delay_alu instid0(VALU_DEP_1) | instskip(NEXT) | instid1(VALU_DEP_2)
	v_rcp_f32_e32 v5, v35
	v_dual_sub_f32 v34, v34, v35 :: v_dual_add_f32 v3, v3, v6
	s_delay_alu instid0(VALU_DEP_1) | instskip(SKIP_2) | instid1(VALU_DEP_1)
	v_add_f32_e32 v7, v7, v34
	s_waitcnt_depctr 0xfff
	v_mul_f32_e32 v37, v36, v5
	v_mul_f32_e32 v38, v35, v37
	s_delay_alu instid0(VALU_DEP_1) | instskip(NEXT) | instid1(VALU_DEP_1)
	v_fma_f32 v34, v37, v35, -v38
	v_fmac_f32_e32 v34, v37, v7
	s_delay_alu instid0(VALU_DEP_1) | instskip(NEXT) | instid1(VALU_DEP_1)
	v_add_f32_e32 v39, v38, v34
	v_sub_f32_e32 v40, v36, v39
	v_sub_f32_e32 v6, v39, v38
	s_delay_alu instid0(VALU_DEP_2) | instskip(NEXT) | instid1(VALU_DEP_1)
	v_sub_f32_e32 v36, v36, v40
	v_sub_f32_e32 v36, v36, v39
	s_delay_alu instid0(VALU_DEP_1) | instskip(NEXT) | instid1(VALU_DEP_1)
	v_dual_sub_f32 v6, v6, v34 :: v_dual_add_f32 v3, v3, v36
	v_add_f32_e32 v3, v6, v3
	s_delay_alu instid0(VALU_DEP_1) | instskip(NEXT) | instid1(VALU_DEP_1)
	v_add_f32_e32 v6, v40, v3
	v_mul_f32_e32 v34, v5, v6
	v_sub_f32_e32 v39, v40, v6
	s_delay_alu instid0(VALU_DEP_2) | instskip(NEXT) | instid1(VALU_DEP_2)
	v_mul_f32_e32 v36, v35, v34
	v_add_f32_e32 v3, v3, v39
	s_delay_alu instid0(VALU_DEP_2) | instskip(NEXT) | instid1(VALU_DEP_1)
	v_fma_f32 v35, v34, v35, -v36
	v_fmac_f32_e32 v35, v34, v7
	s_delay_alu instid0(VALU_DEP_1) | instskip(NEXT) | instid1(VALU_DEP_1)
	v_add_f32_e32 v7, v36, v35
	v_sub_f32_e32 v38, v6, v7
	s_delay_alu instid0(VALU_DEP_1) | instskip(NEXT) | instid1(VALU_DEP_1)
	v_sub_f32_e32 v6, v6, v38
	v_sub_f32_e32 v6, v6, v7
	s_delay_alu instid0(VALU_DEP_1) | instskip(SKIP_2) | instid1(VALU_DEP_1)
	v_add_f32_e32 v3, v3, v6
	v_add_f32_e32 v6, v37, v34
	v_sub_f32_e32 v36, v7, v36
	v_sub_f32_e32 v7, v36, v35
	s_delay_alu instid0(VALU_DEP_1) | instskip(NEXT) | instid1(VALU_DEP_4)
	v_add_f32_e32 v3, v7, v3
	v_sub_f32_e32 v7, v6, v37
	s_delay_alu instid0(VALU_DEP_2) | instskip(NEXT) | instid1(VALU_DEP_2)
	v_add_f32_e32 v3, v38, v3
	v_sub_f32_e32 v7, v34, v7
	s_delay_alu instid0(VALU_DEP_2) | instskip(NEXT) | instid1(VALU_DEP_1)
	v_mul_f32_e32 v3, v5, v3
	v_add_f32_e32 v3, v7, v3
	s_delay_alu instid0(VALU_DEP_1) | instskip(NEXT) | instid1(VALU_DEP_1)
	v_add_f32_e32 v5, v6, v3
	v_mul_f32_e32 v7, v5, v5
	s_delay_alu instid0(VALU_DEP_1) | instskip(SKIP_1) | instid1(VALU_DEP_2)
	v_fmaak_f32 v34, s60, v7, 0x3ecc95a3
	v_mul_f32_e32 v35, v5, v7
	v_fmaak_f32 v7, v7, v34, 0x3f2aaada
	v_ldexp_f32 v34, v5, 1
	v_sub_f32_e32 v5, v5, v6
	s_delay_alu instid0(VALU_DEP_3) | instskip(SKIP_1) | instid1(VALU_DEP_2)
	v_mul_f32_e32 v7, v35, v7
	v_mul_f32_e32 v35, 0x3f317218, v2
	v_dual_sub_f32 v3, v3, v5 :: v_dual_add_f32 v6, v34, v7
	s_delay_alu instid0(VALU_DEP_1) | instskip(NEXT) | instid1(VALU_DEP_2)
	v_ldexp_f32 v3, v3, 1
	v_sub_f32_e32 v5, v6, v34
	s_delay_alu instid0(VALU_DEP_4) | instskip(NEXT) | instid1(VALU_DEP_1)
	v_fma_f32 v34, 0x3f317218, v2, -v35
	v_dual_sub_f32 v5, v7, v5 :: v_dual_fmac_f32 v34, 0xb102e308, v2
	s_delay_alu instid0(VALU_DEP_1) | instskip(NEXT) | instid1(VALU_DEP_1)
	v_add_f32_e32 v2, v3, v5
	v_add_f32_e32 v5, v6, v2
	s_delay_alu instid0(VALU_DEP_1) | instskip(NEXT) | instid1(VALU_DEP_1)
	v_sub_f32_e32 v6, v5, v6
	v_sub_f32_e32 v2, v2, v6
	v_add_f32_e32 v3, v35, v34
	s_delay_alu instid0(VALU_DEP_1) | instskip(SKIP_1) | instid1(VALU_DEP_2)
	v_add_f32_e32 v7, v3, v5
	v_sub_f32_e32 v35, v3, v35
	v_sub_f32_e32 v36, v7, v3
	s_delay_alu instid0(VALU_DEP_1) | instskip(NEXT) | instid1(VALU_DEP_1)
	v_dual_sub_f32 v34, v34, v35 :: v_dual_sub_f32 v37, v7, v36
	v_dual_sub_f32 v5, v5, v36 :: v_dual_add_f32 v6, v34, v2
	s_delay_alu instid0(VALU_DEP_2) | instskip(NEXT) | instid1(VALU_DEP_1)
	v_sub_f32_e32 v3, v3, v37
	v_add_f32_e32 v3, v5, v3
	s_delay_alu instid0(VALU_DEP_3) | instskip(NEXT) | instid1(VALU_DEP_2)
	v_sub_f32_e32 v5, v6, v34
	v_add_f32_e32 v3, v6, v3
	s_delay_alu instid0(VALU_DEP_2) | instskip(NEXT) | instid1(VALU_DEP_2)
	v_sub_f32_e32 v6, v6, v5
	v_dual_sub_f32 v2, v2, v5 :: v_dual_add_f32 v35, v7, v3
	s_delay_alu instid0(VALU_DEP_1) | instskip(NEXT) | instid1(VALU_DEP_1)
	v_dual_sub_f32 v6, v34, v6 :: v_dual_sub_f32 v5, v35, v7
	v_dual_add_f32 v2, v2, v6 :: v_dual_sub_f32 v3, v3, v5
	s_delay_alu instid0(VALU_DEP_1) | instskip(NEXT) | instid1(VALU_DEP_1)
	v_add_f32_e32 v2, v2, v3
	v_add_f32_e32 v2, v35, v2
	s_delay_alu instid0(VALU_DEP_1)
	v_cndmask_b32_e32 v34, v2, v4, vcc_lo
.LBB70_34:                              ;   in Loop: Header=BB70_12 Depth=1
	s_or_b32 exec_lo, exec_lo, s17
	v_lshrrev_b32_e32 v2, 16, v0
	v_lshrrev_b32_e32 v3, 16, v1
	v_cvt_f32_f16_e32 v1, v1
	v_cvt_f32_f16_e32 v0, v0
	s_and_b32 vcc_lo, exec_lo, s57
	v_cvt_f32_f16_e32 v2, v2
	v_cvt_f32_f16_e32 v3, v3
	s_delay_alu instid0(VALU_DEP_3) | instskip(NEXT) | instid1(VALU_DEP_2)
	v_dual_mul_f32 v35, s49, v1 :: v_dual_mul_f32 v38, s49, v0
	v_dual_mul_f32 v36, s49, v2 :: v_dual_mul_f32 v37, s49, v3
	s_barrier
	buffer_gl0_inv
	s_cbranch_vccz .LBB70_82
; %bb.35:                               ;   in Loop: Header=BB70_12 Depth=1
	v_dual_mul_f32 v39, v34, v3 :: v_dual_mul_f32 v44, v33, v1
	v_add_co_u32 v3, s16, s27, v29
	s_delay_alu instid0(VALU_DEP_1) | instskip(SKIP_1) | instid1(VALU_DEP_1)
	v_add_co_ci_u32_e64 v4, null, s41, 0, s16
	v_add_co_u32 v5, s16, s45, v29
	v_add_co_ci_u32_e64 v6, null, s52, 0, s16
	s_delay_alu instid0(VALU_DEP_4) | instskip(NEXT) | instid1(VALU_DEP_4)
	v_add_co_u32 v40, vcc_lo, v3, v30
	v_add_co_ci_u32_e32 v41, vcc_lo, 0, v4, vcc_lo
	s_delay_alu instid0(VALU_DEP_4) | instskip(NEXT) | instid1(VALU_DEP_4)
	v_add_co_u32 v42, vcc_lo, v5, v30
	v_add_co_ci_u32_e32 v43, vcc_lo, 0, v6, vcc_lo
	v_cmp_gt_u32_e32 vcc_lo, s19, v8
	v_cmp_gt_u32_e64 s17, s19, v26
	v_cmp_gt_u32_e64 s18, s19, v27
	;; [unrolled: 1-line block ×3, first 2 shown]
	s_cmp_lg_u32 s62, 0
	v_dual_mul_f32 v45, v32, v2 :: v_dual_mul_f32 v46, v31, v0
	s_mov_b32 s28, 0
	s_cselect_b32 s25, -1, 0
	s_cmp_eq_u32 s62, s59
	s_mov_b32 s30, s28
	s_cselect_b32 s63, -1, 0
	s_or_b32 s16, s58, vcc_lo
	s_or_b32 s17, s58, s17
	s_or_b32 s18, s58, s18
	;; [unrolled: 1-line block ×3, first 2 shown]
	s_mov_b32 s34, s28
	s_mov_b32 s38, s28
	;; [unrolled: 1-line block ×4, first 2 shown]
	s_branch .LBB70_37
.LBB70_36:                              ;   in Loop: Header=BB70_37 Depth=2
	s_or_b32 exec_lo, exec_lo, s20
	v_cndmask_b32_e64 v2, v56, v7, s11
	v_cndmask_b32_e64 v3, v55, v6, s11
	s_add_i32 s64, s64, -1
	s_add_i32 s65, s65, 8
	s_add_i32 s38, s38, s26
	v_fma_f32 v2, v2, v52, v49
	v_mul_f32_e32 v3, v3, v52
	s_add_i32 s34, s34, s44
	s_add_i32 s30, s30, s40
	;; [unrolled: 1-line block ×3, first 2 shown]
	v_cndmask_b32_e64 v2, v2, v49, s10
	v_cndmask_b32_e64 v3, v3, v52, s10
	s_cmp_eq_u32 s64, 0
	s_waitcnt lgkmcnt(0)
	s_delay_alu instid0(VALU_DEP_1) | instskip(NEXT) | instid1(VALU_DEP_1)
	v_fmac_f32_e32 v2, v4, v3
	v_fmac_f32_e32 v47, v2, v53
	v_fma_mix_f32 v38, v2, v0, v38 op_sel_hi:[0,1,0]
	s_delay_alu instid0(VALU_DEP_2) | instskip(SKIP_1) | instid1(VALU_DEP_2)
	v_fmac_f32_e32 v48, v47, v54
	v_fma_mix_f32 v36, v47, v0, v36 op_sel:[0,1,0] op_sel_hi:[0,1,0]
	v_fmac_f32_e32 v50, v48, v51
	v_fma_mix_f32 v35, v48, v1, v35 op_sel_hi:[0,1,0]
	s_delay_alu instid0(VALU_DEP_2)
	v_fma_mix_f32 v37, v50, v1, v37 op_sel:[0,1,0] op_sel_hi:[0,1,0]
	s_cbranch_scc1 .LBB70_82
.LBB70_37:                              ;   Parent Loop BB70_12 Depth=1
                                        ; =>  This Inner Loop Header: Depth=2
	s_lshl_b64 s[20:21], s[28:29], 2
	s_mov_b32 s31, s29
	s_add_u32 s20, s50, s20
	s_addc_u32 s21, s51, s21
	v_dual_mov_b32 v2, 0 :: v_dual_mov_b32 v3, 0
	global_load_b32 v6, v12, s[20:21]
	s_lshl_b64 s[20:21], s[30:31], 1
	s_delay_alu instid0(SALU_CYCLE_1)
	v_add_co_u32 v0, vcc_lo, v40, s20
	v_add_co_ci_u32_e32 v1, vcc_lo, s21, v41, vcc_lo
	s_and_saveexec_b32 s20, s12
	s_cbranch_execnz .LBB70_49
; %bb.38:                               ;   in Loop: Header=BB70_37 Depth=2
	s_or_b32 exec_lo, exec_lo, s20
	s_and_saveexec_b32 s20, s13
	s_cbranch_execnz .LBB70_50
.LBB70_39:                              ;   in Loop: Header=BB70_37 Depth=2
	s_or_b32 exec_lo, exec_lo, s20
	v_mov_b32_e32 v4, 0
	s_and_saveexec_b32 s20, s14
	s_cbranch_execnz .LBB70_51
.LBB70_40:                              ;   in Loop: Header=BB70_37 Depth=2
	s_or_b32 exec_lo, exec_lo, s20
	s_and_saveexec_b32 s20, s15
	s_cbranch_execz .LBB70_42
.LBB70_41:                              ;   in Loop: Header=BB70_37 Depth=2
	global_load_u16 v0, v[0:1], off offset:192
	s_waitcnt vmcnt(0)
	v_lshl_or_b32 v4, v0, 16, v4
.LBB70_42:                              ;   in Loop: Header=BB70_37 Depth=2
	s_or_b32 exec_lo, exec_lo, s20
	s_waitcnt vmcnt(0)
	ds_store_b16 v14, v3
	ds_store_b16 v14, v2 offset:64
	ds_store_b16 v15, v4 offset:128
	ds_store_b16_d16_hi v16, v4 offset:192
	; wave barrier
	ds_load_b64 v[4:5], v17
	s_mov_b32 s35, s29
	v_dual_mov_b32 v2, 0 :: v_dual_mov_b32 v3, 0
	s_lshl_b64 s[20:21], s[34:35], 1
	s_delay_alu instid0(SALU_CYCLE_1)
	v_add_co_u32 v0, vcc_lo, v42, s20
	v_add_co_ci_u32_e32 v1, vcc_lo, s21, v43, vcc_lo
	s_and_saveexec_b32 s20, s12
	s_cbranch_execnz .LBB70_52
; %bb.43:                               ;   in Loop: Header=BB70_37 Depth=2
	s_or_b32 exec_lo, exec_lo, s20
	s_and_saveexec_b32 s20, s13
	s_cbranch_execnz .LBB70_53
.LBB70_44:                              ;   in Loop: Header=BB70_37 Depth=2
	s_or_b32 exec_lo, exec_lo, s20
	v_mov_b32_e32 v7, 0
	s_and_saveexec_b32 s20, s14
	s_cbranch_execnz .LBB70_54
.LBB70_45:                              ;   in Loop: Header=BB70_37 Depth=2
	s_or_b32 exec_lo, exec_lo, s20
	s_and_saveexec_b32 s20, s15
	s_cbranch_execz .LBB70_47
.LBB70_46:                              ;   in Loop: Header=BB70_37 Depth=2
	global_load_u16 v0, v[0:1], off offset:192
	s_waitcnt vmcnt(0)
	v_lshl_or_b32 v7, v0, 16, v7
.LBB70_47:                              ;   in Loop: Header=BB70_37 Depth=2
	s_or_b32 exec_lo, exec_lo, s20
	s_waitcnt vmcnt(0)
	ds_store_b16 v14, v3 offset:528
	ds_store_b16 v18, v2 offset:64
	;; [unrolled: 1-line block ×3, first 2 shown]
	ds_store_b16_d16_hi v20, v7 offset:192
	; wave barrier
	ds_load_b64 v[0:1], v17 offset:528
	s_and_not1_b32 vcc_lo, exec_lo, s25
	s_cbranch_vccnz .LBB70_55
; %bb.48:                               ;   in Loop: Header=BB70_37 Depth=2
	v_mov_b32_e32 v2, s65
	ds_load_b64 v[2:3], v2
	s_cbranch_execz .LBB70_56
	s_branch .LBB70_59
.LBB70_49:                              ;   in Loop: Header=BB70_37 Depth=2
	global_load_u16 v3, v[0:1], off
	s_or_b32 exec_lo, exec_lo, s20
	s_and_saveexec_b32 s20, s13
	s_cbranch_execz .LBB70_39
.LBB70_50:                              ;   in Loop: Header=BB70_37 Depth=2
	global_load_u16 v2, v[0:1], off offset:64
	s_or_b32 exec_lo, exec_lo, s20
	v_mov_b32_e32 v4, 0
	s_and_saveexec_b32 s20, s14
	s_cbranch_execz .LBB70_40
.LBB70_51:                              ;   in Loop: Header=BB70_37 Depth=2
	global_load_u16 v4, v[0:1], off offset:128
	s_or_b32 exec_lo, exec_lo, s20
	s_and_saveexec_b32 s20, s15
	s_cbranch_execnz .LBB70_41
	s_branch .LBB70_42
.LBB70_52:                              ;   in Loop: Header=BB70_37 Depth=2
	global_load_u16 v3, v[0:1], off
	s_or_b32 exec_lo, exec_lo, s20
	s_and_saveexec_b32 s20, s13
	s_cbranch_execz .LBB70_44
.LBB70_53:                              ;   in Loop: Header=BB70_37 Depth=2
	global_load_u16 v2, v[0:1], off offset:64
	s_or_b32 exec_lo, exec_lo, s20
	v_mov_b32_e32 v7, 0
	s_and_saveexec_b32 s20, s14
	s_cbranch_execz .LBB70_45
.LBB70_54:                              ;   in Loop: Header=BB70_37 Depth=2
	global_load_u16 v7, v[0:1], off offset:128
	s_or_b32 exec_lo, exec_lo, s20
	s_and_saveexec_b32 s20, s15
	s_cbranch_execnz .LBB70_46
	s_branch .LBB70_47
.LBB70_55:                              ;   in Loop: Header=BB70_37 Depth=2
                                        ; implicit-def: $vgpr2
.LBB70_56:                              ;   in Loop: Header=BB70_37 Depth=2
	s_waitcnt lgkmcnt(0)
	v_mov_b32_e32 v3, 0
	s_and_not1_b32 vcc_lo, exec_lo, s33
	s_cbranch_vccnz .LBB70_58
; %bb.57:                               ;   in Loop: Header=BB70_37 Depth=2
	s_mov_b32 s39, s29
	s_delay_alu instid0(SALU_CYCLE_1) | instskip(NEXT) | instid1(SALU_CYCLE_1)
	s_lshl_b64 s[20:21], s[38:39], 1
	s_add_u32 s20, s53, s20
	s_addc_u32 s21, s54, s21
	global_load_u16 v2, v12, s[20:21]
	s_waitcnt vmcnt(0)
	v_cvt_f32_f16_e32 v3, v2
.LBB70_58:                              ;   in Loop: Header=BB70_37 Depth=2
	v_mov_b32_e32 v2, 1.0
.LBB70_59:                              ;   in Loop: Header=BB70_37 Depth=2
	s_waitcnt lgkmcnt(5)
	v_lshrrev_b32_e32 v7, 16, v4
	v_lshrrev_b32_e32 v47, 16, v5
	v_cvt_f32_f16_e32 v5, v5
	v_cvt_f32_f16_e32 v4, v4
	s_delay_alu instid0(VALU_DEP_4) | instskip(SKIP_2) | instid1(VALU_DEP_4)
	v_cvt_f32_f16_e32 v7, v7
	v_mul_f32_e32 v6, 0x3fb8aa3b, v6
	v_cvt_f32_f16_e32 v51, v47
	v_dual_mul_f32 v4, v46, v4 :: v_dual_mul_f32 v5, v44, v5
	s_delay_alu instid0(VALU_DEP_4) | instskip(NEXT) | instid1(VALU_DEP_4)
	v_mul_f32_e32 v7, v45, v7
	v_mul_f32_e32 v48, v6, v31
	s_delay_alu instid0(VALU_DEP_1) | instskip(SKIP_2) | instid1(VALU_DEP_2)
	v_cmp_gt_f32_e32 vcc_lo, 0xc2fc0000, v48
	v_cndmask_b32_e64 v48, 0, 0x42800000, vcc_lo
	v_cndmask_b32_e64 v53, 1.0, 0x1f800000, vcc_lo
	v_fmac_f32_e32 v48, v6, v31
	s_delay_alu instid0(VALU_DEP_1) | instskip(SKIP_2) | instid1(VALU_DEP_1)
	v_exp_f32_e32 v48, v48
	s_waitcnt_depctr 0xfff
	v_dual_mul_f32 v49, v6, v32 :: v_dual_mul_f32 v48, v48, v53
	v_cmp_gt_f32_e64 s20, 0xc2fc0000, v49
	v_mul_f32_e32 v49, v6, v34
	s_delay_alu instid0(VALU_DEP_2) | instskip(NEXT) | instid1(VALU_DEP_2)
	v_cndmask_b32_e64 v47, 0, 0x42800000, s20
	v_cmp_gt_f32_e64 s22, 0xc2fc0000, v49
	v_cndmask_b32_e64 v49, 0, v4, s16
	s_delay_alu instid0(VALU_DEP_2) | instskip(NEXT) | instid1(VALU_DEP_1)
	v_cndmask_b32_e64 v52, 0, 0x42800000, s22
	v_fmac_f32_e32 v52, v6, v34
	s_delay_alu instid0(VALU_DEP_1) | instskip(SKIP_3) | instid1(VALU_DEP_3)
	v_exp_f32_e32 v55, v52
	v_mul_f32_e32 v50, v6, v33
	v_cndmask_b32_e64 v52, 1.0, v48, s16
	v_cndmask_b32_e64 v48, 0, v5, s18
	v_cmp_gt_f32_e64 s21, 0xc2fc0000, v50
	s_delay_alu instid0(VALU_DEP_1) | instskip(NEXT) | instid1(VALU_DEP_1)
	v_cndmask_b32_e64 v50, 0, 0x42800000, s21
	v_fmac_f32_e32 v50, v6, v33
	s_delay_alu instid0(VALU_DEP_1)
	v_exp_f32_e32 v4, v50
	v_cndmask_b32_e64 v50, 1.0, 0x1f800000, s21
	v_fmac_f32_e32 v47, v6, v32
	v_cndmask_b32_e64 v6, 1.0, 0x1f800000, s20
	s_waitcnt_depctr 0xfff
	v_mul_f32_e32 v4, v4, v50
	v_exp_f32_e32 v47, v47
	s_delay_alu instid0(VALU_DEP_1)
	v_cndmask_b32_e64 v54, 1.0, v4, s18
	v_mul_f32_e32 v4, v39, v51
	s_waitcnt_depctr 0xfff
	v_mul_f32_e32 v6, v47, v6
	v_cndmask_b32_e64 v47, 0, v7, s17
	v_cndmask_b32_e64 v7, 1.0, 0x1f800000, s22
	v_cndmask_b32_e64 v50, 0, v4, s19
	s_delay_alu instid0(VALU_DEP_4) | instskip(NEXT) | instid1(VALU_DEP_1)
	v_cndmask_b32_e64 v53, 1.0, v6, s17
	v_dual_mul_f32 v5, v55, v7 :: v_dual_mul_f32 v6, v53, v52
	v_fma_f32 v7, v53, v49, v47
	s_delay_alu instid0(VALU_DEP_2) | instskip(NEXT) | instid1(VALU_DEP_3)
	v_cndmask_b32_e64 v51, 1.0, v5, s19
	v_mul_f32_e32 v4, v6, v54
	s_delay_alu instid0(VALU_DEP_3) | instskip(NEXT) | instid1(VALU_DEP_2)
	v_fma_f32 v5, v7, v54, v48
	v_mul_f32_e32 v4, v4, v51
	s_delay_alu instid0(VALU_DEP_2) | instskip(NEXT) | instid1(VALU_DEP_2)
	v_fma_f32 v5, v5, v51, v50
	v_mov_b32_dpp v7, v4 row_shr:1 row_mask:0xf bank_mask:0xf
	s_delay_alu instid0(VALU_DEP_2)
	v_mov_b32_dpp v6, v5 row_shr:1 row_mask:0xf bank_mask:0xf
	s_and_saveexec_b32 s20, s0
; %bb.60:                               ;   in Loop: Header=BB70_37 Depth=2
	s_delay_alu instid0(VALU_DEP_2) | instskip(NEXT) | instid1(VALU_DEP_1)
	v_mul_f32_e32 v7, v4, v7
	v_dual_fmac_f32 v5, v4, v6 :: v_dual_mov_b32 v4, v7
; %bb.61:                               ;   in Loop: Header=BB70_37 Depth=2
	s_or_b32 exec_lo, exec_lo, s20
	s_delay_alu instid0(VALU_DEP_1) | instskip(NEXT) | instid1(VALU_DEP_2)
	v_mov_b32_dpp v6, v4 row_shr:2 row_mask:0xf bank_mask:0xf
	v_mov_b32_dpp v7, v5 row_shr:2 row_mask:0xf bank_mask:0xf
	s_and_saveexec_b32 s20, s1
; %bb.62:                               ;   in Loop: Header=BB70_37 Depth=2
	s_delay_alu instid0(VALU_DEP_1) | instskip(NEXT) | instid1(VALU_DEP_3)
	v_fmac_f32_e32 v5, v4, v7
	v_mul_f32_e32 v4, v4, v6
; %bb.63:                               ;   in Loop: Header=BB70_37 Depth=2
	s_or_b32 exec_lo, exec_lo, s20
	s_delay_alu instid0(VALU_DEP_1) | instskip(NEXT) | instid1(VALU_DEP_3)
	v_mov_b32_dpp v6, v4 row_shr:4 row_mask:0xf bank_mask:0xf
	v_mov_b32_dpp v7, v5 row_shr:4 row_mask:0xf bank_mask:0xf
	s_and_saveexec_b32 s20, s2
; %bb.64:                               ;   in Loop: Header=BB70_37 Depth=2
	s_delay_alu instid0(VALU_DEP_1) | instskip(NEXT) | instid1(VALU_DEP_3)
	v_fmac_f32_e32 v5, v4, v7
	v_mul_f32_e32 v4, v4, v6
; %bb.65:                               ;   in Loop: Header=BB70_37 Depth=2
	s_or_b32 exec_lo, exec_lo, s20
	s_delay_alu instid0(VALU_DEP_1) | instskip(NEXT) | instid1(VALU_DEP_3)
	v_mov_b32_dpp v6, v4 row_shr:8 row_mask:0xf bank_mask:0xf
	v_mov_b32_dpp v7, v5 row_shr:8 row_mask:0xf bank_mask:0xf
	s_and_saveexec_b32 s20, s3
; %bb.66:                               ;   in Loop: Header=BB70_37 Depth=2
	s_delay_alu instid0(VALU_DEP_1) | instskip(NEXT) | instid1(VALU_DEP_3)
	v_fmac_f32_e32 v5, v4, v7
	v_mul_f32_e32 v4, v4, v6
; %bb.67:                               ;   in Loop: Header=BB70_37 Depth=2
	s_or_b32 exec_lo, exec_lo, s20
	ds_swizzle_b32 v7, v4 offset:swizzle(BROADCAST,32,15)
	ds_swizzle_b32 v6, v5 offset:swizzle(BROADCAST,32,15)
	s_and_saveexec_b32 s20, s4
	s_cbranch_execz .LBB70_69
; %bb.68:                               ;   in Loop: Header=BB70_37 Depth=2
	s_waitcnt lgkmcnt(1)
	v_mul_f32_e32 v7, v4, v7
	s_waitcnt lgkmcnt(0)
	s_delay_alu instid0(VALU_DEP_1)
	v_dual_fmac_f32 v5, v4, v6 :: v_dual_mov_b32 v4, v7
.LBB70_69:                              ;   in Loop: Header=BB70_37 Depth=2
	s_or_b32 exec_lo, exec_lo, s20
	s_and_saveexec_b32 s20, s5
	s_cbranch_execz .LBB70_71
; %bb.70:                               ;   in Loop: Header=BB70_37 Depth=2
	ds_store_b64 v21, v[4:5] offset:1056
.LBB70_71:                              ;   in Loop: Header=BB70_37 Depth=2
	s_or_b32 exec_lo, exec_lo, s20
	s_waitcnt lgkmcnt(0)
	s_waitcnt_vscnt null, 0x0
	s_barrier
	buffer_gl0_inv
	s_and_saveexec_b32 s20, s6
	s_cbranch_execz .LBB70_73
; %bb.72:                               ;   in Loop: Header=BB70_37 Depth=2
	ds_load_b64 v[6:7], v22 offset:1056
	s_waitcnt lgkmcnt(0)
	v_mov_b32_dpp v55, v6 row_shr:1 row_mask:0xf bank_mask:0xf
	v_mov_b32_dpp v56, v7 row_shr:1 row_mask:0xf bank_mask:0xf
	s_delay_alu instid0(VALU_DEP_2) | instskip(NEXT) | instid1(VALU_DEP_2)
	v_mul_f32_e32 v55, v6, v55
	v_fma_f32 v56, v6, v56, v7
	s_delay_alu instid0(VALU_DEP_2) | instskip(NEXT) | instid1(VALU_DEP_2)
	v_cndmask_b32_e64 v6, v55, v6, s7
	v_cndmask_b32_e64 v7, v56, v7, s7
	ds_store_b64 v22, v[6:7] offset:1056
.LBB70_73:                              ;   in Loop: Header=BB70_37 Depth=2
	s_or_b32 exec_lo, exec_lo, s20
	s_waitcnt lgkmcnt(0)
	s_barrier
	buffer_gl0_inv
                                        ; implicit-def: $vgpr7
	s_and_saveexec_b32 s20, s9
	s_cbranch_execz .LBB70_75
; %bb.74:                               ;   in Loop: Header=BB70_37 Depth=2
	ds_load_b64 v[6:7], v21 offset:1048
	s_waitcnt lgkmcnt(0)
	v_mul_f32_e32 v55, v4, v6
	s_delay_alu instid0(VALU_DEP_1)
	v_dual_fmac_f32 v5, v4, v7 :: v_dual_mov_b32 v4, v55
.LBB70_75:                              ;   in Loop: Header=BB70_37 Depth=2
	s_or_b32 exec_lo, exec_lo, s20
	ds_bpermute_b32 v55, v23, v4
	ds_bpermute_b32 v56, v23, v5
	s_and_saveexec_b32 s20, s8
	s_cbranch_execz .LBB70_79
; %bb.76:                               ;   in Loop: Header=BB70_37 Depth=2
	ds_load_b64 v[4:5], v12 offset:1064
	s_and_saveexec_b32 s21, s10
	s_cbranch_execz .LBB70_78
; %bb.77:                               ;   in Loop: Header=BB70_37 Depth=2
	ds_store_b64 v12, v[2:3] offset:1064
.LBB70_78:                              ;   in Loop: Header=BB70_37 Depth=2
	s_or_b32 exec_lo, exec_lo, s21
	s_waitcnt lgkmcnt(0)
	v_fmac_f32_e32 v5, v3, v4
	s_delay_alu instid0(VALU_DEP_1)
	v_dual_mul_f32 v2, v2, v4 :: v_dual_mov_b32 v3, v5
.LBB70_79:                              ;   in Loop: Header=BB70_37 Depth=2
	s_or_b32 exec_lo, exec_lo, s20
	s_waitcnt lgkmcnt(0)
	s_barrier
	buffer_gl0_inv
	ds_load_b32 v4, v12 offset:1068
	s_and_saveexec_b32 s20, s10
	s_cbranch_execz .LBB70_36
; %bb.80:                               ;   in Loop: Header=BB70_37 Depth=2
	v_mov_b32_e32 v5, s65
	s_and_not1_b32 vcc_lo, exec_lo, s63
	ds_store_b64 v5, v[2:3]
	s_cbranch_vccnz .LBB70_36
; %bb.81:                               ;   in Loop: Header=BB70_37 Depth=2
	s_mov_b32 s39, s29
	v_cvt_f16_f32_e32 v2, v3
	s_lshl_b64 s[66:67], s[38:39], 1
	s_delay_alu instid0(SALU_CYCLE_1)
	s_add_u32 s66, s53, s66
	s_addc_u32 s67, s54, s67
	global_store_b16 v12, v2, s[66:67]
	s_branch .LBB70_36
.LBB70_82:                              ;   in Loop: Header=BB70_12 Depth=1
	v_cvt_f16_f32_e32 v0, v38
	s_delay_alu instid0(VALU_DEP_3) | instskip(NEXT) | instid1(VALU_DEP_3)
	v_cvt_f16_f32_e32 v1, v35
	v_cvt_f16_f32_e32 v2, v37
	;; [unrolled: 1-line block ×3, first 2 shown]
	s_waitcnt_vscnt null, 0x0
	s_barrier
	buffer_gl0_inv
	v_pack_b32_f16 v1, v1, v2
	v_pack_b32_f16 v0, v0, v3
	s_mov_b32 s25, s29
	s_delay_alu instid0(SALU_CYCLE_1)
	s_lshl_b64 s[16:17], s[24:25], 1
	ds_store_b64 v17, v[0:1]
	; wave barrier
	ds_load_u16 v4, v14 offset:64
	ds_load_u16 v3, v15 offset:128
	;; [unrolled: 1-line block ×3, first 2 shown]
	v_add_co_u32 v0, vcc_lo, v24, s16
	v_add_co_ci_u32_e32 v1, vcc_lo, s17, v25, vcc_lo
	s_and_saveexec_b32 s16, s12
	s_cbranch_execnz .LBB70_88
; %bb.83:                               ;   in Loop: Header=BB70_12 Depth=1
	s_or_b32 exec_lo, exec_lo, s16
	s_and_saveexec_b32 s12, s13
	s_cbranch_execnz .LBB70_89
.LBB70_84:                              ;   in Loop: Header=BB70_12 Depth=1
	s_or_b32 exec_lo, exec_lo, s12
	s_and_saveexec_b32 s12, s14
	s_cbranch_execnz .LBB70_90
.LBB70_85:                              ;   in Loop: Header=BB70_12 Depth=1
	s_or_b32 exec_lo, exec_lo, s12
	s_and_saveexec_b32 s12, s15
	s_cbranch_execz .LBB70_11
	s_branch .LBB70_91
.LBB70_86:                              ;   in Loop: Header=BB70_12 Depth=1
	global_load_u16 v6, v[2:3], off offset:64
	s_or_b32 exec_lo, exec_lo, s16
	s_and_saveexec_b32 s16, s14
	s_cbranch_execz .LBB70_24
.LBB70_87:                              ;   in Loop: Header=BB70_12 Depth=1
	global_load_u16 v5, v[2:3], off offset:128
	s_or_b32 exec_lo, exec_lo, s16
	v_mov_b32_e32 v7, 0
	s_and_saveexec_b32 s16, s15
	s_cbranch_execnz .LBB70_25
	s_branch .LBB70_26
.LBB70_88:                              ;   in Loop: Header=BB70_12 Depth=1
	ds_load_u16 v5, v14
	s_waitcnt lgkmcnt(0)
	global_store_b16 v[0:1], v5, off
	s_or_b32 exec_lo, exec_lo, s16
	s_and_saveexec_b32 s12, s13
	s_cbranch_execz .LBB70_84
.LBB70_89:                              ;   in Loop: Header=BB70_12 Depth=1
	s_waitcnt lgkmcnt(2)
	global_store_b16 v[0:1], v4, off offset:64
	s_or_b32 exec_lo, exec_lo, s12
	s_and_saveexec_b32 s12, s14
	s_cbranch_execz .LBB70_85
.LBB70_90:                              ;   in Loop: Header=BB70_12 Depth=1
	s_waitcnt lgkmcnt(1)
	global_store_b16 v[0:1], v3, off offset:128
	s_or_b32 exec_lo, exec_lo, s12
	s_and_saveexec_b32 s12, s15
	s_cbranch_execz .LBB70_11
.LBB70_91:                              ;   in Loop: Header=BB70_12 Depth=1
	s_waitcnt lgkmcnt(0)
	global_store_b16 v[0:1], v2, off offset:192
	s_branch .LBB70_11
.LBB70_92:
	s_nop 0
	s_sendmsg sendmsg(MSG_DEALLOC_VGPRS)
	s_endpgm
	.section	.rodata,"a",@progbits
	.p2align	6, 0x0
	.amdhsa_kernel _Z25selective_scan_fwd_kernelI32Selective_Scan_fwd_kernel_traitsILi64ELi4ELi1ELb0ELb1ELb1ELb0ELb1EN3c104HalfEfS2_EEv13SSMParamsBase
		.amdhsa_group_segment_fixed_size 0
		.amdhsa_private_segment_fixed_size 0
		.amdhsa_kernarg_size 248
		.amdhsa_user_sgpr_count 14
		.amdhsa_user_sgpr_dispatch_ptr 0
		.amdhsa_user_sgpr_queue_ptr 0
		.amdhsa_user_sgpr_kernarg_segment_ptr 1
		.amdhsa_user_sgpr_dispatch_id 0
		.amdhsa_user_sgpr_private_segment_size 0
		.amdhsa_wavefront_size32 1
		.amdhsa_uses_dynamic_stack 0
		.amdhsa_enable_private_segment 0
		.amdhsa_system_sgpr_workgroup_id_x 1
		.amdhsa_system_sgpr_workgroup_id_y 1
		.amdhsa_system_sgpr_workgroup_id_z 0
		.amdhsa_system_sgpr_workgroup_info 0
		.amdhsa_system_vgpr_workitem_id 0
		.amdhsa_next_free_vgpr 57
		.amdhsa_next_free_sgpr 68
		.amdhsa_reserve_vcc 1
		.amdhsa_float_round_mode_32 0
		.amdhsa_float_round_mode_16_64 0
		.amdhsa_float_denorm_mode_32 3
		.amdhsa_float_denorm_mode_16_64 3
		.amdhsa_dx10_clamp 1
		.amdhsa_ieee_mode 1
		.amdhsa_fp16_overflow 0
		.amdhsa_workgroup_processor_mode 1
		.amdhsa_memory_ordered 1
		.amdhsa_forward_progress 0
		.amdhsa_shared_vgpr_count 0
		.amdhsa_exception_fp_ieee_invalid_op 0
		.amdhsa_exception_fp_denorm_src 0
		.amdhsa_exception_fp_ieee_div_zero 0
		.amdhsa_exception_fp_ieee_overflow 0
		.amdhsa_exception_fp_ieee_underflow 0
		.amdhsa_exception_fp_ieee_inexact 0
		.amdhsa_exception_int_div_zero 0
	.end_amdhsa_kernel
	.section	.text._Z25selective_scan_fwd_kernelI32Selective_Scan_fwd_kernel_traitsILi64ELi4ELi1ELb0ELb1ELb1ELb0ELb1EN3c104HalfEfS2_EEv13SSMParamsBase,"axG",@progbits,_Z25selective_scan_fwd_kernelI32Selective_Scan_fwd_kernel_traitsILi64ELi4ELi1ELb0ELb1ELb1ELb0ELb1EN3c104HalfEfS2_EEv13SSMParamsBase,comdat
.Lfunc_end70:
	.size	_Z25selective_scan_fwd_kernelI32Selective_Scan_fwd_kernel_traitsILi64ELi4ELi1ELb0ELb1ELb1ELb0ELb1EN3c104HalfEfS2_EEv13SSMParamsBase, .Lfunc_end70-_Z25selective_scan_fwd_kernelI32Selective_Scan_fwd_kernel_traitsILi64ELi4ELi1ELb0ELb1ELb1ELb0ELb1EN3c104HalfEfS2_EEv13SSMParamsBase
                                        ; -- End function
	.section	.AMDGPU.csdata,"",@progbits
; Kernel info:
; codeLenInByte = 7016
; NumSgprs: 70
; NumVgprs: 57
; ScratchSize: 0
; MemoryBound: 0
; FloatMode: 240
; IeeeMode: 1
; LDSByteSize: 0 bytes/workgroup (compile time only)
; SGPRBlocks: 8
; VGPRBlocks: 7
; NumSGPRsForWavesPerEU: 70
; NumVGPRsForWavesPerEU: 57
; Occupancy: 16
; WaveLimiterHint : 1
; COMPUTE_PGM_RSRC2:SCRATCH_EN: 0
; COMPUTE_PGM_RSRC2:USER_SGPR: 14
; COMPUTE_PGM_RSRC2:TRAP_HANDLER: 0
; COMPUTE_PGM_RSRC2:TGID_X_EN: 1
; COMPUTE_PGM_RSRC2:TGID_Y_EN: 1
; COMPUTE_PGM_RSRC2:TGID_Z_EN: 0
; COMPUTE_PGM_RSRC2:TIDIG_COMP_CNT: 0
	.section	.text._Z25selective_scan_fwd_kernelI32Selective_Scan_fwd_kernel_traitsILi64ELi4ELi1ELb0ELb1ELb1ELb0ELb0EN3c104HalfEfS2_EEv13SSMParamsBase,"axG",@progbits,_Z25selective_scan_fwd_kernelI32Selective_Scan_fwd_kernel_traitsILi64ELi4ELi1ELb0ELb1ELb1ELb0ELb0EN3c104HalfEfS2_EEv13SSMParamsBase,comdat
	.protected	_Z25selective_scan_fwd_kernelI32Selective_Scan_fwd_kernel_traitsILi64ELi4ELi1ELb0ELb1ELb1ELb0ELb0EN3c104HalfEfS2_EEv13SSMParamsBase ; -- Begin function _Z25selective_scan_fwd_kernelI32Selective_Scan_fwd_kernel_traitsILi64ELi4ELi1ELb0ELb1ELb1ELb0ELb0EN3c104HalfEfS2_EEv13SSMParamsBase
	.globl	_Z25selective_scan_fwd_kernelI32Selective_Scan_fwd_kernel_traitsILi64ELi4ELi1ELb0ELb1ELb1ELb0ELb0EN3c104HalfEfS2_EEv13SSMParamsBase
	.p2align	8
	.type	_Z25selective_scan_fwd_kernelI32Selective_Scan_fwd_kernel_traitsILi64ELi4ELi1ELb0ELb1ELb1ELb0ELb0EN3c104HalfEfS2_EEv13SSMParamsBase,@function
_Z25selective_scan_fwd_kernelI32Selective_Scan_fwd_kernel_traitsILi64ELi4ELi1ELb0ELb1ELb1ELb0ELb0EN3c104HalfEfS2_EEv13SSMParamsBase: ; @_Z25selective_scan_fwd_kernelI32Selective_Scan_fwd_kernel_traitsILi64ELi4ELi1ELb0ELb1ELb1ELb0ELb0EN3c104HalfEfS2_EEv13SSMParamsBase
; %bb.0:
	s_clause 0x1
	s_load_b32 s9, s[0:1], 0x18
	s_load_b128 s[4:7], s[0:1], 0xe8
	s_mov_b32 s12, s15
	s_mov_b32 s33, 0
	s_waitcnt lgkmcnt(0)
	s_abs_i32 s8, s9
	s_cmp_eq_u64 s[6:7], 0
	v_cvt_f32_u32_e32 v1, s8
	s_delay_alu instid0(VALU_DEP_1) | instskip(SKIP_2) | instid1(VALU_DEP_1)
	v_rcp_iflag_f32_e32 v1, v1
	s_waitcnt_depctr 0xfff
	v_mul_f32_e32 v1, 0x4f7ffffe, v1
	v_cvt_u32_f32_e32 v1, v1
	s_delay_alu instid0(VALU_DEP_1)
	v_readfirstlane_b32 s10, v1
	s_cbranch_scc1 .LBB71_2
; %bb.1:
	v_mov_b32_e32 v1, 0
	s_ashr_i32 s3, s14, 31
	s_add_u32 s2, s6, s14
	s_addc_u32 s3, s7, s3
	global_load_u8 v1, v1, s[2:3]
	s_waitcnt vmcnt(0)
	v_and_b32_e32 v1, 1, v1
	s_delay_alu instid0(VALU_DEP_1)
	v_cmp_eq_u32_e64 s33, 1, v1
.LBB71_2:
	s_load_b64 s[6:7], s[0:1], 0x20
	s_cmp_eq_u64 s[4:5], 0
	s_cbranch_scc1 .LBB71_4
; %bb.3:
	s_ashr_i32 s15, s14, 31
	s_delay_alu instid0(SALU_CYCLE_1) | instskip(NEXT) | instid1(SALU_CYCLE_1)
	s_lshl_b64 s[2:3], s[14:15], 2
	s_add_u32 s2, s4, s2
	s_addc_u32 s3, s5, s3
	s_load_b32 s2, s[2:3], 0x0
	s_waitcnt lgkmcnt(0)
	s_ashr_i32 s3, s2, 31
	s_delay_alu instid0(SALU_CYCLE_1)
	s_cmp_eq_u64 s[6:7], s[2:3]
	s_cbranch_scc0 .LBB71_5
	s_branch .LBB71_92
.LBB71_4:
	s_mov_b32 s2, s14
	s_delay_alu instid0(SALU_CYCLE_1)
	s_ashr_i32 s3, s2, 31
	s_waitcnt lgkmcnt(0)
	s_cmp_eq_u64 s[6:7], s[2:3]
	s_cbranch_scc1 .LBB71_92
.LBB71_5:
	s_clause 0x1
	s_load_b512 s[16:31], s[0:1], 0x88
	s_load_b64 s[34:35], s[0:1], 0x8
	s_mov_b32 s48, 0
	s_mov_b32 s49, 0
	s_waitcnt lgkmcnt(0)
	s_cmp_eq_u64 s[22:23], 0
	s_cbranch_scc1 .LBB71_7
; %bb.6:
	s_ashr_i32 s13, s12, 31
	s_delay_alu instid0(SALU_CYCLE_1) | instskip(NEXT) | instid1(SALU_CYCLE_1)
	s_lshl_b64 s[4:5], s[12:13], 2
	s_add_u32 s4, s22, s4
	s_addc_u32 s5, s23, s5
	s_load_b32 s49, s[4:5], 0x0
.LBB71_7:
	s_cmp_eq_u64 s[28:29], 0
	s_cbranch_scc1 .LBB71_9
; %bb.8:
	s_ashr_i32 s13, s12, 31
	s_delay_alu instid0(SALU_CYCLE_1) | instskip(NEXT) | instid1(SALU_CYCLE_1)
	s_lshl_b64 s[4:5], s[12:13], 2
	s_add_u32 s4, s28, s4
	s_addc_u32 s5, s29, s5
	s_load_b32 s48, s[4:5], 0x0
.LBB71_9:
	s_cmp_lt_i32 s34, 1
	s_cbranch_scc1 .LBB71_92
; %bb.10:
	s_sub_i32 s3, 0, s8
	s_clause 0x1
	s_load_b64 s[4:5], s[0:1], 0x5c
	s_load_b128 s[44:47], s[0:1], 0x4c
	s_mul_i32 s3, s3, s10
	s_abs_i32 s6, s12
	s_mul_hi_u32 s3, s10, s3
	s_ashr_i32 s9, s9, 31
	s_add_i32 s10, s10, s3
	s_ashr_i32 s3, s12, 31
	s_mul_hi_u32 s7, s6, s10
	s_xor_b32 s3, s3, s9
	s_mul_i32 s10, s7, s8
	s_add_i32 s9, s7, 1
	s_sub_i32 s6, s6, s10
	s_load_b256 s[36:43], s[0:1], 0x2c
	s_sub_i32 s10, s6, s8
	s_cmp_ge_u32 s6, s8
	s_mov_b32 s29, 0
	s_cselect_b32 s7, s9, s7
	s_cselect_b32 s6, s10, s6
	s_add_i32 s9, s7, 1
	s_cmp_ge_u32 s6, s8
	s_waitcnt lgkmcnt(0)
	s_mul_i32 s28, s46, s14
	s_cselect_b32 s6, s9, s7
	v_lshlrev_b32_e32 v8, 2, v0
	s_xor_b32 s8, s6, s3
	s_lshl_b64 s[6:7], s[28:29], 1
	s_sub_i32 s3, s8, s3
	s_mul_i32 s28, s47, s12
	s_add_u32 s8, s24, s6
	s_addc_u32 s9, s25, s7
	s_lshl_b64 s[6:7], s[28:29], 1
	s_mul_i32 s28, s4, s14
	s_add_u32 s23, s8, s6
	s_addc_u32 s46, s9, s7
	s_lshl_b64 s[6:7], s[28:29], 1
	;; [unrolled: 4-line block ×3, first 2 shown]
	s_mul_i32 s28, s36, s12
	s_load_b128 s[24:27], s[0:1], 0x7c
	s_add_u32 s47, s6, s4
	s_addc_u32 s36, s7, s5
	s_load_b64 s[6:7], s[0:1], 0xc8
	s_lshl_b64 s[4:5], s[28:29], 2
	s_mul_i32 s28, s38, s14
	s_add_u32 s50, s16, s4
	s_addc_u32 s51, s17, s5
	s_lshl_b64 s[4:5], s[28:29], 1
	s_mul_i32 s28, s3, s41
	s_add_u32 s8, s18, s4
	v_mbcnt_lo_u32_b32 v1, -1, 0
	v_and_b32_e32 v2, 0x80, v8
	v_dual_mov_b32 v12, 0 :: v_dual_and_b32 v3, 32, v0
	s_addc_u32 s9, s19, s5
	s_lshl_b64 s[4:5], s[28:29], 1
	s_load_b64 s[10:11], s[0:1], 0x6c
	s_waitcnt lgkmcnt(0)
	s_add_u32 s27, s8, s4
	s_addc_u32 s41, s9, s5
	s_load_b32 s9, s[0:1], 0x28
	v_or_b32_e32 v9, v1, v2
	v_or_b32_e32 v4, v1, v3
	s_mul_i32 s28, s42, s14
	v_lshrrev_b32_e32 v5, 5, v2
	s_lshl_b64 s[4:5], s[28:29], 1
	s_mul_i32 s28, s3, s45
	v_or_b32_e32 v11, 0x60, v9
	v_lshrrev_b32_e32 v14, 3, v4
	s_add_u32 s8, s20, s4
	s_addc_u32 s3, s21, s5
	s_lshl_b64 s[4:5], s[28:29], 1
	s_mul_i32 s28, s2, s24
	s_add_u32 s45, s8, s4
	s_addc_u32 s52, s3, s5
	s_lshl_b64 s[0:1], s[28:29], 1
	v_or_b32_e32 v10, 64, v9
	v_lshrrev_b32_e32 v7, 5, v11
	v_and_b32_e32 v16, 6, v14
	s_mul_i32 s28, s25, s12
	s_add_u32 s2, s6, s0
	s_addc_u32 s3, s7, s1
	s_lshl_b64 s[0:1], s[28:29], 1
	v_lshrrev_b32_e32 v6, 5, v10
	s_add_u32 s53, s2, s0
	v_and_b32_e32 v7, 6, v7
	v_lshl_add_u32 v4, v4, 2, v16
	s_addc_u32 s54, s3, s1
	s_add_i32 s0, s34, 0x7ff
	v_add_lshl_u32 v5, v5, v9, 1
	s_lshr_b32 s55, s0, 11
	s_waitcnt lgkmcnt(0)
	s_bitcmp1_b32 s9, 0
	v_add_lshl_u32 v6, v6, v9, 1
	v_add_lshl_u32 v7, v7, v9, 1
	v_lshl_add_u32 v17, v4, 1, 0
	v_and_b32_e32 v4, 15, v1
	s_cselect_b32 s56, -1, 0
	s_cmp_gt_i32 s35, 0
	v_or_b32_e32 v3, 31, v3
	s_cselect_b32 s57, -1, 0
	s_add_i32 s0, 0, 0x210
	s_and_b32 s1, s34, 0xff
	v_add_nc_u32_e32 v18, s0, v5
	v_add_nc_u32_e32 v19, s0, v6
	s_cmp_eq_u32 s1, 0
	v_add_nc_u32_e32 v20, s0, v7
	v_cmp_ne_u32_e64 s0, 0, v4
	v_cmp_lt_u32_e64 s1, 1, v4
	v_cmp_lt_u32_e64 s2, 3, v4
	;; [unrolled: 1-line block ×3, first 2 shown]
	v_add_nc_u32_e32 v4, -1, v1
	s_mul_i32 s28, s10, s14
	s_cselect_b32 s58, -1, 0
	s_lshl_b64 s[14:15], s[28:29], 1
	s_add_i32 s59, s55, -1
	v_cmp_gt_i32_e32 vcc_lo, 0, v4
	s_mul_i32 s28, s11, s12
	v_add_nc_u32_e32 v14, 0, v5
	v_lshrrev_b32_e32 v5, 2, v0
	v_cmp_eq_u32_e64 s5, v3, v0
	v_cndmask_b32_e32 v4, v4, v1, vcc_lo
	v_and_b32_e32 v3, 1, v1
	v_cmp_gt_u32_e64 s6, 2, v0
	v_lshl_add_u32 v22, v0, 3, 0
	v_cmp_gt_u32_e64 s8, 32, v0
	v_cmp_lt_u32_e64 s9, 31, v0
	v_cmp_eq_u32_e64 s10, 0, v0
	s_add_u32 s14, s30, s14
	v_lshlrev_b32_e32 v0, 1, v1
	s_addc_u32 s11, s31, s15
	s_lshl_b64 s[12:13], s[28:29], 1
	v_cmp_eq_u32_e64 s7, 0, v3
	s_add_u32 s12, s14, s12
	s_addc_u32 s11, s11, s13
	v_lshlrev_b32_e32 v3, 1, v2
	v_add_co_u32 v0, s12, s12, v0
	v_add_nc_u32_e32 v15, 0, v6
	v_and_b32_e32 v6, 16, v1
	v_and_b32_e32 v5, 8, v5
	v_lshlrev_b32_e32 v23, 2, v4
	v_add_co_ci_u32_e64 v4, null, s11, 0, s12
	v_add_co_u32 v24, vcc_lo, v0, v3
	v_or_b32_e32 v13, 32, v9
	v_add_nc_u32_e32 v16, 0, v7
	v_cmp_ne_u32_e64 s4, 0, v6
	v_add_nc_u32_e32 v21, 0, v5
	v_cmp_eq_u32_e64 s11, 0, v1
	v_add_co_ci_u32_e32 v25, vcc_lo, 0, v4, vcc_lo
	v_or_b32_e32 v26, 1, v8
	v_or_b32_e32 v27, 2, v8
	;; [unrolled: 1-line block ×3, first 2 shown]
	v_lshlrev_b32_e32 v29, 1, v1
	v_lshlrev_b32_e32 v30, 1, v2
	s_mov_b32 s60, 0x3e9b6dac
	s_add_i32 s61, 0, 0x430
	s_mov_b32 s62, 0
	s_branch .LBB71_12
.LBB71_11:                              ;   in Loop: Header=BB71_12 Depth=1
	s_or_b32 exec_lo, exec_lo, s12
	s_add_u32 s47, s47, 0x200
	s_addc_u32 s36, s36, 0
	s_add_u32 s23, s23, 0x200
	s_addc_u32 s46, s46, 0
	;; [unrolled: 2-line block ×4, first 2 shown]
	s_add_i32 s62, s62, 1
	s_delay_alu instid0(SALU_CYCLE_1)
	s_cmp_eq_u32 s62, s55
	s_cbranch_scc1 .LBB71_92
.LBB71_12:                              ; =>This Loop Header: Depth=1
                                        ;     Child Loop BB71_37 Depth 2
	v_add_co_u32 v0, s12, s23, v29
	s_delay_alu instid0(VALU_DEP_1) | instskip(SKIP_1) | instid1(VALU_DEP_2)
	v_add_co_ci_u32_e64 v1, null, s46, 0, s12
	s_lshl_b32 s24, s62, 8
	v_add_co_u32 v0, vcc_lo, v0, v30
	s_sub_i32 s19, s34, s24
	s_delay_alu instid0(VALU_DEP_2)
	v_add_co_ci_u32_e32 v1, vcc_lo, 0, v1, vcc_lo
	v_cmp_gt_u32_e64 s12, s19, v9
	s_waitcnt lgkmcnt(0)
	v_mov_b32_e32 v2, 0
	s_waitcnt_vscnt null, 0x0
	s_barrier
	buffer_gl0_inv
	s_and_saveexec_b32 s13, s12
	s_cbranch_execz .LBB71_14
; %bb.13:                               ;   in Loop: Header=BB71_12 Depth=1
	global_load_u16 v2, v[0:1], off
.LBB71_14:                              ;   in Loop: Header=BB71_12 Depth=1
	s_or_b32 exec_lo, exec_lo, s13
	v_cmp_gt_u32_e64 s13, s19, v13
	v_mov_b32_e32 v3, 0
	v_mov_b32_e32 v5, 0
	s_delay_alu instid0(VALU_DEP_3)
	s_and_saveexec_b32 s14, s13
	s_cbranch_execz .LBB71_16
; %bb.15:                               ;   in Loop: Header=BB71_12 Depth=1
	global_load_u16 v5, v[0:1], off offset:64
.LBB71_16:                              ;   in Loop: Header=BB71_12 Depth=1
	s_or_b32 exec_lo, exec_lo, s14
	v_cmp_gt_u32_e64 s14, s19, v10
	s_delay_alu instid0(VALU_DEP_1)
	s_and_saveexec_b32 s15, s14
	s_cbranch_execz .LBB71_18
; %bb.17:                               ;   in Loop: Header=BB71_12 Depth=1
	global_load_u16 v3, v[0:1], off offset:128
.LBB71_18:                              ;   in Loop: Header=BB71_12 Depth=1
	s_or_b32 exec_lo, exec_lo, s15
	v_cmp_gt_u32_e64 s15, s19, v11
	v_mov_b32_e32 v4, 0
	v_mov_b32_e32 v6, 0
	s_delay_alu instid0(VALU_DEP_3)
	s_and_saveexec_b32 s16, s15
	s_cbranch_execz .LBB71_20
; %bb.19:                               ;   in Loop: Header=BB71_12 Depth=1
	global_load_u16 v6, v[0:1], off offset:192
.LBB71_20:                              ;   in Loop: Header=BB71_12 Depth=1
	s_or_b32 exec_lo, exec_lo, s16
	s_waitcnt vmcnt(0)
	ds_store_b16 v14, v2
	ds_store_b16 v14, v5 offset:64
	ds_store_b16 v15, v3 offset:128
	;; [unrolled: 1-line block ×3, first 2 shown]
	; wave barrier
	ds_load_b64 v[0:1], v17
	v_add_co_u32 v2, s16, s47, v29
	s_delay_alu instid0(VALU_DEP_1) | instskip(SKIP_1) | instid1(VALU_DEP_2)
	v_add_co_ci_u32_e64 v3, null, s36, 0, s16
	s_waitcnt lgkmcnt(0)
	v_add_co_u32 v2, vcc_lo, v2, v30
	s_delay_alu instid0(VALU_DEP_2)
	v_add_co_ci_u32_e32 v3, vcc_lo, 0, v3, vcc_lo
	s_barrier
	buffer_gl0_inv
	s_and_saveexec_b32 s16, s12
	s_cbranch_execz .LBB71_22
; %bb.21:                               ;   in Loop: Header=BB71_12 Depth=1
	global_load_u16 v4, v[2:3], off
.LBB71_22:                              ;   in Loop: Header=BB71_12 Depth=1
	s_or_b32 exec_lo, exec_lo, s16
	v_dual_mov_b32 v5, 0 :: v_dual_mov_b32 v6, 0
	s_and_saveexec_b32 s16, s13
	s_cbranch_execnz .LBB71_86
; %bb.23:                               ;   in Loop: Header=BB71_12 Depth=1
	s_or_b32 exec_lo, exec_lo, s16
	s_and_saveexec_b32 s16, s14
	s_cbranch_execnz .LBB71_87
.LBB71_24:                              ;   in Loop: Header=BB71_12 Depth=1
	s_or_b32 exec_lo, exec_lo, s16
	v_mov_b32_e32 v7, 0
	s_and_saveexec_b32 s16, s15
	s_cbranch_execz .LBB71_26
.LBB71_25:                              ;   in Loop: Header=BB71_12 Depth=1
	global_load_u16 v7, v[2:3], off offset:192
.LBB71_26:                              ;   in Loop: Header=BB71_12 Depth=1
	s_or_b32 exec_lo, exec_lo, s16
	s_waitcnt vmcnt(0)
	ds_store_b16 v14, v4
	ds_store_b16 v14, v6 offset:64
	ds_store_b16 v15, v5 offset:128
	;; [unrolled: 1-line block ×3, first 2 shown]
	; wave barrier
	ds_load_b64 v[2:3], v17
	s_waitcnt lgkmcnt(0)
	v_cvt_f32_f16_e32 v4, v2
	s_delay_alu instid0(VALU_DEP_1) | instskip(NEXT) | instid1(VALU_DEP_1)
	v_add_f32_e32 v31, s48, v4
	v_cmp_ge_f32_e32 vcc_lo, 0x41a00000, v31
	s_and_b32 s16, s56, vcc_lo
	s_delay_alu instid0(SALU_CYCLE_1)
	s_and_saveexec_b32 s17, s16
	s_cbranch_execz .LBB71_28
; %bb.27:                               ;   in Loop: Header=BB71_12 Depth=1
	v_mul_f32_e32 v4, 0x3fb8aa3b, v31
	v_cmp_ngt_f32_e32 vcc_lo, 0xc2ce8ed0, v31
	s_delay_alu instid0(VALU_DEP_2) | instskip(SKIP_1) | instid1(VALU_DEP_2)
	v_rndne_f32_e32 v5, v4
	v_fma_f32 v6, 0x3fb8aa3b, v31, -v4
	v_sub_f32_e32 v4, v4, v5
	s_delay_alu instid0(VALU_DEP_2) | instskip(SKIP_1) | instid1(VALU_DEP_2)
	v_fmac_f32_e32 v6, 0x32a5705f, v31
	v_cvt_i32_f32_e32 v5, v5
	v_add_f32_e32 v4, v4, v6
	s_delay_alu instid0(VALU_DEP_1) | instskip(SKIP_2) | instid1(VALU_DEP_1)
	v_exp_f32_e32 v4, v4
	s_waitcnt_depctr 0xfff
	v_ldexp_f32 v4, v4, v5
	v_cndmask_b32_e32 v4, 0, v4, vcc_lo
	v_cmp_nlt_f32_e32 vcc_lo, 0x42b17218, v31
	s_delay_alu instid0(VALU_DEP_2) | instskip(NEXT) | instid1(VALU_DEP_1)
	v_cndmask_b32_e32 v6, 0x7f800000, v4, vcc_lo
	v_add_f32_e32 v7, 1.0, v6
	s_delay_alu instid0(VALU_DEP_1) | instskip(NEXT) | instid1(VALU_DEP_1)
	v_cvt_f64_f32_e32 v[4:5], v7
	v_frexp_exp_i32_f64_e32 v4, v[4:5]
	v_frexp_mant_f32_e32 v5, v7
	s_delay_alu instid0(VALU_DEP_1) | instskip(SKIP_1) | instid1(VALU_DEP_1)
	v_cmp_gt_f32_e32 vcc_lo, 0x3f2aaaab, v5
	v_add_f32_e32 v5, -1.0, v7
	v_dual_sub_f32 v32, v5, v7 :: v_dual_sub_f32 v5, v6, v5
	s_delay_alu instid0(VALU_DEP_1) | instskip(NEXT) | instid1(VALU_DEP_1)
	v_add_f32_e32 v32, 1.0, v32
	v_add_f32_e32 v5, v5, v32
	v_subrev_co_ci_u32_e32 v4, vcc_lo, 0, v4, vcc_lo
	s_delay_alu instid0(VALU_DEP_1) | instskip(SKIP_1) | instid1(VALU_DEP_2)
	v_sub_nc_u32_e32 v31, 0, v4
	v_cvt_f32_i32_e32 v4, v4
	v_ldexp_f32 v7, v7, v31
	v_ldexp_f32 v5, v5, v31
	s_delay_alu instid0(VALU_DEP_2) | instskip(SKIP_3) | instid1(VALU_DEP_4)
	v_add_f32_e32 v33, 1.0, v7
	v_add_f32_e32 v31, -1.0, v7
	v_cmp_eq_f32_e32 vcc_lo, 0x7f800000, v6
	v_cmp_gt_f32_e64 s16, 0x33800000, v6
	v_add_f32_e32 v32, -1.0, v33
	s_delay_alu instid0(VALU_DEP_4) | instskip(NEXT) | instid1(VALU_DEP_3)
	v_add_f32_e32 v34, 1.0, v31
	s_or_b32 vcc_lo, s16, vcc_lo
	s_delay_alu instid0(VALU_DEP_2) | instskip(NEXT) | instid1(VALU_DEP_1)
	v_sub_f32_e32 v32, v7, v32
	v_dual_sub_f32 v7, v7, v34 :: v_dual_add_f32 v32, v5, v32
	s_delay_alu instid0(VALU_DEP_1) | instskip(NEXT) | instid1(VALU_DEP_1)
	v_add_f32_e32 v5, v5, v7
	v_dual_add_f32 v35, v31, v5 :: v_dual_add_f32 v34, v33, v32
	s_delay_alu instid0(VALU_DEP_1) | instskip(NEXT) | instid1(VALU_DEP_2)
	v_sub_f32_e32 v31, v31, v35
	v_rcp_f32_e32 v7, v34
	v_sub_f32_e32 v33, v33, v34
	s_delay_alu instid0(VALU_DEP_1) | instskip(SKIP_2) | instid1(VALU_DEP_1)
	v_dual_add_f32 v5, v5, v31 :: v_dual_add_f32 v32, v32, v33
	s_waitcnt_depctr 0xfff
	v_mul_f32_e32 v36, v35, v7
	v_mul_f32_e32 v37, v34, v36
	s_delay_alu instid0(VALU_DEP_1) | instskip(NEXT) | instid1(VALU_DEP_1)
	v_fma_f32 v33, v36, v34, -v37
	v_fmac_f32_e32 v33, v36, v32
	s_delay_alu instid0(VALU_DEP_1) | instskip(NEXT) | instid1(VALU_DEP_1)
	v_add_f32_e32 v38, v37, v33
	v_sub_f32_e32 v39, v35, v38
	s_delay_alu instid0(VALU_DEP_1) | instskip(SKIP_1) | instid1(VALU_DEP_2)
	v_sub_f32_e32 v35, v35, v39
	v_sub_f32_e32 v31, v38, v37
	;; [unrolled: 1-line block ×3, first 2 shown]
	s_delay_alu instid0(VALU_DEP_2) | instskip(NEXT) | instid1(VALU_DEP_2)
	v_sub_f32_e32 v31, v31, v33
	v_add_f32_e32 v5, v5, v35
	s_delay_alu instid0(VALU_DEP_1) | instskip(NEXT) | instid1(VALU_DEP_1)
	v_add_f32_e32 v5, v31, v5
	v_add_f32_e32 v31, v39, v5
	s_delay_alu instid0(VALU_DEP_1) | instskip(NEXT) | instid1(VALU_DEP_1)
	v_mul_f32_e32 v33, v7, v31
	v_dual_sub_f32 v38, v39, v31 :: v_dual_mul_f32 v35, v34, v33
	s_delay_alu instid0(VALU_DEP_1) | instskip(NEXT) | instid1(VALU_DEP_2)
	v_add_f32_e32 v5, v5, v38
	v_fma_f32 v34, v33, v34, -v35
	s_delay_alu instid0(VALU_DEP_1) | instskip(NEXT) | instid1(VALU_DEP_1)
	v_fmac_f32_e32 v34, v33, v32
	v_add_f32_e32 v32, v35, v34
	s_delay_alu instid0(VALU_DEP_1) | instskip(SKIP_1) | instid1(VALU_DEP_2)
	v_sub_f32_e32 v37, v31, v32
	v_sub_f32_e32 v35, v32, v35
	;; [unrolled: 1-line block ×3, first 2 shown]
	s_delay_alu instid0(VALU_DEP_1) | instskip(NEXT) | instid1(VALU_DEP_1)
	v_sub_f32_e32 v31, v31, v32
	v_dual_sub_f32 v32, v35, v34 :: v_dual_add_f32 v5, v5, v31
	v_add_f32_e32 v31, v36, v33
	s_delay_alu instid0(VALU_DEP_1) | instskip(NEXT) | instid1(VALU_DEP_1)
	v_dual_add_f32 v5, v32, v5 :: v_dual_sub_f32 v32, v31, v36
	v_add_f32_e32 v5, v37, v5
	s_delay_alu instid0(VALU_DEP_1) | instskip(NEXT) | instid1(VALU_DEP_1)
	v_dual_sub_f32 v32, v33, v32 :: v_dual_mul_f32 v5, v7, v5
	v_add_f32_e32 v5, v32, v5
	s_delay_alu instid0(VALU_DEP_1) | instskip(NEXT) | instid1(VALU_DEP_1)
	v_add_f32_e32 v7, v31, v5
	v_mul_f32_e32 v32, v7, v7
	s_delay_alu instid0(VALU_DEP_1) | instskip(SKIP_1) | instid1(VALU_DEP_2)
	v_fmaak_f32 v33, s60, v32, 0x3ecc95a3
	v_mul_f32_e32 v34, v7, v32
	v_fmaak_f32 v32, v32, v33, 0x3f2aaada
	v_ldexp_f32 v33, v7, 1
	s_delay_alu instid0(VALU_DEP_2) | instskip(NEXT) | instid1(VALU_DEP_1)
	v_dual_sub_f32 v7, v7, v31 :: v_dual_mul_f32 v32, v34, v32
	v_dual_mul_f32 v34, 0x3f317218, v4 :: v_dual_sub_f32 v5, v5, v7
	s_delay_alu instid0(VALU_DEP_2) | instskip(NEXT) | instid1(VALU_DEP_2)
	v_add_f32_e32 v31, v33, v32
	v_ldexp_f32 v5, v5, 1
	s_delay_alu instid0(VALU_DEP_2) | instskip(NEXT) | instid1(VALU_DEP_4)
	v_sub_f32_e32 v7, v31, v33
	v_fma_f32 v33, 0x3f317218, v4, -v34
	s_delay_alu instid0(VALU_DEP_2) | instskip(NEXT) | instid1(VALU_DEP_1)
	v_sub_f32_e32 v7, v32, v7
	v_dual_fmac_f32 v33, 0xb102e308, v4 :: v_dual_add_f32 v4, v5, v7
	s_delay_alu instid0(VALU_DEP_1) | instskip(NEXT) | instid1(VALU_DEP_1)
	v_add_f32_e32 v5, v34, v33
	v_dual_add_f32 v7, v31, v4 :: v_dual_sub_f32 v34, v5, v34
	s_delay_alu instid0(VALU_DEP_1) | instskip(SKIP_1) | instid1(VALU_DEP_3)
	v_add_f32_e32 v32, v5, v7
	v_sub_f32_e32 v31, v7, v31
	v_sub_f32_e32 v33, v33, v34
	s_delay_alu instid0(VALU_DEP_3) | instskip(NEXT) | instid1(VALU_DEP_3)
	v_sub_f32_e32 v35, v32, v5
	v_sub_f32_e32 v4, v4, v31
	s_delay_alu instid0(VALU_DEP_2) | instskip(SKIP_1) | instid1(VALU_DEP_3)
	v_sub_f32_e32 v36, v32, v35
	v_sub_f32_e32 v7, v7, v35
	v_add_f32_e32 v31, v33, v4
	s_delay_alu instid0(VALU_DEP_3) | instskip(NEXT) | instid1(VALU_DEP_1)
	v_sub_f32_e32 v5, v5, v36
	v_add_f32_e32 v5, v7, v5
	s_delay_alu instid0(VALU_DEP_3) | instskip(NEXT) | instid1(VALU_DEP_1)
	v_sub_f32_e32 v7, v31, v33
	v_dual_add_f32 v5, v31, v5 :: v_dual_sub_f32 v4, v4, v7
	s_delay_alu instid0(VALU_DEP_1) | instskip(NEXT) | instid1(VALU_DEP_1)
	v_dual_sub_f32 v31, v31, v7 :: v_dual_add_f32 v34, v32, v5
	v_sub_f32_e32 v31, v33, v31
	s_delay_alu instid0(VALU_DEP_1) | instskip(NEXT) | instid1(VALU_DEP_1)
	v_dual_sub_f32 v7, v34, v32 :: v_dual_add_f32 v4, v4, v31
	v_sub_f32_e32 v5, v5, v7
	s_delay_alu instid0(VALU_DEP_1) | instskip(NEXT) | instid1(VALU_DEP_1)
	v_add_f32_e32 v4, v4, v5
	v_add_f32_e32 v4, v34, v4
	s_delay_alu instid0(VALU_DEP_1)
	v_cndmask_b32_e32 v31, v4, v6, vcc_lo
.LBB71_28:                              ;   in Loop: Header=BB71_12 Depth=1
	s_or_b32 exec_lo, exec_lo, s17
	v_lshrrev_b32_e32 v2, 16, v2
	s_delay_alu instid0(VALU_DEP_1) | instskip(NEXT) | instid1(VALU_DEP_1)
	v_cvt_f32_f16_e32 v2, v2
	v_add_f32_e32 v32, s48, v2
	s_delay_alu instid0(VALU_DEP_1) | instskip(SKIP_1) | instid1(SALU_CYCLE_1)
	v_cmp_ge_f32_e32 vcc_lo, 0x41a00000, v32
	s_and_b32 s16, s56, vcc_lo
	s_and_saveexec_b32 s17, s16
	s_cbranch_execz .LBB71_30
; %bb.29:                               ;   in Loop: Header=BB71_12 Depth=1
	v_mul_f32_e32 v2, 0x3fb8aa3b, v32
	v_cmp_ngt_f32_e32 vcc_lo, 0xc2ce8ed0, v32
	s_delay_alu instid0(VALU_DEP_2) | instskip(SKIP_1) | instid1(VALU_DEP_2)
	v_rndne_f32_e32 v4, v2
	v_fma_f32 v5, 0x3fb8aa3b, v32, -v2
	v_sub_f32_e32 v2, v2, v4
	s_delay_alu instid0(VALU_DEP_2) | instskip(SKIP_1) | instid1(VALU_DEP_2)
	v_fmac_f32_e32 v5, 0x32a5705f, v32
	v_cvt_i32_f32_e32 v4, v4
	v_add_f32_e32 v2, v2, v5
	s_delay_alu instid0(VALU_DEP_1) | instskip(SKIP_2) | instid1(VALU_DEP_1)
	v_exp_f32_e32 v2, v2
	s_waitcnt_depctr 0xfff
	v_ldexp_f32 v2, v2, v4
	v_cndmask_b32_e32 v2, 0, v2, vcc_lo
	v_cmp_nlt_f32_e32 vcc_lo, 0x42b17218, v32
	s_delay_alu instid0(VALU_DEP_2) | instskip(NEXT) | instid1(VALU_DEP_1)
	v_cndmask_b32_e32 v2, 0x7f800000, v2, vcc_lo
	v_add_f32_e32 v6, 1.0, v2
	s_delay_alu instid0(VALU_DEP_1) | instskip(NEXT) | instid1(VALU_DEP_1)
	v_cvt_f64_f32_e32 v[4:5], v6
	v_frexp_exp_i32_f64_e32 v4, v[4:5]
	v_frexp_mant_f32_e32 v5, v6
	s_delay_alu instid0(VALU_DEP_1) | instskip(SKIP_1) | instid1(VALU_DEP_1)
	v_cmp_gt_f32_e32 vcc_lo, 0x3f2aaaab, v5
	v_add_f32_e32 v5, -1.0, v6
	v_dual_sub_f32 v32, v5, v6 :: v_dual_sub_f32 v5, v2, v5
	v_subrev_co_ci_u32_e32 v4, vcc_lo, 0, v4, vcc_lo
	s_delay_alu instid0(VALU_DEP_1) | instskip(SKIP_1) | instid1(VALU_DEP_2)
	v_sub_nc_u32_e32 v7, 0, v4
	v_cvt_f32_i32_e32 v4, v4
	v_ldexp_f32 v6, v6, v7
	s_delay_alu instid0(VALU_DEP_1) | instskip(NEXT) | instid1(VALU_DEP_1)
	v_dual_add_f32 v32, 1.0, v32 :: v_dual_add_f32 v33, 1.0, v6
	v_add_f32_e32 v5, v5, v32
	s_delay_alu instid0(VALU_DEP_1) | instskip(NEXT) | instid1(VALU_DEP_3)
	v_ldexp_f32 v5, v5, v7
	v_dual_add_f32 v7, -1.0, v6 :: v_dual_add_f32 v32, -1.0, v33
	s_delay_alu instid0(VALU_DEP_1) | instskip(NEXT) | instid1(VALU_DEP_2)
	v_add_f32_e32 v34, 1.0, v7
	v_sub_f32_e32 v32, v6, v32
	s_delay_alu instid0(VALU_DEP_2) | instskip(NEXT) | instid1(VALU_DEP_2)
	v_sub_f32_e32 v6, v6, v34
	v_add_f32_e32 v32, v5, v32
	s_delay_alu instid0(VALU_DEP_2) | instskip(NEXT) | instid1(VALU_DEP_1)
	v_add_f32_e32 v5, v5, v6
	v_dual_add_f32 v35, v7, v5 :: v_dual_add_f32 v34, v33, v32
	v_cmp_eq_f32_e32 vcc_lo, 0x7f800000, v2
	v_cmp_gt_f32_e64 s16, 0x33800000, v2
	s_delay_alu instid0(VALU_DEP_3) | instskip(NEXT) | instid1(VALU_DEP_4)
	v_sub_f32_e32 v7, v7, v35
	v_rcp_f32_e32 v6, v34
	v_sub_f32_e32 v33, v33, v34
	s_delay_alu instid0(VALU_DEP_3) | instskip(NEXT) | instid1(VALU_DEP_1)
	s_or_b32 vcc_lo, s16, vcc_lo
	v_dual_add_f32 v5, v5, v7 :: v_dual_add_f32 v32, v32, v33
	s_waitcnt_depctr 0xfff
	v_mul_f32_e32 v36, v35, v6
	s_delay_alu instid0(VALU_DEP_1) | instskip(NEXT) | instid1(VALU_DEP_1)
	v_mul_f32_e32 v37, v34, v36
	v_fma_f32 v33, v36, v34, -v37
	s_delay_alu instid0(VALU_DEP_1) | instskip(NEXT) | instid1(VALU_DEP_1)
	v_fmac_f32_e32 v33, v36, v32
	v_add_f32_e32 v38, v37, v33
	s_delay_alu instid0(VALU_DEP_1) | instskip(NEXT) | instid1(VALU_DEP_1)
	v_sub_f32_e32 v39, v35, v38
	v_sub_f32_e32 v35, v35, v39
	s_delay_alu instid0(VALU_DEP_1) | instskip(SKIP_1) | instid1(VALU_DEP_2)
	v_sub_f32_e32 v35, v35, v38
	v_sub_f32_e32 v7, v38, v37
	v_add_f32_e32 v5, v5, v35
	s_delay_alu instid0(VALU_DEP_2) | instskip(NEXT) | instid1(VALU_DEP_1)
	v_sub_f32_e32 v7, v7, v33
	v_add_f32_e32 v5, v7, v5
	s_delay_alu instid0(VALU_DEP_1) | instskip(NEXT) | instid1(VALU_DEP_1)
	v_add_f32_e32 v7, v39, v5
	v_mul_f32_e32 v33, v6, v7
	s_delay_alu instid0(VALU_DEP_1) | instskip(NEXT) | instid1(VALU_DEP_1)
	v_dual_sub_f32 v38, v39, v7 :: v_dual_mul_f32 v35, v34, v33
	v_add_f32_e32 v5, v5, v38
	s_delay_alu instid0(VALU_DEP_2) | instskip(NEXT) | instid1(VALU_DEP_1)
	v_fma_f32 v34, v33, v34, -v35
	v_fmac_f32_e32 v34, v33, v32
	s_delay_alu instid0(VALU_DEP_1) | instskip(NEXT) | instid1(VALU_DEP_1)
	v_add_f32_e32 v32, v35, v34
	v_sub_f32_e32 v37, v7, v32
	s_delay_alu instid0(VALU_DEP_1) | instskip(NEXT) | instid1(VALU_DEP_1)
	v_sub_f32_e32 v7, v7, v37
	v_sub_f32_e32 v7, v7, v32
	s_delay_alu instid0(VALU_DEP_1) | instskip(SKIP_2) | instid1(VALU_DEP_1)
	v_add_f32_e32 v5, v5, v7
	v_add_f32_e32 v7, v36, v33
	v_sub_f32_e32 v35, v32, v35
	v_sub_f32_e32 v32, v35, v34
	s_delay_alu instid0(VALU_DEP_1) | instskip(NEXT) | instid1(VALU_DEP_1)
	v_dual_add_f32 v5, v32, v5 :: v_dual_sub_f32 v32, v7, v36
	v_add_f32_e32 v5, v37, v5
	s_delay_alu instid0(VALU_DEP_1) | instskip(NEXT) | instid1(VALU_DEP_1)
	v_dual_sub_f32 v32, v33, v32 :: v_dual_mul_f32 v5, v6, v5
	v_add_f32_e32 v5, v32, v5
	s_delay_alu instid0(VALU_DEP_1) | instskip(NEXT) | instid1(VALU_DEP_1)
	v_add_f32_e32 v6, v7, v5
	v_mul_f32_e32 v32, v6, v6
	s_delay_alu instid0(VALU_DEP_1) | instskip(SKIP_1) | instid1(VALU_DEP_2)
	v_fmaak_f32 v33, s60, v32, 0x3ecc95a3
	v_mul_f32_e32 v34, v6, v32
	v_fmaak_f32 v32, v32, v33, 0x3f2aaada
	v_ldexp_f32 v33, v6, 1
	v_sub_f32_e32 v6, v6, v7
	s_delay_alu instid0(VALU_DEP_3) | instskip(SKIP_1) | instid1(VALU_DEP_2)
	v_mul_f32_e32 v32, v34, v32
	v_mul_f32_e32 v34, 0x3f317218, v4
	v_add_f32_e32 v7, v33, v32
	s_delay_alu instid0(VALU_DEP_1) | instskip(NEXT) | instid1(VALU_DEP_3)
	v_dual_sub_f32 v5, v5, v6 :: v_dual_sub_f32 v6, v7, v33
	v_fma_f32 v33, 0x3f317218, v4, -v34
	s_delay_alu instid0(VALU_DEP_2) | instskip(NEXT) | instid1(VALU_DEP_2)
	v_ldexp_f32 v5, v5, 1
	v_dual_sub_f32 v6, v32, v6 :: v_dual_fmac_f32 v33, 0xb102e308, v4
	s_delay_alu instid0(VALU_DEP_1) | instskip(NEXT) | instid1(VALU_DEP_1)
	v_dual_add_f32 v4, v5, v6 :: v_dual_add_f32 v5, v34, v33
	v_add_f32_e32 v6, v7, v4
	s_delay_alu instid0(VALU_DEP_1) | instskip(NEXT) | instid1(VALU_DEP_1)
	v_add_f32_e32 v32, v5, v6
	v_sub_f32_e32 v35, v32, v5
	s_delay_alu instid0(VALU_DEP_1) | instskip(SKIP_2) | instid1(VALU_DEP_2)
	v_sub_f32_e32 v36, v32, v35
	v_sub_f32_e32 v7, v6, v7
	;; [unrolled: 1-line block ×5, first 2 shown]
	s_delay_alu instid0(VALU_DEP_1) | instskip(NEXT) | instid1(VALU_DEP_1)
	v_sub_f32_e32 v33, v33, v34
	v_add_f32_e32 v7, v33, v4
	v_sub_f32_e32 v5, v5, v36
	s_delay_alu instid0(VALU_DEP_1) | instskip(NEXT) | instid1(VALU_DEP_3)
	v_add_f32_e32 v5, v6, v5
	v_sub_f32_e32 v6, v7, v33
	s_delay_alu instid0(VALU_DEP_1) | instskip(NEXT) | instid1(VALU_DEP_1)
	v_dual_sub_f32 v4, v4, v6 :: v_dual_add_f32 v5, v7, v5
	v_dual_sub_f32 v7, v7, v6 :: v_dual_add_f32 v34, v32, v5
	s_delay_alu instid0(VALU_DEP_1) | instskip(NEXT) | instid1(VALU_DEP_1)
	v_dual_sub_f32 v7, v33, v7 :: v_dual_sub_f32 v6, v34, v32
	v_dual_add_f32 v4, v4, v7 :: v_dual_sub_f32 v5, v5, v6
	s_delay_alu instid0(VALU_DEP_1) | instskip(NEXT) | instid1(VALU_DEP_1)
	v_add_f32_e32 v4, v4, v5
	v_add_f32_e32 v4, v34, v4
	s_delay_alu instid0(VALU_DEP_1)
	v_cndmask_b32_e32 v32, v4, v2, vcc_lo
.LBB71_30:                              ;   in Loop: Header=BB71_12 Depth=1
	s_or_b32 exec_lo, exec_lo, s17
	v_cvt_f32_f16_e32 v2, v3
	s_delay_alu instid0(VALU_DEP_1) | instskip(NEXT) | instid1(VALU_DEP_1)
	v_add_f32_e32 v33, s48, v2
	v_cmp_ge_f32_e32 vcc_lo, 0x41a00000, v33
	s_and_b32 s16, s56, vcc_lo
	s_delay_alu instid0(SALU_CYCLE_1)
	s_and_saveexec_b32 s17, s16
	s_cbranch_execz .LBB71_32
; %bb.31:                               ;   in Loop: Header=BB71_12 Depth=1
	v_mul_f32_e32 v2, 0x3fb8aa3b, v33
	v_cmp_ngt_f32_e32 vcc_lo, 0xc2ce8ed0, v33
	s_delay_alu instid0(VALU_DEP_2) | instskip(SKIP_1) | instid1(VALU_DEP_1)
	v_rndne_f32_e32 v4, v2
	v_fma_f32 v5, 0x3fb8aa3b, v33, -v2
	v_dual_sub_f32 v2, v2, v4 :: v_dual_fmac_f32 v5, 0x32a5705f, v33
	v_cvt_i32_f32_e32 v4, v4
	s_delay_alu instid0(VALU_DEP_2) | instskip(NEXT) | instid1(VALU_DEP_1)
	v_add_f32_e32 v2, v2, v5
	v_exp_f32_e32 v2, v2
	s_waitcnt_depctr 0xfff
	v_ldexp_f32 v2, v2, v4
	s_delay_alu instid0(VALU_DEP_1) | instskip(SKIP_1) | instid1(VALU_DEP_2)
	v_cndmask_b32_e32 v2, 0, v2, vcc_lo
	v_cmp_nlt_f32_e32 vcc_lo, 0x42b17218, v33
	v_cndmask_b32_e32 v2, 0x7f800000, v2, vcc_lo
	s_delay_alu instid0(VALU_DEP_1) | instskip(NEXT) | instid1(VALU_DEP_1)
	v_add_f32_e32 v6, 1.0, v2
	v_cvt_f64_f32_e32 v[4:5], v6
	s_delay_alu instid0(VALU_DEP_1) | instskip(SKIP_1) | instid1(VALU_DEP_1)
	v_frexp_exp_i32_f64_e32 v4, v[4:5]
	v_frexp_mant_f32_e32 v5, v6
	v_cmp_gt_f32_e32 vcc_lo, 0x3f2aaaab, v5
	v_add_f32_e32 v5, -1.0, v6
	s_delay_alu instid0(VALU_DEP_1) | instskip(SKIP_1) | instid1(VALU_DEP_2)
	v_sub_f32_e32 v33, v5, v6
	v_sub_f32_e32 v5, v2, v5
	v_add_f32_e32 v33, 1.0, v33
	s_delay_alu instid0(VALU_DEP_1) | instskip(SKIP_3) | instid1(VALU_DEP_2)
	v_add_f32_e32 v5, v5, v33
	v_cmp_gt_f32_e64 s16, 0x33800000, v2
	v_subrev_co_ci_u32_e32 v4, vcc_lo, 0, v4, vcc_lo
	v_cmp_eq_f32_e32 vcc_lo, 0x7f800000, v2
	v_sub_nc_u32_e32 v7, 0, v4
	v_cvt_f32_i32_e32 v4, v4
	s_or_b32 vcc_lo, s16, vcc_lo
	s_delay_alu instid0(VALU_DEP_2) | instskip(SKIP_1) | instid1(VALU_DEP_2)
	v_ldexp_f32 v6, v6, v7
	v_ldexp_f32 v5, v5, v7
	v_add_f32_e32 v34, 1.0, v6
	v_add_f32_e32 v7, -1.0, v6
	s_delay_alu instid0(VALU_DEP_1) | instskip(NEXT) | instid1(VALU_DEP_3)
	v_add_f32_e32 v35, 1.0, v7
	v_add_f32_e32 v33, -1.0, v34
	s_delay_alu instid0(VALU_DEP_1) | instskip(NEXT) | instid1(VALU_DEP_1)
	v_sub_f32_e32 v33, v6, v33
	v_dual_sub_f32 v6, v6, v35 :: v_dual_add_f32 v33, v5, v33
	s_delay_alu instid0(VALU_DEP_1) | instskip(NEXT) | instid1(VALU_DEP_2)
	v_add_f32_e32 v35, v34, v33
	v_add_f32_e32 v5, v5, v6
	s_delay_alu instid0(VALU_DEP_2) | instskip(SKIP_1) | instid1(VALU_DEP_1)
	v_rcp_f32_e32 v6, v35
	v_sub_f32_e32 v34, v34, v35
	v_dual_add_f32 v36, v7, v5 :: v_dual_add_f32 v33, v33, v34
	s_delay_alu instid0(VALU_DEP_1) | instskip(SKIP_2) | instid1(VALU_DEP_1)
	v_sub_f32_e32 v7, v7, v36
	s_waitcnt_depctr 0xfff
	v_mul_f32_e32 v37, v36, v6
	v_mul_f32_e32 v38, v35, v37
	s_delay_alu instid0(VALU_DEP_1) | instskip(NEXT) | instid1(VALU_DEP_1)
	v_fma_f32 v34, v37, v35, -v38
	v_fmac_f32_e32 v34, v37, v33
	s_delay_alu instid0(VALU_DEP_1) | instskip(NEXT) | instid1(VALU_DEP_1)
	v_add_f32_e32 v39, v38, v34
	v_sub_f32_e32 v40, v36, v39
	s_delay_alu instid0(VALU_DEP_1) | instskip(NEXT) | instid1(VALU_DEP_1)
	v_dual_sub_f32 v36, v36, v40 :: v_dual_add_f32 v5, v5, v7
	v_dual_sub_f32 v7, v39, v38 :: v_dual_sub_f32 v36, v36, v39
	s_delay_alu instid0(VALU_DEP_1) | instskip(NEXT) | instid1(VALU_DEP_2)
	v_sub_f32_e32 v7, v7, v34
	v_add_f32_e32 v5, v5, v36
	s_delay_alu instid0(VALU_DEP_1) | instskip(NEXT) | instid1(VALU_DEP_1)
	v_add_f32_e32 v5, v7, v5
	v_add_f32_e32 v7, v40, v5
	s_delay_alu instid0(VALU_DEP_1) | instskip(NEXT) | instid1(VALU_DEP_1)
	v_mul_f32_e32 v34, v6, v7
	v_dual_sub_f32 v39, v40, v7 :: v_dual_mul_f32 v36, v35, v34
	s_delay_alu instid0(VALU_DEP_1) | instskip(NEXT) | instid1(VALU_DEP_2)
	v_add_f32_e32 v5, v5, v39
	v_fma_f32 v35, v34, v35, -v36
	s_delay_alu instid0(VALU_DEP_1) | instskip(NEXT) | instid1(VALU_DEP_1)
	v_fmac_f32_e32 v35, v34, v33
	v_add_f32_e32 v33, v36, v35
	s_delay_alu instid0(VALU_DEP_1) | instskip(NEXT) | instid1(VALU_DEP_1)
	v_sub_f32_e32 v38, v7, v33
	v_dual_sub_f32 v36, v33, v36 :: v_dual_sub_f32 v7, v7, v38
	s_delay_alu instid0(VALU_DEP_1) | instskip(NEXT) | instid1(VALU_DEP_2)
	v_sub_f32_e32 v7, v7, v33
	v_sub_f32_e32 v33, v36, v35
	s_delay_alu instid0(VALU_DEP_2) | instskip(SKIP_1) | instid1(VALU_DEP_2)
	v_add_f32_e32 v5, v5, v7
	v_add_f32_e32 v7, v37, v34
	;; [unrolled: 1-line block ×3, first 2 shown]
	s_delay_alu instid0(VALU_DEP_2) | instskip(NEXT) | instid1(VALU_DEP_2)
	v_sub_f32_e32 v33, v7, v37
	v_add_f32_e32 v5, v38, v5
	s_delay_alu instid0(VALU_DEP_2) | instskip(NEXT) | instid1(VALU_DEP_2)
	v_sub_f32_e32 v33, v34, v33
	v_mul_f32_e32 v5, v6, v5
	s_delay_alu instid0(VALU_DEP_1) | instskip(NEXT) | instid1(VALU_DEP_1)
	v_add_f32_e32 v5, v33, v5
	v_add_f32_e32 v6, v7, v5
	s_delay_alu instid0(VALU_DEP_1) | instskip(NEXT) | instid1(VALU_DEP_1)
	v_mul_f32_e32 v33, v6, v6
	v_fmaak_f32 v34, s60, v33, 0x3ecc95a3
	v_mul_f32_e32 v35, v6, v33
	s_delay_alu instid0(VALU_DEP_2) | instskip(SKIP_1) | instid1(VALU_DEP_2)
	v_fmaak_f32 v33, v33, v34, 0x3f2aaada
	v_ldexp_f32 v34, v6, 1
	v_dual_sub_f32 v6, v6, v7 :: v_dual_mul_f32 v33, v35, v33
	v_mul_f32_e32 v35, 0x3f317218, v4
	s_delay_alu instid0(VALU_DEP_2) | instskip(NEXT) | instid1(VALU_DEP_3)
	v_sub_f32_e32 v5, v5, v6
	v_add_f32_e32 v7, v34, v33
	s_delay_alu instid0(VALU_DEP_2) | instskip(NEXT) | instid1(VALU_DEP_2)
	v_ldexp_f32 v5, v5, 1
	v_sub_f32_e32 v6, v7, v34
	v_fma_f32 v34, 0x3f317218, v4, -v35
	s_delay_alu instid0(VALU_DEP_2) | instskip(NEXT) | instid1(VALU_DEP_2)
	v_sub_f32_e32 v6, v33, v6
	v_fmac_f32_e32 v34, 0xb102e308, v4
	s_delay_alu instid0(VALU_DEP_2) | instskip(NEXT) | instid1(VALU_DEP_2)
	v_add_f32_e32 v4, v5, v6
	v_add_f32_e32 v5, v35, v34
	s_delay_alu instid0(VALU_DEP_1) | instskip(NEXT) | instid1(VALU_DEP_1)
	v_dual_add_f32 v6, v7, v4 :: v_dual_sub_f32 v35, v5, v35
	v_add_f32_e32 v33, v5, v6
	v_sub_f32_e32 v7, v6, v7
	s_delay_alu instid0(VALU_DEP_3) | instskip(NEXT) | instid1(VALU_DEP_3)
	v_sub_f32_e32 v34, v34, v35
	v_sub_f32_e32 v36, v33, v5
	s_delay_alu instid0(VALU_DEP_1) | instskip(SKIP_1) | instid1(VALU_DEP_2)
	v_dual_sub_f32 v4, v4, v7 :: v_dual_sub_f32 v37, v33, v36
	v_sub_f32_e32 v6, v6, v36
	v_add_f32_e32 v7, v34, v4
	s_delay_alu instid0(VALU_DEP_3) | instskip(NEXT) | instid1(VALU_DEP_1)
	v_sub_f32_e32 v5, v5, v37
	v_dual_add_f32 v5, v6, v5 :: v_dual_sub_f32 v6, v7, v34
	s_delay_alu instid0(VALU_DEP_1) | instskip(NEXT) | instid1(VALU_DEP_2)
	v_add_f32_e32 v5, v7, v5
	v_sub_f32_e32 v7, v7, v6
	s_delay_alu instid0(VALU_DEP_2) | instskip(NEXT) | instid1(VALU_DEP_1)
	v_dual_sub_f32 v4, v4, v6 :: v_dual_add_f32 v35, v33, v5
	v_dual_sub_f32 v7, v34, v7 :: v_dual_sub_f32 v6, v35, v33
	s_delay_alu instid0(VALU_DEP_1) | instskip(NEXT) | instid1(VALU_DEP_1)
	v_dual_add_f32 v4, v4, v7 :: v_dual_sub_f32 v5, v5, v6
	v_add_f32_e32 v4, v4, v5
	s_delay_alu instid0(VALU_DEP_1) | instskip(NEXT) | instid1(VALU_DEP_1)
	v_add_f32_e32 v4, v35, v4
	v_cndmask_b32_e32 v33, v4, v2, vcc_lo
.LBB71_32:                              ;   in Loop: Header=BB71_12 Depth=1
	s_or_b32 exec_lo, exec_lo, s17
	v_lshrrev_b32_e32 v2, 16, v3
	s_delay_alu instid0(VALU_DEP_1) | instskip(NEXT) | instid1(VALU_DEP_1)
	v_cvt_f32_f16_e32 v2, v2
	v_add_f32_e32 v34, s48, v2
	s_delay_alu instid0(VALU_DEP_1) | instskip(SKIP_1) | instid1(SALU_CYCLE_1)
	v_cmp_ge_f32_e32 vcc_lo, 0x41a00000, v34
	s_and_b32 s16, s56, vcc_lo
	s_and_saveexec_b32 s17, s16
	s_cbranch_execz .LBB71_34
; %bb.33:                               ;   in Loop: Header=BB71_12 Depth=1
	v_mul_f32_e32 v2, 0x3fb8aa3b, v34
	v_cmp_ngt_f32_e32 vcc_lo, 0xc2ce8ed0, v34
	s_delay_alu instid0(VALU_DEP_2) | instskip(SKIP_1) | instid1(VALU_DEP_2)
	v_rndne_f32_e32 v3, v2
	v_fma_f32 v4, 0x3fb8aa3b, v34, -v2
	v_sub_f32_e32 v2, v2, v3
	s_delay_alu instid0(VALU_DEP_2) | instskip(SKIP_1) | instid1(VALU_DEP_2)
	v_fmac_f32_e32 v4, 0x32a5705f, v34
	v_cvt_i32_f32_e32 v3, v3
	v_add_f32_e32 v2, v2, v4
	s_delay_alu instid0(VALU_DEP_1) | instskip(SKIP_2) | instid1(VALU_DEP_1)
	v_exp_f32_e32 v2, v2
	s_waitcnt_depctr 0xfff
	v_ldexp_f32 v2, v2, v3
	v_cndmask_b32_e32 v2, 0, v2, vcc_lo
	v_cmp_nlt_f32_e32 vcc_lo, 0x42b17218, v34
	s_delay_alu instid0(VALU_DEP_2) | instskip(NEXT) | instid1(VALU_DEP_1)
	v_cndmask_b32_e32 v4, 0x7f800000, v2, vcc_lo
	v_add_f32_e32 v5, 1.0, v4
	s_delay_alu instid0(VALU_DEP_1) | instskip(NEXT) | instid1(VALU_DEP_1)
	v_cvt_f64_f32_e32 v[2:3], v5
	v_frexp_exp_i32_f64_e32 v2, v[2:3]
	v_frexp_mant_f32_e32 v3, v5
	s_delay_alu instid0(VALU_DEP_1) | instskip(SKIP_1) | instid1(VALU_DEP_1)
	v_cmp_gt_f32_e32 vcc_lo, 0x3f2aaaab, v3
	v_add_f32_e32 v3, -1.0, v5
	v_sub_f32_e32 v7, v3, v5
	v_sub_f32_e32 v3, v4, v3
	s_delay_alu instid0(VALU_DEP_2) | instskip(NEXT) | instid1(VALU_DEP_1)
	v_add_f32_e32 v7, 1.0, v7
	v_add_f32_e32 v3, v3, v7
	v_cmp_gt_f32_e64 s16, 0x33800000, v4
	v_subrev_co_ci_u32_e32 v2, vcc_lo, 0, v2, vcc_lo
	v_cmp_eq_f32_e32 vcc_lo, 0x7f800000, v4
	s_delay_alu instid0(VALU_DEP_2) | instskip(SKIP_2) | instid1(VALU_DEP_2)
	v_sub_nc_u32_e32 v6, 0, v2
	v_cvt_f32_i32_e32 v2, v2
	s_or_b32 vcc_lo, s16, vcc_lo
	v_ldexp_f32 v5, v5, v6
	v_ldexp_f32 v3, v3, v6
	s_delay_alu instid0(VALU_DEP_2) | instskip(NEXT) | instid1(VALU_DEP_1)
	v_add_f32_e32 v34, 1.0, v5
	v_dual_add_f32 v6, -1.0, v5 :: v_dual_add_f32 v7, -1.0, v34
	s_delay_alu instid0(VALU_DEP_1) | instskip(NEXT) | instid1(VALU_DEP_2)
	v_add_f32_e32 v35, 1.0, v6
	v_sub_f32_e32 v7, v5, v7
	s_delay_alu instid0(VALU_DEP_2) | instskip(NEXT) | instid1(VALU_DEP_2)
	v_sub_f32_e32 v5, v5, v35
	v_add_f32_e32 v7, v3, v7
	s_delay_alu instid0(VALU_DEP_2) | instskip(NEXT) | instid1(VALU_DEP_1)
	v_add_f32_e32 v3, v3, v5
	v_add_f32_e32 v36, v6, v3
	s_delay_alu instid0(VALU_DEP_1) | instskip(NEXT) | instid1(VALU_DEP_4)
	v_sub_f32_e32 v6, v6, v36
	v_add_f32_e32 v35, v34, v7
	s_delay_alu instid0(VALU_DEP_1) | instskip(NEXT) | instid1(VALU_DEP_2)
	v_rcp_f32_e32 v5, v35
	v_dual_sub_f32 v34, v34, v35 :: v_dual_add_f32 v3, v3, v6
	s_delay_alu instid0(VALU_DEP_1) | instskip(SKIP_2) | instid1(VALU_DEP_1)
	v_add_f32_e32 v7, v7, v34
	s_waitcnt_depctr 0xfff
	v_mul_f32_e32 v37, v36, v5
	v_mul_f32_e32 v38, v35, v37
	s_delay_alu instid0(VALU_DEP_1) | instskip(NEXT) | instid1(VALU_DEP_1)
	v_fma_f32 v34, v37, v35, -v38
	v_fmac_f32_e32 v34, v37, v7
	s_delay_alu instid0(VALU_DEP_1) | instskip(NEXT) | instid1(VALU_DEP_1)
	v_add_f32_e32 v39, v38, v34
	v_sub_f32_e32 v40, v36, v39
	v_sub_f32_e32 v6, v39, v38
	s_delay_alu instid0(VALU_DEP_2) | instskip(NEXT) | instid1(VALU_DEP_1)
	v_sub_f32_e32 v36, v36, v40
	v_sub_f32_e32 v36, v36, v39
	s_delay_alu instid0(VALU_DEP_1) | instskip(NEXT) | instid1(VALU_DEP_1)
	v_dual_sub_f32 v6, v6, v34 :: v_dual_add_f32 v3, v3, v36
	v_add_f32_e32 v3, v6, v3
	s_delay_alu instid0(VALU_DEP_1) | instskip(NEXT) | instid1(VALU_DEP_1)
	v_add_f32_e32 v6, v40, v3
	v_mul_f32_e32 v34, v5, v6
	v_sub_f32_e32 v39, v40, v6
	s_delay_alu instid0(VALU_DEP_2) | instskip(NEXT) | instid1(VALU_DEP_2)
	v_mul_f32_e32 v36, v35, v34
	v_add_f32_e32 v3, v3, v39
	s_delay_alu instid0(VALU_DEP_2) | instskip(NEXT) | instid1(VALU_DEP_1)
	v_fma_f32 v35, v34, v35, -v36
	v_fmac_f32_e32 v35, v34, v7
	s_delay_alu instid0(VALU_DEP_1) | instskip(NEXT) | instid1(VALU_DEP_1)
	v_add_f32_e32 v7, v36, v35
	v_sub_f32_e32 v38, v6, v7
	s_delay_alu instid0(VALU_DEP_1) | instskip(NEXT) | instid1(VALU_DEP_1)
	v_sub_f32_e32 v6, v6, v38
	v_sub_f32_e32 v6, v6, v7
	s_delay_alu instid0(VALU_DEP_1) | instskip(SKIP_2) | instid1(VALU_DEP_1)
	v_add_f32_e32 v3, v3, v6
	v_add_f32_e32 v6, v37, v34
	v_sub_f32_e32 v36, v7, v36
	v_sub_f32_e32 v7, v36, v35
	s_delay_alu instid0(VALU_DEP_1) | instskip(NEXT) | instid1(VALU_DEP_4)
	v_add_f32_e32 v3, v7, v3
	v_sub_f32_e32 v7, v6, v37
	s_delay_alu instid0(VALU_DEP_2) | instskip(NEXT) | instid1(VALU_DEP_2)
	v_add_f32_e32 v3, v38, v3
	v_sub_f32_e32 v7, v34, v7
	s_delay_alu instid0(VALU_DEP_2) | instskip(NEXT) | instid1(VALU_DEP_1)
	v_mul_f32_e32 v3, v5, v3
	v_add_f32_e32 v3, v7, v3
	s_delay_alu instid0(VALU_DEP_1) | instskip(NEXT) | instid1(VALU_DEP_1)
	v_add_f32_e32 v5, v6, v3
	v_mul_f32_e32 v7, v5, v5
	s_delay_alu instid0(VALU_DEP_1) | instskip(SKIP_1) | instid1(VALU_DEP_2)
	v_fmaak_f32 v34, s60, v7, 0x3ecc95a3
	v_mul_f32_e32 v35, v5, v7
	v_fmaak_f32 v7, v7, v34, 0x3f2aaada
	v_ldexp_f32 v34, v5, 1
	v_sub_f32_e32 v5, v5, v6
	s_delay_alu instid0(VALU_DEP_3) | instskip(SKIP_1) | instid1(VALU_DEP_2)
	v_mul_f32_e32 v7, v35, v7
	v_mul_f32_e32 v35, 0x3f317218, v2
	v_dual_sub_f32 v3, v3, v5 :: v_dual_add_f32 v6, v34, v7
	s_delay_alu instid0(VALU_DEP_1) | instskip(NEXT) | instid1(VALU_DEP_2)
	v_ldexp_f32 v3, v3, 1
	v_sub_f32_e32 v5, v6, v34
	s_delay_alu instid0(VALU_DEP_4) | instskip(NEXT) | instid1(VALU_DEP_1)
	v_fma_f32 v34, 0x3f317218, v2, -v35
	v_dual_sub_f32 v5, v7, v5 :: v_dual_fmac_f32 v34, 0xb102e308, v2
	s_delay_alu instid0(VALU_DEP_1) | instskip(NEXT) | instid1(VALU_DEP_1)
	v_add_f32_e32 v2, v3, v5
	v_add_f32_e32 v5, v6, v2
	s_delay_alu instid0(VALU_DEP_1) | instskip(NEXT) | instid1(VALU_DEP_1)
	v_sub_f32_e32 v6, v5, v6
	v_sub_f32_e32 v2, v2, v6
	v_add_f32_e32 v3, v35, v34
	s_delay_alu instid0(VALU_DEP_1) | instskip(SKIP_1) | instid1(VALU_DEP_2)
	v_add_f32_e32 v7, v3, v5
	v_sub_f32_e32 v35, v3, v35
	v_sub_f32_e32 v36, v7, v3
	s_delay_alu instid0(VALU_DEP_1) | instskip(NEXT) | instid1(VALU_DEP_1)
	v_dual_sub_f32 v34, v34, v35 :: v_dual_sub_f32 v37, v7, v36
	v_dual_sub_f32 v5, v5, v36 :: v_dual_add_f32 v6, v34, v2
	s_delay_alu instid0(VALU_DEP_2) | instskip(NEXT) | instid1(VALU_DEP_1)
	v_sub_f32_e32 v3, v3, v37
	v_add_f32_e32 v3, v5, v3
	s_delay_alu instid0(VALU_DEP_3) | instskip(NEXT) | instid1(VALU_DEP_2)
	v_sub_f32_e32 v5, v6, v34
	v_add_f32_e32 v3, v6, v3
	s_delay_alu instid0(VALU_DEP_2) | instskip(NEXT) | instid1(VALU_DEP_2)
	v_sub_f32_e32 v6, v6, v5
	v_dual_sub_f32 v2, v2, v5 :: v_dual_add_f32 v35, v7, v3
	s_delay_alu instid0(VALU_DEP_1) | instskip(NEXT) | instid1(VALU_DEP_1)
	v_dual_sub_f32 v6, v34, v6 :: v_dual_sub_f32 v5, v35, v7
	v_dual_add_f32 v2, v2, v6 :: v_dual_sub_f32 v3, v3, v5
	s_delay_alu instid0(VALU_DEP_1) | instskip(NEXT) | instid1(VALU_DEP_1)
	v_add_f32_e32 v2, v2, v3
	v_add_f32_e32 v2, v35, v2
	s_delay_alu instid0(VALU_DEP_1)
	v_cndmask_b32_e32 v34, v2, v4, vcc_lo
.LBB71_34:                              ;   in Loop: Header=BB71_12 Depth=1
	s_or_b32 exec_lo, exec_lo, s17
	v_lshrrev_b32_e32 v2, 16, v0
	v_lshrrev_b32_e32 v3, 16, v1
	v_cvt_f32_f16_e32 v1, v1
	v_cvt_f32_f16_e32 v0, v0
	s_and_b32 vcc_lo, exec_lo, s57
	v_cvt_f32_f16_e32 v2, v2
	v_cvt_f32_f16_e32 v3, v3
	s_delay_alu instid0(VALU_DEP_3) | instskip(NEXT) | instid1(VALU_DEP_2)
	v_dual_mul_f32 v35, s49, v1 :: v_dual_mul_f32 v38, s49, v0
	v_dual_mul_f32 v36, s49, v2 :: v_dual_mul_f32 v37, s49, v3
	s_barrier
	buffer_gl0_inv
	s_cbranch_vccz .LBB71_82
; %bb.35:                               ;   in Loop: Header=BB71_12 Depth=1
	v_dual_mul_f32 v39, v34, v3 :: v_dual_mul_f32 v44, v33, v1
	v_add_co_u32 v3, s16, s27, v29
	s_delay_alu instid0(VALU_DEP_1) | instskip(SKIP_1) | instid1(VALU_DEP_1)
	v_add_co_ci_u32_e64 v4, null, s41, 0, s16
	v_add_co_u32 v5, s16, s45, v29
	v_add_co_ci_u32_e64 v6, null, s52, 0, s16
	s_delay_alu instid0(VALU_DEP_4) | instskip(NEXT) | instid1(VALU_DEP_4)
	v_add_co_u32 v40, vcc_lo, v3, v30
	v_add_co_ci_u32_e32 v41, vcc_lo, 0, v4, vcc_lo
	s_delay_alu instid0(VALU_DEP_4) | instskip(NEXT) | instid1(VALU_DEP_4)
	v_add_co_u32 v42, vcc_lo, v5, v30
	v_add_co_ci_u32_e32 v43, vcc_lo, 0, v6, vcc_lo
	v_cmp_gt_u32_e32 vcc_lo, s19, v8
	v_cmp_gt_u32_e64 s17, s19, v26
	v_cmp_gt_u32_e64 s18, s19, v27
	;; [unrolled: 1-line block ×3, first 2 shown]
	s_cmp_lg_u32 s62, 0
	v_dual_mul_f32 v45, v32, v2 :: v_dual_mul_f32 v46, v31, v0
	s_mov_b32 s28, 0
	s_cselect_b32 s25, -1, 0
	s_cmp_eq_u32 s62, s59
	s_mov_b32 s30, s28
	s_cselect_b32 s63, -1, 0
	s_or_b32 s16, s58, vcc_lo
	s_or_b32 s17, s58, s17
	s_or_b32 s18, s58, s18
	;; [unrolled: 1-line block ×3, first 2 shown]
	s_mov_b32 s38, s28
	s_mov_b32 s42, s28
	;; [unrolled: 1-line block ×4, first 2 shown]
	s_branch .LBB71_37
.LBB71_36:                              ;   in Loop: Header=BB71_37 Depth=2
	s_or_b32 exec_lo, exec_lo, s20
	v_cndmask_b32_e64 v2, v56, v7, s11
	v_cndmask_b32_e64 v3, v55, v6, s11
	s_add_i32 s64, s64, -1
	s_add_i32 s65, s65, 8
	s_add_i32 s42, s42, s26
	v_fma_f32 v2, v2, v52, v49
	v_mul_f32_e32 v3, v3, v52
	s_add_i32 s38, s38, s44
	s_add_i32 s30, s30, s40
	;; [unrolled: 1-line block ×3, first 2 shown]
	v_cndmask_b32_e64 v2, v2, v49, s10
	v_cndmask_b32_e64 v3, v3, v52, s10
	s_cmp_eq_u32 s64, 0
	s_waitcnt lgkmcnt(0)
	s_delay_alu instid0(VALU_DEP_1) | instskip(NEXT) | instid1(VALU_DEP_1)
	v_fmac_f32_e32 v2, v4, v3
	v_fmac_f32_e32 v47, v2, v53
	v_fma_mix_f32 v38, v2, v0, v38 op_sel_hi:[0,1,0]
	s_delay_alu instid0(VALU_DEP_2) | instskip(SKIP_1) | instid1(VALU_DEP_2)
	v_fmac_f32_e32 v48, v47, v54
	v_fma_mix_f32 v36, v47, v0, v36 op_sel:[0,1,0] op_sel_hi:[0,1,0]
	v_fmac_f32_e32 v50, v48, v51
	v_fma_mix_f32 v35, v48, v1, v35 op_sel_hi:[0,1,0]
	s_delay_alu instid0(VALU_DEP_2)
	v_fma_mix_f32 v37, v50, v1, v37 op_sel:[0,1,0] op_sel_hi:[0,1,0]
	s_cbranch_scc1 .LBB71_82
.LBB71_37:                              ;   Parent Loop BB71_12 Depth=1
                                        ; =>  This Inner Loop Header: Depth=2
	s_lshl_b64 s[20:21], s[28:29], 2
	s_mov_b32 s31, s29
	s_add_u32 s20, s50, s20
	s_addc_u32 s21, s51, s21
	v_dual_mov_b32 v2, 0 :: v_dual_mov_b32 v3, 0
	global_load_b32 v6, v12, s[20:21]
	s_lshl_b64 s[20:21], s[30:31], 1
	s_delay_alu instid0(SALU_CYCLE_1)
	v_add_co_u32 v0, vcc_lo, v40, s20
	v_add_co_ci_u32_e32 v1, vcc_lo, s21, v41, vcc_lo
	s_and_saveexec_b32 s20, s12
	s_cbranch_execnz .LBB71_49
; %bb.38:                               ;   in Loop: Header=BB71_37 Depth=2
	s_or_b32 exec_lo, exec_lo, s20
	s_and_saveexec_b32 s20, s13
	s_cbranch_execnz .LBB71_50
.LBB71_39:                              ;   in Loop: Header=BB71_37 Depth=2
	s_or_b32 exec_lo, exec_lo, s20
	v_mov_b32_e32 v4, 0
	s_and_saveexec_b32 s20, s14
	s_cbranch_execnz .LBB71_51
.LBB71_40:                              ;   in Loop: Header=BB71_37 Depth=2
	s_or_b32 exec_lo, exec_lo, s20
	s_and_saveexec_b32 s20, s15
	s_cbranch_execz .LBB71_42
.LBB71_41:                              ;   in Loop: Header=BB71_37 Depth=2
	global_load_u16 v0, v[0:1], off offset:192
	s_waitcnt vmcnt(0)
	v_lshl_or_b32 v4, v0, 16, v4
.LBB71_42:                              ;   in Loop: Header=BB71_37 Depth=2
	s_or_b32 exec_lo, exec_lo, s20
	s_waitcnt vmcnt(0)
	ds_store_b16 v14, v3
	ds_store_b16 v14, v2 offset:64
	ds_store_b16 v15, v4 offset:128
	ds_store_b16_d16_hi v16, v4 offset:192
	; wave barrier
	ds_load_b64 v[4:5], v17
	s_mov_b32 s39, s29
	v_dual_mov_b32 v2, 0 :: v_dual_mov_b32 v3, 0
	s_lshl_b64 s[20:21], s[38:39], 1
	s_delay_alu instid0(SALU_CYCLE_1)
	v_add_co_u32 v0, vcc_lo, v42, s20
	v_add_co_ci_u32_e32 v1, vcc_lo, s21, v43, vcc_lo
	s_and_saveexec_b32 s20, s12
	s_cbranch_execnz .LBB71_52
; %bb.43:                               ;   in Loop: Header=BB71_37 Depth=2
	s_or_b32 exec_lo, exec_lo, s20
	s_and_saveexec_b32 s20, s13
	s_cbranch_execnz .LBB71_53
.LBB71_44:                              ;   in Loop: Header=BB71_37 Depth=2
	s_or_b32 exec_lo, exec_lo, s20
	v_mov_b32_e32 v7, 0
	s_and_saveexec_b32 s20, s14
	s_cbranch_execnz .LBB71_54
.LBB71_45:                              ;   in Loop: Header=BB71_37 Depth=2
	s_or_b32 exec_lo, exec_lo, s20
	s_and_saveexec_b32 s20, s15
	s_cbranch_execz .LBB71_47
.LBB71_46:                              ;   in Loop: Header=BB71_37 Depth=2
	global_load_u16 v0, v[0:1], off offset:192
	s_waitcnt vmcnt(0)
	v_lshl_or_b32 v7, v0, 16, v7
.LBB71_47:                              ;   in Loop: Header=BB71_37 Depth=2
	s_or_b32 exec_lo, exec_lo, s20
	s_waitcnt vmcnt(0)
	ds_store_b16 v14, v3 offset:528
	ds_store_b16 v18, v2 offset:64
	;; [unrolled: 1-line block ×3, first 2 shown]
	ds_store_b16_d16_hi v20, v7 offset:192
	; wave barrier
	ds_load_b64 v[0:1], v17 offset:528
	s_and_not1_b32 vcc_lo, exec_lo, s25
	s_cbranch_vccnz .LBB71_55
; %bb.48:                               ;   in Loop: Header=BB71_37 Depth=2
	v_mov_b32_e32 v2, s65
	ds_load_b64 v[2:3], v2
	s_cbranch_execz .LBB71_56
	s_branch .LBB71_59
.LBB71_49:                              ;   in Loop: Header=BB71_37 Depth=2
	global_load_u16 v3, v[0:1], off
	s_or_b32 exec_lo, exec_lo, s20
	s_and_saveexec_b32 s20, s13
	s_cbranch_execz .LBB71_39
.LBB71_50:                              ;   in Loop: Header=BB71_37 Depth=2
	global_load_u16 v2, v[0:1], off offset:64
	s_or_b32 exec_lo, exec_lo, s20
	v_mov_b32_e32 v4, 0
	s_and_saveexec_b32 s20, s14
	s_cbranch_execz .LBB71_40
.LBB71_51:                              ;   in Loop: Header=BB71_37 Depth=2
	global_load_u16 v4, v[0:1], off offset:128
	s_or_b32 exec_lo, exec_lo, s20
	s_and_saveexec_b32 s20, s15
	s_cbranch_execnz .LBB71_41
	s_branch .LBB71_42
.LBB71_52:                              ;   in Loop: Header=BB71_37 Depth=2
	global_load_u16 v3, v[0:1], off
	s_or_b32 exec_lo, exec_lo, s20
	s_and_saveexec_b32 s20, s13
	s_cbranch_execz .LBB71_44
.LBB71_53:                              ;   in Loop: Header=BB71_37 Depth=2
	global_load_u16 v2, v[0:1], off offset:64
	s_or_b32 exec_lo, exec_lo, s20
	v_mov_b32_e32 v7, 0
	s_and_saveexec_b32 s20, s14
	s_cbranch_execz .LBB71_45
.LBB71_54:                              ;   in Loop: Header=BB71_37 Depth=2
	global_load_u16 v7, v[0:1], off offset:128
	s_or_b32 exec_lo, exec_lo, s20
	s_and_saveexec_b32 s20, s15
	s_cbranch_execnz .LBB71_46
	s_branch .LBB71_47
.LBB71_55:                              ;   in Loop: Header=BB71_37 Depth=2
                                        ; implicit-def: $vgpr2
.LBB71_56:                              ;   in Loop: Header=BB71_37 Depth=2
	s_waitcnt lgkmcnt(0)
	v_mov_b32_e32 v3, 0
	s_and_not1_b32 vcc_lo, exec_lo, s33
	s_cbranch_vccnz .LBB71_58
; %bb.57:                               ;   in Loop: Header=BB71_37 Depth=2
	s_mov_b32 s43, s29
	s_delay_alu instid0(SALU_CYCLE_1) | instskip(NEXT) | instid1(SALU_CYCLE_1)
	s_lshl_b64 s[20:21], s[42:43], 1
	s_add_u32 s20, s53, s20
	s_addc_u32 s21, s54, s21
	global_load_u16 v2, v12, s[20:21]
	s_waitcnt vmcnt(0)
	v_cvt_f32_f16_e32 v3, v2
.LBB71_58:                              ;   in Loop: Header=BB71_37 Depth=2
	v_mov_b32_e32 v2, 1.0
.LBB71_59:                              ;   in Loop: Header=BB71_37 Depth=2
	s_waitcnt lgkmcnt(5)
	v_lshrrev_b32_e32 v7, 16, v4
	v_lshrrev_b32_e32 v47, 16, v5
	v_cvt_f32_f16_e32 v5, v5
	v_cvt_f32_f16_e32 v4, v4
	s_delay_alu instid0(VALU_DEP_4) | instskip(SKIP_2) | instid1(VALU_DEP_4)
	v_cvt_f32_f16_e32 v7, v7
	v_mul_f32_e32 v6, 0x3fb8aa3b, v6
	v_cvt_f32_f16_e32 v51, v47
	v_dual_mul_f32 v4, v46, v4 :: v_dual_mul_f32 v5, v44, v5
	s_delay_alu instid0(VALU_DEP_4) | instskip(NEXT) | instid1(VALU_DEP_4)
	v_mul_f32_e32 v7, v45, v7
	v_mul_f32_e32 v48, v6, v31
	s_delay_alu instid0(VALU_DEP_1) | instskip(SKIP_2) | instid1(VALU_DEP_2)
	v_cmp_gt_f32_e32 vcc_lo, 0xc2fc0000, v48
	v_cndmask_b32_e64 v48, 0, 0x42800000, vcc_lo
	v_cndmask_b32_e64 v53, 1.0, 0x1f800000, vcc_lo
	v_fmac_f32_e32 v48, v6, v31
	s_delay_alu instid0(VALU_DEP_1) | instskip(SKIP_2) | instid1(VALU_DEP_1)
	v_exp_f32_e32 v48, v48
	s_waitcnt_depctr 0xfff
	v_dual_mul_f32 v49, v6, v32 :: v_dual_mul_f32 v48, v48, v53
	v_cmp_gt_f32_e64 s20, 0xc2fc0000, v49
	v_mul_f32_e32 v49, v6, v34
	s_delay_alu instid0(VALU_DEP_2) | instskip(NEXT) | instid1(VALU_DEP_2)
	v_cndmask_b32_e64 v47, 0, 0x42800000, s20
	v_cmp_gt_f32_e64 s22, 0xc2fc0000, v49
	v_cndmask_b32_e64 v49, 0, v4, s16
	s_delay_alu instid0(VALU_DEP_2) | instskip(NEXT) | instid1(VALU_DEP_1)
	v_cndmask_b32_e64 v52, 0, 0x42800000, s22
	v_fmac_f32_e32 v52, v6, v34
	s_delay_alu instid0(VALU_DEP_1) | instskip(SKIP_3) | instid1(VALU_DEP_3)
	v_exp_f32_e32 v55, v52
	v_mul_f32_e32 v50, v6, v33
	v_cndmask_b32_e64 v52, 1.0, v48, s16
	v_cndmask_b32_e64 v48, 0, v5, s18
	v_cmp_gt_f32_e64 s21, 0xc2fc0000, v50
	s_delay_alu instid0(VALU_DEP_1) | instskip(NEXT) | instid1(VALU_DEP_1)
	v_cndmask_b32_e64 v50, 0, 0x42800000, s21
	v_fmac_f32_e32 v50, v6, v33
	s_delay_alu instid0(VALU_DEP_1)
	v_exp_f32_e32 v4, v50
	v_cndmask_b32_e64 v50, 1.0, 0x1f800000, s21
	v_fmac_f32_e32 v47, v6, v32
	v_cndmask_b32_e64 v6, 1.0, 0x1f800000, s20
	s_waitcnt_depctr 0xfff
	v_mul_f32_e32 v4, v4, v50
	v_exp_f32_e32 v47, v47
	s_delay_alu instid0(VALU_DEP_1)
	v_cndmask_b32_e64 v54, 1.0, v4, s18
	v_mul_f32_e32 v4, v39, v51
	s_waitcnt_depctr 0xfff
	v_mul_f32_e32 v6, v47, v6
	v_cndmask_b32_e64 v47, 0, v7, s17
	v_cndmask_b32_e64 v7, 1.0, 0x1f800000, s22
	v_cndmask_b32_e64 v50, 0, v4, s19
	s_delay_alu instid0(VALU_DEP_4) | instskip(NEXT) | instid1(VALU_DEP_1)
	v_cndmask_b32_e64 v53, 1.0, v6, s17
	v_dual_mul_f32 v5, v55, v7 :: v_dual_mul_f32 v6, v53, v52
	v_fma_f32 v7, v53, v49, v47
	s_delay_alu instid0(VALU_DEP_2) | instskip(NEXT) | instid1(VALU_DEP_3)
	v_cndmask_b32_e64 v51, 1.0, v5, s19
	v_mul_f32_e32 v4, v6, v54
	s_delay_alu instid0(VALU_DEP_3) | instskip(NEXT) | instid1(VALU_DEP_2)
	v_fma_f32 v5, v7, v54, v48
	v_mul_f32_e32 v4, v4, v51
	s_delay_alu instid0(VALU_DEP_2) | instskip(NEXT) | instid1(VALU_DEP_2)
	v_fma_f32 v5, v5, v51, v50
	v_mov_b32_dpp v7, v4 row_shr:1 row_mask:0xf bank_mask:0xf
	s_delay_alu instid0(VALU_DEP_2)
	v_mov_b32_dpp v6, v5 row_shr:1 row_mask:0xf bank_mask:0xf
	s_and_saveexec_b32 s20, s0
; %bb.60:                               ;   in Loop: Header=BB71_37 Depth=2
	s_delay_alu instid0(VALU_DEP_2) | instskip(NEXT) | instid1(VALU_DEP_1)
	v_mul_f32_e32 v7, v4, v7
	v_dual_fmac_f32 v5, v4, v6 :: v_dual_mov_b32 v4, v7
; %bb.61:                               ;   in Loop: Header=BB71_37 Depth=2
	s_or_b32 exec_lo, exec_lo, s20
	s_delay_alu instid0(VALU_DEP_1) | instskip(NEXT) | instid1(VALU_DEP_2)
	v_mov_b32_dpp v6, v4 row_shr:2 row_mask:0xf bank_mask:0xf
	v_mov_b32_dpp v7, v5 row_shr:2 row_mask:0xf bank_mask:0xf
	s_and_saveexec_b32 s20, s1
; %bb.62:                               ;   in Loop: Header=BB71_37 Depth=2
	s_delay_alu instid0(VALU_DEP_1) | instskip(NEXT) | instid1(VALU_DEP_3)
	v_fmac_f32_e32 v5, v4, v7
	v_mul_f32_e32 v4, v4, v6
; %bb.63:                               ;   in Loop: Header=BB71_37 Depth=2
	s_or_b32 exec_lo, exec_lo, s20
	s_delay_alu instid0(VALU_DEP_1) | instskip(NEXT) | instid1(VALU_DEP_3)
	v_mov_b32_dpp v6, v4 row_shr:4 row_mask:0xf bank_mask:0xf
	v_mov_b32_dpp v7, v5 row_shr:4 row_mask:0xf bank_mask:0xf
	s_and_saveexec_b32 s20, s2
; %bb.64:                               ;   in Loop: Header=BB71_37 Depth=2
	s_delay_alu instid0(VALU_DEP_1) | instskip(NEXT) | instid1(VALU_DEP_3)
	v_fmac_f32_e32 v5, v4, v7
	v_mul_f32_e32 v4, v4, v6
; %bb.65:                               ;   in Loop: Header=BB71_37 Depth=2
	s_or_b32 exec_lo, exec_lo, s20
	s_delay_alu instid0(VALU_DEP_1) | instskip(NEXT) | instid1(VALU_DEP_3)
	v_mov_b32_dpp v6, v4 row_shr:8 row_mask:0xf bank_mask:0xf
	v_mov_b32_dpp v7, v5 row_shr:8 row_mask:0xf bank_mask:0xf
	s_and_saveexec_b32 s20, s3
; %bb.66:                               ;   in Loop: Header=BB71_37 Depth=2
	s_delay_alu instid0(VALU_DEP_1) | instskip(NEXT) | instid1(VALU_DEP_3)
	v_fmac_f32_e32 v5, v4, v7
	v_mul_f32_e32 v4, v4, v6
; %bb.67:                               ;   in Loop: Header=BB71_37 Depth=2
	s_or_b32 exec_lo, exec_lo, s20
	ds_swizzle_b32 v7, v4 offset:swizzle(BROADCAST,32,15)
	ds_swizzle_b32 v6, v5 offset:swizzle(BROADCAST,32,15)
	s_and_saveexec_b32 s20, s4
	s_cbranch_execz .LBB71_69
; %bb.68:                               ;   in Loop: Header=BB71_37 Depth=2
	s_waitcnt lgkmcnt(1)
	v_mul_f32_e32 v7, v4, v7
	s_waitcnt lgkmcnt(0)
	s_delay_alu instid0(VALU_DEP_1)
	v_dual_fmac_f32 v5, v4, v6 :: v_dual_mov_b32 v4, v7
.LBB71_69:                              ;   in Loop: Header=BB71_37 Depth=2
	s_or_b32 exec_lo, exec_lo, s20
	s_and_saveexec_b32 s20, s5
	s_cbranch_execz .LBB71_71
; %bb.70:                               ;   in Loop: Header=BB71_37 Depth=2
	ds_store_b64 v21, v[4:5] offset:1056
.LBB71_71:                              ;   in Loop: Header=BB71_37 Depth=2
	s_or_b32 exec_lo, exec_lo, s20
	s_waitcnt lgkmcnt(0)
	s_waitcnt_vscnt null, 0x0
	s_barrier
	buffer_gl0_inv
	s_and_saveexec_b32 s20, s6
	s_cbranch_execz .LBB71_73
; %bb.72:                               ;   in Loop: Header=BB71_37 Depth=2
	ds_load_b64 v[6:7], v22 offset:1056
	s_waitcnt lgkmcnt(0)
	v_mov_b32_dpp v55, v6 row_shr:1 row_mask:0xf bank_mask:0xf
	v_mov_b32_dpp v56, v7 row_shr:1 row_mask:0xf bank_mask:0xf
	s_delay_alu instid0(VALU_DEP_2) | instskip(NEXT) | instid1(VALU_DEP_2)
	v_mul_f32_e32 v55, v6, v55
	v_fma_f32 v56, v6, v56, v7
	s_delay_alu instid0(VALU_DEP_2) | instskip(NEXT) | instid1(VALU_DEP_2)
	v_cndmask_b32_e64 v6, v55, v6, s7
	v_cndmask_b32_e64 v7, v56, v7, s7
	ds_store_b64 v22, v[6:7] offset:1056
.LBB71_73:                              ;   in Loop: Header=BB71_37 Depth=2
	s_or_b32 exec_lo, exec_lo, s20
	s_waitcnt lgkmcnt(0)
	s_barrier
	buffer_gl0_inv
                                        ; implicit-def: $vgpr7
	s_and_saveexec_b32 s20, s9
	s_cbranch_execz .LBB71_75
; %bb.74:                               ;   in Loop: Header=BB71_37 Depth=2
	ds_load_b64 v[6:7], v21 offset:1048
	s_waitcnt lgkmcnt(0)
	v_mul_f32_e32 v55, v4, v6
	s_delay_alu instid0(VALU_DEP_1)
	v_dual_fmac_f32 v5, v4, v7 :: v_dual_mov_b32 v4, v55
.LBB71_75:                              ;   in Loop: Header=BB71_37 Depth=2
	s_or_b32 exec_lo, exec_lo, s20
	ds_bpermute_b32 v55, v23, v4
	ds_bpermute_b32 v56, v23, v5
	s_and_saveexec_b32 s20, s8
	s_cbranch_execz .LBB71_79
; %bb.76:                               ;   in Loop: Header=BB71_37 Depth=2
	ds_load_b64 v[4:5], v12 offset:1064
	s_and_saveexec_b32 s21, s10
	s_cbranch_execz .LBB71_78
; %bb.77:                               ;   in Loop: Header=BB71_37 Depth=2
	ds_store_b64 v12, v[2:3] offset:1064
.LBB71_78:                              ;   in Loop: Header=BB71_37 Depth=2
	s_or_b32 exec_lo, exec_lo, s21
	s_waitcnt lgkmcnt(0)
	v_fmac_f32_e32 v5, v3, v4
	s_delay_alu instid0(VALU_DEP_1)
	v_dual_mul_f32 v2, v2, v4 :: v_dual_mov_b32 v3, v5
.LBB71_79:                              ;   in Loop: Header=BB71_37 Depth=2
	s_or_b32 exec_lo, exec_lo, s20
	s_waitcnt lgkmcnt(0)
	s_barrier
	buffer_gl0_inv
	ds_load_b32 v4, v12 offset:1068
	s_and_saveexec_b32 s20, s10
	s_cbranch_execz .LBB71_36
; %bb.80:                               ;   in Loop: Header=BB71_37 Depth=2
	v_mov_b32_e32 v5, s65
	s_and_not1_b32 vcc_lo, exec_lo, s63
	ds_store_b64 v5, v[2:3]
	s_cbranch_vccnz .LBB71_36
; %bb.81:                               ;   in Loop: Header=BB71_37 Depth=2
	s_mov_b32 s43, s29
	v_cvt_f16_f32_e32 v2, v3
	s_lshl_b64 s[66:67], s[42:43], 1
	s_delay_alu instid0(SALU_CYCLE_1)
	s_add_u32 s66, s53, s66
	s_addc_u32 s67, s54, s67
	global_store_b16 v12, v2, s[66:67]
	s_branch .LBB71_36
.LBB71_82:                              ;   in Loop: Header=BB71_12 Depth=1
	v_cvt_f16_f32_e32 v0, v38
	s_delay_alu instid0(VALU_DEP_3) | instskip(NEXT) | instid1(VALU_DEP_3)
	v_cvt_f16_f32_e32 v1, v35
	v_cvt_f16_f32_e32 v2, v37
	;; [unrolled: 1-line block ×3, first 2 shown]
	s_waitcnt_vscnt null, 0x0
	s_barrier
	buffer_gl0_inv
	v_pack_b32_f16 v1, v1, v2
	v_pack_b32_f16 v0, v0, v3
	s_mov_b32 s25, s29
	s_delay_alu instid0(SALU_CYCLE_1)
	s_lshl_b64 s[16:17], s[24:25], 1
	ds_store_b64 v17, v[0:1]
	; wave barrier
	ds_load_u16 v4, v14 offset:64
	ds_load_u16 v3, v15 offset:128
	;; [unrolled: 1-line block ×3, first 2 shown]
	v_add_co_u32 v0, vcc_lo, v24, s16
	v_add_co_ci_u32_e32 v1, vcc_lo, s17, v25, vcc_lo
	s_and_saveexec_b32 s16, s12
	s_cbranch_execnz .LBB71_88
; %bb.83:                               ;   in Loop: Header=BB71_12 Depth=1
	s_or_b32 exec_lo, exec_lo, s16
	s_and_saveexec_b32 s12, s13
	s_cbranch_execnz .LBB71_89
.LBB71_84:                              ;   in Loop: Header=BB71_12 Depth=1
	s_or_b32 exec_lo, exec_lo, s12
	s_and_saveexec_b32 s12, s14
	s_cbranch_execnz .LBB71_90
.LBB71_85:                              ;   in Loop: Header=BB71_12 Depth=1
	s_or_b32 exec_lo, exec_lo, s12
	s_and_saveexec_b32 s12, s15
	s_cbranch_execz .LBB71_11
	s_branch .LBB71_91
.LBB71_86:                              ;   in Loop: Header=BB71_12 Depth=1
	global_load_u16 v6, v[2:3], off offset:64
	s_or_b32 exec_lo, exec_lo, s16
	s_and_saveexec_b32 s16, s14
	s_cbranch_execz .LBB71_24
.LBB71_87:                              ;   in Loop: Header=BB71_12 Depth=1
	global_load_u16 v5, v[2:3], off offset:128
	s_or_b32 exec_lo, exec_lo, s16
	v_mov_b32_e32 v7, 0
	s_and_saveexec_b32 s16, s15
	s_cbranch_execnz .LBB71_25
	s_branch .LBB71_26
.LBB71_88:                              ;   in Loop: Header=BB71_12 Depth=1
	ds_load_u16 v5, v14
	s_waitcnt lgkmcnt(0)
	global_store_b16 v[0:1], v5, off
	s_or_b32 exec_lo, exec_lo, s16
	s_and_saveexec_b32 s12, s13
	s_cbranch_execz .LBB71_84
.LBB71_89:                              ;   in Loop: Header=BB71_12 Depth=1
	s_waitcnt lgkmcnt(2)
	global_store_b16 v[0:1], v4, off offset:64
	s_or_b32 exec_lo, exec_lo, s12
	s_and_saveexec_b32 s12, s14
	s_cbranch_execz .LBB71_85
.LBB71_90:                              ;   in Loop: Header=BB71_12 Depth=1
	s_waitcnt lgkmcnt(1)
	global_store_b16 v[0:1], v3, off offset:128
	s_or_b32 exec_lo, exec_lo, s12
	s_and_saveexec_b32 s12, s15
	s_cbranch_execz .LBB71_11
.LBB71_91:                              ;   in Loop: Header=BB71_12 Depth=1
	s_waitcnt lgkmcnt(0)
	global_store_b16 v[0:1], v2, off offset:192
	s_branch .LBB71_11
.LBB71_92:
	s_nop 0
	s_sendmsg sendmsg(MSG_DEALLOC_VGPRS)
	s_endpgm
	.section	.rodata,"a",@progbits
	.p2align	6, 0x0
	.amdhsa_kernel _Z25selective_scan_fwd_kernelI32Selective_Scan_fwd_kernel_traitsILi64ELi4ELi1ELb0ELb1ELb1ELb0ELb0EN3c104HalfEfS2_EEv13SSMParamsBase
		.amdhsa_group_segment_fixed_size 0
		.amdhsa_private_segment_fixed_size 0
		.amdhsa_kernarg_size 248
		.amdhsa_user_sgpr_count 14
		.amdhsa_user_sgpr_dispatch_ptr 0
		.amdhsa_user_sgpr_queue_ptr 0
		.amdhsa_user_sgpr_kernarg_segment_ptr 1
		.amdhsa_user_sgpr_dispatch_id 0
		.amdhsa_user_sgpr_private_segment_size 0
		.amdhsa_wavefront_size32 1
		.amdhsa_uses_dynamic_stack 0
		.amdhsa_enable_private_segment 0
		.amdhsa_system_sgpr_workgroup_id_x 1
		.amdhsa_system_sgpr_workgroup_id_y 1
		.amdhsa_system_sgpr_workgroup_id_z 0
		.amdhsa_system_sgpr_workgroup_info 0
		.amdhsa_system_vgpr_workitem_id 0
		.amdhsa_next_free_vgpr 57
		.amdhsa_next_free_sgpr 68
		.amdhsa_reserve_vcc 1
		.amdhsa_float_round_mode_32 0
		.amdhsa_float_round_mode_16_64 0
		.amdhsa_float_denorm_mode_32 3
		.amdhsa_float_denorm_mode_16_64 3
		.amdhsa_dx10_clamp 1
		.amdhsa_ieee_mode 1
		.amdhsa_fp16_overflow 0
		.amdhsa_workgroup_processor_mode 1
		.amdhsa_memory_ordered 1
		.amdhsa_forward_progress 0
		.amdhsa_shared_vgpr_count 0
		.amdhsa_exception_fp_ieee_invalid_op 0
		.amdhsa_exception_fp_denorm_src 0
		.amdhsa_exception_fp_ieee_div_zero 0
		.amdhsa_exception_fp_ieee_overflow 0
		.amdhsa_exception_fp_ieee_underflow 0
		.amdhsa_exception_fp_ieee_inexact 0
		.amdhsa_exception_int_div_zero 0
	.end_amdhsa_kernel
	.section	.text._Z25selective_scan_fwd_kernelI32Selective_Scan_fwd_kernel_traitsILi64ELi4ELi1ELb0ELb1ELb1ELb0ELb0EN3c104HalfEfS2_EEv13SSMParamsBase,"axG",@progbits,_Z25selective_scan_fwd_kernelI32Selective_Scan_fwd_kernel_traitsILi64ELi4ELi1ELb0ELb1ELb1ELb0ELb0EN3c104HalfEfS2_EEv13SSMParamsBase,comdat
.Lfunc_end71:
	.size	_Z25selective_scan_fwd_kernelI32Selective_Scan_fwd_kernel_traitsILi64ELi4ELi1ELb0ELb1ELb1ELb0ELb0EN3c104HalfEfS2_EEv13SSMParamsBase, .Lfunc_end71-_Z25selective_scan_fwd_kernelI32Selective_Scan_fwd_kernel_traitsILi64ELi4ELi1ELb0ELb1ELb1ELb0ELb0EN3c104HalfEfS2_EEv13SSMParamsBase
                                        ; -- End function
	.section	.AMDGPU.csdata,"",@progbits
; Kernel info:
; codeLenInByte = 7016
; NumSgprs: 70
; NumVgprs: 57
; ScratchSize: 0
; MemoryBound: 0
; FloatMode: 240
; IeeeMode: 1
; LDSByteSize: 0 bytes/workgroup (compile time only)
; SGPRBlocks: 8
; VGPRBlocks: 7
; NumSGPRsForWavesPerEU: 70
; NumVGPRsForWavesPerEU: 57
; Occupancy: 16
; WaveLimiterHint : 0
; COMPUTE_PGM_RSRC2:SCRATCH_EN: 0
; COMPUTE_PGM_RSRC2:USER_SGPR: 14
; COMPUTE_PGM_RSRC2:TRAP_HANDLER: 0
; COMPUTE_PGM_RSRC2:TGID_X_EN: 1
; COMPUTE_PGM_RSRC2:TGID_Y_EN: 1
; COMPUTE_PGM_RSRC2:TGID_Z_EN: 0
; COMPUTE_PGM_RSRC2:TIDIG_COMP_CNT: 0
	.section	.text._Z25selective_scan_fwd_kernelI32Selective_Scan_fwd_kernel_traitsILi64ELi8ELi1ELb1ELb1ELb1ELb1ELb1EN3c104HalfEfS2_EEv13SSMParamsBase,"axG",@progbits,_Z25selective_scan_fwd_kernelI32Selective_Scan_fwd_kernel_traitsILi64ELi8ELi1ELb1ELb1ELb1ELb1ELb1EN3c104HalfEfS2_EEv13SSMParamsBase,comdat
	.protected	_Z25selective_scan_fwd_kernelI32Selective_Scan_fwd_kernel_traitsILi64ELi8ELi1ELb1ELb1ELb1ELb1ELb1EN3c104HalfEfS2_EEv13SSMParamsBase ; -- Begin function _Z25selective_scan_fwd_kernelI32Selective_Scan_fwd_kernel_traitsILi64ELi8ELi1ELb1ELb1ELb1ELb1ELb1EN3c104HalfEfS2_EEv13SSMParamsBase
	.globl	_Z25selective_scan_fwd_kernelI32Selective_Scan_fwd_kernel_traitsILi64ELi8ELi1ELb1ELb1ELb1ELb1ELb1EN3c104HalfEfS2_EEv13SSMParamsBase
	.p2align	8
	.type	_Z25selective_scan_fwd_kernelI32Selective_Scan_fwd_kernel_traitsILi64ELi8ELi1ELb1ELb1ELb1ELb1ELb1EN3c104HalfEfS2_EEv13SSMParamsBase,@function
_Z25selective_scan_fwd_kernelI32Selective_Scan_fwd_kernel_traitsILi64ELi8ELi1ELb1ELb1ELb1ELb1ELb1EN3c104HalfEfS2_EEv13SSMParamsBase: ; @_Z25selective_scan_fwd_kernelI32Selective_Scan_fwd_kernel_traitsILi64ELi8ELi1ELb1ELb1ELb1ELb1ELb1EN3c104HalfEfS2_EEv13SSMParamsBase
; %bb.0:
	s_clause 0x2
	s_load_b32 s11, s[0:1], 0x18
	s_load_b256 s[52:59], s[0:1], 0xc8
	s_load_b128 s[4:7], s[0:1], 0xe8
	s_mov_b32 s12, s15
	s_ashr_i32 s15, s14, 31
	s_mov_b32 s33, 0
	s_lshl_b64 s[8:9], s[14:15], 2
	s_waitcnt lgkmcnt(0)
	s_abs_i32 s10, s11
	s_add_u32 s2, s58, s8
	v_cvt_f32_u32_e32 v1, s10
	s_addc_u32 s3, s59, s9
	s_cmp_eq_u64 s[6:7], 0
	s_delay_alu instid0(VALU_DEP_1) | instskip(SKIP_2) | instid1(VALU_DEP_1)
	v_rcp_iflag_f32_e32 v1, v1
	s_waitcnt_depctr 0xfff
	v_mul_f32_e32 v1, 0x4f7ffffe, v1
	v_cvt_u32_f32_e32 v1, v1
	s_delay_alu instid0(VALU_DEP_1)
	v_readfirstlane_b32 s34, v1
	s_cbranch_scc1 .LBB72_2
; %bb.1:
	v_mov_b32_e32 v1, 0
	s_add_u32 s6, s6, s14
	s_addc_u32 s7, s7, s15
	global_load_u8 v1, v1, s[6:7]
	s_waitcnt vmcnt(0)
	v_and_b32_e32 v1, 1, v1
	s_delay_alu instid0(VALU_DEP_1)
	v_cmp_eq_u32_e64 s33, 1, v1
.LBB72_2:
	s_load_b64 s[6:7], s[0:1], 0x20
	s_cmp_eq_u64 s[4:5], 0
	s_cbranch_scc1 .LBB72_4
; %bb.3:
	s_add_u32 s4, s4, s8
	s_addc_u32 s5, s5, s9
	s_load_b32 s14, s[4:5], 0x0
	s_waitcnt lgkmcnt(0)
	s_ashr_i32 s15, s14, 31
.LBB72_4:
	s_waitcnt lgkmcnt(0)
	s_cmp_eq_u64 s[6:7], s[14:15]
	s_cbranch_scc1 .LBB72_172
; %bb.5:
	s_load_b512 s[16:31], s[0:1], 0x88
	s_load_b64 s[58:59], s[2:3], 0x0
	s_mov_b32 s60, 0
	s_mov_b32 s61, 0
	s_waitcnt lgkmcnt(0)
	s_cmp_eq_u64 s[22:23], 0
	s_cbranch_scc1 .LBB72_7
; %bb.6:
	s_ashr_i32 s13, s12, 31
	s_delay_alu instid0(SALU_CYCLE_1) | instskip(NEXT) | instid1(SALU_CYCLE_1)
	s_lshl_b64 s[2:3], s[12:13], 2
	s_add_u32 s2, s22, s2
	s_addc_u32 s3, s23, s3
	s_load_b32 s61, s[2:3], 0x0
.LBB72_7:
	s_cmp_eq_u64 s[28:29], 0
	s_cbranch_scc1 .LBB72_9
; %bb.8:
	s_ashr_i32 s13, s12, 31
	s_delay_alu instid0(SALU_CYCLE_1) | instskip(NEXT) | instid1(SALU_CYCLE_1)
	s_lshl_b64 s[2:3], s[12:13], 2
	s_add_u32 s2, s28, s2
	s_addc_u32 s3, s29, s3
	s_load_b32 s60, s[2:3], 0x0
.LBB72_9:
	s_sub_i32 s29, s59, s58
	s_delay_alu instid0(SALU_CYCLE_1)
	s_cmp_lt_i32 s29, 1
	s_cbranch_scc1 .LBB72_172
; %bb.10:
	s_sub_i32 s2, 0, s10
	s_load_b256 s[36:43], s[0:1], 0x4c
	s_mul_i32 s2, s2, s34
	s_abs_i32 s3, s12
	s_mul_hi_u32 s2, s34, s2
	s_ashr_i32 s5, s11, 31
	s_add_i32 s34, s34, s2
	s_ashr_i32 s2, s12, 31
	s_mul_hi_u32 s4, s3, s34
	s_xor_b32 s5, s2, s5
	s_mul_i32 s6, s4, s10
	s_load_b256 s[44:51], s[0:1], 0x2c
	s_sub_i32 s2, s3, s6
	s_add_i32 s3, s4, 1
	s_sub_i32 s6, s2, s10
	s_cmp_ge_u32 s2, s10
	s_mov_b32 s35, 0
	s_cselect_b32 s3, s3, s4
	s_cselect_b32 s2, s6, s2
	s_add_i32 s4, s3, 1
	s_cmp_ge_u32 s2, s10
	s_waitcnt lgkmcnt(0)
	s_mul_i32 s34, s58, s38
	s_cselect_b32 s4, s4, s3
	s_lshl_b64 s[2:3], s[34:35], 1
	s_xor_b32 s4, s4, s5
	s_mul_i32 s34, s39, s12
	s_sub_i32 s6, s4, s5
	s_add_u32 s4, s24, s2
	s_addc_u32 s5, s25, s3
	s_lshl_b64 s[2:3], s[34:35], 1
	s_mul_i32 s34, s58, s40
	s_add_u32 s47, s4, s2
	s_addc_u32 s51, s5, s3
	s_lshl_b64 s[2:3], s[34:35], 1
	s_mul_i32 s34, s41, s12
	;; [unrolled: 4-line block ×4, first 2 shown]
	s_add_u32 s62, s16, s2
	s_addc_u32 s63, s17, s3
	s_load_b64 s[2:3], s[0:1], 0x7c
	s_lshl_b64 s[4:5], s[34:35], 1
	s_mul_i32 s34, s6, s49
	s_add_u32 s7, s18, s4
	s_addc_u32 s8, s19, s5
	s_load_b128 s[16:19], s[0:1], 0x6c
	s_lshl_b64 s[4:5], s[34:35], 1
	s_mul_i32 s34, s58, s50
	s_add_u32 s46, s7, s4
	v_dual_mov_b32 v13, 0 :: v_dual_lshlrev_b32 v10, 3, v0
	s_addc_u32 s49, s8, s5
	s_lshl_b64 s[4:5], s[34:35], 1
	s_mul_i32 s34, s6, s37
	s_add_u32 s7, s20, s4
	s_addc_u32 s6, s21, s5
	s_lshl_b64 s[4:5], s[34:35], 1
	v_mbcnt_lo_u32_b32 v1, -1, 0
	v_and_b32_e32 v2, 0x100, v10
	s_add_u32 s50, s7, s4
	s_waitcnt lgkmcnt(0)
	s_mul_i32 s34, s14, s2
	s_addc_u32 s64, s6, s5
	s_lshl_b64 s[4:5], s[34:35], 1
	s_load_b32 s37, s[0:1], 0x84
	s_add_u32 s4, s52, s4
	s_clause 0x1
	s_load_b32 s52, s[0:1], 0xc
	s_load_b32 s0, s[0:1], 0x28
	v_or_b32_e32 v11, v1, v2
	s_mul_i32 s34, s3, s12
	s_addc_u32 s5, s53, s5
	s_lshl_b64 s[2:3], s[34:35], 1
	v_and_b32_e32 v6, 32, v0
	v_or_b32_e32 v12, 0x60, v11
	v_or_b32_e32 v17, 0xa0, v11
	;; [unrolled: 1-line block ×3, first 2 shown]
	s_add_u32 s53, s4, s2
	v_or_b32_e32 v15, 64, v11
	v_lshrrev_b32_e32 v3, 5, v12
	v_or_b32_e32 v16, 0x80, v11
	v_or_b32_e32 v18, 0xc0, v11
	v_lshrrev_b32_e32 v7, 5, v17
	v_lshrrev_b32_e32 v24, 5, v19
	v_and_b32_e32 v3, 10, v3
	s_addc_u32 s65, s5, s3
	s_add_i32 s1, s29, 0x7ff
	v_lshrrev_b32_e32 v4, 5, v2
	s_lshr_b32 s66, s1, 11
	s_waitcnt lgkmcnt(0)
	s_bitcmp1_b32 s0, 0
	v_lshrrev_b32_e32 v5, 5, v15
	v_add_lshl_u32 v3, v3, v11, 1
	v_lshrrev_b32_e32 v8, 5, v16
	v_or_b32_e32 v9, v1, v6
	v_and_b32_e32 v7, 12, v7
	v_lshrrev_b32_e32 v23, 5, v18
	v_and_b32_e32 v26, 14, v24
	s_cselect_b32 s67, -1, 0
	s_cmp_gt_i32 s52, 0
	v_add_lshl_u32 v4, v4, v11, 1
	s_cselect_b32 s68, -1, 0
	s_add_i32 s0, 0, 0x420
	v_add_lshl_u32 v5, v5, v11, 1
	v_add_nc_u32_e32 v22, 0, v3
	v_add_lshl_u32 v8, v8, v11, 1
	v_lshrrev_b32_e32 v25, 2, v9
	v_add_lshl_u32 v7, v7, v11, 1
	v_add_lshl_u32 v33, v23, v11, 1
	;; [unrolled: 1-line block ×3, first 2 shown]
	v_add_nc_u32_e32 v30, s0, v3
	v_and_b32_e32 v3, 15, v1
	s_and_b32 s1, s29, 0x1ff
	v_and_b32_e32 v27, 14, v25
	v_add_nc_u32_e32 v25, 0, v33
	v_add_nc_u32_e32 v26, 0, v34
	;; [unrolled: 1-line block ×7, first 2 shown]
	s_cmp_eq_u32 s1, 0
	v_add_nc_u32_e32 v34, s0, v34
	v_cmp_ne_u32_e64 s0, 0, v3
	v_cmp_lt_u32_e64 s1, 1, v3
	v_cmp_lt_u32_e64 s2, 3, v3
	;; [unrolled: 1-line block ×3, first 2 shown]
	v_add_nc_u32_e32 v3, -1, v1
	v_add_nc_u32_e32 v20, 0, v4
	v_lshrrev_b32_e32 v4, 2, v0
	s_mul_i32 s34, s58, s16
	v_or_b32_e32 v6, 31, v6
	v_cmp_gt_i32_e32 vcc_lo, 0, v3
	s_cselect_b32 s69, -1, 0
	s_lshl_b64 s[14:15], s[34:35], 1
	v_and_b32_e32 v4, 8, v4
	s_add_i32 s70, s66, -1
	v_cndmask_b32_e32 v3, v3, v1, vcc_lo
	s_mul_i32 s34, s17, s12
	s_add_u32 s13, s30, s14
	s_addc_u32 s16, s31, s15
	s_lshl_b64 s[14:15], s[34:35], 1
	v_cmp_eq_u32_e64 s5, v6, v0
	v_cmp_gt_u32_e64 s6, 2, v0
	v_cmp_gt_u32_e64 s8, 32, v0
	v_cmp_lt_u32_e64 s9, 31, v0
	v_cmp_eq_u32_e64 s10, 0, v0
	s_mul_i32 s34, s58, s42
	v_lshlrev_b32_e32 v0, 1, v1
	s_add_u32 s13, s13, s14
	v_add_nc_u32_e32 v35, 0, v4
	v_and_b32_e32 v4, 1, v1
	s_addc_u32 s16, s16, s15
	s_lshl_b64 s[14:15], s[34:35], 1
	v_add_nc_u32_e32 v21, 0, v5
	v_and_b32_e32 v5, 16, v1
	s_mul_i32 s34, s43, s12
	s_add_u32 s17, s54, s14
	v_lshlrev_b32_e32 v37, 2, v3
	s_addc_u32 s20, s55, s15
	s_lshl_b64 s[14:15], s[34:35], 1
	v_add_co_u32 v3, s13, s13, v0
	s_mul_i32 s34, s58, s18
	v_cmp_eq_u32_e64 s7, 0, v4
	v_add_co_ci_u32_e64 v4, null, s16, 0, s13
	s_add_u32 s16, s17, s14
	v_cmp_ne_u32_e64 s4, 0, v5
	s_addc_u32 s17, s20, s15
	s_lshl_b64 s[14:15], s[34:35], 1
	v_lshlrev_b32_e32 v5, 1, v2
	s_mul_i32 s34, s19, s12
	s_add_u32 s14, s56, s14
	s_addc_u32 s15, s57, s15
	s_lshl_b64 s[12:13], s[34:35], 1
	v_add_co_u32 v38, vcc_lo, v3, v5
	s_add_u32 s12, s14, s12
	v_add_co_u32 v3, s14, s16, v0
	v_add_co_ci_u32_e32 v39, vcc_lo, 0, v4, vcc_lo
	v_add_co_ci_u32_e64 v4, null, s17, 0, s14
	s_addc_u32 s13, s15, s13
	v_add_co_u32 v0, s12, s12, v0
	v_lshl_add_u32 v9, v9, 3, v27
	v_add_co_ci_u32_e64 v6, null, s13, 0, s12
	v_add_co_u32 v40, vcc_lo, v3, v5
	v_add_co_ci_u32_e32 v41, vcc_lo, 0, v4, vcc_lo
	v_add_co_u32 v42, vcc_lo, v0, v5
	v_or_b32_e32 v14, 32, v11
	v_add_nc_u32_e32 v23, 0, v8
	v_add_nc_u32_e32 v24, 0, v7
	v_lshl_add_u32 v27, v9, 1, 0
	v_add_nc_u32_e32 v36, 0, v10
	v_cmp_eq_u32_e64 s11, 0, v1
	v_add_co_ci_u32_e32 v43, vcc_lo, 0, v6, vcc_lo
	v_or_b32_e32 v44, 1, v10
	v_or_b32_e32 v45, 2, v10
	;; [unrolled: 1-line block ×7, first 2 shown]
	v_lshlrev_b32_e32 v51, 1, v1
	v_lshlrev_b32_e32 v52, 1, v2
	s_mov_b32 s54, 0x3e9b6dac
	s_add_i32 s55, 0, 0x850
	s_mov_b32 s56, 0xbfb8aa3b
	s_mov_b32 s57, 0xb2a5705f
	;; [unrolled: 1-line block ×3, first 2 shown]
	s_branch .LBB72_12
.LBB72_11:                              ;   in Loop: Header=BB72_12 Depth=1
	s_or_b32 exec_lo, exec_lo, s12
	s_add_u32 s59, s59, 0x400
	s_addc_u32 s44, s44, 0
	s_add_u32 s47, s47, 0x400
	s_addc_u32 s51, s51, 0
	s_add_u32 s46, s46, 0x400
	s_addc_u32 s49, s49, 0
	s_add_u32 s50, s50, 0x400
	s_addc_u32 s64, s64, 0
	s_add_i32 s58, s58, 1
	s_delay_alu instid0(SALU_CYCLE_1)
	s_cmp_lg_u32 s58, s66
	s_cbranch_scc0 .LBB72_172
.LBB72_12:                              ; =>This Loop Header: Depth=1
                                        ;     Child Loop BB72_61 Depth 2
	v_add_co_u32 v0, s12, s47, v51
	s_delay_alu instid0(VALU_DEP_1) | instskip(SKIP_1) | instid1(VALU_DEP_2)
	v_add_co_ci_u32_e64 v1, null, s51, 0, s12
	s_lshl_b32 s30, s58, 9
	v_add_co_u32 v0, vcc_lo, v0, v52
	s_sub_i32 s23, s29, s30
	s_delay_alu instid0(VALU_DEP_2)
	v_add_co_ci_u32_e32 v1, vcc_lo, 0, v1, vcc_lo
	v_cmp_gt_u32_e64 s12, s23, v11
	s_waitcnt lgkmcnt(0)
	v_mov_b32_e32 v2, 0
	s_waitcnt_vscnt null, 0x0
	s_barrier
	buffer_gl0_inv
	s_and_saveexec_b32 s13, s12
	s_cbranch_execz .LBB72_14
; %bb.13:                               ;   in Loop: Header=BB72_12 Depth=1
	global_load_u16 v2, v[0:1], off
.LBB72_14:                              ;   in Loop: Header=BB72_12 Depth=1
	s_or_b32 exec_lo, exec_lo, s13
	v_cmp_gt_u32_e64 s13, s23, v14
	v_dual_mov_b32 v3, 0 :: v_dual_mov_b32 v4, 0
	s_delay_alu instid0(VALU_DEP_2)
	s_and_saveexec_b32 s14, s13
	s_cbranch_execz .LBB72_16
; %bb.15:                               ;   in Loop: Header=BB72_12 Depth=1
	global_load_u16 v4, v[0:1], off offset:64
.LBB72_16:                              ;   in Loop: Header=BB72_12 Depth=1
	s_or_b32 exec_lo, exec_lo, s14
	v_cmp_gt_u32_e64 s14, s23, v15
	s_delay_alu instid0(VALU_DEP_1)
	s_and_saveexec_b32 s15, s14
	s_cbranch_execz .LBB72_18
; %bb.17:                               ;   in Loop: Header=BB72_12 Depth=1
	global_load_u16 v3, v[0:1], off offset:128
.LBB72_18:                              ;   in Loop: Header=BB72_12 Depth=1
	s_or_b32 exec_lo, exec_lo, s15
	v_cmp_gt_u32_e64 s15, s23, v12
	v_mov_b32_e32 v5, 0
	v_mov_b32_e32 v7, 0
	s_delay_alu instid0(VALU_DEP_3)
	s_and_saveexec_b32 s16, s15
	s_cbranch_execz .LBB72_20
; %bb.19:                               ;   in Loop: Header=BB72_12 Depth=1
	global_load_u16 v7, v[0:1], off offset:192
.LBB72_20:                              ;   in Loop: Header=BB72_12 Depth=1
	s_or_b32 exec_lo, exec_lo, s16
	v_cmp_gt_u32_e64 s16, s23, v16
	s_delay_alu instid0(VALU_DEP_1)
	s_and_saveexec_b32 s17, s16
	s_cbranch_execz .LBB72_22
; %bb.21:                               ;   in Loop: Header=BB72_12 Depth=1
	global_load_u16 v5, v[0:1], off offset:256
.LBB72_22:                              ;   in Loop: Header=BB72_12 Depth=1
	s_or_b32 exec_lo, exec_lo, s17
	v_cmp_gt_u32_e64 s17, s23, v17
	v_dual_mov_b32 v8, 0 :: v_dual_mov_b32 v9, 0
	s_delay_alu instid0(VALU_DEP_2)
	s_and_saveexec_b32 s18, s17
	s_cbranch_execz .LBB72_24
; %bb.23:                               ;   in Loop: Header=BB72_12 Depth=1
	global_load_u16 v9, v[0:1], off offset:320
.LBB72_24:                              ;   in Loop: Header=BB72_12 Depth=1
	s_or_b32 exec_lo, exec_lo, s18
	v_cmp_gt_u32_e64 s18, s23, v18
	s_delay_alu instid0(VALU_DEP_1)
	s_and_saveexec_b32 s19, s18
	s_cbranch_execz .LBB72_26
; %bb.25:                               ;   in Loop: Header=BB72_12 Depth=1
	global_load_u16 v8, v[0:1], off offset:384
.LBB72_26:                              ;   in Loop: Header=BB72_12 Depth=1
	s_or_b32 exec_lo, exec_lo, s19
	v_cmp_gt_u32_e64 s19, s23, v19
	v_dual_mov_b32 v6, 0 :: v_dual_mov_b32 v53, 0
	s_delay_alu instid0(VALU_DEP_2)
	s_and_saveexec_b32 s20, s19
	s_cbranch_execz .LBB72_28
; %bb.27:                               ;   in Loop: Header=BB72_12 Depth=1
	global_load_u16 v53, v[0:1], off offset:448
.LBB72_28:                              ;   in Loop: Header=BB72_12 Depth=1
	s_or_b32 exec_lo, exec_lo, s20
	s_waitcnt vmcnt(0)
	ds_store_b16 v20, v2
	ds_store_b16 v20, v4 offset:64
	ds_store_b16 v21, v3 offset:128
	;; [unrolled: 1-line block ×7, first 2 shown]
	; wave barrier
	ds_load_b128 v[0:3], v27
	v_add_co_u32 v4, s20, s59, v51
	s_delay_alu instid0(VALU_DEP_1) | instskip(SKIP_1) | instid1(VALU_DEP_2)
	v_add_co_ci_u32_e64 v5, null, s44, 0, s20
	s_waitcnt lgkmcnt(0)
	v_add_co_u32 v4, vcc_lo, v4, v52
	s_delay_alu instid0(VALU_DEP_2)
	v_add_co_ci_u32_e32 v5, vcc_lo, 0, v5, vcc_lo
	s_barrier
	buffer_gl0_inv
	s_and_saveexec_b32 s20, s12
	s_cbranch_execz .LBB72_30
; %bb.29:                               ;   in Loop: Header=BB72_12 Depth=1
	global_load_u16 v6, v[4:5], off
.LBB72_30:                              ;   in Loop: Header=BB72_12 Depth=1
	s_or_b32 exec_lo, exec_lo, s20
	v_dual_mov_b32 v7, 0 :: v_dual_mov_b32 v8, 0
	s_and_saveexec_b32 s20, s13
	s_cbranch_execz .LBB72_32
; %bb.31:                               ;   in Loop: Header=BB72_12 Depth=1
	global_load_u16 v8, v[4:5], off offset:64
.LBB72_32:                              ;   in Loop: Header=BB72_12 Depth=1
	s_or_b32 exec_lo, exec_lo, s20
	s_and_saveexec_b32 s20, s14
	s_cbranch_execz .LBB72_34
; %bb.33:                               ;   in Loop: Header=BB72_12 Depth=1
	global_load_u16 v7, v[4:5], off offset:128
.LBB72_34:                              ;   in Loop: Header=BB72_12 Depth=1
	s_or_b32 exec_lo, exec_lo, s20
	v_mov_b32_e32 v9, 0
	v_mov_b32_e32 v53, 0
	s_and_saveexec_b32 s20, s15
	s_cbranch_execz .LBB72_36
; %bb.35:                               ;   in Loop: Header=BB72_12 Depth=1
	global_load_u16 v53, v[4:5], off offset:192
.LBB72_36:                              ;   in Loop: Header=BB72_12 Depth=1
	s_or_b32 exec_lo, exec_lo, s20
	s_and_saveexec_b32 s20, s16
	s_cbranch_execz .LBB72_38
; %bb.37:                               ;   in Loop: Header=BB72_12 Depth=1
	global_load_u16 v9, v[4:5], off offset:256
.LBB72_38:                              ;   in Loop: Header=BB72_12 Depth=1
	s_or_b32 exec_lo, exec_lo, s20
	v_dual_mov_b32 v54, 0 :: v_dual_mov_b32 v55, 0
	s_and_saveexec_b32 s20, s17
	s_cbranch_execnz .LBB72_155
; %bb.39:                               ;   in Loop: Header=BB72_12 Depth=1
	s_or_b32 exec_lo, exec_lo, s20
	s_and_saveexec_b32 s20, s18
	s_cbranch_execnz .LBB72_156
.LBB72_40:                              ;   in Loop: Header=BB72_12 Depth=1
	s_or_b32 exec_lo, exec_lo, s20
	v_mov_b32_e32 v56, 0
	s_and_saveexec_b32 s20, s19
	s_cbranch_execz .LBB72_42
.LBB72_41:                              ;   in Loop: Header=BB72_12 Depth=1
	global_load_u16 v56, v[4:5], off offset:448
.LBB72_42:                              ;   in Loop: Header=BB72_12 Depth=1
	s_or_b32 exec_lo, exec_lo, s20
	s_waitcnt vmcnt(0)
	ds_store_b16 v20, v6
	ds_store_b16 v20, v8 offset:64
	ds_store_b16 v21, v7 offset:128
	;; [unrolled: 1-line block ×7, first 2 shown]
	; wave barrier
	ds_load_b128 v[4:7], v27
	s_waitcnt lgkmcnt(0)
	v_cvt_f32_f16_e32 v8, v4
	s_delay_alu instid0(VALU_DEP_1) | instskip(NEXT) | instid1(VALU_DEP_1)
	v_add_f32_e32 v53, s60, v8
	v_cmp_ge_f32_e32 vcc_lo, 0x41a00000, v53
	s_and_b32 s20, s67, vcc_lo
	s_delay_alu instid0(SALU_CYCLE_1)
	s_and_saveexec_b32 s21, s20
	s_cbranch_execz .LBB72_44
; %bb.43:                               ;   in Loop: Header=BB72_12 Depth=1
	v_mul_f32_e32 v8, 0x3fb8aa3b, v53
	v_cmp_ngt_f32_e32 vcc_lo, 0xc2ce8ed0, v53
	s_delay_alu instid0(VALU_DEP_2) | instskip(SKIP_1) | instid1(VALU_DEP_2)
	v_rndne_f32_e32 v9, v8
	v_fma_f32 v54, 0x3fb8aa3b, v53, -v8
	v_sub_f32_e32 v8, v8, v9
	s_delay_alu instid0(VALU_DEP_2) | instskip(SKIP_1) | instid1(VALU_DEP_2)
	v_fmac_f32_e32 v54, 0x32a5705f, v53
	v_cvt_i32_f32_e32 v9, v9
	v_add_f32_e32 v8, v8, v54
	s_delay_alu instid0(VALU_DEP_1) | instskip(SKIP_2) | instid1(VALU_DEP_1)
	v_exp_f32_e32 v8, v8
	s_waitcnt_depctr 0xfff
	v_ldexp_f32 v8, v8, v9
	v_cndmask_b32_e32 v8, 0, v8, vcc_lo
	v_cmp_nlt_f32_e32 vcc_lo, 0x42b17218, v53
	s_delay_alu instid0(VALU_DEP_2) | instskip(NEXT) | instid1(VALU_DEP_1)
	v_cndmask_b32_e32 v53, 0x7f800000, v8, vcc_lo
	v_add_f32_e32 v54, 1.0, v53
	s_delay_alu instid0(VALU_DEP_1) | instskip(NEXT) | instid1(VALU_DEP_1)
	v_cvt_f64_f32_e32 v[8:9], v54
	v_frexp_exp_i32_f64_e32 v8, v[8:9]
	v_frexp_mant_f32_e32 v9, v54
	s_delay_alu instid0(VALU_DEP_1) | instskip(SKIP_1) | instid1(VALU_DEP_1)
	v_cmp_gt_f32_e32 vcc_lo, 0x3f2aaaab, v9
	v_add_f32_e32 v9, -1.0, v54
	v_sub_f32_e32 v56, v9, v54
	v_sub_f32_e32 v9, v53, v9
	v_cmp_gt_f32_e64 s20, 0x33800000, v53
	s_delay_alu instid0(VALU_DEP_3) | instskip(NEXT) | instid1(VALU_DEP_1)
	v_add_f32_e32 v56, 1.0, v56
	v_add_f32_e32 v9, v9, v56
	v_subrev_co_ci_u32_e32 v8, vcc_lo, 0, v8, vcc_lo
	v_cmp_eq_f32_e32 vcc_lo, 0x7f800000, v53
	s_delay_alu instid0(VALU_DEP_2) | instskip(SKIP_2) | instid1(VALU_DEP_2)
	v_sub_nc_u32_e32 v55, 0, v8
	v_cvt_f32_i32_e32 v8, v8
	s_or_b32 vcc_lo, s20, vcc_lo
	v_ldexp_f32 v54, v54, v55
	v_ldexp_f32 v9, v9, v55
	s_delay_alu instid0(VALU_DEP_2) | instskip(NEXT) | instid1(VALU_DEP_1)
	v_add_f32_e32 v57, 1.0, v54
	v_dual_add_f32 v55, -1.0, v54 :: v_dual_add_f32 v56, -1.0, v57
	s_delay_alu instid0(VALU_DEP_1) | instskip(NEXT) | instid1(VALU_DEP_2)
	v_add_f32_e32 v58, 1.0, v55
	v_sub_f32_e32 v56, v54, v56
	s_delay_alu instid0(VALU_DEP_2) | instskip(NEXT) | instid1(VALU_DEP_2)
	v_sub_f32_e32 v54, v54, v58
	v_add_f32_e32 v56, v9, v56
	s_delay_alu instid0(VALU_DEP_2) | instskip(NEXT) | instid1(VALU_DEP_1)
	v_add_f32_e32 v9, v9, v54
	v_dual_add_f32 v59, v55, v9 :: v_dual_add_f32 v58, v57, v56
	s_delay_alu instid0(VALU_DEP_1) | instskip(NEXT) | instid1(VALU_DEP_2)
	v_sub_f32_e32 v55, v55, v59
	v_rcp_f32_e32 v54, v58
	v_sub_f32_e32 v57, v57, v58
	s_delay_alu instid0(VALU_DEP_1) | instskip(SKIP_2) | instid1(VALU_DEP_1)
	v_dual_add_f32 v9, v9, v55 :: v_dual_add_f32 v56, v56, v57
	s_waitcnt_depctr 0xfff
	v_mul_f32_e32 v60, v59, v54
	v_mul_f32_e32 v61, v58, v60
	s_delay_alu instid0(VALU_DEP_1) | instskip(NEXT) | instid1(VALU_DEP_1)
	v_fma_f32 v57, v60, v58, -v61
	v_fmac_f32_e32 v57, v60, v56
	s_delay_alu instid0(VALU_DEP_1) | instskip(NEXT) | instid1(VALU_DEP_1)
	v_add_f32_e32 v62, v61, v57
	v_sub_f32_e32 v63, v59, v62
	s_delay_alu instid0(VALU_DEP_1) | instskip(NEXT) | instid1(VALU_DEP_1)
	v_sub_f32_e32 v59, v59, v63
	v_sub_f32_e32 v59, v59, v62
	;; [unrolled: 1-line block ×3, first 2 shown]
	s_delay_alu instid0(VALU_DEP_2) | instskip(NEXT) | instid1(VALU_DEP_2)
	v_add_f32_e32 v9, v9, v59
	v_sub_f32_e32 v55, v55, v57
	s_delay_alu instid0(VALU_DEP_1) | instskip(NEXT) | instid1(VALU_DEP_1)
	v_add_f32_e32 v9, v55, v9
	v_add_f32_e32 v55, v63, v9
	s_delay_alu instid0(VALU_DEP_1) | instskip(NEXT) | instid1(VALU_DEP_1)
	v_mul_f32_e32 v57, v54, v55
	v_dual_sub_f32 v62, v63, v55 :: v_dual_mul_f32 v59, v58, v57
	s_delay_alu instid0(VALU_DEP_1) | instskip(NEXT) | instid1(VALU_DEP_2)
	v_add_f32_e32 v9, v9, v62
	v_fma_f32 v58, v57, v58, -v59
	s_delay_alu instid0(VALU_DEP_1) | instskip(NEXT) | instid1(VALU_DEP_1)
	v_fmac_f32_e32 v58, v57, v56
	v_add_f32_e32 v56, v59, v58
	s_delay_alu instid0(VALU_DEP_1) | instskip(NEXT) | instid1(VALU_DEP_1)
	v_sub_f32_e32 v61, v55, v56
	v_sub_f32_e32 v55, v55, v61
	s_delay_alu instid0(VALU_DEP_1) | instskip(NEXT) | instid1(VALU_DEP_1)
	v_sub_f32_e32 v55, v55, v56
	v_add_f32_e32 v9, v9, v55
	v_add_f32_e32 v55, v60, v57
	v_sub_f32_e32 v59, v56, v59
	s_delay_alu instid0(VALU_DEP_1) | instskip(NEXT) | instid1(VALU_DEP_1)
	v_sub_f32_e32 v56, v59, v58
	v_dual_add_f32 v9, v56, v9 :: v_dual_sub_f32 v56, v55, v60
	s_delay_alu instid0(VALU_DEP_1) | instskip(NEXT) | instid1(VALU_DEP_1)
	v_add_f32_e32 v9, v61, v9
	v_dual_sub_f32 v56, v57, v56 :: v_dual_mul_f32 v9, v54, v9
	s_delay_alu instid0(VALU_DEP_1) | instskip(NEXT) | instid1(VALU_DEP_1)
	v_add_f32_e32 v9, v56, v9
	v_add_f32_e32 v54, v55, v9
	s_delay_alu instid0(VALU_DEP_1) | instskip(NEXT) | instid1(VALU_DEP_1)
	v_mul_f32_e32 v56, v54, v54
	v_fmaak_f32 v57, s54, v56, 0x3ecc95a3
	v_mul_f32_e32 v58, v54, v56
	s_delay_alu instid0(VALU_DEP_2) | instskip(SKIP_2) | instid1(VALU_DEP_3)
	v_fmaak_f32 v56, v56, v57, 0x3f2aaada
	v_ldexp_f32 v57, v54, 1
	v_sub_f32_e32 v54, v54, v55
	v_mul_f32_e32 v56, v58, v56
	v_mul_f32_e32 v58, 0x3f317218, v8
	s_delay_alu instid0(VALU_DEP_2) | instskip(NEXT) | instid1(VALU_DEP_1)
	v_add_f32_e32 v55, v57, v56
	v_dual_sub_f32 v9, v9, v54 :: v_dual_sub_f32 v54, v55, v57
	s_delay_alu instid0(VALU_DEP_3) | instskip(NEXT) | instid1(VALU_DEP_2)
	v_fma_f32 v57, 0x3f317218, v8, -v58
	v_ldexp_f32 v9, v9, 1
	s_delay_alu instid0(VALU_DEP_2) | instskip(NEXT) | instid1(VALU_DEP_1)
	v_dual_sub_f32 v54, v56, v54 :: v_dual_fmac_f32 v57, 0xb102e308, v8
	v_dual_add_f32 v8, v9, v54 :: v_dual_add_f32 v9, v58, v57
	s_delay_alu instid0(VALU_DEP_1) | instskip(NEXT) | instid1(VALU_DEP_1)
	v_add_f32_e32 v54, v55, v8
	v_add_f32_e32 v56, v9, v54
	s_delay_alu instid0(VALU_DEP_1) | instskip(NEXT) | instid1(VALU_DEP_1)
	v_sub_f32_e32 v59, v56, v9
	v_sub_f32_e32 v60, v56, v59
	;; [unrolled: 1-line block ×4, first 2 shown]
	s_delay_alu instid0(VALU_DEP_2) | instskip(SKIP_1) | instid1(VALU_DEP_1)
	v_sub_f32_e32 v8, v8, v55
	v_sub_f32_e32 v58, v9, v58
	;; [unrolled: 1-line block ×3, first 2 shown]
	s_delay_alu instid0(VALU_DEP_1) | instskip(SKIP_1) | instid1(VALU_DEP_1)
	v_add_f32_e32 v55, v57, v8
	v_sub_f32_e32 v9, v9, v60
	v_add_f32_e32 v9, v54, v9
	s_delay_alu instid0(VALU_DEP_3) | instskip(NEXT) | instid1(VALU_DEP_1)
	v_sub_f32_e32 v54, v55, v57
	v_dual_sub_f32 v8, v8, v54 :: v_dual_add_f32 v9, v55, v9
	s_delay_alu instid0(VALU_DEP_1) | instskip(NEXT) | instid1(VALU_DEP_1)
	v_dual_sub_f32 v55, v55, v54 :: v_dual_add_f32 v58, v56, v9
	v_dual_sub_f32 v55, v57, v55 :: v_dual_sub_f32 v54, v58, v56
	s_delay_alu instid0(VALU_DEP_1) | instskip(NEXT) | instid1(VALU_DEP_1)
	v_dual_add_f32 v8, v8, v55 :: v_dual_sub_f32 v9, v9, v54
	v_add_f32_e32 v8, v8, v9
	s_delay_alu instid0(VALU_DEP_1) | instskip(NEXT) | instid1(VALU_DEP_1)
	v_add_f32_e32 v8, v58, v8
	v_cndmask_b32_e32 v53, v8, v53, vcc_lo
.LBB72_44:                              ;   in Loop: Header=BB72_12 Depth=1
	s_or_b32 exec_lo, exec_lo, s21
	v_lshrrev_b32_e32 v4, 16, v4
	s_delay_alu instid0(VALU_DEP_1) | instskip(NEXT) | instid1(VALU_DEP_1)
	v_cvt_f32_f16_e32 v4, v4
	v_add_f32_e32 v54, s60, v4
	s_delay_alu instid0(VALU_DEP_1) | instskip(SKIP_1) | instid1(SALU_CYCLE_1)
	v_cmp_ge_f32_e32 vcc_lo, 0x41a00000, v54
	s_and_b32 s20, s67, vcc_lo
	s_and_saveexec_b32 s21, s20
	s_cbranch_execz .LBB72_46
; %bb.45:                               ;   in Loop: Header=BB72_12 Depth=1
	v_mul_f32_e32 v4, 0x3fb8aa3b, v54
	v_cmp_ngt_f32_e32 vcc_lo, 0xc2ce8ed0, v54
	s_delay_alu instid0(VALU_DEP_2) | instskip(SKIP_1) | instid1(VALU_DEP_1)
	v_rndne_f32_e32 v8, v4
	v_fma_f32 v9, 0x3fb8aa3b, v54, -v4
	v_dual_sub_f32 v4, v4, v8 :: v_dual_fmac_f32 v9, 0x32a5705f, v54
	v_cvt_i32_f32_e32 v8, v8
	s_delay_alu instid0(VALU_DEP_2) | instskip(NEXT) | instid1(VALU_DEP_1)
	v_add_f32_e32 v4, v4, v9
	v_exp_f32_e32 v4, v4
	s_waitcnt_depctr 0xfff
	v_ldexp_f32 v4, v4, v8
	s_delay_alu instid0(VALU_DEP_1) | instskip(SKIP_1) | instid1(VALU_DEP_2)
	v_cndmask_b32_e32 v4, 0, v4, vcc_lo
	v_cmp_nlt_f32_e32 vcc_lo, 0x42b17218, v54
	v_cndmask_b32_e32 v4, 0x7f800000, v4, vcc_lo
	s_delay_alu instid0(VALU_DEP_1) | instskip(NEXT) | instid1(VALU_DEP_1)
	v_add_f32_e32 v54, 1.0, v4
	v_cvt_f64_f32_e32 v[8:9], v54
	s_delay_alu instid0(VALU_DEP_1) | instskip(SKIP_1) | instid1(VALU_DEP_1)
	v_frexp_exp_i32_f64_e32 v8, v[8:9]
	v_frexp_mant_f32_e32 v9, v54
	v_cmp_gt_f32_e32 vcc_lo, 0x3f2aaaab, v9
	v_add_f32_e32 v9, -1.0, v54
	s_delay_alu instid0(VALU_DEP_1) | instskip(NEXT) | instid1(VALU_DEP_1)
	v_dual_sub_f32 v56, v9, v54 :: v_dual_sub_f32 v9, v4, v9
	v_add_f32_e32 v56, 1.0, v56
	s_delay_alu instid0(VALU_DEP_1) | instskip(SKIP_1) | instid1(VALU_DEP_1)
	v_add_f32_e32 v9, v9, v56
	v_subrev_co_ci_u32_e32 v8, vcc_lo, 0, v8, vcc_lo
	v_sub_nc_u32_e32 v55, 0, v8
	v_cvt_f32_i32_e32 v8, v8
	s_delay_alu instid0(VALU_DEP_2) | instskip(SKIP_1) | instid1(VALU_DEP_2)
	v_ldexp_f32 v54, v54, v55
	v_ldexp_f32 v9, v9, v55
	v_add_f32_e32 v57, 1.0, v54
	v_add_f32_e32 v55, -1.0, v54
	v_cmp_eq_f32_e32 vcc_lo, 0x7f800000, v4
	v_cmp_gt_f32_e64 s20, 0x33800000, v4
	s_delay_alu instid0(VALU_DEP_4) | instskip(NEXT) | instid1(VALU_DEP_4)
	v_add_f32_e32 v56, -1.0, v57
	v_add_f32_e32 v58, 1.0, v55
	s_delay_alu instid0(VALU_DEP_3) | instskip(NEXT) | instid1(VALU_DEP_2)
	s_or_b32 vcc_lo, s20, vcc_lo
	v_sub_f32_e32 v56, v54, v56
	s_delay_alu instid0(VALU_DEP_2) | instskip(NEXT) | instid1(VALU_DEP_2)
	v_sub_f32_e32 v54, v54, v58
	v_add_f32_e32 v56, v9, v56
	s_delay_alu instid0(VALU_DEP_2) | instskip(NEXT) | instid1(VALU_DEP_1)
	v_add_f32_e32 v9, v9, v54
	v_add_f32_e32 v59, v55, v9
	s_delay_alu instid0(VALU_DEP_1) | instskip(NEXT) | instid1(VALU_DEP_1)
	v_dual_sub_f32 v55, v55, v59 :: v_dual_add_f32 v58, v57, v56
	v_add_f32_e32 v9, v9, v55
	s_delay_alu instid0(VALU_DEP_2) | instskip(SKIP_1) | instid1(VALU_DEP_1)
	v_rcp_f32_e32 v54, v58
	v_sub_f32_e32 v57, v57, v58
	v_add_f32_e32 v56, v56, v57
	s_waitcnt_depctr 0xfff
	v_mul_f32_e32 v60, v59, v54
	s_delay_alu instid0(VALU_DEP_1) | instskip(NEXT) | instid1(VALU_DEP_1)
	v_mul_f32_e32 v61, v58, v60
	v_fma_f32 v57, v60, v58, -v61
	s_delay_alu instid0(VALU_DEP_1) | instskip(NEXT) | instid1(VALU_DEP_1)
	v_fmac_f32_e32 v57, v60, v56
	v_add_f32_e32 v62, v61, v57
	s_delay_alu instid0(VALU_DEP_1) | instskip(SKIP_1) | instid1(VALU_DEP_2)
	v_sub_f32_e32 v63, v59, v62
	v_sub_f32_e32 v55, v62, v61
	;; [unrolled: 1-line block ×3, first 2 shown]
	s_delay_alu instid0(VALU_DEP_2) | instskip(NEXT) | instid1(VALU_DEP_2)
	v_sub_f32_e32 v55, v55, v57
	v_sub_f32_e32 v59, v59, v62
	s_delay_alu instid0(VALU_DEP_1) | instskip(NEXT) | instid1(VALU_DEP_1)
	v_add_f32_e32 v9, v9, v59
	v_add_f32_e32 v9, v55, v9
	s_delay_alu instid0(VALU_DEP_1) | instskip(NEXT) | instid1(VALU_DEP_1)
	v_add_f32_e32 v55, v63, v9
	v_mul_f32_e32 v57, v54, v55
	s_delay_alu instid0(VALU_DEP_1) | instskip(NEXT) | instid1(VALU_DEP_1)
	v_dual_sub_f32 v62, v63, v55 :: v_dual_mul_f32 v59, v58, v57
	v_add_f32_e32 v9, v9, v62
	s_delay_alu instid0(VALU_DEP_2) | instskip(NEXT) | instid1(VALU_DEP_1)
	v_fma_f32 v58, v57, v58, -v59
	v_fmac_f32_e32 v58, v57, v56
	s_delay_alu instid0(VALU_DEP_1) | instskip(NEXT) | instid1(VALU_DEP_1)
	v_add_f32_e32 v56, v59, v58
	v_sub_f32_e32 v61, v55, v56
	s_delay_alu instid0(VALU_DEP_1) | instskip(NEXT) | instid1(VALU_DEP_1)
	v_sub_f32_e32 v55, v55, v61
	v_sub_f32_e32 v55, v55, v56
	s_delay_alu instid0(VALU_DEP_1) | instskip(SKIP_2) | instid1(VALU_DEP_1)
	v_add_f32_e32 v9, v9, v55
	v_add_f32_e32 v55, v60, v57
	v_sub_f32_e32 v59, v56, v59
	v_sub_f32_e32 v56, v59, v58
	s_delay_alu instid0(VALU_DEP_1) | instskip(NEXT) | instid1(VALU_DEP_1)
	v_dual_add_f32 v9, v56, v9 :: v_dual_sub_f32 v56, v55, v60
	v_add_f32_e32 v9, v61, v9
	s_delay_alu instid0(VALU_DEP_1) | instskip(NEXT) | instid1(VALU_DEP_1)
	v_dual_sub_f32 v56, v57, v56 :: v_dual_mul_f32 v9, v54, v9
	v_add_f32_e32 v9, v56, v9
	s_delay_alu instid0(VALU_DEP_1) | instskip(NEXT) | instid1(VALU_DEP_1)
	v_add_f32_e32 v54, v55, v9
	v_mul_f32_e32 v56, v54, v54
	s_delay_alu instid0(VALU_DEP_1) | instskip(SKIP_1) | instid1(VALU_DEP_2)
	v_fmaak_f32 v57, s54, v56, 0x3ecc95a3
	v_mul_f32_e32 v58, v54, v56
	v_fmaak_f32 v56, v56, v57, 0x3f2aaada
	v_ldexp_f32 v57, v54, 1
	v_sub_f32_e32 v54, v54, v55
	s_delay_alu instid0(VALU_DEP_3) | instskip(SKIP_1) | instid1(VALU_DEP_2)
	v_mul_f32_e32 v56, v58, v56
	v_mul_f32_e32 v58, 0x3f317218, v8
	v_add_f32_e32 v55, v57, v56
	s_delay_alu instid0(VALU_DEP_1) | instskip(NEXT) | instid1(VALU_DEP_3)
	v_dual_sub_f32 v9, v9, v54 :: v_dual_sub_f32 v54, v55, v57
	v_fma_f32 v57, 0x3f317218, v8, -v58
	s_delay_alu instid0(VALU_DEP_2) | instskip(NEXT) | instid1(VALU_DEP_2)
	v_ldexp_f32 v9, v9, 1
	v_dual_sub_f32 v54, v56, v54 :: v_dual_fmac_f32 v57, 0xb102e308, v8
	s_delay_alu instid0(VALU_DEP_1) | instskip(NEXT) | instid1(VALU_DEP_1)
	v_dual_add_f32 v8, v9, v54 :: v_dual_add_f32 v9, v58, v57
	v_add_f32_e32 v54, v55, v8
	s_delay_alu instid0(VALU_DEP_1) | instskip(NEXT) | instid1(VALU_DEP_1)
	v_add_f32_e32 v56, v9, v54
	v_sub_f32_e32 v59, v56, v9
	s_delay_alu instid0(VALU_DEP_1) | instskip(SKIP_2) | instid1(VALU_DEP_2)
	v_sub_f32_e32 v60, v56, v59
	v_sub_f32_e32 v55, v54, v55
	;; [unrolled: 1-line block ×5, first 2 shown]
	s_delay_alu instid0(VALU_DEP_1) | instskip(NEXT) | instid1(VALU_DEP_1)
	v_sub_f32_e32 v57, v57, v58
	v_add_f32_e32 v55, v57, v8
	v_sub_f32_e32 v9, v9, v60
	s_delay_alu instid0(VALU_DEP_1) | instskip(NEXT) | instid1(VALU_DEP_3)
	v_add_f32_e32 v9, v54, v9
	v_sub_f32_e32 v54, v55, v57
	s_delay_alu instid0(VALU_DEP_1) | instskip(NEXT) | instid1(VALU_DEP_1)
	v_dual_sub_f32 v8, v8, v54 :: v_dual_add_f32 v9, v55, v9
	v_dual_sub_f32 v55, v55, v54 :: v_dual_add_f32 v58, v56, v9
	s_delay_alu instid0(VALU_DEP_1) | instskip(NEXT) | instid1(VALU_DEP_1)
	v_dual_sub_f32 v55, v57, v55 :: v_dual_sub_f32 v54, v58, v56
	v_dual_add_f32 v8, v8, v55 :: v_dual_sub_f32 v9, v9, v54
	s_delay_alu instid0(VALU_DEP_1) | instskip(NEXT) | instid1(VALU_DEP_1)
	v_add_f32_e32 v8, v8, v9
	v_add_f32_e32 v8, v58, v8
	s_delay_alu instid0(VALU_DEP_1)
	v_cndmask_b32_e32 v54, v8, v4, vcc_lo
.LBB72_46:                              ;   in Loop: Header=BB72_12 Depth=1
	s_or_b32 exec_lo, exec_lo, s21
	v_cvt_f32_f16_e32 v4, v5
	s_delay_alu instid0(VALU_DEP_1) | instskip(NEXT) | instid1(VALU_DEP_1)
	v_add_f32_e32 v55, s60, v4
	v_cmp_ge_f32_e32 vcc_lo, 0x41a00000, v55
	s_and_b32 s20, s67, vcc_lo
	s_delay_alu instid0(SALU_CYCLE_1)
	s_and_saveexec_b32 s21, s20
	s_cbranch_execz .LBB72_48
; %bb.47:                               ;   in Loop: Header=BB72_12 Depth=1
	v_mul_f32_e32 v4, 0x3fb8aa3b, v55
	v_cmp_ngt_f32_e32 vcc_lo, 0xc2ce8ed0, v55
	s_delay_alu instid0(VALU_DEP_2) | instskip(SKIP_1) | instid1(VALU_DEP_1)
	v_rndne_f32_e32 v8, v4
	v_fma_f32 v9, 0x3fb8aa3b, v55, -v4
	v_dual_sub_f32 v4, v4, v8 :: v_dual_fmac_f32 v9, 0x32a5705f, v55
	v_cvt_i32_f32_e32 v8, v8
	s_delay_alu instid0(VALU_DEP_2) | instskip(NEXT) | instid1(VALU_DEP_1)
	v_add_f32_e32 v4, v4, v9
	v_exp_f32_e32 v4, v4
	s_waitcnt_depctr 0xfff
	v_ldexp_f32 v4, v4, v8
	s_delay_alu instid0(VALU_DEP_1) | instskip(SKIP_1) | instid1(VALU_DEP_2)
	v_cndmask_b32_e32 v4, 0, v4, vcc_lo
	v_cmp_nlt_f32_e32 vcc_lo, 0x42b17218, v55
	v_cndmask_b32_e32 v4, 0x7f800000, v4, vcc_lo
	s_delay_alu instid0(VALU_DEP_1) | instskip(NEXT) | instid1(VALU_DEP_1)
	v_add_f32_e32 v55, 1.0, v4
	v_cvt_f64_f32_e32 v[8:9], v55
	s_delay_alu instid0(VALU_DEP_1) | instskip(SKIP_1) | instid1(VALU_DEP_1)
	v_frexp_exp_i32_f64_e32 v8, v[8:9]
	v_frexp_mant_f32_e32 v9, v55
	v_cmp_gt_f32_e32 vcc_lo, 0x3f2aaaab, v9
	v_add_f32_e32 v9, -1.0, v55
	s_delay_alu instid0(VALU_DEP_1) | instskip(NEXT) | instid1(VALU_DEP_1)
	v_sub_f32_e32 v57, v9, v55
	v_add_f32_e32 v57, 1.0, v57
	v_subrev_co_ci_u32_e32 v8, vcc_lo, 0, v8, vcc_lo
	s_delay_alu instid0(VALU_DEP_1) | instskip(SKIP_1) | instid1(VALU_DEP_2)
	v_sub_nc_u32_e32 v56, 0, v8
	v_cvt_f32_i32_e32 v8, v8
	v_ldexp_f32 v55, v55, v56
	s_delay_alu instid0(VALU_DEP_1) | instskip(NEXT) | instid1(VALU_DEP_1)
	v_dual_sub_f32 v9, v4, v9 :: v_dual_add_f32 v58, 1.0, v55
	v_add_f32_e32 v9, v9, v57
	v_cmp_eq_f32_e32 vcc_lo, 0x7f800000, v4
	v_cmp_gt_f32_e64 s20, 0x33800000, v4
	s_delay_alu instid0(VALU_DEP_4) | instskip(NEXT) | instid1(VALU_DEP_4)
	v_add_f32_e32 v57, -1.0, v58
	v_ldexp_f32 v9, v9, v56
	v_add_f32_e32 v56, -1.0, v55
	s_delay_alu instid0(VALU_DEP_4) | instskip(NEXT) | instid1(VALU_DEP_3)
	s_or_b32 vcc_lo, s20, vcc_lo
	v_sub_f32_e32 v57, v55, v57
	s_delay_alu instid0(VALU_DEP_2) | instskip(NEXT) | instid1(VALU_DEP_2)
	v_add_f32_e32 v59, 1.0, v56
	v_add_f32_e32 v57, v9, v57
	s_delay_alu instid0(VALU_DEP_2) | instskip(NEXT) | instid1(VALU_DEP_1)
	v_sub_f32_e32 v55, v55, v59
	v_add_f32_e32 v9, v9, v55
	s_delay_alu instid0(VALU_DEP_1) | instskip(NEXT) | instid1(VALU_DEP_1)
	v_add_f32_e32 v60, v56, v9
	v_dual_add_f32 v59, v58, v57 :: v_dual_sub_f32 v56, v56, v60
	s_delay_alu instid0(VALU_DEP_1) | instskip(SKIP_1) | instid1(VALU_DEP_1)
	v_rcp_f32_e32 v55, v59
	v_sub_f32_e32 v58, v58, v59
	v_add_f32_e32 v57, v57, v58
	s_waitcnt_depctr 0xfff
	v_mul_f32_e32 v61, v60, v55
	s_delay_alu instid0(VALU_DEP_1) | instskip(NEXT) | instid1(VALU_DEP_1)
	v_mul_f32_e32 v62, v59, v61
	v_fma_f32 v58, v61, v59, -v62
	s_delay_alu instid0(VALU_DEP_1) | instskip(SKIP_1) | instid1(VALU_DEP_2)
	v_fmac_f32_e32 v58, v61, v57
	v_add_f32_e32 v9, v9, v56
	v_add_f32_e32 v63, v62, v58
	s_delay_alu instid0(VALU_DEP_1) | instskip(SKIP_1) | instid1(VALU_DEP_2)
	v_sub_f32_e32 v64, v60, v63
	v_sub_f32_e32 v56, v63, v62
	;; [unrolled: 1-line block ×3, first 2 shown]
	s_delay_alu instid0(VALU_DEP_2) | instskip(NEXT) | instid1(VALU_DEP_2)
	v_sub_f32_e32 v56, v56, v58
	v_sub_f32_e32 v60, v60, v63
	s_delay_alu instid0(VALU_DEP_1) | instskip(NEXT) | instid1(VALU_DEP_1)
	v_add_f32_e32 v9, v9, v60
	v_add_f32_e32 v9, v56, v9
	s_delay_alu instid0(VALU_DEP_1) | instskip(NEXT) | instid1(VALU_DEP_1)
	v_add_f32_e32 v56, v64, v9
	v_mul_f32_e32 v58, v55, v56
	s_delay_alu instid0(VALU_DEP_1) | instskip(NEXT) | instid1(VALU_DEP_1)
	v_dual_sub_f32 v63, v64, v56 :: v_dual_mul_f32 v60, v59, v58
	v_add_f32_e32 v9, v9, v63
	s_delay_alu instid0(VALU_DEP_2) | instskip(NEXT) | instid1(VALU_DEP_1)
	v_fma_f32 v59, v58, v59, -v60
	v_fmac_f32_e32 v59, v58, v57
	s_delay_alu instid0(VALU_DEP_1) | instskip(NEXT) | instid1(VALU_DEP_1)
	v_add_f32_e32 v57, v60, v59
	v_sub_f32_e32 v62, v56, v57
	s_delay_alu instid0(VALU_DEP_1) | instskip(NEXT) | instid1(VALU_DEP_1)
	v_sub_f32_e32 v56, v56, v62
	v_sub_f32_e32 v56, v56, v57
	s_delay_alu instid0(VALU_DEP_1) | instskip(SKIP_2) | instid1(VALU_DEP_1)
	v_add_f32_e32 v9, v9, v56
	v_add_f32_e32 v56, v61, v58
	v_sub_f32_e32 v60, v57, v60
	v_sub_f32_e32 v57, v60, v59
	s_delay_alu instid0(VALU_DEP_1) | instskip(NEXT) | instid1(VALU_DEP_4)
	v_add_f32_e32 v9, v57, v9
	v_sub_f32_e32 v57, v56, v61
	s_delay_alu instid0(VALU_DEP_2) | instskip(NEXT) | instid1(VALU_DEP_2)
	v_add_f32_e32 v9, v62, v9
	v_sub_f32_e32 v57, v58, v57
	s_delay_alu instid0(VALU_DEP_2) | instskip(NEXT) | instid1(VALU_DEP_1)
	v_mul_f32_e32 v9, v55, v9
	v_add_f32_e32 v9, v57, v9
	s_delay_alu instid0(VALU_DEP_1) | instskip(NEXT) | instid1(VALU_DEP_1)
	v_add_f32_e32 v55, v56, v9
	v_mul_f32_e32 v57, v55, v55
	s_delay_alu instid0(VALU_DEP_1) | instskip(SKIP_1) | instid1(VALU_DEP_2)
	v_fmaak_f32 v58, s54, v57, 0x3ecc95a3
	v_mul_f32_e32 v59, v55, v57
	v_fmaak_f32 v57, v57, v58, 0x3f2aaada
	v_ldexp_f32 v58, v55, 1
	v_sub_f32_e32 v55, v55, v56
	s_delay_alu instid0(VALU_DEP_3) | instskip(SKIP_1) | instid1(VALU_DEP_2)
	v_mul_f32_e32 v57, v59, v57
	v_mul_f32_e32 v59, 0x3f317218, v8
	v_dual_sub_f32 v9, v9, v55 :: v_dual_add_f32 v56, v58, v57
	s_delay_alu instid0(VALU_DEP_1) | instskip(NEXT) | instid1(VALU_DEP_2)
	v_ldexp_f32 v9, v9, 1
	v_sub_f32_e32 v55, v56, v58
	s_delay_alu instid0(VALU_DEP_4) | instskip(NEXT) | instid1(VALU_DEP_1)
	v_fma_f32 v58, 0x3f317218, v8, -v59
	v_dual_sub_f32 v55, v57, v55 :: v_dual_fmac_f32 v58, 0xb102e308, v8
	s_delay_alu instid0(VALU_DEP_1) | instskip(NEXT) | instid1(VALU_DEP_1)
	v_dual_add_f32 v8, v9, v55 :: v_dual_add_f32 v9, v59, v58
	v_add_f32_e32 v55, v56, v8
	s_delay_alu instid0(VALU_DEP_2) | instskip(NEXT) | instid1(VALU_DEP_2)
	v_sub_f32_e32 v59, v9, v59
	v_dual_add_f32 v57, v9, v55 :: v_dual_sub_f32 v56, v55, v56
	s_delay_alu instid0(VALU_DEP_2) | instskip(NEXT) | instid1(VALU_DEP_2)
	v_sub_f32_e32 v58, v58, v59
	v_sub_f32_e32 v60, v57, v9
	s_delay_alu instid0(VALU_DEP_3) | instskip(NEXT) | instid1(VALU_DEP_2)
	v_sub_f32_e32 v8, v8, v56
	v_sub_f32_e32 v61, v57, v60
	;; [unrolled: 1-line block ×3, first 2 shown]
	s_delay_alu instid0(VALU_DEP_2) | instskip(NEXT) | instid1(VALU_DEP_1)
	v_dual_add_f32 v56, v58, v8 :: v_dual_sub_f32 v9, v9, v61
	v_add_f32_e32 v9, v55, v9
	s_delay_alu instid0(VALU_DEP_2) | instskip(NEXT) | instid1(VALU_DEP_2)
	v_sub_f32_e32 v55, v56, v58
	v_add_f32_e32 v9, v56, v9
	s_delay_alu instid0(VALU_DEP_2) | instskip(NEXT) | instid1(VALU_DEP_2)
	v_sub_f32_e32 v56, v56, v55
	v_dual_sub_f32 v8, v8, v55 :: v_dual_add_f32 v59, v57, v9
	s_delay_alu instid0(VALU_DEP_1) | instskip(NEXT) | instid1(VALU_DEP_1)
	v_dual_sub_f32 v56, v58, v56 :: v_dual_sub_f32 v55, v59, v57
	v_dual_add_f32 v8, v8, v56 :: v_dual_sub_f32 v9, v9, v55
	s_delay_alu instid0(VALU_DEP_1) | instskip(NEXT) | instid1(VALU_DEP_1)
	v_add_f32_e32 v8, v8, v9
	v_add_f32_e32 v8, v59, v8
	s_delay_alu instid0(VALU_DEP_1)
	v_cndmask_b32_e32 v55, v8, v4, vcc_lo
.LBB72_48:                              ;   in Loop: Header=BB72_12 Depth=1
	s_or_b32 exec_lo, exec_lo, s21
	v_lshrrev_b32_e32 v4, 16, v5
	s_delay_alu instid0(VALU_DEP_1) | instskip(NEXT) | instid1(VALU_DEP_1)
	v_cvt_f32_f16_e32 v4, v4
	v_add_f32_e32 v56, s60, v4
	s_delay_alu instid0(VALU_DEP_1) | instskip(SKIP_1) | instid1(SALU_CYCLE_1)
	v_cmp_ge_f32_e32 vcc_lo, 0x41a00000, v56
	s_and_b32 s20, s67, vcc_lo
	s_and_saveexec_b32 s21, s20
	s_cbranch_execz .LBB72_50
; %bb.49:                               ;   in Loop: Header=BB72_12 Depth=1
	v_mul_f32_e32 v4, 0x3fb8aa3b, v56
	v_cmp_ngt_f32_e32 vcc_lo, 0xc2ce8ed0, v56
	s_delay_alu instid0(VALU_DEP_2) | instskip(SKIP_1) | instid1(VALU_DEP_2)
	v_rndne_f32_e32 v5, v4
	v_fma_f32 v8, 0x3fb8aa3b, v56, -v4
	v_sub_f32_e32 v4, v4, v5
	s_delay_alu instid0(VALU_DEP_2) | instskip(SKIP_1) | instid1(VALU_DEP_2)
	v_fmac_f32_e32 v8, 0x32a5705f, v56
	v_cvt_i32_f32_e32 v5, v5
	v_add_f32_e32 v4, v4, v8
	s_delay_alu instid0(VALU_DEP_1) | instskip(SKIP_2) | instid1(VALU_DEP_1)
	v_exp_f32_e32 v4, v4
	s_waitcnt_depctr 0xfff
	v_ldexp_f32 v4, v4, v5
	v_cndmask_b32_e32 v4, 0, v4, vcc_lo
	v_cmp_nlt_f32_e32 vcc_lo, 0x42b17218, v56
	s_delay_alu instid0(VALU_DEP_2) | instskip(NEXT) | instid1(VALU_DEP_1)
	v_cndmask_b32_e32 v8, 0x7f800000, v4, vcc_lo
	v_add_f32_e32 v9, 1.0, v8
	s_delay_alu instid0(VALU_DEP_1) | instskip(NEXT) | instid1(VALU_DEP_1)
	v_cvt_f64_f32_e32 v[4:5], v9
	v_frexp_exp_i32_f64_e32 v4, v[4:5]
	v_frexp_mant_f32_e32 v5, v9
	s_delay_alu instid0(VALU_DEP_1) | instskip(SKIP_1) | instid1(VALU_DEP_1)
	v_cmp_gt_f32_e32 vcc_lo, 0x3f2aaaab, v5
	v_add_f32_e32 v5, -1.0, v9
	v_sub_f32_e32 v57, v5, v9
	v_sub_f32_e32 v5, v8, v5
	s_delay_alu instid0(VALU_DEP_2) | instskip(NEXT) | instid1(VALU_DEP_1)
	v_add_f32_e32 v57, 1.0, v57
	v_add_f32_e32 v5, v5, v57
	v_cmp_gt_f32_e64 s20, 0x33800000, v8
	v_subrev_co_ci_u32_e32 v4, vcc_lo, 0, v4, vcc_lo
	v_cmp_eq_f32_e32 vcc_lo, 0x7f800000, v8
	s_delay_alu instid0(VALU_DEP_2) | instskip(SKIP_2) | instid1(VALU_DEP_2)
	v_sub_nc_u32_e32 v56, 0, v4
	v_cvt_f32_i32_e32 v4, v4
	s_or_b32 vcc_lo, s20, vcc_lo
	v_ldexp_f32 v9, v9, v56
	v_ldexp_f32 v5, v5, v56
	s_delay_alu instid0(VALU_DEP_2) | instskip(NEXT) | instid1(VALU_DEP_1)
	v_add_f32_e32 v56, -1.0, v9
	v_dual_add_f32 v58, 1.0, v9 :: v_dual_add_f32 v59, 1.0, v56
	s_delay_alu instid0(VALU_DEP_1) | instskip(NEXT) | instid1(VALU_DEP_1)
	v_add_f32_e32 v57, -1.0, v58
	v_sub_f32_e32 v57, v9, v57
	s_delay_alu instid0(VALU_DEP_3) | instskip(NEXT) | instid1(VALU_DEP_2)
	v_sub_f32_e32 v9, v9, v59
	v_add_f32_e32 v57, v5, v57
	s_delay_alu instid0(VALU_DEP_2) | instskip(NEXT) | instid1(VALU_DEP_1)
	v_add_f32_e32 v5, v5, v9
	v_add_f32_e32 v60, v56, v5
	s_delay_alu instid0(VALU_DEP_1) | instskip(NEXT) | instid1(VALU_DEP_1)
	v_dual_add_f32 v59, v58, v57 :: v_dual_sub_f32 v56, v56, v60
	v_rcp_f32_e32 v9, v59
	v_sub_f32_e32 v58, v58, v59
	s_delay_alu instid0(VALU_DEP_1) | instskip(SKIP_2) | instid1(VALU_DEP_1)
	v_add_f32_e32 v57, v57, v58
	s_waitcnt_depctr 0xfff
	v_mul_f32_e32 v61, v60, v9
	v_mul_f32_e32 v62, v59, v61
	s_delay_alu instid0(VALU_DEP_1) | instskip(NEXT) | instid1(VALU_DEP_1)
	v_fma_f32 v58, v61, v59, -v62
	v_fmac_f32_e32 v58, v61, v57
	s_delay_alu instid0(VALU_DEP_1) | instskip(NEXT) | instid1(VALU_DEP_1)
	v_add_f32_e32 v63, v62, v58
	v_sub_f32_e32 v64, v60, v63
	s_delay_alu instid0(VALU_DEP_1) | instskip(SKIP_1) | instid1(VALU_DEP_2)
	v_sub_f32_e32 v60, v60, v64
	v_dual_add_f32 v5, v5, v56 :: v_dual_sub_f32 v56, v63, v62
	v_sub_f32_e32 v60, v60, v63
	s_delay_alu instid0(VALU_DEP_1) | instskip(NEXT) | instid1(VALU_DEP_1)
	v_dual_sub_f32 v56, v56, v58 :: v_dual_add_f32 v5, v5, v60
	v_add_f32_e32 v5, v56, v5
	s_delay_alu instid0(VALU_DEP_1) | instskip(NEXT) | instid1(VALU_DEP_1)
	v_add_f32_e32 v56, v64, v5
	v_mul_f32_e32 v58, v9, v56
	s_delay_alu instid0(VALU_DEP_1) | instskip(NEXT) | instid1(VALU_DEP_1)
	v_dual_sub_f32 v63, v64, v56 :: v_dual_mul_f32 v60, v59, v58
	v_add_f32_e32 v5, v5, v63
	s_delay_alu instid0(VALU_DEP_2) | instskip(NEXT) | instid1(VALU_DEP_1)
	v_fma_f32 v59, v58, v59, -v60
	v_fmac_f32_e32 v59, v58, v57
	s_delay_alu instid0(VALU_DEP_1) | instskip(NEXT) | instid1(VALU_DEP_1)
	v_add_f32_e32 v57, v60, v59
	v_sub_f32_e32 v62, v56, v57
	s_delay_alu instid0(VALU_DEP_1) | instskip(NEXT) | instid1(VALU_DEP_1)
	v_sub_f32_e32 v56, v56, v62
	v_sub_f32_e32 v56, v56, v57
	s_delay_alu instid0(VALU_DEP_1) | instskip(SKIP_2) | instid1(VALU_DEP_1)
	v_add_f32_e32 v5, v5, v56
	v_add_f32_e32 v56, v61, v58
	v_sub_f32_e32 v60, v57, v60
	v_sub_f32_e32 v57, v60, v59
	s_delay_alu instid0(VALU_DEP_1) | instskip(NEXT) | instid1(VALU_DEP_4)
	v_add_f32_e32 v5, v57, v5
	v_sub_f32_e32 v57, v56, v61
	s_delay_alu instid0(VALU_DEP_2) | instskip(NEXT) | instid1(VALU_DEP_2)
	v_add_f32_e32 v5, v62, v5
	v_sub_f32_e32 v57, v58, v57
	s_delay_alu instid0(VALU_DEP_2) | instskip(NEXT) | instid1(VALU_DEP_1)
	v_mul_f32_e32 v5, v9, v5
	v_add_f32_e32 v5, v57, v5
	s_delay_alu instid0(VALU_DEP_1) | instskip(NEXT) | instid1(VALU_DEP_1)
	v_add_f32_e32 v9, v56, v5
	v_mul_f32_e32 v57, v9, v9
	s_delay_alu instid0(VALU_DEP_1) | instskip(SKIP_1) | instid1(VALU_DEP_2)
	v_fmaak_f32 v58, s54, v57, 0x3ecc95a3
	v_mul_f32_e32 v59, v9, v57
	v_fmaak_f32 v57, v57, v58, 0x3f2aaada
	v_ldexp_f32 v58, v9, 1
	s_delay_alu instid0(VALU_DEP_2) | instskip(NEXT) | instid1(VALU_DEP_1)
	v_mul_f32_e32 v57, v59, v57
	v_dual_sub_f32 v9, v9, v56 :: v_dual_add_f32 v56, v58, v57
	s_delay_alu instid0(VALU_DEP_1) | instskip(NEXT) | instid1(VALU_DEP_2)
	v_sub_f32_e32 v5, v5, v9
	v_sub_f32_e32 v9, v56, v58
	s_delay_alu instid0(VALU_DEP_2) | instskip(NEXT) | instid1(VALU_DEP_2)
	v_ldexp_f32 v5, v5, 1
	v_sub_f32_e32 v9, v57, v9
	v_mul_f32_e32 v59, 0x3f317218, v4
	s_delay_alu instid0(VALU_DEP_1) | instskip(NEXT) | instid1(VALU_DEP_1)
	v_fma_f32 v58, 0x3f317218, v4, -v59
	v_fmac_f32_e32 v58, 0xb102e308, v4
	s_delay_alu instid0(VALU_DEP_1) | instskip(NEXT) | instid1(VALU_DEP_1)
	v_dual_add_f32 v4, v5, v9 :: v_dual_add_f32 v5, v59, v58
	v_add_f32_e32 v9, v56, v4
	s_delay_alu instid0(VALU_DEP_1) | instskip(SKIP_1) | instid1(VALU_DEP_2)
	v_add_f32_e32 v57, v5, v9
	v_sub_f32_e32 v56, v9, v56
	v_sub_f32_e32 v60, v57, v5
	s_delay_alu instid0(VALU_DEP_2) | instskip(NEXT) | instid1(VALU_DEP_2)
	v_dual_sub_f32 v4, v4, v56 :: v_dual_sub_f32 v59, v5, v59
	v_sub_f32_e32 v61, v57, v60
	s_delay_alu instid0(VALU_DEP_2) | instskip(NEXT) | instid1(VALU_DEP_1)
	v_dual_sub_f32 v9, v9, v60 :: v_dual_sub_f32 v58, v58, v59
	v_dual_sub_f32 v5, v5, v61 :: v_dual_add_f32 v56, v58, v4
	s_delay_alu instid0(VALU_DEP_1) | instskip(NEXT) | instid1(VALU_DEP_2)
	v_add_f32_e32 v5, v9, v5
	v_sub_f32_e32 v9, v56, v58
	s_delay_alu instid0(VALU_DEP_2) | instskip(NEXT) | instid1(VALU_DEP_2)
	v_add_f32_e32 v5, v56, v5
	v_sub_f32_e32 v56, v56, v9
	v_sub_f32_e32 v4, v4, v9
	s_delay_alu instid0(VALU_DEP_2) | instskip(NEXT) | instid1(VALU_DEP_1)
	v_dual_add_f32 v59, v57, v5 :: v_dual_sub_f32 v56, v58, v56
	v_dual_sub_f32 v9, v59, v57 :: v_dual_add_f32 v4, v4, v56
	s_delay_alu instid0(VALU_DEP_1) | instskip(NEXT) | instid1(VALU_DEP_1)
	v_sub_f32_e32 v5, v5, v9
	v_add_f32_e32 v4, v4, v5
	s_delay_alu instid0(VALU_DEP_1) | instskip(NEXT) | instid1(VALU_DEP_1)
	v_add_f32_e32 v4, v59, v4
	v_cndmask_b32_e32 v56, v4, v8, vcc_lo
.LBB72_50:                              ;   in Loop: Header=BB72_12 Depth=1
	s_or_b32 exec_lo, exec_lo, s21
	v_cvt_f32_f16_e32 v4, v6
	s_delay_alu instid0(VALU_DEP_1) | instskip(NEXT) | instid1(VALU_DEP_1)
	v_add_f32_e32 v65, s60, v4
	v_cmp_ge_f32_e32 vcc_lo, 0x41a00000, v65
	s_and_b32 s20, s67, vcc_lo
	s_delay_alu instid0(SALU_CYCLE_1)
	s_and_saveexec_b32 s21, s20
	s_cbranch_execz .LBB72_52
; %bb.51:                               ;   in Loop: Header=BB72_12 Depth=1
	v_mul_f32_e32 v4, 0x3fb8aa3b, v65
	v_cmp_ngt_f32_e32 vcc_lo, 0xc2ce8ed0, v65
	s_delay_alu instid0(VALU_DEP_2) | instskip(SKIP_1) | instid1(VALU_DEP_2)
	v_rndne_f32_e32 v5, v4
	v_fma_f32 v8, 0x3fb8aa3b, v65, -v4
	v_sub_f32_e32 v4, v4, v5
	s_delay_alu instid0(VALU_DEP_2) | instskip(SKIP_1) | instid1(VALU_DEP_2)
	v_fmac_f32_e32 v8, 0x32a5705f, v65
	v_cvt_i32_f32_e32 v5, v5
	v_add_f32_e32 v4, v4, v8
	s_delay_alu instid0(VALU_DEP_1) | instskip(SKIP_2) | instid1(VALU_DEP_1)
	v_exp_f32_e32 v4, v4
	s_waitcnt_depctr 0xfff
	v_ldexp_f32 v4, v4, v5
	v_cndmask_b32_e32 v4, 0, v4, vcc_lo
	v_cmp_nlt_f32_e32 vcc_lo, 0x42b17218, v65
	s_delay_alu instid0(VALU_DEP_2) | instskip(NEXT) | instid1(VALU_DEP_1)
	v_cndmask_b32_e32 v8, 0x7f800000, v4, vcc_lo
	v_add_f32_e32 v9, 1.0, v8
	s_delay_alu instid0(VALU_DEP_1) | instskip(NEXT) | instid1(VALU_DEP_1)
	v_cvt_f64_f32_e32 v[4:5], v9
	v_frexp_exp_i32_f64_e32 v4, v[4:5]
	v_frexp_mant_f32_e32 v5, v9
	s_delay_alu instid0(VALU_DEP_1) | instskip(SKIP_1) | instid1(VALU_DEP_1)
	v_cmp_gt_f32_e32 vcc_lo, 0x3f2aaaab, v5
	v_add_f32_e32 v5, -1.0, v9
	v_sub_f32_e32 v58, v5, v9
	v_subrev_co_ci_u32_e32 v4, vcc_lo, 0, v4, vcc_lo
	s_delay_alu instid0(VALU_DEP_1) | instskip(SKIP_1) | instid1(VALU_DEP_2)
	v_sub_nc_u32_e32 v57, 0, v4
	v_cvt_f32_i32_e32 v4, v4
	v_ldexp_f32 v9, v9, v57
	s_delay_alu instid0(VALU_DEP_1) | instskip(SKIP_3) | instid1(VALU_DEP_3)
	v_dual_add_f32 v58, 1.0, v58 :: v_dual_add_f32 v59, 1.0, v9
	v_sub_f32_e32 v5, v8, v5
	v_cmp_eq_f32_e32 vcc_lo, 0x7f800000, v8
	v_cmp_gt_f32_e64 s20, 0x33800000, v8
	v_add_f32_e32 v5, v5, v58
	s_delay_alu instid0(VALU_DEP_2) | instskip(NEXT) | instid1(VALU_DEP_1)
	s_or_b32 vcc_lo, s20, vcc_lo
	v_ldexp_f32 v5, v5, v57
	v_dual_add_f32 v57, -1.0, v9 :: v_dual_add_f32 v58, -1.0, v59
	s_delay_alu instid0(VALU_DEP_1) | instskip(NEXT) | instid1(VALU_DEP_2)
	v_add_f32_e32 v60, 1.0, v57
	v_sub_f32_e32 v58, v9, v58
	s_delay_alu instid0(VALU_DEP_2) | instskip(NEXT) | instid1(VALU_DEP_2)
	v_sub_f32_e32 v9, v9, v60
	v_add_f32_e32 v58, v5, v58
	s_delay_alu instid0(VALU_DEP_1) | instskip(NEXT) | instid1(VALU_DEP_1)
	v_dual_add_f32 v5, v5, v9 :: v_dual_add_f32 v60, v59, v58
	v_add_f32_e32 v61, v57, v5
	s_delay_alu instid0(VALU_DEP_2) | instskip(SKIP_1) | instid1(VALU_DEP_1)
	v_rcp_f32_e32 v9, v60
	v_sub_f32_e32 v59, v59, v60
	v_dual_sub_f32 v57, v57, v61 :: v_dual_add_f32 v58, v58, v59
	s_delay_alu instid0(VALU_DEP_1) | instskip(SKIP_2) | instid1(VALU_DEP_1)
	v_add_f32_e32 v5, v5, v57
	s_waitcnt_depctr 0xfff
	v_mul_f32_e32 v62, v61, v9
	v_mul_f32_e32 v63, v60, v62
	s_delay_alu instid0(VALU_DEP_1) | instskip(NEXT) | instid1(VALU_DEP_1)
	v_fma_f32 v59, v62, v60, -v63
	v_fmac_f32_e32 v59, v62, v58
	s_delay_alu instid0(VALU_DEP_1) | instskip(NEXT) | instid1(VALU_DEP_1)
	v_add_f32_e32 v64, v63, v59
	v_sub_f32_e32 v65, v61, v64
	v_sub_f32_e32 v57, v64, v63
	s_delay_alu instid0(VALU_DEP_2) | instskip(NEXT) | instid1(VALU_DEP_2)
	v_sub_f32_e32 v61, v61, v65
	v_sub_f32_e32 v57, v57, v59
	s_delay_alu instid0(VALU_DEP_2) | instskip(NEXT) | instid1(VALU_DEP_1)
	v_sub_f32_e32 v61, v61, v64
	v_add_f32_e32 v5, v5, v61
	s_delay_alu instid0(VALU_DEP_1) | instskip(NEXT) | instid1(VALU_DEP_1)
	v_add_f32_e32 v5, v57, v5
	v_add_f32_e32 v57, v65, v5
	s_delay_alu instid0(VALU_DEP_1) | instskip(NEXT) | instid1(VALU_DEP_1)
	v_mul_f32_e32 v59, v9, v57
	v_mul_f32_e32 v61, v60, v59
	s_delay_alu instid0(VALU_DEP_1) | instskip(NEXT) | instid1(VALU_DEP_1)
	v_fma_f32 v60, v59, v60, -v61
	v_fmac_f32_e32 v60, v59, v58
	v_sub_f32_e32 v64, v65, v57
	s_delay_alu instid0(VALU_DEP_2) | instskip(NEXT) | instid1(VALU_DEP_2)
	v_add_f32_e32 v58, v61, v60
	v_add_f32_e32 v5, v5, v64
	s_delay_alu instid0(VALU_DEP_2) | instskip(NEXT) | instid1(VALU_DEP_1)
	v_sub_f32_e32 v63, v57, v58
	v_sub_f32_e32 v57, v57, v63
	s_delay_alu instid0(VALU_DEP_1) | instskip(NEXT) | instid1(VALU_DEP_1)
	v_sub_f32_e32 v57, v57, v58
	v_add_f32_e32 v5, v5, v57
	v_add_f32_e32 v57, v62, v59
	v_sub_f32_e32 v61, v58, v61
	s_delay_alu instid0(VALU_DEP_1) | instskip(NEXT) | instid1(VALU_DEP_1)
	v_sub_f32_e32 v58, v61, v60
	v_dual_add_f32 v5, v58, v5 :: v_dual_sub_f32 v58, v57, v62
	s_delay_alu instid0(VALU_DEP_1) | instskip(NEXT) | instid1(VALU_DEP_1)
	v_add_f32_e32 v5, v63, v5
	v_dual_sub_f32 v58, v59, v58 :: v_dual_mul_f32 v5, v9, v5
	s_delay_alu instid0(VALU_DEP_1) | instskip(NEXT) | instid1(VALU_DEP_1)
	v_add_f32_e32 v5, v58, v5
	v_add_f32_e32 v9, v57, v5
	s_delay_alu instid0(VALU_DEP_1) | instskip(NEXT) | instid1(VALU_DEP_1)
	v_mul_f32_e32 v58, v9, v9
	v_fmaak_f32 v59, s54, v58, 0x3ecc95a3
	v_mul_f32_e32 v60, v9, v58
	s_delay_alu instid0(VALU_DEP_2) | instskip(SKIP_1) | instid1(VALU_DEP_2)
	v_fmaak_f32 v58, v58, v59, 0x3f2aaada
	v_ldexp_f32 v59, v9, 1
	v_dual_sub_f32 v9, v9, v57 :: v_dual_mul_f32 v58, v60, v58
	s_delay_alu instid0(VALU_DEP_1) | instskip(NEXT) | instid1(VALU_DEP_2)
	v_dual_mul_f32 v60, 0x3f317218, v4 :: v_dual_sub_f32 v5, v5, v9
	v_add_f32_e32 v57, v59, v58
	s_delay_alu instid0(VALU_DEP_2) | instskip(NEXT) | instid1(VALU_DEP_2)
	v_ldexp_f32 v5, v5, 1
	v_sub_f32_e32 v9, v57, v59
	s_delay_alu instid0(VALU_DEP_4) | instskip(NEXT) | instid1(VALU_DEP_2)
	v_fma_f32 v59, 0x3f317218, v4, -v60
	v_sub_f32_e32 v9, v58, v9
	s_delay_alu instid0(VALU_DEP_1) | instskip(NEXT) | instid1(VALU_DEP_1)
	v_dual_fmac_f32 v59, 0xb102e308, v4 :: v_dual_add_f32 v4, v5, v9
	v_add_f32_e32 v5, v60, v59
	s_delay_alu instid0(VALU_DEP_2) | instskip(NEXT) | instid1(VALU_DEP_2)
	v_add_f32_e32 v9, v57, v4
	v_sub_f32_e32 v60, v5, v60
	s_delay_alu instid0(VALU_DEP_1) | instskip(SKIP_1) | instid1(VALU_DEP_2)
	v_dual_add_f32 v58, v5, v9 :: v_dual_sub_f32 v59, v59, v60
	v_sub_f32_e32 v57, v9, v57
	v_sub_f32_e32 v61, v58, v5
	s_delay_alu instid0(VALU_DEP_2) | instskip(NEXT) | instid1(VALU_DEP_2)
	v_sub_f32_e32 v4, v4, v57
	v_sub_f32_e32 v62, v58, v61
	;; [unrolled: 1-line block ×3, first 2 shown]
	s_delay_alu instid0(VALU_DEP_3) | instskip(NEXT) | instid1(VALU_DEP_3)
	v_add_f32_e32 v57, v59, v4
	v_sub_f32_e32 v5, v5, v62
	s_delay_alu instid0(VALU_DEP_1) | instskip(NEXT) | instid1(VALU_DEP_3)
	v_add_f32_e32 v5, v9, v5
	v_sub_f32_e32 v9, v57, v59
	s_delay_alu instid0(VALU_DEP_2) | instskip(NEXT) | instid1(VALU_DEP_2)
	v_add_f32_e32 v5, v57, v5
	v_sub_f32_e32 v57, v57, v9
	v_sub_f32_e32 v4, v4, v9
	s_delay_alu instid0(VALU_DEP_3) | instskip(NEXT) | instid1(VALU_DEP_3)
	v_add_f32_e32 v60, v58, v5
	v_sub_f32_e32 v57, v59, v57
	s_delay_alu instid0(VALU_DEP_2) | instskip(NEXT) | instid1(VALU_DEP_2)
	v_sub_f32_e32 v9, v60, v58
	v_add_f32_e32 v4, v4, v57
	s_delay_alu instid0(VALU_DEP_2) | instskip(NEXT) | instid1(VALU_DEP_1)
	v_sub_f32_e32 v5, v5, v9
	v_add_f32_e32 v4, v4, v5
	s_delay_alu instid0(VALU_DEP_1) | instskip(NEXT) | instid1(VALU_DEP_1)
	v_add_f32_e32 v4, v60, v4
	v_cndmask_b32_e32 v65, v4, v8, vcc_lo
.LBB72_52:                              ;   in Loop: Header=BB72_12 Depth=1
	s_or_b32 exec_lo, exec_lo, s21
	v_lshrrev_b32_e32 v4, 16, v6
	s_delay_alu instid0(VALU_DEP_1) | instskip(NEXT) | instid1(VALU_DEP_1)
	v_cvt_f32_f16_e32 v4, v4
	v_add_f32_e32 v66, s60, v4
	s_delay_alu instid0(VALU_DEP_1) | instskip(SKIP_1) | instid1(SALU_CYCLE_1)
	v_cmp_ge_f32_e32 vcc_lo, 0x41a00000, v66
	s_and_b32 s20, s67, vcc_lo
	s_and_saveexec_b32 s21, s20
	s_cbranch_execz .LBB72_54
; %bb.53:                               ;   in Loop: Header=BB72_12 Depth=1
	v_mul_f32_e32 v4, 0x3fb8aa3b, v66
	v_cmp_ngt_f32_e32 vcc_lo, 0xc2ce8ed0, v66
	s_delay_alu instid0(VALU_DEP_2) | instskip(SKIP_1) | instid1(VALU_DEP_2)
	v_rndne_f32_e32 v5, v4
	v_fma_f32 v6, 0x3fb8aa3b, v66, -v4
	v_sub_f32_e32 v4, v4, v5
	s_delay_alu instid0(VALU_DEP_2) | instskip(SKIP_1) | instid1(VALU_DEP_2)
	v_fmac_f32_e32 v6, 0x32a5705f, v66
	v_cvt_i32_f32_e32 v5, v5
	v_add_f32_e32 v4, v4, v6
	s_delay_alu instid0(VALU_DEP_1) | instskip(SKIP_2) | instid1(VALU_DEP_1)
	v_exp_f32_e32 v4, v4
	s_waitcnt_depctr 0xfff
	v_ldexp_f32 v4, v4, v5
	v_cndmask_b32_e32 v4, 0, v4, vcc_lo
	v_cmp_nlt_f32_e32 vcc_lo, 0x42b17218, v66
	s_delay_alu instid0(VALU_DEP_2) | instskip(NEXT) | instid1(VALU_DEP_1)
	v_cndmask_b32_e32 v6, 0x7f800000, v4, vcc_lo
	v_add_f32_e32 v8, 1.0, v6
	s_delay_alu instid0(VALU_DEP_1) | instskip(NEXT) | instid1(VALU_DEP_1)
	v_cvt_f64_f32_e32 v[4:5], v8
	v_frexp_exp_i32_f64_e32 v4, v[4:5]
	v_frexp_mant_f32_e32 v5, v8
	s_delay_alu instid0(VALU_DEP_1) | instskip(SKIP_1) | instid1(VALU_DEP_1)
	v_cmp_gt_f32_e32 vcc_lo, 0x3f2aaaab, v5
	v_add_f32_e32 v5, -1.0, v8
	v_sub_f32_e32 v57, v5, v8
	v_sub_f32_e32 v5, v6, v5
	s_delay_alu instid0(VALU_DEP_2) | instskip(NEXT) | instid1(VALU_DEP_1)
	v_add_f32_e32 v57, 1.0, v57
	v_add_f32_e32 v5, v5, v57
	v_subrev_co_ci_u32_e32 v4, vcc_lo, 0, v4, vcc_lo
	s_delay_alu instid0(VALU_DEP_1) | instskip(SKIP_1) | instid1(VALU_DEP_2)
	v_sub_nc_u32_e32 v9, 0, v4
	v_cvt_f32_i32_e32 v4, v4
	v_ldexp_f32 v8, v8, v9
	v_ldexp_f32 v5, v5, v9
	s_delay_alu instid0(VALU_DEP_2) | instskip(SKIP_1) | instid1(VALU_DEP_2)
	v_add_f32_e32 v58, 1.0, v8
	v_add_f32_e32 v9, -1.0, v8
	v_add_f32_e32 v57, -1.0, v58
	s_delay_alu instid0(VALU_DEP_2) | instskip(SKIP_2) | instid1(VALU_DEP_4)
	v_add_f32_e32 v59, 1.0, v9
	v_cmp_eq_f32_e32 vcc_lo, 0x7f800000, v6
	v_cmp_gt_f32_e64 s20, 0x33800000, v6
	v_sub_f32_e32 v57, v8, v57
	s_delay_alu instid0(VALU_DEP_4) | instskip(NEXT) | instid1(VALU_DEP_3)
	v_sub_f32_e32 v8, v8, v59
	s_or_b32 vcc_lo, s20, vcc_lo
	s_delay_alu instid0(VALU_DEP_2) | instskip(NEXT) | instid1(VALU_DEP_2)
	v_add_f32_e32 v57, v5, v57
	v_add_f32_e32 v5, v5, v8
	s_delay_alu instid0(VALU_DEP_1) | instskip(NEXT) | instid1(VALU_DEP_3)
	v_add_f32_e32 v60, v9, v5
	v_add_f32_e32 v59, v58, v57
	s_delay_alu instid0(VALU_DEP_1) | instskip(SKIP_1) | instid1(VALU_DEP_1)
	v_rcp_f32_e32 v8, v59
	v_sub_f32_e32 v58, v58, v59
	v_add_f32_e32 v57, v57, v58
	s_waitcnt_depctr 0xfff
	v_mul_f32_e32 v61, v60, v8
	s_delay_alu instid0(VALU_DEP_1) | instskip(NEXT) | instid1(VALU_DEP_1)
	v_mul_f32_e32 v62, v59, v61
	v_fma_f32 v58, v61, v59, -v62
	s_delay_alu instid0(VALU_DEP_1) | instskip(NEXT) | instid1(VALU_DEP_1)
	v_fmac_f32_e32 v58, v61, v57
	v_add_f32_e32 v63, v62, v58
	s_delay_alu instid0(VALU_DEP_1) | instskip(NEXT) | instid1(VALU_DEP_1)
	v_dual_sub_f32 v9, v9, v60 :: v_dual_sub_f32 v64, v60, v63
	v_sub_f32_e32 v60, v60, v64
	s_delay_alu instid0(VALU_DEP_1) | instskip(SKIP_1) | instid1(VALU_DEP_2)
	v_dual_sub_f32 v60, v60, v63 :: v_dual_add_f32 v5, v5, v9
	v_sub_f32_e32 v9, v63, v62
	v_add_f32_e32 v5, v5, v60
	s_delay_alu instid0(VALU_DEP_2) | instskip(NEXT) | instid1(VALU_DEP_1)
	v_sub_f32_e32 v9, v9, v58
	v_add_f32_e32 v5, v9, v5
	s_delay_alu instid0(VALU_DEP_1) | instskip(NEXT) | instid1(VALU_DEP_1)
	v_add_f32_e32 v9, v64, v5
	v_mul_f32_e32 v58, v8, v9
	s_delay_alu instid0(VALU_DEP_1) | instskip(NEXT) | instid1(VALU_DEP_1)
	v_mul_f32_e32 v60, v59, v58
	v_fma_f32 v59, v58, v59, -v60
	s_delay_alu instid0(VALU_DEP_1) | instskip(NEXT) | instid1(VALU_DEP_1)
	v_fmac_f32_e32 v59, v58, v57
	v_add_f32_e32 v57, v60, v59
	s_delay_alu instid0(VALU_DEP_1) | instskip(SKIP_2) | instid1(VALU_DEP_2)
	v_sub_f32_e32 v60, v57, v60
	v_sub_f32_e32 v62, v9, v57
	;; [unrolled: 1-line block ×4, first 2 shown]
	s_delay_alu instid0(VALU_DEP_2) | instskip(NEXT) | instid1(VALU_DEP_2)
	v_add_f32_e32 v5, v5, v63
	v_sub_f32_e32 v9, v9, v57
	v_sub_f32_e32 v57, v60, v59
	s_delay_alu instid0(VALU_DEP_2) | instskip(SKIP_1) | instid1(VALU_DEP_2)
	v_add_f32_e32 v5, v5, v9
	v_add_f32_e32 v9, v61, v58
	;; [unrolled: 1-line block ×3, first 2 shown]
	s_delay_alu instid0(VALU_DEP_2) | instskip(NEXT) | instid1(VALU_DEP_2)
	v_sub_f32_e32 v57, v9, v61
	v_add_f32_e32 v5, v62, v5
	s_delay_alu instid0(VALU_DEP_2) | instskip(NEXT) | instid1(VALU_DEP_2)
	v_sub_f32_e32 v57, v58, v57
	v_mul_f32_e32 v5, v8, v5
	s_delay_alu instid0(VALU_DEP_1) | instskip(NEXT) | instid1(VALU_DEP_1)
	v_add_f32_e32 v5, v57, v5
	v_add_f32_e32 v8, v9, v5
	s_delay_alu instid0(VALU_DEP_1) | instskip(NEXT) | instid1(VALU_DEP_1)
	v_mul_f32_e32 v57, v8, v8
	v_fmaak_f32 v58, s54, v57, 0x3ecc95a3
	v_mul_f32_e32 v59, v8, v57
	s_delay_alu instid0(VALU_DEP_2) | instskip(SKIP_2) | instid1(VALU_DEP_3)
	v_fmaak_f32 v57, v57, v58, 0x3f2aaada
	v_ldexp_f32 v58, v8, 1
	v_sub_f32_e32 v8, v8, v9
	v_mul_f32_e32 v57, v59, v57
	v_mul_f32_e32 v59, 0x3f317218, v4
	s_delay_alu instid0(VALU_DEP_3) | instskip(NEXT) | instid1(VALU_DEP_3)
	v_sub_f32_e32 v5, v5, v8
	v_add_f32_e32 v9, v58, v57
	s_delay_alu instid0(VALU_DEP_2) | instskip(NEXT) | instid1(VALU_DEP_2)
	v_ldexp_f32 v5, v5, 1
	v_sub_f32_e32 v8, v9, v58
	v_fma_f32 v58, 0x3f317218, v4, -v59
	s_delay_alu instid0(VALU_DEP_2) | instskip(NEXT) | instid1(VALU_DEP_2)
	v_sub_f32_e32 v8, v57, v8
	v_fmac_f32_e32 v58, 0xb102e308, v4
	s_delay_alu instid0(VALU_DEP_1) | instskip(NEXT) | instid1(VALU_DEP_1)
	v_dual_add_f32 v4, v5, v8 :: v_dual_add_f32 v5, v59, v58
	v_add_f32_e32 v8, v9, v4
	s_delay_alu instid0(VALU_DEP_1) | instskip(SKIP_1) | instid1(VALU_DEP_2)
	v_add_f32_e32 v57, v5, v8
	v_sub_f32_e32 v9, v8, v9
	v_sub_f32_e32 v60, v57, v5
	s_delay_alu instid0(VALU_DEP_2) | instskip(NEXT) | instid1(VALU_DEP_1)
	v_dual_sub_f32 v59, v5, v59 :: v_dual_sub_f32 v4, v4, v9
	v_dual_sub_f32 v61, v57, v60 :: v_dual_sub_f32 v58, v58, v59
	s_delay_alu instid0(VALU_DEP_1) | instskip(NEXT) | instid1(VALU_DEP_2)
	v_dual_sub_f32 v8, v8, v60 :: v_dual_sub_f32 v5, v5, v61
	v_add_f32_e32 v9, v58, v4
	s_delay_alu instid0(VALU_DEP_1) | instskip(NEXT) | instid1(VALU_DEP_1)
	v_dual_add_f32 v5, v8, v5 :: v_dual_sub_f32 v8, v9, v58
	v_add_f32_e32 v5, v9, v5
	s_delay_alu instid0(VALU_DEP_2) | instskip(NEXT) | instid1(VALU_DEP_2)
	v_sub_f32_e32 v9, v9, v8
	v_dual_sub_f32 v4, v4, v8 :: v_dual_add_f32 v59, v57, v5
	s_delay_alu instid0(VALU_DEP_2) | instskip(NEXT) | instid1(VALU_DEP_2)
	v_sub_f32_e32 v9, v58, v9
	v_sub_f32_e32 v8, v59, v57
	s_delay_alu instid0(VALU_DEP_1) | instskip(NEXT) | instid1(VALU_DEP_1)
	v_dual_add_f32 v4, v4, v9 :: v_dual_sub_f32 v5, v5, v8
	v_add_f32_e32 v4, v4, v5
	s_delay_alu instid0(VALU_DEP_1) | instskip(NEXT) | instid1(VALU_DEP_1)
	v_add_f32_e32 v4, v59, v4
	v_cndmask_b32_e32 v66, v4, v6, vcc_lo
.LBB72_54:                              ;   in Loop: Header=BB72_12 Depth=1
	s_or_b32 exec_lo, exec_lo, s21
	v_cvt_f32_f16_e32 v4, v7
	s_delay_alu instid0(VALU_DEP_1) | instskip(NEXT) | instid1(VALU_DEP_1)
	v_add_f32_e32 v67, s60, v4
	v_cmp_ge_f32_e32 vcc_lo, 0x41a00000, v67
	s_and_b32 s20, s67, vcc_lo
	s_delay_alu instid0(SALU_CYCLE_1)
	s_and_saveexec_b32 s21, s20
	s_cbranch_execz .LBB72_56
; %bb.55:                               ;   in Loop: Header=BB72_12 Depth=1
	v_mul_f32_e32 v4, 0x3fb8aa3b, v67
	v_cmp_ngt_f32_e32 vcc_lo, 0xc2ce8ed0, v67
	s_delay_alu instid0(VALU_DEP_2) | instskip(SKIP_1) | instid1(VALU_DEP_2)
	v_rndne_f32_e32 v5, v4
	v_fma_f32 v6, 0x3fb8aa3b, v67, -v4
	v_sub_f32_e32 v4, v4, v5
	s_delay_alu instid0(VALU_DEP_2) | instskip(SKIP_1) | instid1(VALU_DEP_2)
	v_fmac_f32_e32 v6, 0x32a5705f, v67
	v_cvt_i32_f32_e32 v5, v5
	v_add_f32_e32 v4, v4, v6
	s_delay_alu instid0(VALU_DEP_1) | instskip(SKIP_2) | instid1(VALU_DEP_1)
	v_exp_f32_e32 v4, v4
	s_waitcnt_depctr 0xfff
	v_ldexp_f32 v4, v4, v5
	v_cndmask_b32_e32 v4, 0, v4, vcc_lo
	v_cmp_nlt_f32_e32 vcc_lo, 0x42b17218, v67
	s_delay_alu instid0(VALU_DEP_2) | instskip(NEXT) | instid1(VALU_DEP_1)
	v_cndmask_b32_e32 v6, 0x7f800000, v4, vcc_lo
	v_add_f32_e32 v8, 1.0, v6
	s_delay_alu instid0(VALU_DEP_1) | instskip(NEXT) | instid1(VALU_DEP_1)
	v_cvt_f64_f32_e32 v[4:5], v8
	v_frexp_exp_i32_f64_e32 v4, v[4:5]
	v_frexp_mant_f32_e32 v5, v8
	s_delay_alu instid0(VALU_DEP_1) | instskip(SKIP_1) | instid1(VALU_DEP_1)
	v_cmp_gt_f32_e32 vcc_lo, 0x3f2aaaab, v5
	v_add_f32_e32 v5, -1.0, v8
	v_sub_f32_e32 v57, v5, v8
	v_sub_f32_e32 v5, v6, v5
	s_delay_alu instid0(VALU_DEP_2) | instskip(NEXT) | instid1(VALU_DEP_1)
	v_add_f32_e32 v57, 1.0, v57
	v_add_f32_e32 v5, v5, v57
	v_subrev_co_ci_u32_e32 v4, vcc_lo, 0, v4, vcc_lo
	s_delay_alu instid0(VALU_DEP_1) | instskip(SKIP_1) | instid1(VALU_DEP_2)
	v_sub_nc_u32_e32 v9, 0, v4
	v_cvt_f32_i32_e32 v4, v4
	v_ldexp_f32 v8, v8, v9
	v_ldexp_f32 v5, v5, v9
	s_delay_alu instid0(VALU_DEP_2) | instskip(SKIP_1) | instid1(VALU_DEP_2)
	v_add_f32_e32 v58, 1.0, v8
	v_add_f32_e32 v9, -1.0, v8
	v_add_f32_e32 v57, -1.0, v58
	s_delay_alu instid0(VALU_DEP_2) | instskip(SKIP_2) | instid1(VALU_DEP_4)
	v_add_f32_e32 v59, 1.0, v9
	v_cmp_eq_f32_e32 vcc_lo, 0x7f800000, v6
	v_cmp_gt_f32_e64 s20, 0x33800000, v6
	v_sub_f32_e32 v57, v8, v57
	s_delay_alu instid0(VALU_DEP_4) | instskip(NEXT) | instid1(VALU_DEP_3)
	v_sub_f32_e32 v8, v8, v59
	s_or_b32 vcc_lo, s20, vcc_lo
	s_delay_alu instid0(VALU_DEP_2) | instskip(NEXT) | instid1(VALU_DEP_2)
	v_add_f32_e32 v57, v5, v57
	v_add_f32_e32 v5, v5, v8
	s_delay_alu instid0(VALU_DEP_1) | instskip(NEXT) | instid1(VALU_DEP_3)
	v_add_f32_e32 v60, v9, v5
	v_add_f32_e32 v59, v58, v57
	s_delay_alu instid0(VALU_DEP_1) | instskip(SKIP_1) | instid1(VALU_DEP_1)
	v_rcp_f32_e32 v8, v59
	v_sub_f32_e32 v58, v58, v59
	v_add_f32_e32 v57, v57, v58
	s_waitcnt_depctr 0xfff
	v_mul_f32_e32 v61, v60, v8
	s_delay_alu instid0(VALU_DEP_1) | instskip(NEXT) | instid1(VALU_DEP_1)
	v_mul_f32_e32 v62, v59, v61
	v_fma_f32 v58, v61, v59, -v62
	s_delay_alu instid0(VALU_DEP_1) | instskip(NEXT) | instid1(VALU_DEP_1)
	v_fmac_f32_e32 v58, v61, v57
	v_add_f32_e32 v63, v62, v58
	s_delay_alu instid0(VALU_DEP_1) | instskip(NEXT) | instid1(VALU_DEP_1)
	v_dual_sub_f32 v9, v9, v60 :: v_dual_sub_f32 v64, v60, v63
	v_sub_f32_e32 v60, v60, v64
	s_delay_alu instid0(VALU_DEP_1) | instskip(SKIP_1) | instid1(VALU_DEP_2)
	v_dual_sub_f32 v60, v60, v63 :: v_dual_add_f32 v5, v5, v9
	v_sub_f32_e32 v9, v63, v62
	v_add_f32_e32 v5, v5, v60
	s_delay_alu instid0(VALU_DEP_2) | instskip(NEXT) | instid1(VALU_DEP_1)
	v_sub_f32_e32 v9, v9, v58
	v_add_f32_e32 v5, v9, v5
	s_delay_alu instid0(VALU_DEP_1) | instskip(NEXT) | instid1(VALU_DEP_1)
	v_add_f32_e32 v9, v64, v5
	v_mul_f32_e32 v58, v8, v9
	s_delay_alu instid0(VALU_DEP_1) | instskip(NEXT) | instid1(VALU_DEP_1)
	v_mul_f32_e32 v60, v59, v58
	v_fma_f32 v59, v58, v59, -v60
	s_delay_alu instid0(VALU_DEP_1) | instskip(NEXT) | instid1(VALU_DEP_1)
	v_fmac_f32_e32 v59, v58, v57
	v_add_f32_e32 v57, v60, v59
	s_delay_alu instid0(VALU_DEP_1) | instskip(SKIP_2) | instid1(VALU_DEP_2)
	v_sub_f32_e32 v60, v57, v60
	v_sub_f32_e32 v62, v9, v57
	;; [unrolled: 1-line block ×4, first 2 shown]
	s_delay_alu instid0(VALU_DEP_2) | instskip(NEXT) | instid1(VALU_DEP_2)
	v_add_f32_e32 v5, v5, v63
	v_sub_f32_e32 v9, v9, v57
	v_sub_f32_e32 v57, v60, v59
	s_delay_alu instid0(VALU_DEP_2) | instskip(SKIP_1) | instid1(VALU_DEP_2)
	v_add_f32_e32 v5, v5, v9
	v_add_f32_e32 v9, v61, v58
	;; [unrolled: 1-line block ×3, first 2 shown]
	s_delay_alu instid0(VALU_DEP_2) | instskip(NEXT) | instid1(VALU_DEP_2)
	v_sub_f32_e32 v57, v9, v61
	v_add_f32_e32 v5, v62, v5
	s_delay_alu instid0(VALU_DEP_2) | instskip(NEXT) | instid1(VALU_DEP_2)
	v_sub_f32_e32 v57, v58, v57
	v_mul_f32_e32 v5, v8, v5
	s_delay_alu instid0(VALU_DEP_1) | instskip(NEXT) | instid1(VALU_DEP_1)
	v_add_f32_e32 v5, v57, v5
	v_add_f32_e32 v8, v9, v5
	s_delay_alu instid0(VALU_DEP_1) | instskip(NEXT) | instid1(VALU_DEP_1)
	v_mul_f32_e32 v57, v8, v8
	v_fmaak_f32 v58, s54, v57, 0x3ecc95a3
	v_mul_f32_e32 v59, v8, v57
	s_delay_alu instid0(VALU_DEP_2) | instskip(SKIP_2) | instid1(VALU_DEP_3)
	v_fmaak_f32 v57, v57, v58, 0x3f2aaada
	v_ldexp_f32 v58, v8, 1
	v_sub_f32_e32 v8, v8, v9
	v_mul_f32_e32 v57, v59, v57
	v_mul_f32_e32 v59, 0x3f317218, v4
	s_delay_alu instid0(VALU_DEP_3) | instskip(NEXT) | instid1(VALU_DEP_3)
	v_sub_f32_e32 v5, v5, v8
	v_add_f32_e32 v9, v58, v57
	s_delay_alu instid0(VALU_DEP_2) | instskip(NEXT) | instid1(VALU_DEP_2)
	v_ldexp_f32 v5, v5, 1
	v_sub_f32_e32 v8, v9, v58
	v_fma_f32 v58, 0x3f317218, v4, -v59
	s_delay_alu instid0(VALU_DEP_2) | instskip(NEXT) | instid1(VALU_DEP_2)
	v_sub_f32_e32 v8, v57, v8
	v_fmac_f32_e32 v58, 0xb102e308, v4
	s_delay_alu instid0(VALU_DEP_1) | instskip(NEXT) | instid1(VALU_DEP_1)
	v_dual_add_f32 v4, v5, v8 :: v_dual_add_f32 v5, v59, v58
	v_add_f32_e32 v8, v9, v4
	s_delay_alu instid0(VALU_DEP_1) | instskip(SKIP_1) | instid1(VALU_DEP_2)
	v_add_f32_e32 v57, v5, v8
	v_sub_f32_e32 v9, v8, v9
	v_sub_f32_e32 v60, v57, v5
	s_delay_alu instid0(VALU_DEP_2) | instskip(NEXT) | instid1(VALU_DEP_1)
	v_dual_sub_f32 v59, v5, v59 :: v_dual_sub_f32 v4, v4, v9
	v_dual_sub_f32 v61, v57, v60 :: v_dual_sub_f32 v58, v58, v59
	s_delay_alu instid0(VALU_DEP_1) | instskip(NEXT) | instid1(VALU_DEP_2)
	v_dual_sub_f32 v8, v8, v60 :: v_dual_sub_f32 v5, v5, v61
	v_add_f32_e32 v9, v58, v4
	s_delay_alu instid0(VALU_DEP_1) | instskip(NEXT) | instid1(VALU_DEP_1)
	v_dual_add_f32 v5, v8, v5 :: v_dual_sub_f32 v8, v9, v58
	v_add_f32_e32 v5, v9, v5
	s_delay_alu instid0(VALU_DEP_2) | instskip(NEXT) | instid1(VALU_DEP_2)
	v_sub_f32_e32 v9, v9, v8
	v_dual_sub_f32 v4, v4, v8 :: v_dual_add_f32 v59, v57, v5
	s_delay_alu instid0(VALU_DEP_2) | instskip(NEXT) | instid1(VALU_DEP_2)
	v_sub_f32_e32 v9, v58, v9
	v_sub_f32_e32 v8, v59, v57
	s_delay_alu instid0(VALU_DEP_1) | instskip(NEXT) | instid1(VALU_DEP_1)
	v_dual_add_f32 v4, v4, v9 :: v_dual_sub_f32 v5, v5, v8
	v_add_f32_e32 v4, v4, v5
	s_delay_alu instid0(VALU_DEP_1) | instskip(NEXT) | instid1(VALU_DEP_1)
	v_add_f32_e32 v4, v59, v4
	v_cndmask_b32_e32 v67, v4, v6, vcc_lo
.LBB72_56:                              ;   in Loop: Header=BB72_12 Depth=1
	s_or_b32 exec_lo, exec_lo, s21
	v_lshrrev_b32_e32 v4, 16, v7
	s_delay_alu instid0(VALU_DEP_1) | instskip(NEXT) | instid1(VALU_DEP_1)
	v_cvt_f32_f16_e32 v4, v4
	v_add_f32_e32 v68, s60, v4
	s_delay_alu instid0(VALU_DEP_1) | instskip(SKIP_1) | instid1(SALU_CYCLE_1)
	v_cmp_ge_f32_e32 vcc_lo, 0x41a00000, v68
	s_and_b32 s20, s67, vcc_lo
	s_and_saveexec_b32 s21, s20
	s_cbranch_execz .LBB72_58
; %bb.57:                               ;   in Loop: Header=BB72_12 Depth=1
	v_mul_f32_e32 v4, 0x3fb8aa3b, v68
	v_cmp_ngt_f32_e32 vcc_lo, 0xc2ce8ed0, v68
	s_delay_alu instid0(VALU_DEP_2) | instskip(SKIP_1) | instid1(VALU_DEP_2)
	v_rndne_f32_e32 v5, v4
	v_fma_f32 v6, 0x3fb8aa3b, v68, -v4
	v_sub_f32_e32 v4, v4, v5
	s_delay_alu instid0(VALU_DEP_2) | instskip(SKIP_1) | instid1(VALU_DEP_2)
	v_fmac_f32_e32 v6, 0x32a5705f, v68
	v_cvt_i32_f32_e32 v5, v5
	v_add_f32_e32 v4, v4, v6
	s_delay_alu instid0(VALU_DEP_1) | instskip(SKIP_2) | instid1(VALU_DEP_1)
	v_exp_f32_e32 v4, v4
	s_waitcnt_depctr 0xfff
	v_ldexp_f32 v4, v4, v5
	v_cndmask_b32_e32 v4, 0, v4, vcc_lo
	v_cmp_nlt_f32_e32 vcc_lo, 0x42b17218, v68
	s_delay_alu instid0(VALU_DEP_2) | instskip(NEXT) | instid1(VALU_DEP_1)
	v_cndmask_b32_e32 v6, 0x7f800000, v4, vcc_lo
	v_add_f32_e32 v7, 1.0, v6
	s_delay_alu instid0(VALU_DEP_1) | instskip(NEXT) | instid1(VALU_DEP_1)
	v_cvt_f64_f32_e32 v[4:5], v7
	v_frexp_exp_i32_f64_e32 v4, v[4:5]
	v_frexp_mant_f32_e32 v5, v7
	s_delay_alu instid0(VALU_DEP_1) | instskip(SKIP_1) | instid1(VALU_DEP_1)
	v_cmp_gt_f32_e32 vcc_lo, 0x3f2aaaab, v5
	v_add_f32_e32 v5, -1.0, v7
	v_sub_f32_e32 v9, v5, v7
	s_delay_alu instid0(VALU_DEP_1) | instskip(SKIP_1) | instid1(VALU_DEP_1)
	v_add_f32_e32 v9, 1.0, v9
	v_subrev_co_ci_u32_e32 v4, vcc_lo, 0, v4, vcc_lo
	v_sub_nc_u32_e32 v8, 0, v4
	v_cvt_f32_i32_e32 v4, v4
	s_delay_alu instid0(VALU_DEP_2) | instskip(NEXT) | instid1(VALU_DEP_1)
	v_ldexp_f32 v7, v7, v8
	v_add_f32_e32 v57, 1.0, v7
	v_sub_f32_e32 v5, v6, v5
	v_cmp_eq_f32_e32 vcc_lo, 0x7f800000, v6
	v_cmp_gt_f32_e64 s20, 0x33800000, v6
	s_delay_alu instid0(VALU_DEP_3) | instskip(NEXT) | instid1(VALU_DEP_2)
	v_add_f32_e32 v5, v5, v9
	s_or_b32 vcc_lo, s20, vcc_lo
	s_delay_alu instid0(VALU_DEP_1) | instskip(SKIP_1) | instid1(VALU_DEP_1)
	v_ldexp_f32 v5, v5, v8
	v_dual_add_f32 v8, -1.0, v7 :: v_dual_add_f32 v9, -1.0, v57
	v_dual_add_f32 v58, 1.0, v8 :: v_dual_sub_f32 v9, v7, v9
	s_delay_alu instid0(VALU_DEP_1) | instskip(NEXT) | instid1(VALU_DEP_1)
	v_add_f32_e32 v9, v5, v9
	v_dual_sub_f32 v7, v7, v58 :: v_dual_add_f32 v58, v57, v9
	s_delay_alu instid0(VALU_DEP_1) | instskip(NEXT) | instid1(VALU_DEP_2)
	v_add_f32_e32 v5, v5, v7
	v_rcp_f32_e32 v7, v58
	s_delay_alu instid0(VALU_DEP_1) | instskip(NEXT) | instid1(VALU_DEP_1)
	v_add_f32_e32 v59, v8, v5
	v_dual_sub_f32 v57, v57, v58 :: v_dual_sub_f32 v8, v8, v59
	s_waitcnt_depctr 0xfff
	v_dual_mul_f32 v60, v59, v7 :: v_dual_add_f32 v9, v9, v57
	v_add_f32_e32 v5, v5, v8
	s_delay_alu instid0(VALU_DEP_2) | instskip(NEXT) | instid1(VALU_DEP_1)
	v_mul_f32_e32 v61, v58, v60
	v_fma_f32 v57, v60, v58, -v61
	s_delay_alu instid0(VALU_DEP_1) | instskip(NEXT) | instid1(VALU_DEP_1)
	v_fmac_f32_e32 v57, v60, v9
	v_add_f32_e32 v62, v61, v57
	s_delay_alu instid0(VALU_DEP_1) | instskip(NEXT) | instid1(VALU_DEP_1)
	v_sub_f32_e32 v63, v59, v62
	v_dual_sub_f32 v59, v59, v63 :: v_dual_sub_f32 v8, v62, v61
	s_delay_alu instid0(VALU_DEP_1) | instskip(NEXT) | instid1(VALU_DEP_1)
	v_dual_sub_f32 v59, v59, v62 :: v_dual_sub_f32 v8, v8, v57
	v_add_f32_e32 v5, v5, v59
	s_delay_alu instid0(VALU_DEP_1) | instskip(NEXT) | instid1(VALU_DEP_1)
	v_add_f32_e32 v5, v8, v5
	v_add_f32_e32 v8, v63, v5
	s_delay_alu instid0(VALU_DEP_1) | instskip(NEXT) | instid1(VALU_DEP_1)
	v_mul_f32_e32 v57, v7, v8
	v_mul_f32_e32 v59, v58, v57
	s_delay_alu instid0(VALU_DEP_1) | instskip(NEXT) | instid1(VALU_DEP_1)
	v_fma_f32 v58, v57, v58, -v59
	v_fmac_f32_e32 v58, v57, v9
	v_sub_f32_e32 v62, v63, v8
	s_delay_alu instid0(VALU_DEP_2) | instskip(NEXT) | instid1(VALU_DEP_2)
	v_add_f32_e32 v9, v59, v58
	v_add_f32_e32 v5, v5, v62
	s_delay_alu instid0(VALU_DEP_2) | instskip(NEXT) | instid1(VALU_DEP_1)
	v_sub_f32_e32 v61, v8, v9
	v_dual_sub_f32 v59, v9, v59 :: v_dual_sub_f32 v8, v8, v61
	s_delay_alu instid0(VALU_DEP_1) | instskip(NEXT) | instid1(VALU_DEP_1)
	v_dual_sub_f32 v8, v8, v9 :: v_dual_sub_f32 v9, v59, v58
	v_dual_add_f32 v5, v5, v8 :: v_dual_add_f32 v8, v60, v57
	s_delay_alu instid0(VALU_DEP_1) | instskip(NEXT) | instid1(VALU_DEP_2)
	v_add_f32_e32 v5, v9, v5
	v_sub_f32_e32 v9, v8, v60
	s_delay_alu instid0(VALU_DEP_2) | instskip(NEXT) | instid1(VALU_DEP_2)
	v_add_f32_e32 v5, v61, v5
	v_sub_f32_e32 v9, v57, v9
	s_delay_alu instid0(VALU_DEP_2) | instskip(NEXT) | instid1(VALU_DEP_1)
	v_mul_f32_e32 v5, v7, v5
	v_add_f32_e32 v5, v9, v5
	s_delay_alu instid0(VALU_DEP_1) | instskip(NEXT) | instid1(VALU_DEP_1)
	v_add_f32_e32 v7, v8, v5
	v_mul_f32_e32 v9, v7, v7
	s_delay_alu instid0(VALU_DEP_1) | instskip(SKIP_1) | instid1(VALU_DEP_2)
	v_fmaak_f32 v57, s54, v9, 0x3ecc95a3
	v_mul_f32_e32 v58, v7, v9
	v_fmaak_f32 v9, v9, v57, 0x3f2aaada
	v_ldexp_f32 v57, v7, 1
	s_delay_alu instid0(VALU_DEP_2) | instskip(SKIP_2) | instid1(VALU_DEP_3)
	v_mul_f32_e32 v9, v58, v9
	v_sub_f32_e32 v7, v7, v8
	v_mul_f32_e32 v58, 0x3f317218, v4
	v_add_f32_e32 v8, v57, v9
	s_delay_alu instid0(VALU_DEP_3) | instskip(NEXT) | instid1(VALU_DEP_2)
	v_sub_f32_e32 v5, v5, v7
	v_sub_f32_e32 v7, v8, v57
	s_delay_alu instid0(VALU_DEP_4) | instskip(NEXT) | instid1(VALU_DEP_3)
	v_fma_f32 v57, 0x3f317218, v4, -v58
	v_ldexp_f32 v5, v5, 1
	s_delay_alu instid0(VALU_DEP_3) | instskip(NEXT) | instid1(VALU_DEP_1)
	v_sub_f32_e32 v7, v9, v7
	v_dual_fmac_f32 v57, 0xb102e308, v4 :: v_dual_add_f32 v4, v5, v7
	s_delay_alu instid0(VALU_DEP_1) | instskip(NEXT) | instid1(VALU_DEP_1)
	v_add_f32_e32 v5, v58, v57
	v_dual_add_f32 v7, v8, v4 :: v_dual_sub_f32 v58, v5, v58
	s_delay_alu instid0(VALU_DEP_1) | instskip(NEXT) | instid1(VALU_DEP_2)
	v_dual_add_f32 v9, v5, v7 :: v_dual_sub_f32 v8, v7, v8
	v_sub_f32_e32 v57, v57, v58
	s_delay_alu instid0(VALU_DEP_2) | instskip(NEXT) | instid1(VALU_DEP_1)
	v_dual_sub_f32 v59, v9, v5 :: v_dual_sub_f32 v4, v4, v8
	v_sub_f32_e32 v60, v9, v59
	s_delay_alu instid0(VALU_DEP_2) | instskip(NEXT) | instid1(VALU_DEP_2)
	v_dual_sub_f32 v7, v7, v59 :: v_dual_add_f32 v8, v57, v4
	v_sub_f32_e32 v5, v5, v60
	s_delay_alu instid0(VALU_DEP_1) | instskip(NEXT) | instid1(VALU_DEP_3)
	v_add_f32_e32 v5, v7, v5
	v_sub_f32_e32 v7, v8, v57
	s_delay_alu instid0(VALU_DEP_2) | instskip(NEXT) | instid1(VALU_DEP_2)
	v_add_f32_e32 v5, v8, v5
	v_sub_f32_e32 v8, v8, v7
	v_sub_f32_e32 v4, v4, v7
	s_delay_alu instid0(VALU_DEP_3) | instskip(NEXT) | instid1(VALU_DEP_1)
	v_add_f32_e32 v58, v9, v5
	v_dual_sub_f32 v8, v57, v8 :: v_dual_sub_f32 v7, v58, v9
	s_delay_alu instid0(VALU_DEP_1) | instskip(NEXT) | instid1(VALU_DEP_1)
	v_dual_add_f32 v4, v4, v8 :: v_dual_sub_f32 v5, v5, v7
	v_add_f32_e32 v4, v4, v5
	s_delay_alu instid0(VALU_DEP_1) | instskip(NEXT) | instid1(VALU_DEP_1)
	v_add_f32_e32 v4, v58, v4
	v_cndmask_b32_e32 v68, v4, v6, vcc_lo
.LBB72_58:                              ;   in Loop: Header=BB72_12 Depth=1
	s_or_b32 exec_lo, exec_lo, s21
	v_lshrrev_b32_e32 v5, 16, v2
	v_lshrrev_b32_e32 v6, 16, v3
	;; [unrolled: 1-line block ×4, first 2 shown]
	v_cvt_f32_f16_e32 v4, v3
	v_cvt_f32_f16_e32 v2, v2
	;; [unrolled: 1-line block ×8, first 2 shown]
	v_dual_mul_f32 v60, s61, v4 :: v_dual_mul_f32 v57, s61, v3
	v_dual_mul_f32 v62, s61, v2 :: v_dual_mul_f32 v59, s61, v5
	s_delay_alu instid0(VALU_DEP_4) | instskip(NEXT) | instid1(VALU_DEP_4)
	v_dual_mul_f32 v63, s61, v1 :: v_dual_mul_f32 v58, s61, v6
	v_dual_mul_f32 v64, s61, v0 :: v_dual_mul_f32 v61, s61, v7
	s_and_b32 vcc_lo, exec_lo, s68
	s_barrier
	buffer_gl0_inv
	s_cbranch_vccz .LBB72_122
; %bb.59:                               ;   in Loop: Header=BB72_12 Depth=1
	v_dual_mul_f32 v69, v68, v7 :: v_dual_mul_f32 v74, v67, v4
	v_add_co_u32 v7, s20, s46, v51
	s_delay_alu instid0(VALU_DEP_1) | instskip(SKIP_1) | instid1(VALU_DEP_1)
	v_add_co_ci_u32_e64 v8, null, s49, 0, s20
	v_add_co_u32 v9, s20, s50, v51
	v_add_co_ci_u32_e64 v73, null, s64, 0, s20
	s_delay_alu instid0(VALU_DEP_4) | instskip(NEXT) | instid1(VALU_DEP_4)
	v_add_co_u32 v70, vcc_lo, v7, v52
	v_add_co_ci_u32_e32 v71, vcc_lo, 0, v8, vcc_lo
	s_delay_alu instid0(VALU_DEP_4) | instskip(NEXT) | instid1(VALU_DEP_4)
	v_add_co_u32 v72, vcc_lo, v9, v52
	v_add_co_ci_u32_e32 v73, vcc_lo, 0, v73, vcc_lo
	v_cmp_gt_u32_e32 vcc_lo, s23, v10
	s_cmp_lg_u32 s58, 0
	v_cmp_gt_u32_e64 s21, s23, v44
	s_cselect_b32 s31, -1, 0
	s_cmp_eq_u32 s58, s70
	v_cmp_gt_u32_e64 s22, s23, v45
	s_cselect_b32 s71, -1, 0
	s_or_b32 s20, s69, vcc_lo
	v_cmp_gt_u32_e32 vcc_lo, s23, v46
	v_cmp_gt_u32_e64 s24, s23, v47
	v_cmp_gt_u32_e64 s25, s23, v48
	;; [unrolled: 1-line block ×4, first 2 shown]
	v_dual_mul_f32 v75, v66, v3 :: v_dual_mul_f32 v76, v65, v2
	v_dual_mul_f32 v77, v56, v5 :: v_dual_mul_f32 v80, v53, v0
	;; [unrolled: 1-line block ×3, first 2 shown]
	s_mov_b32 s34, 0
	s_or_b32 s21, s69, s21
	s_or_b32 s22, s69, s22
	s_or_b32 s23, s69, vcc_lo
	s_or_b32 s24, s69, s24
	s_or_b32 s25, s69, s25
	;; [unrolled: 1-line block ×4, first 2 shown]
	s_mov_b32 s38, s34
	s_mov_b32 s40, s34
	;; [unrolled: 1-line block ×5, first 2 shown]
	s_branch .LBB72_61
.LBB72_60:                              ;   in Loop: Header=BB72_61 Depth=2
	s_or_b32 exec_lo, exec_lo, s28
	v_cndmask_b32_e64 v5, v98, v7, s11
	v_cndmask_b32_e64 v6, v97, v6, s11
	s_add_i32 s72, s72, -1
	s_add_i32 s73, s73, 8
	s_add_i32 s42, s42, s37
	v_fma_f32 v5, v5, v84, v82
	v_mul_f32_e32 v6, v6, v84
	s_add_i32 s40, s40, s36
	s_add_i32 s38, s38, s48
	s_add_i32 s34, s34, s45
	v_cndmask_b32_e64 v5, v5, v82, s10
	v_cndmask_b32_e64 v6, v6, v84, s10
	s_cmp_eq_u32 s72, 0
	s_waitcnt lgkmcnt(0)
	s_delay_alu instid0(VALU_DEP_1) | instskip(NEXT) | instid1(VALU_DEP_1)
	v_fmac_f32_e32 v5, v4, v6
	v_fmac_f32_e32 v81, v5, v86
	v_fma_mix_f32 v64, v5, v0, v64 op_sel_hi:[0,1,0]
	s_delay_alu instid0(VALU_DEP_2) | instskip(SKIP_1) | instid1(VALU_DEP_2)
	v_fmac_f32_e32 v83, v81, v88
	v_fma_mix_f32 v58, v81, v0, v58 op_sel:[0,1,0] op_sel_hi:[0,1,0]
	v_fmac_f32_e32 v85, v83, v90
	v_fma_mix_f32 v63, v83, v1, v63 op_sel_hi:[0,1,0]
	s_delay_alu instid0(VALU_DEP_2) | instskip(SKIP_1) | instid1(VALU_DEP_2)
	v_fmac_f32_e32 v87, v85, v91
	v_fma_mix_f32 v59, v85, v1, v59 op_sel:[0,1,0] op_sel_hi:[0,1,0]
	;; [unrolled: 5-line block ×3, first 2 shown]
	v_fmac_f32_e32 v93, v92, v95
	v_fma_mix_f32 v60, v92, v3, v60 op_sel_hi:[0,1,0]
	s_delay_alu instid0(VALU_DEP_2)
	v_fma_mix_f32 v61, v93, v3, v61 op_sel:[0,1,0] op_sel_hi:[0,1,0]
	s_cbranch_scc1 .LBB72_122
.LBB72_61:                              ;   Parent Loop BB72_12 Depth=1
                                        ; =>  This Inner Loop Header: Depth=2
	s_lshl_b64 s[74:75], s[34:35], 2
	s_mov_b32 s39, s35
	s_add_u32 s74, s62, s74
	s_addc_u32 s75, s63, s75
	v_dual_mov_b32 v2, 0 :: v_dual_mov_b32 v3, 0
	global_load_b32 v81, v13, s[74:75]
	s_lshl_b64 s[74:75], s[38:39], 1
	s_delay_alu instid0(SALU_CYCLE_1)
	v_add_co_u32 v0, vcc_lo, v70, s74
	v_add_co_ci_u32_e32 v1, vcc_lo, s75, v71, vcc_lo
	s_and_saveexec_b32 s28, s12
	s_cbranch_execnz .LBB72_81
; %bb.62:                               ;   in Loop: Header=BB72_61 Depth=2
	s_or_b32 exec_lo, exec_lo, s28
	s_and_saveexec_b32 s28, s13
	s_cbranch_execnz .LBB72_82
.LBB72_63:                              ;   in Loop: Header=BB72_61 Depth=2
	s_or_b32 exec_lo, exec_lo, s28
	v_mov_b32_e32 v4, 0
	s_and_saveexec_b32 s28, s14
	s_cbranch_execnz .LBB72_83
.LBB72_64:                              ;   in Loop: Header=BB72_61 Depth=2
	s_or_b32 exec_lo, exec_lo, s28
	s_and_saveexec_b32 s28, s15
	s_cbranch_execnz .LBB72_84
.LBB72_65:                              ;   in Loop: Header=BB72_61 Depth=2
	s_or_b32 exec_lo, exec_lo, s28
	v_mov_b32_e32 v5, 0
	s_and_saveexec_b32 s28, s16
	s_cbranch_execnz .LBB72_85
.LBB72_66:                              ;   in Loop: Header=BB72_61 Depth=2
	s_or_b32 exec_lo, exec_lo, s28
	s_and_saveexec_b32 s28, s17
	s_cbranch_execnz .LBB72_86
.LBB72_67:                              ;   in Loop: Header=BB72_61 Depth=2
	s_or_b32 exec_lo, exec_lo, s28
	v_mov_b32_e32 v6, 0
	s_and_saveexec_b32 s28, s18
	s_cbranch_execnz .LBB72_87
.LBB72_68:                              ;   in Loop: Header=BB72_61 Depth=2
	s_or_b32 exec_lo, exec_lo, s28
	s_and_saveexec_b32 s28, s19
	s_cbranch_execz .LBB72_70
.LBB72_69:                              ;   in Loop: Header=BB72_61 Depth=2
	global_load_u16 v0, v[0:1], off offset:448
	s_waitcnt vmcnt(0)
	v_lshl_or_b32 v6, v0, 16, v6
.LBB72_70:                              ;   in Loop: Header=BB72_61 Depth=2
	s_or_b32 exec_lo, exec_lo, s28
	s_waitcnt vmcnt(0)
	ds_store_b16 v20, v3
	ds_store_b16 v20, v2 offset:64
	ds_store_b16 v21, v4 offset:128
	ds_store_b16_d16_hi v22, v4 offset:192
	ds_store_b16 v23, v5 offset:256
	ds_store_b16_d16_hi v24, v5 offset:320
	;; [unrolled: 2-line block ×3, first 2 shown]
	; wave barrier
	ds_load_b128 v[4:7], v27
	s_mov_b32 s41, s35
	v_dual_mov_b32 v2, 0 :: v_dual_mov_b32 v3, 0
	s_lshl_b64 s[74:75], s[40:41], 1
	s_delay_alu instid0(SALU_CYCLE_1)
	v_add_co_u32 v0, vcc_lo, v72, s74
	v_add_co_ci_u32_e32 v1, vcc_lo, s75, v73, vcc_lo
	s_and_saveexec_b32 s28, s12
	s_cbranch_execnz .LBB72_88
; %bb.71:                               ;   in Loop: Header=BB72_61 Depth=2
	s_or_b32 exec_lo, exec_lo, s28
	s_and_saveexec_b32 s28, s13
	s_cbranch_execnz .LBB72_89
.LBB72_72:                              ;   in Loop: Header=BB72_61 Depth=2
	s_or_b32 exec_lo, exec_lo, s28
	v_mov_b32_e32 v8, 0
	s_and_saveexec_b32 s28, s14
	s_cbranch_execnz .LBB72_90
.LBB72_73:                              ;   in Loop: Header=BB72_61 Depth=2
	s_or_b32 exec_lo, exec_lo, s28
	s_and_saveexec_b32 s28, s15
	s_cbranch_execnz .LBB72_91
.LBB72_74:                              ;   in Loop: Header=BB72_61 Depth=2
	s_or_b32 exec_lo, exec_lo, s28
	v_mov_b32_e32 v9, 0
	s_and_saveexec_b32 s28, s16
	s_cbranch_execnz .LBB72_92
.LBB72_75:                              ;   in Loop: Header=BB72_61 Depth=2
	s_or_b32 exec_lo, exec_lo, s28
	s_and_saveexec_b32 s28, s17
	s_cbranch_execnz .LBB72_93
.LBB72_76:                              ;   in Loop: Header=BB72_61 Depth=2
	s_or_b32 exec_lo, exec_lo, s28
	v_mov_b32_e32 v82, 0
	s_and_saveexec_b32 s28, s18
	s_cbranch_execnz .LBB72_94
.LBB72_77:                              ;   in Loop: Header=BB72_61 Depth=2
	s_or_b32 exec_lo, exec_lo, s28
	s_and_saveexec_b32 s28, s19
	s_cbranch_execz .LBB72_79
.LBB72_78:                              ;   in Loop: Header=BB72_61 Depth=2
	global_load_u16 v0, v[0:1], off offset:448
	s_waitcnt vmcnt(0)
	v_lshl_or_b32 v82, v0, 16, v82
.LBB72_79:                              ;   in Loop: Header=BB72_61 Depth=2
	s_or_b32 exec_lo, exec_lo, s28
	s_waitcnt vmcnt(0)
	ds_store_b16 v20, v3 offset:1056
	ds_store_b16 v28, v2 offset:64
	;; [unrolled: 1-line block ×3, first 2 shown]
	ds_store_b16_d16_hi v30, v8 offset:192
	ds_store_b16 v31, v9 offset:256
	ds_store_b16_d16_hi v32, v9 offset:320
	ds_store_b16 v33, v82 offset:384
	ds_store_b16_d16_hi v34, v82 offset:448
	; wave barrier
	ds_load_b128 v[0:3], v27 offset:1056
	s_and_not1_b32 vcc_lo, exec_lo, s31
	s_cbranch_vccnz .LBB72_95
; %bb.80:                               ;   in Loop: Header=BB72_61 Depth=2
	v_mov_b32_e32 v8, s73
	ds_load_b64 v[8:9], v8
	s_cbranch_execz .LBB72_96
	s_branch .LBB72_99
.LBB72_81:                              ;   in Loop: Header=BB72_61 Depth=2
	global_load_u16 v3, v[0:1], off
	s_or_b32 exec_lo, exec_lo, s28
	s_and_saveexec_b32 s28, s13
	s_cbranch_execz .LBB72_63
.LBB72_82:                              ;   in Loop: Header=BB72_61 Depth=2
	global_load_u16 v2, v[0:1], off offset:64
	s_or_b32 exec_lo, exec_lo, s28
	v_mov_b32_e32 v4, 0
	s_and_saveexec_b32 s28, s14
	s_cbranch_execz .LBB72_64
.LBB72_83:                              ;   in Loop: Header=BB72_61 Depth=2
	global_load_u16 v4, v[0:1], off offset:128
	s_or_b32 exec_lo, exec_lo, s28
	s_and_saveexec_b32 s28, s15
	s_cbranch_execz .LBB72_65
.LBB72_84:                              ;   in Loop: Header=BB72_61 Depth=2
	global_load_u16 v5, v[0:1], off offset:192
	s_waitcnt vmcnt(0)
	v_lshl_or_b32 v4, v5, 16, v4
	s_or_b32 exec_lo, exec_lo, s28
	v_mov_b32_e32 v5, 0
	s_and_saveexec_b32 s28, s16
	s_cbranch_execz .LBB72_66
.LBB72_85:                              ;   in Loop: Header=BB72_61 Depth=2
	global_load_u16 v5, v[0:1], off offset:256
	s_or_b32 exec_lo, exec_lo, s28
	s_and_saveexec_b32 s28, s17
	s_cbranch_execz .LBB72_67
.LBB72_86:                              ;   in Loop: Header=BB72_61 Depth=2
	global_load_u16 v6, v[0:1], off offset:320
	s_waitcnt vmcnt(0)
	v_lshl_or_b32 v5, v6, 16, v5
	s_or_b32 exec_lo, exec_lo, s28
	v_mov_b32_e32 v6, 0
	s_and_saveexec_b32 s28, s18
	s_cbranch_execz .LBB72_68
.LBB72_87:                              ;   in Loop: Header=BB72_61 Depth=2
	global_load_u16 v6, v[0:1], off offset:384
	s_or_b32 exec_lo, exec_lo, s28
	s_and_saveexec_b32 s28, s19
	s_cbranch_execnz .LBB72_69
	s_branch .LBB72_70
.LBB72_88:                              ;   in Loop: Header=BB72_61 Depth=2
	global_load_u16 v3, v[0:1], off
	s_or_b32 exec_lo, exec_lo, s28
	s_and_saveexec_b32 s28, s13
	s_cbranch_execz .LBB72_72
.LBB72_89:                              ;   in Loop: Header=BB72_61 Depth=2
	global_load_u16 v2, v[0:1], off offset:64
	s_or_b32 exec_lo, exec_lo, s28
	v_mov_b32_e32 v8, 0
	s_and_saveexec_b32 s28, s14
	s_cbranch_execz .LBB72_73
.LBB72_90:                              ;   in Loop: Header=BB72_61 Depth=2
	global_load_u16 v8, v[0:1], off offset:128
	s_or_b32 exec_lo, exec_lo, s28
	s_and_saveexec_b32 s28, s15
	s_cbranch_execz .LBB72_74
.LBB72_91:                              ;   in Loop: Header=BB72_61 Depth=2
	global_load_u16 v9, v[0:1], off offset:192
	s_waitcnt vmcnt(0)
	v_lshl_or_b32 v8, v9, 16, v8
	s_or_b32 exec_lo, exec_lo, s28
	v_mov_b32_e32 v9, 0
	s_and_saveexec_b32 s28, s16
	s_cbranch_execz .LBB72_75
.LBB72_92:                              ;   in Loop: Header=BB72_61 Depth=2
	global_load_u16 v9, v[0:1], off offset:256
	s_or_b32 exec_lo, exec_lo, s28
	s_and_saveexec_b32 s28, s17
	s_cbranch_execz .LBB72_76
.LBB72_93:                              ;   in Loop: Header=BB72_61 Depth=2
	global_load_u16 v82, v[0:1], off offset:320
	s_waitcnt vmcnt(0)
	v_lshl_or_b32 v9, v82, 16, v9
	s_or_b32 exec_lo, exec_lo, s28
	v_mov_b32_e32 v82, 0
	s_and_saveexec_b32 s28, s18
	s_cbranch_execz .LBB72_77
.LBB72_94:                              ;   in Loop: Header=BB72_61 Depth=2
	global_load_u16 v82, v[0:1], off offset:384
	s_or_b32 exec_lo, exec_lo, s28
	s_and_saveexec_b32 s28, s19
	s_cbranch_execnz .LBB72_78
	s_branch .LBB72_79
.LBB72_95:                              ;   in Loop: Header=BB72_61 Depth=2
                                        ; implicit-def: $vgpr8
.LBB72_96:                              ;   in Loop: Header=BB72_61 Depth=2
	s_waitcnt lgkmcnt(0)
	v_mov_b32_e32 v9, 0
	s_and_not1_b32 vcc_lo, exec_lo, s33
	s_cbranch_vccnz .LBB72_98
; %bb.97:                               ;   in Loop: Header=BB72_61 Depth=2
	s_mov_b32 s43, s35
	s_delay_alu instid0(SALU_CYCLE_1) | instskip(NEXT) | instid1(SALU_CYCLE_1)
	s_lshl_b64 s[74:75], s[42:43], 1
	s_add_u32 s74, s53, s74
	s_addc_u32 s75, s65, s75
	global_load_u16 v8, v13, s[74:75]
	s_waitcnt vmcnt(0)
	v_cvt_f32_f16_e32 v9, v8
.LBB72_98:                              ;   in Loop: Header=BB72_61 Depth=2
	v_mov_b32_e32 v8, 1.0
.LBB72_99:                              ;   in Loop: Header=BB72_61 Depth=2
	s_waitcnt lgkmcnt(9)
	v_lshrrev_b32_e32 v82, 16, v5
	v_lshrrev_b32_e32 v85, 16, v7
	v_cvt_f32_f16_e32 v7, v7
	v_lshrrev_b32_e32 v83, 16, v6
	v_cvt_f32_f16_e32 v5, v5
	v_cvt_f32_f16_e32 v87, v82
	v_mul_f32_e32 v92, 0x3fb8aa3b, v81
	v_cvt_f32_f16_e32 v93, v85
	v_lshrrev_b32_e32 v81, 16, v4
	v_cvt_f32_f16_e32 v4, v4
	s_delay_alu instid0(VALU_DEP_4)
	v_dual_mul_f32 v87, v77, v87 :: v_dual_mul_f32 v84, v92, v53
	v_mul_f32_e32 v7, v74, v7
	v_cvt_f32_f16_e32 v89, v83
	v_cvt_f32_f16_e32 v81, v81
	v_mul_f32_e32 v83, v92, v55
	v_cmp_gt_f32_e32 vcc_lo, 0xc2fc0000, v84
	v_mul_f32_e32 v4, v80, v4
	v_cvt_f32_f16_e32 v6, v6
	v_mul_f32_e32 v95, v92, v68
	v_mul_f32_e32 v5, v78, v5
	v_cndmask_b32_e64 v84, 0, 0x42800000, vcc_lo
	v_cndmask_b32_e64 v85, 1.0, 0x1f800000, vcc_lo
	v_dual_mul_f32 v6, v76, v6 :: v_dual_mul_f32 v89, v75, v89
	v_mul_f32_e32 v93, v69, v93
	s_delay_alu instid0(VALU_DEP_4) | instskip(NEXT) | instid1(VALU_DEP_3)
	v_fmac_f32_e32 v84, v92, v53
	v_cndmask_b32_e64 v89, 0, v89, s25
	s_delay_alu instid0(VALU_DEP_3) | instskip(NEXT) | instid1(VALU_DEP_3)
	v_cndmask_b32_e64 v93, 0, v93, s27
	v_exp_f32_e32 v82, v84
	s_waitcnt_depctr 0xfff
	v_dual_mul_f32 v86, v92, v54 :: v_dual_mul_f32 v85, v82, v85
	s_delay_alu instid0(VALU_DEP_1) | instskip(SKIP_3) | instid1(VALU_DEP_4)
	v_cmp_gt_f32_e64 s28, 0xc2fc0000, v86
	v_cndmask_b32_e64 v82, 0, v4, s20
	v_mul_f32_e32 v4, v79, v81
	v_cmp_gt_f32_e32 vcc_lo, 0xc2fc0000, v83
	v_cndmask_b32_e64 v86, 0, 0x42800000, s28
	v_cndmask_b32_e64 v88, 1.0, 0x1f800000, s28
	s_delay_alu instid0(VALU_DEP_4) | instskip(SKIP_1) | instid1(VALU_DEP_4)
	v_cndmask_b32_e64 v81, 0, v4, s21
	v_cndmask_b32_e64 v83, 0, 0x42800000, vcc_lo
	v_fmac_f32_e32 v86, v92, v54
	s_delay_alu instid0(VALU_DEP_1) | instskip(SKIP_1) | instid1(VALU_DEP_1)
	v_exp_f32_e32 v84, v86
	v_mul_f32_e32 v86, v92, v56
	v_cmp_gt_f32_e64 s28, 0xc2fc0000, v86
	s_waitcnt_depctr 0xfff
	v_mul_f32_e32 v88, v84, v88
	v_cndmask_b32_e64 v84, 1.0, v85, s20
	v_cndmask_b32_e64 v85, 0, 0x42800000, s28
	s_delay_alu instid0(VALU_DEP_3) | instskip(SKIP_1) | instid1(VALU_DEP_3)
	v_cndmask_b32_e64 v86, 1.0, v88, s21
	v_cndmask_b32_e64 v88, 1.0, 0x1f800000, vcc_lo
	v_fmac_f32_e32 v85, v92, v56
	s_delay_alu instid0(VALU_DEP_1) | instskip(SKIP_1) | instid1(VALU_DEP_1)
	v_exp_f32_e32 v85, v85
	v_fmac_f32_e32 v83, v92, v55
	v_exp_f32_e32 v4, v83
	v_mul_f32_e32 v83, v92, v65
	s_delay_alu instid0(VALU_DEP_1)
	v_cmp_gt_f32_e32 vcc_lo, 0xc2fc0000, v83
	v_cndmask_b32_e64 v83, 0, v5, s22
	v_cndmask_b32_e64 v5, 1.0, 0x1f800000, s28
	s_waitcnt_depctr 0xfff
	v_mul_f32_e32 v4, v4, v88
	v_cndmask_b32_e64 v90, 0, 0x42800000, vcc_lo
	s_delay_alu instid0(VALU_DEP_2) | instskip(SKIP_1) | instid1(VALU_DEP_3)
	v_cndmask_b32_e64 v88, 1.0, v4, s22
	v_mul_f32_e32 v91, v92, v66
	v_fmac_f32_e32 v90, v92, v65
	v_mul_f32_e32 v4, v85, v5
	v_cndmask_b32_e64 v5, 1.0, 0x1f800000, vcc_lo
	v_cndmask_b32_e64 v85, 0, v87, s23
	v_cmp_gt_f32_e64 s28, 0xc2fc0000, v91
	v_exp_f32_e32 v94, v90
	v_cndmask_b32_e64 v90, 1.0, v4, s23
	v_cndmask_b32_e64 v87, 0, v6, s24
	s_delay_alu instid0(VALU_DEP_3) | instskip(SKIP_3) | instid1(VALU_DEP_4)
	v_cndmask_b32_e64 v91, 0, 0x42800000, s28
	v_cndmask_b32_e64 v6, 1.0, 0x1f800000, s28
	v_cmp_gt_f32_e64 s28, 0xc2fc0000, v95
	v_fma_f32 v95, v86, v82, v81
	v_fmac_f32_e32 v91, v92, v66
	s_delay_alu instid0(TRANS32_DEP_1) | instskip(NEXT) | instid1(VALU_DEP_2)
	v_mul_f32_e32 v5, v94, v5
	v_exp_f32_e32 v4, v91
	v_mul_f32_e32 v91, v92, v67
	s_delay_alu instid0(VALU_DEP_1) | instskip(NEXT) | instid1(VALU_DEP_3)
	v_cmp_gt_f32_e32 vcc_lo, 0xc2fc0000, v91
	v_cndmask_b32_e64 v91, 1.0, v5, s24
	v_cndmask_b32_e64 v5, 0, 0x42800000, s28
	s_waitcnt_depctr 0xfff
	v_mul_f32_e32 v4, v4, v6
	v_cndmask_b32_e64 v94, 0, 0x42800000, vcc_lo
	v_mul_f32_e32 v6, v86, v84
	v_fmac_f32_e32 v5, v92, v68
	s_delay_alu instid0(VALU_DEP_4) | instskip(NEXT) | instid1(VALU_DEP_4)
	v_cndmask_b32_e64 v96, 1.0, v4, s25
	v_fmac_f32_e32 v94, v92, v67
	s_delay_alu instid0(VALU_DEP_4)
	v_mul_f32_e32 v4, v6, v88
	v_fma_f32 v6, v95, v88, v83
	v_cndmask_b32_e64 v92, 1.0, 0x1f800000, vcc_lo
	v_exp_f32_e32 v5, v5
	v_exp_f32_e32 v94, v94
	v_mul_f32_e32 v4, v4, v90
	v_fma_f32 v6, v6, v90, v85
	s_delay_alu instid0(VALU_DEP_2) | instskip(NEXT) | instid1(VALU_DEP_2)
	v_mul_f32_e32 v4, v4, v91
	v_fma_f32 v6, v6, v91, v87
	s_waitcnt_depctr 0xfff
	v_mul_f32_e32 v94, v94, v92
	v_cndmask_b32_e64 v92, 0, v7, s26
	v_cndmask_b32_e64 v7, 1.0, 0x1f800000, s28
	v_mul_f32_e32 v4, v4, v96
	v_fma_f32 v6, v6, v96, v89
	v_cndmask_b32_e64 v94, 1.0, v94, s26
	s_delay_alu instid0(VALU_DEP_1) | instskip(NEXT) | instid1(VALU_DEP_1)
	v_dual_mul_f32 v5, v5, v7 :: v_dual_mul_f32 v4, v4, v94
	v_cndmask_b32_e64 v95, 1.0, v5, s27
	s_delay_alu instid0(VALU_DEP_4) | instskip(NEXT) | instid1(VALU_DEP_2)
	v_fma_f32 v5, v6, v94, v92
	v_mul_f32_e32 v4, v4, v95
	s_delay_alu instid0(VALU_DEP_2) | instskip(NEXT) | instid1(VALU_DEP_2)
	v_fma_f32 v5, v5, v95, v93
	v_mov_b32_dpp v7, v4 row_shr:1 row_mask:0xf bank_mask:0xf
	s_delay_alu instid0(VALU_DEP_2)
	v_mov_b32_dpp v6, v5 row_shr:1 row_mask:0xf bank_mask:0xf
	s_and_saveexec_b32 s28, s0
; %bb.100:                              ;   in Loop: Header=BB72_61 Depth=2
	s_delay_alu instid0(VALU_DEP_2) | instskip(NEXT) | instid1(VALU_DEP_1)
	v_mul_f32_e32 v7, v4, v7
	v_dual_fmac_f32 v5, v4, v6 :: v_dual_mov_b32 v4, v7
; %bb.101:                              ;   in Loop: Header=BB72_61 Depth=2
	s_or_b32 exec_lo, exec_lo, s28
	s_delay_alu instid0(VALU_DEP_1) | instskip(NEXT) | instid1(VALU_DEP_2)
	v_mov_b32_dpp v6, v4 row_shr:2 row_mask:0xf bank_mask:0xf
	v_mov_b32_dpp v7, v5 row_shr:2 row_mask:0xf bank_mask:0xf
	s_and_saveexec_b32 s28, s1
; %bb.102:                              ;   in Loop: Header=BB72_61 Depth=2
	s_delay_alu instid0(VALU_DEP_1) | instskip(NEXT) | instid1(VALU_DEP_3)
	v_fmac_f32_e32 v5, v4, v7
	v_mul_f32_e32 v4, v4, v6
; %bb.103:                              ;   in Loop: Header=BB72_61 Depth=2
	s_or_b32 exec_lo, exec_lo, s28
	s_delay_alu instid0(VALU_DEP_1) | instskip(NEXT) | instid1(VALU_DEP_3)
	v_mov_b32_dpp v6, v4 row_shr:4 row_mask:0xf bank_mask:0xf
	v_mov_b32_dpp v7, v5 row_shr:4 row_mask:0xf bank_mask:0xf
	s_and_saveexec_b32 s28, s2
; %bb.104:                              ;   in Loop: Header=BB72_61 Depth=2
	s_delay_alu instid0(VALU_DEP_1) | instskip(NEXT) | instid1(VALU_DEP_3)
	v_fmac_f32_e32 v5, v4, v7
	v_mul_f32_e32 v4, v4, v6
; %bb.105:                              ;   in Loop: Header=BB72_61 Depth=2
	s_or_b32 exec_lo, exec_lo, s28
	s_delay_alu instid0(VALU_DEP_1) | instskip(NEXT) | instid1(VALU_DEP_3)
	v_mov_b32_dpp v6, v4 row_shr:8 row_mask:0xf bank_mask:0xf
	v_mov_b32_dpp v7, v5 row_shr:8 row_mask:0xf bank_mask:0xf
	s_and_saveexec_b32 s28, s3
; %bb.106:                              ;   in Loop: Header=BB72_61 Depth=2
	s_delay_alu instid0(VALU_DEP_1) | instskip(NEXT) | instid1(VALU_DEP_3)
	v_fmac_f32_e32 v5, v4, v7
	v_mul_f32_e32 v4, v4, v6
; %bb.107:                              ;   in Loop: Header=BB72_61 Depth=2
	s_or_b32 exec_lo, exec_lo, s28
	ds_swizzle_b32 v7, v4 offset:swizzle(BROADCAST,32,15)
	ds_swizzle_b32 v6, v5 offset:swizzle(BROADCAST,32,15)
	s_and_saveexec_b32 s28, s4
	s_cbranch_execz .LBB72_109
; %bb.108:                              ;   in Loop: Header=BB72_61 Depth=2
	s_waitcnt lgkmcnt(1)
	v_mul_f32_e32 v7, v4, v7
	s_waitcnt lgkmcnt(0)
	s_delay_alu instid0(VALU_DEP_1)
	v_dual_fmac_f32 v5, v4, v6 :: v_dual_mov_b32 v4, v7
.LBB72_109:                             ;   in Loop: Header=BB72_61 Depth=2
	s_or_b32 exec_lo, exec_lo, s28
	s_and_saveexec_b32 s28, s5
	s_cbranch_execz .LBB72_111
; %bb.110:                              ;   in Loop: Header=BB72_61 Depth=2
	ds_store_b64 v35, v[4:5] offset:2112
.LBB72_111:                             ;   in Loop: Header=BB72_61 Depth=2
	s_or_b32 exec_lo, exec_lo, s28
	s_waitcnt lgkmcnt(0)
	s_waitcnt_vscnt null, 0x0
	s_barrier
	buffer_gl0_inv
	s_and_saveexec_b32 s28, s6
	s_cbranch_execz .LBB72_113
; %bb.112:                              ;   in Loop: Header=BB72_61 Depth=2
	ds_load_b64 v[6:7], v36 offset:2112
	s_waitcnt lgkmcnt(0)
	v_mov_b32_dpp v97, v6 row_shr:1 row_mask:0xf bank_mask:0xf
	v_mov_b32_dpp v98, v7 row_shr:1 row_mask:0xf bank_mask:0xf
	s_delay_alu instid0(VALU_DEP_2) | instskip(NEXT) | instid1(VALU_DEP_2)
	v_mul_f32_e32 v97, v6, v97
	v_fma_f32 v98, v6, v98, v7
	s_delay_alu instid0(VALU_DEP_2) | instskip(NEXT) | instid1(VALU_DEP_2)
	v_cndmask_b32_e64 v6, v97, v6, s7
	v_cndmask_b32_e64 v7, v98, v7, s7
	ds_store_b64 v36, v[6:7] offset:2112
.LBB72_113:                             ;   in Loop: Header=BB72_61 Depth=2
	s_or_b32 exec_lo, exec_lo, s28
	s_waitcnt lgkmcnt(0)
	s_barrier
	buffer_gl0_inv
                                        ; implicit-def: $vgpr7
	s_and_saveexec_b32 s28, s9
	s_cbranch_execz .LBB72_115
; %bb.114:                              ;   in Loop: Header=BB72_61 Depth=2
	ds_load_b64 v[6:7], v35 offset:2104
	s_waitcnt lgkmcnt(0)
	v_mul_f32_e32 v97, v4, v6
	s_delay_alu instid0(VALU_DEP_1)
	v_dual_fmac_f32 v5, v4, v7 :: v_dual_mov_b32 v4, v97
.LBB72_115:                             ;   in Loop: Header=BB72_61 Depth=2
	s_or_b32 exec_lo, exec_lo, s28
	ds_bpermute_b32 v97, v37, v4
	ds_bpermute_b32 v98, v37, v5
	s_and_saveexec_b32 s28, s8
	s_cbranch_execz .LBB72_119
; %bb.116:                              ;   in Loop: Header=BB72_61 Depth=2
	ds_load_b64 v[4:5], v13 offset:2120
	s_and_saveexec_b32 s39, s10
	s_cbranch_execz .LBB72_118
; %bb.117:                              ;   in Loop: Header=BB72_61 Depth=2
	ds_store_b64 v13, v[8:9] offset:2120
.LBB72_118:                             ;   in Loop: Header=BB72_61 Depth=2
	s_or_b32 exec_lo, exec_lo, s39
	s_waitcnt lgkmcnt(0)
	v_fmac_f32_e32 v5, v9, v4
	s_delay_alu instid0(VALU_DEP_1)
	v_dual_mul_f32 v8, v8, v4 :: v_dual_mov_b32 v9, v5
.LBB72_119:                             ;   in Loop: Header=BB72_61 Depth=2
	s_or_b32 exec_lo, exec_lo, s28
	s_waitcnt lgkmcnt(0)
	s_barrier
	buffer_gl0_inv
	ds_load_b32 v4, v13 offset:2124
	s_and_saveexec_b32 s28, s10
	s_cbranch_execz .LBB72_60
; %bb.120:                              ;   in Loop: Header=BB72_61 Depth=2
	v_mov_b32_e32 v5, s73
	s_and_not1_b32 vcc_lo, exec_lo, s71
	ds_store_b64 v5, v[8:9]
	s_cbranch_vccnz .LBB72_60
; %bb.121:                              ;   in Loop: Header=BB72_61 Depth=2
	s_mov_b32 s43, s35
	v_cvt_f16_f32_e32 v5, v9
	s_lshl_b64 s[74:75], s[42:43], 1
	s_delay_alu instid0(SALU_CYCLE_1)
	s_add_u32 s74, s53, s74
	s_addc_u32 s75, s65, s75
	global_store_b16 v13, v5, s[74:75]
	s_branch .LBB72_60
.LBB72_122:                             ;   in Loop: Header=BB72_12 Depth=1
	v_cvt_f16_f32_e32 v0, v64
	v_cvt_f16_f32_e32 v1, v63
	;; [unrolled: 1-line block ×8, first 2 shown]
	s_waitcnt_vscnt null, 0x0
	v_pack_b32_f16 v3, v3, v4
	v_pack_b32_f16 v2, v2, v5
	;; [unrolled: 1-line block ×4, first 2 shown]
	s_barrier
	buffer_gl0_inv
	s_mov_b32 s31, s35
	ds_store_b128 v27, v[0:3]
	; wave barrier
	ds_load_u16 v8, v20 offset:64
	ds_load_u16 v7, v21 offset:128
	;; [unrolled: 1-line block ×7, first 2 shown]
	s_lshl_b64 s[24:25], s[30:31], 1
	s_delay_alu instid0(SALU_CYCLE_1)
	v_add_co_u32 v0, vcc_lo, v38, s24
	v_add_co_ci_u32_e32 v1, vcc_lo, s25, v39, vcc_lo
	s_and_saveexec_b32 s20, s12
	s_cbranch_execnz .LBB72_157
; %bb.123:                              ;   in Loop: Header=BB72_12 Depth=1
	s_or_b32 exec_lo, exec_lo, s20
	s_and_saveexec_b32 s20, s13
	s_cbranch_execnz .LBB72_158
.LBB72_124:                             ;   in Loop: Header=BB72_12 Depth=1
	s_or_b32 exec_lo, exec_lo, s20
	s_and_saveexec_b32 s20, s14
	s_cbranch_execnz .LBB72_159
.LBB72_125:                             ;   in Loop: Header=BB72_12 Depth=1
	s_or_b32 exec_lo, exec_lo, s20
	s_and_saveexec_b32 s20, s15
	s_cbranch_execnz .LBB72_160
.LBB72_126:                             ;   in Loop: Header=BB72_12 Depth=1
	s_or_b32 exec_lo, exec_lo, s20
	s_and_saveexec_b32 s20, s16
	s_cbranch_execnz .LBB72_161
.LBB72_127:                             ;   in Loop: Header=BB72_12 Depth=1
	s_or_b32 exec_lo, exec_lo, s20
	s_and_saveexec_b32 s20, s17
	s_cbranch_execnz .LBB72_162
.LBB72_128:                             ;   in Loop: Header=BB72_12 Depth=1
	s_or_b32 exec_lo, exec_lo, s20
	s_and_saveexec_b32 s20, s18
	s_cbranch_execnz .LBB72_163
.LBB72_129:                             ;   in Loop: Header=BB72_12 Depth=1
	s_or_b32 exec_lo, exec_lo, s20
	s_and_saveexec_b32 s20, s19
	s_cbranch_execz .LBB72_131
.LBB72_130:                             ;   in Loop: Header=BB72_12 Depth=1
	s_waitcnt lgkmcnt(0)
	global_store_b16 v[0:1], v2, off offset:448
.LBB72_131:                             ;   in Loop: Header=BB72_12 Depth=1
	s_or_b32 exec_lo, exec_lo, s20
	v_add_co_u32 v0, vcc_lo, v40, s24
	v_add_co_ci_u32_e32 v1, vcc_lo, s25, v41, vcc_lo
	s_waitcnt lgkmcnt(0)
	v_dual_mov_b32 v2, 0 :: v_dual_mov_b32 v3, 0
	s_waitcnt_vscnt null, 0x0
	s_barrier
	buffer_gl0_inv
	s_and_saveexec_b32 s20, s12
	s_cbranch_execz .LBB72_133
; %bb.132:                              ;   in Loop: Header=BB72_12 Depth=1
	global_load_u16 v3, v[0:1], off
.LBB72_133:                             ;   in Loop: Header=BB72_12 Depth=1
	s_or_b32 exec_lo, exec_lo, s20
	s_and_saveexec_b32 s20, s13
	s_cbranch_execz .LBB72_135
; %bb.134:                              ;   in Loop: Header=BB72_12 Depth=1
	global_load_u16 v2, v[0:1], off offset:64
.LBB72_135:                             ;   in Loop: Header=BB72_12 Depth=1
	s_or_b32 exec_lo, exec_lo, s20
	v_dual_mov_b32 v4, 0 :: v_dual_mov_b32 v5, 0
	s_and_saveexec_b32 s20, s14
	s_cbranch_execz .LBB72_137
; %bb.136:                              ;   in Loop: Header=BB72_12 Depth=1
	global_load_u16 v5, v[0:1], off offset:128
.LBB72_137:                             ;   in Loop: Header=BB72_12 Depth=1
	s_or_b32 exec_lo, exec_lo, s20
	s_and_saveexec_b32 s20, s15
	s_cbranch_execz .LBB72_139
; %bb.138:                              ;   in Loop: Header=BB72_12 Depth=1
	global_load_u16 v4, v[0:1], off offset:192
.LBB72_139:                             ;   in Loop: Header=BB72_12 Depth=1
	s_or_b32 exec_lo, exec_lo, s20
	v_dual_mov_b32 v6, 0 :: v_dual_mov_b32 v7, 0
	s_and_saveexec_b32 s20, s16
	s_cbranch_execz .LBB72_141
; %bb.140:                              ;   in Loop: Header=BB72_12 Depth=1
	global_load_u16 v7, v[0:1], off offset:256
.LBB72_141:                             ;   in Loop: Header=BB72_12 Depth=1
	;; [unrolled: 13-line block ×3, first 2 shown]
	s_or_b32 exec_lo, exec_lo, s20
	s_and_saveexec_b32 s20, s19
	s_cbranch_execz .LBB72_147
; %bb.146:                              ;   in Loop: Header=BB72_12 Depth=1
	global_load_u16 v8, v[0:1], off offset:448
.LBB72_147:                             ;   in Loop: Header=BB72_12 Depth=1
	s_or_b32 exec_lo, exec_lo, s20
	s_waitcnt vmcnt(0)
	ds_store_b16 v20, v3
	ds_store_b16 v20, v2 offset:64
	ds_store_b16 v21, v5 offset:128
	;; [unrolled: 1-line block ×7, first 2 shown]
	; wave barrier
	ds_load_b128 v[0:3], v27
	s_waitcnt lgkmcnt(0)
	s_barrier
	buffer_gl0_inv
	v_cvt_f32_f16_e32 v6, v1
	v_lshrrev_b32_e32 v4, 16, v0
	v_cvt_f32_f16_e32 v7, v0
	v_lshrrev_b32_e32 v5, 16, v1
	s_delay_alu instid0(VALU_DEP_4) | instskip(NEXT) | instid1(VALU_DEP_4)
	v_mul_f32_e32 v8, 0xbfb8aa3b, v6
	v_cvt_f32_f16_e32 v4, v4
	s_delay_alu instid0(VALU_DEP_4) | instskip(NEXT) | instid1(VALU_DEP_4)
	v_mul_f32_e32 v9, 0xbfb8aa3b, v7
	v_cvt_f32_f16_e32 v5, v5
	v_cmp_nlt_f32_e32 vcc_lo, 0x42ce8ed0, v6
	v_rndne_f32_e32 v55, v8
	v_fma_mix_f32 v56, v1, s56, -v8 op_sel_hi:[1,0,0]
	s_delay_alu instid0(VALU_DEP_4)
	v_dual_mul_f32 v53, 0xbfb8aa3b, v4 :: v_dual_mul_f32 v54, 0xbfb8aa3b, v5
	v_rndne_f32_e32 v65, v9
	v_fma_mix_f32 v66, v0, s56, -v9 op_sel_hi:[1,0,0]
	v_sub_f32_e32 v8, v8, v55
	v_fma_mix_f32 v56, v1, s57, v56 op_sel_hi:[1,0,0]
	v_rndne_f32_e32 v67, v53
	v_sub_f32_e32 v9, v9, v65
	v_fma_mix_f32 v68, v0, s56, -v53 op_sel:[1,0,0] op_sel_hi:[1,0,0]
	v_fma_mix_f32 v66, v0, s57, v66 op_sel_hi:[1,0,0]
	v_add_f32_e32 v8, v8, v56
	v_rndne_f32_e32 v69, v54
	v_fma_mix_f32 v70, v1, s56, -v54 op_sel:[1,0,0] op_sel_hi:[1,0,0]
	v_sub_f32_e32 v53, v53, v67
	v_fma_mix_f32 v0, v0, s57, v68 op_sel:[1,0,0] op_sel_hi:[1,0,0]
	s_delay_alu instid0(VALU_DEP_4) | instskip(SKIP_2) | instid1(VALU_DEP_3)
	v_dual_add_f32 v9, v9, v66 :: v_dual_sub_f32 v54, v54, v69
	v_exp_f32_e32 v8, v8
	v_fma_mix_f32 v1, v1, s57, v70 op_sel:[1,0,0] op_sel_hi:[1,0,0]
	v_add_f32_e32 v0, v53, v0
	s_delay_alu instid0(VALU_DEP_3)
	v_exp_f32_e32 v9, v9
	v_cvt_i32_f32_e32 v55, v55
	v_cvt_i32_f32_e32 v56, v65
	v_add_f32_e32 v1, v54, v1
	v_exp_f32_e32 v0, v0
	v_cvt_i32_f32_e32 v65, v67
	v_cvt_i32_f32_e32 v66, v69
	v_ldexp_f32 v8, v8, v55
	v_exp_f32_e32 v1, v1
	v_lshrrev_b32_e32 v54, 16, v2
	v_ldexp_f32 v9, v9, v56
	v_cvt_f32_f16_e32 v67, v3
	v_cndmask_b32_e32 v8, 0, v8, vcc_lo
	v_cmp_nlt_f32_e32 vcc_lo, 0x42ce8ed0, v7
	v_ldexp_f32 v0, v0, v65
	v_cvt_f32_f16_e32 v54, v54
	v_lshrrev_b32_e32 v53, 16, v3
	v_cndmask_b32_e32 v9, 0, v9, vcc_lo
	v_cmp_nlt_f32_e32 vcc_lo, 0x42ce8ed0, v4
	v_ldexp_f32 v1, v1, v66
	s_delay_alu instid0(VALU_DEP_4) | instskip(SKIP_2) | instid1(VALU_DEP_4)
	v_cvt_f32_f16_e32 v53, v53
	v_cndmask_b32_e32 v0, 0, v0, vcc_lo
	v_cmp_nlt_f32_e32 vcc_lo, 0x42ce8ed0, v5
	v_cndmask_b32_e32 v1, 0, v1, vcc_lo
	v_cmp_ngt_f32_e32 vcc_lo, 0xc2b17218, v6
	v_cndmask_b32_e32 v8, 0x7f800000, v8, vcc_lo
	v_cmp_ngt_f32_e32 vcc_lo, 0xc2b17218, v4
	v_cndmask_b32_e32 v0, 0x7f800000, v0, vcc_lo
	v_cmp_ngt_f32_e32 vcc_lo, 0xc2b17218, v5
	v_cndmask_b32_e32 v1, 0x7f800000, v1, vcc_lo
	v_cmp_ngt_f32_e32 vcc_lo, 0xc2b17218, v7
	s_delay_alu instid0(VALU_DEP_2) | instskip(SKIP_1) | instid1(VALU_DEP_2)
	v_dual_add_f32 v1, 1.0, v1 :: v_dual_add_f32 v8, 1.0, v8
	v_cndmask_b32_e32 v9, 0x7f800000, v9, vcc_lo
	v_div_scale_f32 v65, null, v1, v1, v5
	s_delay_alu instid0(VALU_DEP_3) | instskip(NEXT) | instid1(VALU_DEP_3)
	v_div_scale_f32 v55, null, v8, v8, v6
	v_dual_add_f32 v9, 1.0, v9 :: v_dual_add_f32 v0, 1.0, v0
	s_delay_alu instid0(VALU_DEP_3) | instskip(NEXT) | instid1(VALU_DEP_2)
	v_rcp_f32_e32 v69, v65
	v_rcp_f32_e32 v66, v55
	v_div_scale_f32 v70, s20, v6, v8, v6
	s_delay_alu instid0(VALU_DEP_2) | instskip(SKIP_2) | instid1(VALU_DEP_3)
	v_div_scale_f32 v56, null, v0, v0, v4
	v_div_scale_f32 v76, s21, v5, v1, v5
	v_div_scale_f32 v72, vcc_lo, v4, v0, v4
	v_rcp_f32_e32 v68, v56
	s_waitcnt_depctr 0xfff
	v_fma_f32 v73, -v55, v66, 1.0
	v_fma_f32 v75, -v65, v69, 1.0
	v_div_scale_f32 v71, null, v9, v9, v7
	s_delay_alu instid0(VALU_DEP_2) | instskip(SKIP_2) | instid1(VALU_DEP_3)
	v_dual_fmac_f32 v66, v73, v66 :: v_dual_fmac_f32 v69, v75, v69
	v_mul_f32_e32 v73, 0xbfb8aa3b, v54
	v_fma_f32 v74, -v56, v68, 1.0
	v_dual_mul_f32 v75, v70, v66 :: v_dual_mul_f32 v78, v76, v69
	s_delay_alu instid0(VALU_DEP_3) | instskip(SKIP_1) | instid1(VALU_DEP_4)
	v_rndne_f32_e32 v80, v73
	v_fma_mix_f32 v84, v2, s56, -v73 op_sel:[1,0,0] op_sel_hi:[1,0,0]
	v_fmac_f32_e32 v68, v74, v68
	s_delay_alu instid0(VALU_DEP_4) | instskip(SKIP_2) | instid1(VALU_DEP_3)
	v_fma_f32 v81, -v55, v75, v70
	v_fma_f32 v83, -v65, v78, v76
	v_rcp_f32_e32 v74, v71
	v_mul_f32_e32 v77, v72, v68
	s_delay_alu instid0(VALU_DEP_2) | instskip(NEXT) | instid1(VALU_DEP_2)
	v_dual_fmac_f32 v75, v81, v66 :: v_dual_fmac_f32 v78, v83, v69
	v_fma_f32 v82, -v56, v77, v72
	s_delay_alu instid0(VALU_DEP_2)
	v_fma_f32 v65, -v65, v78, v76
	v_mul_f32_e32 v76, 0xbfb8aa3b, v67
	s_waitcnt_depctr 0xfff
	v_fma_f32 v85, -v71, v74, 1.0
	v_fmac_f32_e32 v77, v82, v68
	v_mul_f32_e32 v79, 0xbfb8aa3b, v53
	v_fma_f32 v55, -v55, v75, v70
	v_fma_mix_f32 v70, v2, s57, v84 op_sel:[1,0,0] op_sel_hi:[1,0,0]
	v_fmac_f32_e32 v74, v85, v74
	v_fma_f32 v56, -v56, v77, v72
	v_rndne_f32_e32 v72, v79
	s_delay_alu instid0(VALU_DEP_2)
	v_div_fmas_f32 v56, v56, v68, v77
	s_mov_b32 vcc_lo, s21
	v_fma_mix_f32 v68, v3, s56, -v79 op_sel:[1,0,0] op_sel_hi:[1,0,0]
	v_div_fmas_f32 v65, v65, v69, v78
	s_mov_b32 vcc_lo, s20
	v_div_fixup_f32 v4, v56, v0, v4
	v_div_fmas_f32 v55, v55, v66, v75
	v_cvt_f32_f16_e32 v66, v2
	v_fma_mix_f32 v68, v3, s57, v68 op_sel:[1,0,0] op_sel_hi:[1,0,0]
	v_fma_mix_f32 v75, v3, s56, -v76 op_sel_hi:[1,0,0]
	v_cmp_nlt_f32_e32 vcc_lo, 0x42ce8ed0, v54
	v_div_fixup_f32 v5, v65, v1, v5
	v_mul_f32_e32 v77, 0xbfb8aa3b, v66
	v_div_fixup_f32 v0, v55, v8, v6
	v_fma_mix_f32 v3, v3, s57, v75 op_sel_hi:[1,0,0]
	s_delay_alu instid0(VALU_DEP_3) | instskip(NEXT) | instid1(VALU_DEP_1)
	v_fma_mix_f32 v78, v2, s56, -v77 op_sel_hi:[1,0,0]
	v_fma_mix_f32 v2, v2, s57, v78 op_sel_hi:[1,0,0]
	v_sub_f32_e32 v73, v73, v80
	s_delay_alu instid0(VALU_DEP_1) | instskip(SKIP_2) | instid1(VALU_DEP_3)
	v_dual_add_f32 v69, v73, v70 :: v_dual_sub_f32 v70, v79, v72
	v_rndne_f32_e32 v73, v76
	v_cvt_i32_f32_e32 v72, v72
	v_exp_f32_e32 v69, v69
	s_delay_alu instid0(VALU_DEP_3) | instskip(SKIP_3) | instid1(VALU_DEP_4)
	v_add_f32_e32 v68, v70, v68
	v_cvt_i32_f32_e32 v70, v80
	v_rndne_f32_e32 v75, v77
	v_sub_f32_e32 v76, v76, v73
	v_exp_f32_e32 v68, v68
	s_waitcnt_depctr 0xfff
	v_ldexp_f32 v69, v69, v70
	s_delay_alu instid0(VALU_DEP_1) | instskip(SKIP_2) | instid1(VALU_DEP_3)
	v_dual_sub_f32 v70, v77, v75 :: v_dual_cndmask_b32 v69, 0, v69
	v_cmp_ngt_f32_e32 vcc_lo, 0xc2b17218, v54
	v_ldexp_f32 v68, v68, v72
	v_add_f32_e32 v2, v70, v2
	v_cvt_i32_f32_e32 v70, v73
	v_cndmask_b32_e32 v69, 0x7f800000, v69, vcc_lo
	v_cmp_nlt_f32_e32 vcc_lo, 0x42ce8ed0, v53
	v_add_f32_e32 v3, v76, v3
	v_exp_f32_e32 v2, v2
	v_cndmask_b32_e32 v68, 0, v68, vcc_lo
	s_delay_alu instid0(VALU_DEP_2) | instskip(SKIP_4) | instid1(VALU_DEP_1)
	v_exp_f32_e32 v3, v3
	v_cmp_nlt_f32_e32 vcc_lo, 0x42ce8ed0, v67
	s_waitcnt_depctr 0xfff
	v_ldexp_f32 v3, v3, v70
	v_cvt_i32_f32_e32 v70, v75
	v_ldexp_f32 v2, v2, v70
	s_delay_alu instid0(VALU_DEP_3) | instskip(SKIP_3) | instid1(VALU_DEP_2)
	v_cndmask_b32_e32 v3, 0, v3, vcc_lo
	v_cmp_ngt_f32_e32 vcc_lo, 0xc2b17218, v53
	v_cndmask_b32_e32 v68, 0x7f800000, v68, vcc_lo
	v_cmp_ngt_f32_e32 vcc_lo, 0xc2b17218, v67
	v_dual_add_f32 v68, 1.0, v68 :: v_dual_add_f32 v69, 1.0, v69
	v_cndmask_b32_e32 v3, 0x7f800000, v3, vcc_lo
	v_cmp_nlt_f32_e32 vcc_lo, 0x42ce8ed0, v66
	s_delay_alu instid0(VALU_DEP_3) | instskip(NEXT) | instid1(VALU_DEP_4)
	v_div_scale_f32 v73, null, v68, v68, v53
	v_div_scale_f32 v70, null, v69, v69, v54
	v_cndmask_b32_e32 v2, 0, v2, vcc_lo
	s_delay_alu instid0(VALU_DEP_3) | instskip(SKIP_1) | instid1(VALU_DEP_3)
	v_rcp_f32_e32 v77, v73
	v_cmp_ngt_f32_e32 vcc_lo, 0xc2b17218, v66
	v_rcp_f32_e32 v72, v70
	s_waitcnt_depctr 0xfff
	v_fma_f32 v82, -v73, v77, 1.0
	v_cndmask_b32_e32 v2, 0x7f800000, v2, vcc_lo
	v_div_scale_f32 v76, vcc_lo, v7, v9, v7
	v_fma_f32 v78, -v70, v72, 1.0
	s_delay_alu instid0(VALU_DEP_3) | instskip(NEXT) | instid1(VALU_DEP_3)
	v_dual_fmac_f32 v77, v82, v77 :: v_dual_add_f32 v2, 1.0, v2
	v_dual_add_f32 v3, 1.0, v3 :: v_dual_mul_f32 v80, v76, v74
	v_div_scale_f32 v82, s21, v53, v68, v53
	s_delay_alu instid0(VALU_DEP_3) | instskip(NEXT) | instid1(VALU_DEP_3)
	v_div_scale_f32 v81, null, v2, v2, v66
	v_div_scale_f32 v75, null, v3, v3, v67
	s_delay_alu instid0(VALU_DEP_4) | instskip(NEXT) | instid1(VALU_DEP_3)
	v_fma_f32 v84, -v71, v80, v76
	v_rcp_f32_e32 v83, v81
	s_delay_alu instid0(VALU_DEP_2)
	v_rcp_f32_e32 v79, v75
	s_waitcnt_depctr 0xfff
	v_fma_f32 v87, -v81, v83, 1.0
	v_fmac_f32_e32 v80, v84, v74
	v_fma_f32 v85, -v75, v79, 1.0
	v_fmac_f32_e32 v72, v78, v72
	v_div_scale_f32 v78, s20, v54, v69, v54
	v_fmac_f32_e32 v83, v87, v83
	s_delay_alu instid0(VALU_DEP_4) | instskip(SKIP_1) | instid1(VALU_DEP_4)
	v_fmac_f32_e32 v79, v85, v79
	v_div_scale_f32 v85, s22, v67, v3, v67
	v_mul_f32_e32 v86, v78, v72
	v_div_scale_f32 v87, s23, v66, v2, v66
	s_delay_alu instid0(VALU_DEP_3) | instskip(SKIP_1) | instid1(VALU_DEP_4)
	v_mul_f32_e32 v89, v85, v79
	v_fma_f32 v71, -v71, v80, v76
	v_fma_f32 v84, -v70, v86, v78
	s_delay_alu instid0(VALU_DEP_4) | instskip(NEXT) | instid1(VALU_DEP_3)
	v_mul_f32_e32 v90, v87, v83
	v_div_fmas_f32 v71, v71, v74, v80
	s_delay_alu instid0(VALU_DEP_3)
	v_fmac_f32_e32 v86, v84, v72
	v_fma_f32 v84, -v75, v89, v85
	v_mul_f32_e32 v88, v82, v77
	v_fma_f32 v74, -v81, v90, v87
	s_mov_b32 vcc_lo, s20
	v_fma_f32 v70, -v70, v86, v78
	v_fmac_f32_e32 v89, v84, v79
	v_fma_f32 v76, -v73, v88, v82
	v_fmac_f32_e32 v90, v74, v83
	v_div_fixup_f32 v6, v71, v9, v7
	v_div_fmas_f32 v70, v70, v72, v86
	s_mov_b32 vcc_lo, s21
	v_fmac_f32_e32 v88, v76, v77
	v_fma_f32 v74, -v81, v90, v87
	s_delay_alu instid0(VALU_DEP_3) | instskip(NEXT) | instid1(VALU_DEP_3)
	v_div_fixup_f32 v7, v70, v69, v54
	v_fma_f32 v72, -v73, v88, v82
	v_fma_f32 v73, -v75, v89, v85
	s_delay_alu instid0(VALU_DEP_2) | instskip(SKIP_1) | instid1(VALU_DEP_2)
	v_div_fmas_f32 v72, v72, v77, v88
	s_mov_b32 vcc_lo, s22
	v_div_fmas_f32 v73, v73, v79, v89
	s_mov_b32 vcc_lo, s23
	s_delay_alu instid0(VALU_DEP_2) | instskip(SKIP_1) | instid1(VALU_DEP_3)
	v_div_fixup_f32 v8, v72, v68, v53
	v_div_fmas_f32 v74, v74, v83, v90
	v_div_fixup_f32 v1, v73, v3, v67
	s_delay_alu instid0(VALU_DEP_2) | instskip(NEXT) | instid1(VALU_DEP_2)
	v_div_fixup_f32 v2, v74, v2, v66
	v_fma_mixlo_f16 v3, v60, v1, 0
	v_fma_mixlo_f16 v1, v63, v0, 0
	v_fma_mixlo_f16 v0, v64, v6, 0
	s_delay_alu instid0(VALU_DEP_4) | instskip(NEXT) | instid1(VALU_DEP_4)
	v_fma_mixlo_f16 v2, v62, v2, 0
	v_fma_mixhi_f16 v3, v61, v8, 0
	s_delay_alu instid0(VALU_DEP_4) | instskip(NEXT) | instid1(VALU_DEP_4)
	v_fma_mixhi_f16 v1, v59, v5, 0
	v_fma_mixhi_f16 v0, v58, v4, 0
	s_delay_alu instid0(VALU_DEP_4)
	v_fma_mixhi_f16 v2, v57, v7, 0
	ds_store_b128 v27, v[0:3]
	; wave barrier
	ds_load_u16 v8, v20 offset:64
	ds_load_u16 v7, v21 offset:128
	;; [unrolled: 1-line block ×7, first 2 shown]
	v_add_co_u32 v0, vcc_lo, v42, s24
	v_add_co_ci_u32_e32 v1, vcc_lo, s25, v43, vcc_lo
	s_and_saveexec_b32 s20, s12
	s_cbranch_execnz .LBB72_164
; %bb.148:                              ;   in Loop: Header=BB72_12 Depth=1
	s_or_b32 exec_lo, exec_lo, s20
	s_and_saveexec_b32 s12, s13
	s_cbranch_execnz .LBB72_165
.LBB72_149:                             ;   in Loop: Header=BB72_12 Depth=1
	s_or_b32 exec_lo, exec_lo, s12
	s_and_saveexec_b32 s12, s14
	s_cbranch_execnz .LBB72_166
.LBB72_150:                             ;   in Loop: Header=BB72_12 Depth=1
	s_or_b32 exec_lo, exec_lo, s12
	s_and_saveexec_b32 s12, s15
	s_cbranch_execnz .LBB72_167
.LBB72_151:                             ;   in Loop: Header=BB72_12 Depth=1
	s_or_b32 exec_lo, exec_lo, s12
	s_and_saveexec_b32 s12, s16
	s_cbranch_execnz .LBB72_168
.LBB72_152:                             ;   in Loop: Header=BB72_12 Depth=1
	s_or_b32 exec_lo, exec_lo, s12
	s_and_saveexec_b32 s12, s17
	s_cbranch_execnz .LBB72_169
.LBB72_153:                             ;   in Loop: Header=BB72_12 Depth=1
	s_or_b32 exec_lo, exec_lo, s12
	s_and_saveexec_b32 s12, s18
	s_cbranch_execnz .LBB72_170
.LBB72_154:                             ;   in Loop: Header=BB72_12 Depth=1
	s_or_b32 exec_lo, exec_lo, s12
	s_and_saveexec_b32 s12, s19
	s_cbranch_execz .LBB72_11
	s_branch .LBB72_171
.LBB72_155:                             ;   in Loop: Header=BB72_12 Depth=1
	global_load_u16 v55, v[4:5], off offset:320
	s_or_b32 exec_lo, exec_lo, s20
	s_and_saveexec_b32 s20, s18
	s_cbranch_execz .LBB72_40
.LBB72_156:                             ;   in Loop: Header=BB72_12 Depth=1
	global_load_u16 v54, v[4:5], off offset:384
	s_or_b32 exec_lo, exec_lo, s20
	v_mov_b32_e32 v56, 0
	s_and_saveexec_b32 s20, s19
	s_cbranch_execnz .LBB72_41
	s_branch .LBB72_42
.LBB72_157:                             ;   in Loop: Header=BB72_12 Depth=1
	ds_load_u16 v9, v20
	s_waitcnt lgkmcnt(0)
	global_store_b16 v[0:1], v9, off
	s_or_b32 exec_lo, exec_lo, s20
	s_and_saveexec_b32 s20, s13
	s_cbranch_execz .LBB72_124
.LBB72_158:                             ;   in Loop: Header=BB72_12 Depth=1
	s_waitcnt lgkmcnt(6)
	global_store_b16 v[0:1], v8, off offset:64
	s_or_b32 exec_lo, exec_lo, s20
	s_and_saveexec_b32 s20, s14
	s_cbranch_execz .LBB72_125
.LBB72_159:                             ;   in Loop: Header=BB72_12 Depth=1
	s_waitcnt lgkmcnt(5)
	global_store_b16 v[0:1], v7, off offset:128
	s_or_b32 exec_lo, exec_lo, s20
	s_and_saveexec_b32 s20, s15
	s_cbranch_execz .LBB72_126
.LBB72_160:                             ;   in Loop: Header=BB72_12 Depth=1
	s_waitcnt lgkmcnt(4)
	global_store_b16 v[0:1], v6, off offset:192
	s_or_b32 exec_lo, exec_lo, s20
	s_and_saveexec_b32 s20, s16
	s_cbranch_execz .LBB72_127
.LBB72_161:                             ;   in Loop: Header=BB72_12 Depth=1
	s_waitcnt lgkmcnt(3)
	global_store_b16 v[0:1], v5, off offset:256
	s_or_b32 exec_lo, exec_lo, s20
	s_and_saveexec_b32 s20, s17
	s_cbranch_execz .LBB72_128
.LBB72_162:                             ;   in Loop: Header=BB72_12 Depth=1
	s_waitcnt lgkmcnt(2)
	global_store_b16 v[0:1], v4, off offset:320
	s_or_b32 exec_lo, exec_lo, s20
	s_and_saveexec_b32 s20, s18
	s_cbranch_execz .LBB72_129
.LBB72_163:                             ;   in Loop: Header=BB72_12 Depth=1
	s_waitcnt lgkmcnt(1)
	global_store_b16 v[0:1], v3, off offset:384
	s_or_b32 exec_lo, exec_lo, s20
	s_and_saveexec_b32 s20, s19
	s_cbranch_execnz .LBB72_130
	s_branch .LBB72_131
.LBB72_164:                             ;   in Loop: Header=BB72_12 Depth=1
	ds_load_u16 v9, v20
	s_waitcnt lgkmcnt(0)
	global_store_b16 v[0:1], v9, off
	s_or_b32 exec_lo, exec_lo, s20
	s_and_saveexec_b32 s12, s13
	s_cbranch_execz .LBB72_149
.LBB72_165:                             ;   in Loop: Header=BB72_12 Depth=1
	s_waitcnt lgkmcnt(6)
	global_store_b16 v[0:1], v8, off offset:64
	s_or_b32 exec_lo, exec_lo, s12
	s_and_saveexec_b32 s12, s14
	s_cbranch_execz .LBB72_150
.LBB72_166:                             ;   in Loop: Header=BB72_12 Depth=1
	s_waitcnt lgkmcnt(5)
	global_store_b16 v[0:1], v7, off offset:128
	s_or_b32 exec_lo, exec_lo, s12
	s_and_saveexec_b32 s12, s15
	s_cbranch_execz .LBB72_151
.LBB72_167:                             ;   in Loop: Header=BB72_12 Depth=1
	s_waitcnt lgkmcnt(4)
	global_store_b16 v[0:1], v6, off offset:192
	s_or_b32 exec_lo, exec_lo, s12
	s_and_saveexec_b32 s12, s16
	s_cbranch_execz .LBB72_152
.LBB72_168:                             ;   in Loop: Header=BB72_12 Depth=1
	s_waitcnt lgkmcnt(3)
	global_store_b16 v[0:1], v5, off offset:256
	s_or_b32 exec_lo, exec_lo, s12
	s_and_saveexec_b32 s12, s17
	s_cbranch_execz .LBB72_153
.LBB72_169:                             ;   in Loop: Header=BB72_12 Depth=1
	s_waitcnt lgkmcnt(2)
	global_store_b16 v[0:1], v4, off offset:320
	s_or_b32 exec_lo, exec_lo, s12
	s_and_saveexec_b32 s12, s18
	s_cbranch_execz .LBB72_154
.LBB72_170:                             ;   in Loop: Header=BB72_12 Depth=1
	s_waitcnt lgkmcnt(1)
	global_store_b16 v[0:1], v3, off offset:384
	s_or_b32 exec_lo, exec_lo, s12
	s_and_saveexec_b32 s12, s19
	s_cbranch_execz .LBB72_11
.LBB72_171:                             ;   in Loop: Header=BB72_12 Depth=1
	s_waitcnt lgkmcnt(0)
	global_store_b16 v[0:1], v2, off offset:448
	s_branch .LBB72_11
.LBB72_172:
	s_nop 0
	s_sendmsg sendmsg(MSG_DEALLOC_VGPRS)
	s_endpgm
	.section	.rodata,"a",@progbits
	.p2align	6, 0x0
	.amdhsa_kernel _Z25selective_scan_fwd_kernelI32Selective_Scan_fwd_kernel_traitsILi64ELi8ELi1ELb1ELb1ELb1ELb1ELb1EN3c104HalfEfS2_EEv13SSMParamsBase
		.amdhsa_group_segment_fixed_size 0
		.amdhsa_private_segment_fixed_size 0
		.amdhsa_kernarg_size 248
		.amdhsa_user_sgpr_count 14
		.amdhsa_user_sgpr_dispatch_ptr 0
		.amdhsa_user_sgpr_queue_ptr 0
		.amdhsa_user_sgpr_kernarg_segment_ptr 1
		.amdhsa_user_sgpr_dispatch_id 0
		.amdhsa_user_sgpr_private_segment_size 0
		.amdhsa_wavefront_size32 1
		.amdhsa_uses_dynamic_stack 0
		.amdhsa_enable_private_segment 0
		.amdhsa_system_sgpr_workgroup_id_x 1
		.amdhsa_system_sgpr_workgroup_id_y 1
		.amdhsa_system_sgpr_workgroup_id_z 0
		.amdhsa_system_sgpr_workgroup_info 0
		.amdhsa_system_vgpr_workitem_id 0
		.amdhsa_next_free_vgpr 99
		.amdhsa_next_free_sgpr 76
		.amdhsa_reserve_vcc 1
		.amdhsa_float_round_mode_32 0
		.amdhsa_float_round_mode_16_64 0
		.amdhsa_float_denorm_mode_32 3
		.amdhsa_float_denorm_mode_16_64 3
		.amdhsa_dx10_clamp 1
		.amdhsa_ieee_mode 1
		.amdhsa_fp16_overflow 0
		.amdhsa_workgroup_processor_mode 1
		.amdhsa_memory_ordered 1
		.amdhsa_forward_progress 0
		.amdhsa_shared_vgpr_count 0
		.amdhsa_exception_fp_ieee_invalid_op 0
		.amdhsa_exception_fp_denorm_src 0
		.amdhsa_exception_fp_ieee_div_zero 0
		.amdhsa_exception_fp_ieee_overflow 0
		.amdhsa_exception_fp_ieee_underflow 0
		.amdhsa_exception_fp_ieee_inexact 0
		.amdhsa_exception_int_div_zero 0
	.end_amdhsa_kernel
	.section	.text._Z25selective_scan_fwd_kernelI32Selective_Scan_fwd_kernel_traitsILi64ELi8ELi1ELb1ELb1ELb1ELb1ELb1EN3c104HalfEfS2_EEv13SSMParamsBase,"axG",@progbits,_Z25selective_scan_fwd_kernelI32Selective_Scan_fwd_kernel_traitsILi64ELi8ELi1ELb1ELb1ELb1ELb1ELb1EN3c104HalfEfS2_EEv13SSMParamsBase,comdat
.Lfunc_end72:
	.size	_Z25selective_scan_fwd_kernelI32Selective_Scan_fwd_kernel_traitsILi64ELi8ELi1ELb1ELb1ELb1ELb1ELb1EN3c104HalfEfS2_EEv13SSMParamsBase, .Lfunc_end72-_Z25selective_scan_fwd_kernelI32Selective_Scan_fwd_kernel_traitsILi64ELi8ELi1ELb1ELb1ELb1ELb1ELb1EN3c104HalfEfS2_EEv13SSMParamsBase
                                        ; -- End function
	.section	.AMDGPU.csdata,"",@progbits
; Kernel info:
; codeLenInByte = 14136
; NumSgprs: 78
; NumVgprs: 99
; ScratchSize: 0
; MemoryBound: 0
; FloatMode: 240
; IeeeMode: 1
; LDSByteSize: 0 bytes/workgroup (compile time only)
; SGPRBlocks: 9
; VGPRBlocks: 12
; NumSGPRsForWavesPerEU: 78
; NumVGPRsForWavesPerEU: 99
; Occupancy: 12
; WaveLimiterHint : 1
; COMPUTE_PGM_RSRC2:SCRATCH_EN: 0
; COMPUTE_PGM_RSRC2:USER_SGPR: 14
; COMPUTE_PGM_RSRC2:TRAP_HANDLER: 0
; COMPUTE_PGM_RSRC2:TGID_X_EN: 1
; COMPUTE_PGM_RSRC2:TGID_Y_EN: 1
; COMPUTE_PGM_RSRC2:TGID_Z_EN: 0
; COMPUTE_PGM_RSRC2:TIDIG_COMP_CNT: 0
	.section	.text._Z25selective_scan_fwd_kernelI32Selective_Scan_fwd_kernel_traitsILi64ELi8ELi1ELb1ELb1ELb1ELb1ELb0EN3c104HalfEfS2_EEv13SSMParamsBase,"axG",@progbits,_Z25selective_scan_fwd_kernelI32Selective_Scan_fwd_kernel_traitsILi64ELi8ELi1ELb1ELb1ELb1ELb1ELb0EN3c104HalfEfS2_EEv13SSMParamsBase,comdat
	.protected	_Z25selective_scan_fwd_kernelI32Selective_Scan_fwd_kernel_traitsILi64ELi8ELi1ELb1ELb1ELb1ELb1ELb0EN3c104HalfEfS2_EEv13SSMParamsBase ; -- Begin function _Z25selective_scan_fwd_kernelI32Selective_Scan_fwd_kernel_traitsILi64ELi8ELi1ELb1ELb1ELb1ELb1ELb0EN3c104HalfEfS2_EEv13SSMParamsBase
	.globl	_Z25selective_scan_fwd_kernelI32Selective_Scan_fwd_kernel_traitsILi64ELi8ELi1ELb1ELb1ELb1ELb1ELb0EN3c104HalfEfS2_EEv13SSMParamsBase
	.p2align	8
	.type	_Z25selective_scan_fwd_kernelI32Selective_Scan_fwd_kernel_traitsILi64ELi8ELi1ELb1ELb1ELb1ELb1ELb0EN3c104HalfEfS2_EEv13SSMParamsBase,@function
_Z25selective_scan_fwd_kernelI32Selective_Scan_fwd_kernel_traitsILi64ELi8ELi1ELb1ELb1ELb1ELb1ELb0EN3c104HalfEfS2_EEv13SSMParamsBase: ; @_Z25selective_scan_fwd_kernelI32Selective_Scan_fwd_kernel_traitsILi64ELi8ELi1ELb1ELb1ELb1ELb1ELb0EN3c104HalfEfS2_EEv13SSMParamsBase
; %bb.0:
	s_clause 0x1
	s_load_b32 s9, s[0:1], 0x18
	s_load_b128 s[4:7], s[0:1], 0xe8
	s_mov_b32 s12, s15
	s_mov_b32 s33, 0
	s_waitcnt lgkmcnt(0)
	s_abs_i32 s8, s9
	s_cmp_eq_u64 s[6:7], 0
	v_cvt_f32_u32_e32 v1, s8
	s_delay_alu instid0(VALU_DEP_1) | instskip(SKIP_2) | instid1(VALU_DEP_1)
	v_rcp_iflag_f32_e32 v1, v1
	s_waitcnt_depctr 0xfff
	v_mul_f32_e32 v1, 0x4f7ffffe, v1
	v_cvt_u32_f32_e32 v1, v1
	s_delay_alu instid0(VALU_DEP_1)
	v_readfirstlane_b32 s10, v1
	s_cbranch_scc1 .LBB73_2
; %bb.1:
	v_mov_b32_e32 v1, 0
	s_ashr_i32 s3, s14, 31
	s_add_u32 s2, s6, s14
	s_addc_u32 s3, s7, s3
	global_load_u8 v1, v1, s[2:3]
	s_waitcnt vmcnt(0)
	v_and_b32_e32 v1, 1, v1
	s_delay_alu instid0(VALU_DEP_1)
	v_cmp_eq_u32_e64 s33, 1, v1
.LBB73_2:
	s_load_b64 s[6:7], s[0:1], 0x20
	s_cmp_eq_u64 s[4:5], 0
	s_cbranch_scc1 .LBB73_4
; %bb.3:
	s_ashr_i32 s15, s14, 31
	s_delay_alu instid0(SALU_CYCLE_1) | instskip(NEXT) | instid1(SALU_CYCLE_1)
	s_lshl_b64 s[2:3], s[14:15], 2
	s_add_u32 s2, s4, s2
	s_addc_u32 s3, s5, s3
	s_load_b32 s2, s[2:3], 0x0
	s_waitcnt lgkmcnt(0)
	s_ashr_i32 s3, s2, 31
	s_delay_alu instid0(SALU_CYCLE_1)
	s_cmp_eq_u64 s[6:7], s[2:3]
	s_cbranch_scc0 .LBB73_5
	s_branch .LBB73_64
.LBB73_4:
	s_mov_b32 s2, s14
	s_delay_alu instid0(SALU_CYCLE_1)
	s_ashr_i32 s3, s2, 31
	s_waitcnt lgkmcnt(0)
	s_cmp_eq_u64 s[6:7], s[2:3]
	s_cbranch_scc1 .LBB73_64
.LBB73_5:
	s_clause 0x1
	s_load_b512 s[16:31], s[0:1], 0x88
	s_load_b64 s[34:35], s[0:1], 0x8
	s_mov_b32 s52, 0
	s_mov_b32 s53, 0
	s_waitcnt lgkmcnt(0)
	s_cmp_eq_u64 s[22:23], 0
	s_cbranch_scc1 .LBB73_7
; %bb.6:
	s_ashr_i32 s13, s12, 31
	s_delay_alu instid0(SALU_CYCLE_1) | instskip(NEXT) | instid1(SALU_CYCLE_1)
	s_lshl_b64 s[4:5], s[12:13], 2
	s_add_u32 s4, s22, s4
	s_addc_u32 s5, s23, s5
	s_load_b32 s53, s[4:5], 0x0
.LBB73_7:
	s_cmp_eq_u64 s[28:29], 0
	s_cbranch_scc1 .LBB73_9
; %bb.8:
	s_ashr_i32 s13, s12, 31
	s_delay_alu instid0(SALU_CYCLE_1) | instskip(NEXT) | instid1(SALU_CYCLE_1)
	s_lshl_b64 s[4:5], s[12:13], 2
	s_add_u32 s4, s28, s4
	s_addc_u32 s5, s29, s5
	s_load_b32 s52, s[4:5], 0x0
.LBB73_9:
	s_cmp_lt_i32 s34, 1
	s_cbranch_scc1 .LBB73_64
; %bb.10:
	s_sub_i32 s3, 0, s8
	s_load_b256 s[36:43], s[0:1], 0x4c
	s_mul_i32 s3, s3, s10
	s_abs_i32 s4, s12
	s_mul_hi_u32 s3, s10, s3
	s_ashr_i32 s6, s9, 31
	s_add_i32 s10, s10, s3
	s_ashr_i32 s3, s12, 31
	s_mul_hi_u32 s5, s4, s10
	s_xor_b32 s3, s3, s6
	s_mul_i32 s7, s5, s8
	s_add_i32 s6, s5, 1
	s_sub_i32 s4, s4, s7
	s_load_b256 s[44:51], s[0:1], 0x2c
	s_sub_i32 s7, s4, s8
	s_cmp_ge_u32 s4, s8
	s_mov_b32 s23, 0
	s_cselect_b32 s5, s6, s5
	s_cselect_b32 s4, s7, s4
	s_add_i32 s6, s5, 1
	s_cmp_ge_u32 s4, s8
	s_waitcnt lgkmcnt(0)
	s_mul_i32 s22, s38, s14
	s_cselect_b32 s6, s6, s5
	s_lshl_b64 s[4:5], s[22:23], 1
	s_xor_b32 s6, s6, s3
	s_mul_i32 s22, s39, s12
	s_sub_i32 s3, s6, s3
	s_add_u32 s6, s24, s4
	s_addc_u32 s7, s25, s5
	s_lshl_b64 s[4:5], s[22:23], 1
	s_mul_i32 s22, s40, s14
	s_add_u32 s24, s6, s4
	s_addc_u32 s25, s7, s5
	s_lshl_b64 s[4:5], s[22:23], 1
	s_mul_i32 s22, s41, s12
	;; [unrolled: 4-line block ×3, first 2 shown]
	s_add_u32 s26, s6, s4
	s_load_b64 s[28:29], s[0:1], 0x7c
	s_addc_u32 s27, s7, s5
	s_lshl_b64 s[4:5], s[22:23], 2
	s_mul_i32 s22, s46, s14
	s_add_u32 s44, s16, s4
	s_addc_u32 s46, s17, s5
	s_clause 0x1
	s_load_b128 s[4:7], s[0:1], 0xc8
	s_load_b32 s51, s[0:1], 0x84
	s_lshl_b64 s[8:9], s[22:23], 1
	s_mul_i32 s22, s3, s49
	s_add_u32 s10, s18, s8
	s_addc_u32 s11, s19, s9
	s_lshl_b64 s[8:9], s[22:23], 1
	s_load_b32 s13, s[0:1], 0x28
	s_mul_i32 s22, s50, s14
	s_add_u32 s47, s10, s8
	s_addc_u32 s49, s11, s9
	s_lshl_b64 s[8:9], s[22:23], 1
	s_mul_i32 s22, s3, s37
	s_add_u32 s15, s20, s8
	s_addc_u32 s3, s21, s9
	s_load_b128 s[8:11], s[0:1], 0x6c
	s_lshl_b64 s[16:17], s[22:23], 1
	s_waitcnt lgkmcnt(0)
	s_mul_i32 s22, s2, s28
	s_add_u32 s37, s15, s16
	s_addc_u32 s50, s3, s17
	s_lshl_b64 s[2:3], s[22:23], 1
	s_mul_i32 s22, s29, s12
	s_add_u32 s4, s4, s2
	s_addc_u32 s5, s5, s3
	s_lshl_b64 s[2:3], s[22:23], 1
	s_load_b64 s[16:17], s[0:1], 0xd8
	s_add_u32 s54, s4, s2
	s_addc_u32 s55, s5, s3
	s_add_i32 s2, s34, 0x7ff
	v_lshrrev_b32_e32 v1, 2, v0
	s_lshr_b32 s56, s2, 11
	s_bitcmp1_b32 s13, 0
	v_mov_b32_e32 v22, 0
	s_cselect_b32 s57, -1, 0
	s_cmp_gt_i32 s35, 0
	s_mul_i32 s22, s8, s14
	s_cselect_b32 s58, -1, 0
	s_and_b32 s1, s34, 0x1ff
	v_and_b32_e32 v1, 8, v1
	s_cmp_eq_u32 s1, 0
	v_or_b32_e32 v2, 31, v0
	s_cselect_b32 s59, -1, 0
	s_lshl_b64 s[4:5], s[22:23], 1
	s_add_i32 s60, s56, -1
	s_mul_i32 s22, s9, s12
	s_add_u32 s8, s30, s4
	s_addc_u32 s9, s31, s5
	s_lshl_b64 s[4:5], s[22:23], 1
	s_mul_i32 s22, s10, s14
	s_add_u32 s13, s8, s4
	s_addc_u32 s10, s9, s5
	s_lshl_b64 s[8:9], s[22:23], 1
	s_mul_i32 s22, s11, s12
	s_waitcnt lgkmcnt(0)
	s_add_u32 s15, s16, s8
	s_addc_u32 s11, s17, s9
	s_lshl_b64 s[8:9], s[22:23], 1
	s_mul_i32 s22, s42, s14
	s_add_u32 s15, s15, s8
	s_addc_u32 s11, s11, s9
	s_lshl_b64 s[8:9], s[22:23], 1
	s_mul_i32 s22, s43, s12
	v_add_nc_u32_e32 v24, 0, v1
	v_lshlrev_b32_e32 v1, 4, v0
	s_add_u32 s8, s6, s8
	s_addc_u32 s9, s7, s9
	s_lshl_b64 s[6:7], s[22:23], 1
	v_lshlrev_b32_e32 v23, 3, v0
	s_add_u32 s6, s8, s6
	s_addc_u32 s7, s9, s7
	v_add_co_u32 v28, s6, s6, v1
	v_add_co_u32 v26, s12, s13, v1
	v_add_co_ci_u32_e64 v29, null, s7, 0, s6
	v_add_co_u32 v30, s6, s15, v1
	v_cmp_gt_u32_e64 s0, 64, v0
	v_cmp_eq_u32_e64 s1, v2, v0
	v_cmp_gt_u32_e64 s2, 2, v0
	v_add_nc_u32_e32 v25, 0, v23
	v_cmp_gt_u32_e64 s3, 32, v0
	v_cmp_lt_u32_e64 s4, 31, v0
	v_cmp_eq_u32_e64 s5, 0, v0
	v_add_co_ci_u32_e64 v27, null, s10, 0, s12
	v_add_co_ci_u32_e64 v31, null, s11, 0, s6
	v_or_b32_e32 v32, 1, v23
	v_or_b32_e32 v33, 2, v23
	;; [unrolled: 1-line block ×7, first 2 shown]
	v_lshlrev_b32_e32 v39, 4, v0
	v_mbcnt_lo_u32_b32 v40, -1, 0
	s_mov_b32 s42, 0x3e9b6dac
	s_add_i32 s43, 0, 0x850
	s_mov_b32 s61, 0xbfb8aa3b
	s_mov_b32 s62, 0xb2a5705f
	;; [unrolled: 1-line block ×3, first 2 shown]
                                        ; implicit-def: $vgpr48
                                        ; implicit-def: $vgpr7
                                        ; implicit-def: $vgpr47
                                        ; implicit-def: $vgpr45
                                        ; implicit-def: $vgpr43
                                        ; implicit-def: $vgpr0
                                        ; implicit-def: $vgpr41
                                        ; implicit-def: $vgpr42
                                        ; implicit-def: $vgpr44
                                        ; implicit-def: $vgpr46
                                        ; implicit-def: $vgpr8
	s_branch .LBB73_12
.LBB73_11:                              ;   in Loop: Header=BB73_12 Depth=1
	s_or_b32 exec_lo, exec_lo, s6
	s_waitcnt vmcnt(0)
	v_cvt_f32_f16_e32 v13, v8
	v_lshrrev_b32_e32 v14, 16, v9
	v_lshrrev_b32_e32 v12, 16, v8
	v_cvt_f32_f16_e32 v15, v9
	v_lshrrev_b32_e32 v17, 16, v10
	v_cmp_nlt_f32_e32 vcc_lo, 0x42ce8ed0, v13
	v_cvt_f32_f16_e32 v14, v14
	v_mul_f32_e32 v16, 0xbfb8aa3b, v13
	v_cvt_f32_f16_e32 v12, v12
	v_cvt_f32_f16_e32 v17, v17
	v_cmp_nlt_f32_e64 s7, 0x42ce8ed0, v15
	v_mul_f32_e32 v51, 0xbfb8aa3b, v14
	v_rndne_f32_e32 v20, v16
	v_fma_mix_f32 v21, v8, s61, -v16 op_sel_hi:[1,0,0]
	v_cvt_f32_f16_e32 v19, v10
	v_lshrrev_b32_e32 v52, 16, v11
	v_cmp_ngt_f32_e64 s8, 0xc2b17218, v15
	v_sub_f32_e32 v16, v16, v20
	v_fma_mix_f32 v21, v8, s62, v21 op_sel_hi:[1,0,0]
	v_cvt_i32_f32_e32 v20, v20
	v_cvt_f32_f16_e32 v52, v52
	v_cvt_f32_f16_e32 v53, v11
	s_add_u32 s26, s26, 0x400
	v_add_f32_e32 v16, v16, v21
	v_rndne_f32_e32 v21, v51
	v_mul_f32_e32 v18, 0xbfb8aa3b, v12
	s_addc_u32 s27, s27, 0
	s_add_u32 s24, s24, 0x400
	v_exp_f32_e32 v16, v16
	s_addc_u32 s25, s25, 0
	v_rndne_f32_e32 v49, v18
	v_fma_mix_f32 v50, v8, s61, -v18 op_sel:[1,0,0] op_sel_hi:[1,0,0]
	s_add_u32 s47, s47, 0x400
	s_addc_u32 s49, s49, 0
	s_add_u32 s37, s37, 0x400
	v_sub_f32_e32 v18, v18, v49
	v_fma_mix_f32 v50, v8, s62, v50 op_sel:[1,0,0] op_sel_hi:[1,0,0]
	v_cvt_i32_f32_e32 v49, v49
	s_waitcnt_depctr 0xfff
	v_ldexp_f32 v16, v16, v20
	s_addc_u32 s50, s50, 0
	s_add_i32 s63, s63, 1
	v_add_f32_e32 v18, v18, v50
	v_fma_mix_f32 v50, v9, s61, -v51 op_sel:[1,0,0] op_sel_hi:[1,0,0]
	v_dual_sub_f32 v51, v51, v21 :: v_dual_cndmask_b32 v16, 0, v16
	v_cmp_nlt_f32_e32 vcc_lo, 0x42ce8ed0, v12
	s_delay_alu instid0(VALU_DEP_4) | instskip(NEXT) | instid1(VALU_DEP_3)
	v_exp_f32_e32 v18, v18
	v_fma_mix_f32 v50, v9, s62, v50 op_sel:[1,0,0] op_sel_hi:[1,0,0]
	v_cvt_i32_f32_e32 v21, v21
	s_cmp_eq_u32 s63, s56
	s_barrier
	s_delay_alu instid0(VALU_DEP_2) | instskip(SKIP_3) | instid1(VALU_DEP_1)
	v_add_f32_e32 v50, v51, v50
	buffer_gl0_inv
	v_ldexp_f32 v18, v18, v49
	v_exp_f32_e32 v49, v50
	v_cndmask_b32_e32 v18, 0, v18, vcc_lo
	v_cmp_ngt_f32_e32 vcc_lo, 0xc2b17218, v13
	v_cndmask_b32_e32 v16, 0x7f800000, v16, vcc_lo
	v_cmp_ngt_f32_e32 vcc_lo, 0xc2b17218, v12
	s_waitcnt_depctr 0xfff
	v_ldexp_f32 v21, v49, v21
	v_add_f32_e32 v16, 1.0, v16
	v_cndmask_b32_e32 v18, 0x7f800000, v18, vcc_lo
	v_cmp_nlt_f32_e32 vcc_lo, 0x42ce8ed0, v14
	s_delay_alu instid0(VALU_DEP_3) | instskip(SKIP_4) | instid1(VALU_DEP_4)
	v_div_scale_f32 v49, null, v16, v16, v13
	v_cndmask_b32_e32 v21, 0, v21, vcc_lo
	v_cmp_ngt_f32_e32 vcc_lo, 0xc2b17218, v14
	v_add_f32_e32 v18, 1.0, v18
	v_div_scale_f32 v64, s6, v13, v16, v13
	v_cndmask_b32_e32 v21, 0x7f800000, v21, vcc_lo
	v_mul_f32_e32 v62, 0xbfb8aa3b, v15
	s_delay_alu instid0(VALU_DEP_4) | instskip(NEXT) | instid1(VALU_DEP_3)
	v_div_scale_f32 v68, vcc_lo, v12, v18, v12
	v_add_f32_e32 v21, 1.0, v21
	s_delay_alu instid0(VALU_DEP_3) | instskip(SKIP_1) | instid1(VALU_DEP_3)
	v_rndne_f32_e32 v51, v62
	v_fma_mix_f32 v20, v9, s61, -v62 op_sel_hi:[1,0,0]
	v_div_scale_f32 v65, null, v21, v21, v14
	s_delay_alu instid0(VALU_DEP_3) | instskip(SKIP_1) | instid1(VALU_DEP_4)
	v_sub_f32_e32 v50, v62, v51
	v_div_scale_f32 v62, null, v18, v18, v12
	v_fma_mix_f32 v20, v9, s62, v20 op_sel_hi:[1,0,0]
	v_cvt_i32_f32_e32 v51, v51
	v_rcp_f32_e32 v69, v65
	s_delay_alu instid0(VALU_DEP_3) | instskip(NEXT) | instid1(VALU_DEP_2)
	v_rcp_f32_e32 v63, v62
	v_add_f32_e32 v20, v50, v20
	v_rcp_f32_e32 v50, v49
	s_delay_alu instid0(VALU_DEP_1) | instskip(NEXT) | instid1(TRANS32_DEP_3)
	v_exp_f32_e32 v20, v20
	v_fma_f32 v67, -v62, v63, 1.0
	s_waitcnt_depctr 0xfff
	v_fma_f32 v66, -v49, v50, 1.0
	v_fmac_f32_e32 v63, v67, v63
	v_fma_f32 v67, -v65, v69, 1.0
	v_ldexp_f32 v20, v20, v51
	s_delay_alu instid0(VALU_DEP_4) | instskip(NEXT) | instid1(VALU_DEP_3)
	v_fmac_f32_e32 v50, v66, v50
	v_dual_mul_f32 v66, v68, v63 :: v_dual_fmac_f32 v69, v67, v69
	s_delay_alu instid0(VALU_DEP_3) | instskip(NEXT) | instid1(VALU_DEP_3)
	v_cndmask_b32_e64 v20, 0, v20, s7
	v_mul_f32_e32 v51, v64, v50
	v_div_scale_f32 v72, s7, v14, v21, v14
	s_delay_alu instid0(VALU_DEP_4) | instskip(NEXT) | instid1(VALU_DEP_4)
	v_fma_f32 v71, -v62, v66, v68
	v_cndmask_b32_e64 v20, 0x7f800000, v20, s8
	s_delay_alu instid0(VALU_DEP_4) | instskip(NEXT) | instid1(VALU_DEP_3)
	v_fma_f32 v70, -v49, v51, v64
	v_dual_mul_f32 v67, v72, v69 :: v_dual_fmac_f32 v66, v71, v63
	s_delay_alu instid0(VALU_DEP_2) | instskip(NEXT) | instid1(VALU_DEP_2)
	v_fmac_f32_e32 v51, v70, v50
	v_fma_f32 v62, -v62, v66, v68
	v_mul_f32_e32 v68, 0xbfb8aa3b, v52
	s_delay_alu instid0(VALU_DEP_3) | instskip(SKIP_1) | instid1(VALU_DEP_4)
	v_fma_f32 v49, -v49, v51, v64
	v_fma_f32 v64, -v65, v67, v72
	v_div_fmas_f32 v62, v62, v63, v66
	s_mov_b32 vcc_lo, s6
	s_delay_alu instid0(VALU_DEP_3)
	v_div_fmas_f32 v49, v49, v50, v51
	v_mul_f32_e32 v51, 0xbfb8aa3b, v17
	v_fmac_f32_e32 v67, v64, v69
	v_div_fixup_f32 v18, v62, v18, v12
	v_mul_f32_e32 v12, 0xbfb8aa3b, v19
	v_div_fixup_f32 v13, v49, v16, v13
	v_rndne_f32_e32 v49, v51
	v_fma_mix_f32 v62, v10, s61, -v51 op_sel:[1,0,0] op_sel_hi:[1,0,0]
	v_fma_f32 v16, -v65, v67, v72
	v_rndne_f32_e32 v64, v12
	v_fma_mix_f32 v65, v10, s61, -v12 op_sel_hi:[1,0,0]
	v_sub_f32_e32 v51, v51, v49
	v_fma_mix_f32 v62, v10, s62, v62 op_sel:[1,0,0] op_sel_hi:[1,0,0]
	v_cvt_i32_f32_e32 v49, v49
	v_sub_f32_e32 v12, v12, v64
	v_fma_mix_f32 v65, v10, s62, v65 op_sel_hi:[1,0,0]
	s_mov_b32 vcc_lo, s7
	v_add_f32_e32 v51, v51, v62
	v_rndne_f32_e32 v62, v68
	v_div_fmas_f32 v16, v16, v69, v67
	v_add_f32_e32 v12, v12, v65
	v_fma_mix_f32 v65, v11, s61, -v68 op_sel:[1,0,0] op_sel_hi:[1,0,0]
	v_exp_f32_e32 v51, v51
	v_sub_f32_e32 v67, v68, v62
	v_cvt_i32_f32_e32 v64, v64
	v_exp_f32_e32 v12, v12
	v_fma_mix_f32 v65, v11, s62, v65 op_sel:[1,0,0] op_sel_hi:[1,0,0]
	v_cmp_nlt_f32_e32 vcc_lo, 0x42ce8ed0, v17
	v_cvt_i32_f32_e32 v62, v62
	s_delay_alu instid0(VALU_DEP_3) | instskip(NEXT) | instid1(TRANS32_DEP_2)
	v_add_f32_e32 v65, v67, v65
	v_ldexp_f32 v49, v51, v49
	s_waitcnt_depctr 0xfff
	v_ldexp_f32 v12, v12, v64
	v_exp_f32_e32 v65, v65
	v_cndmask_b32_e32 v49, 0, v49, vcc_lo
	v_cmp_nlt_f32_e32 vcc_lo, 0x42ce8ed0, v19
	s_delay_alu instid0(VALU_DEP_3)
	v_cndmask_b32_e32 v12, 0, v12, vcc_lo
	v_cmp_ngt_f32_e32 vcc_lo, 0xc2b17218, v17
	s_waitcnt_depctr 0xfff
	v_ldexp_f32 v62, v65, v62
	v_cndmask_b32_e32 v49, 0x7f800000, v49, vcc_lo
	v_cmp_ngt_f32_e32 vcc_lo, 0xc2b17218, v19
	s_delay_alu instid0(VALU_DEP_2) | instskip(SKIP_2) | instid1(VALU_DEP_3)
	v_dual_add_f32 v20, 1.0, v20 :: v_dual_add_f32 v49, 1.0, v49
	v_cndmask_b32_e32 v12, 0x7f800000, v12, vcc_lo
	v_cmp_nlt_f32_e32 vcc_lo, 0x42ce8ed0, v52
	v_div_scale_f32 v63, null, v20, v20, v15
	s_delay_alu instid0(VALU_DEP_4) | instskip(SKIP_2) | instid1(VALU_DEP_4)
	v_div_scale_f32 v65, null, v49, v49, v17
	v_cndmask_b32_e32 v62, 0, v62, vcc_lo
	v_cmp_ngt_f32_e32 vcc_lo, 0xc2b17218, v52
	v_rcp_f32_e32 v50, v63
	s_delay_alu instid0(VALU_DEP_2) | instskip(SKIP_1) | instid1(VALU_DEP_2)
	v_cndmask_b32_e32 v62, 0x7f800000, v62, vcc_lo
	v_cmp_nlt_f32_e32 vcc_lo, 0x42ce8ed0, v53
	v_add_f32_e32 v62, 1.0, v62
	s_waitcnt_depctr 0xfff
	v_fma_f32 v66, -v63, v50, 1.0
	v_div_scale_f32 v67, null, v62, v62, v52
	s_delay_alu instid0(VALU_DEP_1) | instskip(SKIP_2) | instid1(VALU_DEP_1)
	v_rcp_f32_e32 v71, v67
	s_waitcnt_depctr 0xfff
	v_fma_f32 v77, -v67, v71, 1.0
	v_dual_fmac_f32 v50, v66, v50 :: v_dual_fmac_f32 v71, v77, v71
	v_div_scale_f32 v77, s8, v52, v62, v52
	s_delay_alu instid0(VALU_DEP_1) | instskip(NEXT) | instid1(VALU_DEP_1)
	v_dual_mul_f32 v66, 0xbfb8aa3b, v53 :: v_dual_mul_f32 v81, v77, v71
	v_rndne_f32_e32 v68, v66
	v_fma_mix_f32 v69, v11, s61, -v66 op_sel_hi:[1,0,0]
	s_delay_alu instid0(VALU_DEP_2) | instskip(NEXT) | instid1(VALU_DEP_2)
	v_sub_f32_e32 v51, v66, v68
	v_fma_mix_f32 v64, v11, s62, v69 op_sel_hi:[1,0,0]
	s_delay_alu instid0(VALU_DEP_1) | instskip(SKIP_1) | instid1(VALU_DEP_2)
	v_add_f32_e32 v51, v51, v64
	v_cvt_i32_f32_e32 v64, v68
	v_exp_f32_e32 v51, v51
	s_waitcnt_depctr 0xfff
	v_ldexp_f32 v51, v51, v64
	s_delay_alu instid0(VALU_DEP_1) | instskip(SKIP_1) | instid1(VALU_DEP_2)
	v_cndmask_b32_e32 v51, 0, v51, vcc_lo
	v_cmp_ngt_f32_e32 vcc_lo, 0xc2b17218, v53
	v_cndmask_b32_e32 v51, 0x7f800000, v51, vcc_lo
	v_div_scale_f32 v68, vcc_lo, v15, v20, v15
	s_delay_alu instid0(VALU_DEP_1) | instskip(NEXT) | instid1(VALU_DEP_1)
	v_dual_add_f32 v51, 1.0, v51 :: v_dual_mul_f32 v72, v68, v50
	v_div_scale_f32 v73, null, v51, v51, v53
	s_delay_alu instid0(VALU_DEP_2) | instskip(NEXT) | instid1(VALU_DEP_2)
	v_fma_f32 v76, -v63, v72, v68
	v_rcp_f32_e32 v75, v73
	s_delay_alu instid0(VALU_DEP_1) | instskip(NEXT) | instid1(VALU_DEP_1)
	v_fmac_f32_e32 v72, v76, v50
	v_fma_f32 v63, -v63, v72, v68
	s_waitcnt_depctr 0xfff
	v_fma_f32 v79, -v73, v75, 1.0
	v_div_fmas_f32 v50, v63, v50, v72
	s_delay_alu instid0(VALU_DEP_2) | instskip(SKIP_2) | instid1(VALU_DEP_3)
	v_dual_fmac_f32 v75, v79, v75 :: v_dual_add_f32 v64, 1.0, v12
	v_rcp_f32_e32 v12, v65
	v_div_scale_f32 v79, s9, v53, v51, v53
	v_div_fixup_f32 v15, v50, v20, v15
	s_delay_alu instid0(VALU_DEP_3) | instskip(NEXT) | instid1(VALU_DEP_3)
	v_div_scale_f32 v66, null, v64, v64, v19
	v_mul_f32_e32 v82, v79, v75
	v_div_fixup_f32 v20, v16, v21, v14
	s_delay_alu instid0(VALU_DEP_3) | instskip(NEXT) | instid1(TRANS32_DEP_2)
	v_rcp_f32_e32 v69, v66
	v_fma_f32 v70, -v65, v12, 1.0
	s_delay_alu instid0(VALU_DEP_1) | instskip(SKIP_1) | instid1(VALU_DEP_1)
	v_fmac_f32_e32 v12, v70, v12
	v_div_scale_f32 v70, s6, v17, v49, v17
	s_mov_b32 vcc_lo, s6
	s_waitcnt_depctr 0xfff
	v_fma_f32 v74, -v66, v69, 1.0
	v_mul_f32_e32 v78, v70, v12
	s_delay_alu instid0(VALU_DEP_2) | instskip(SKIP_1) | instid1(VALU_DEP_3)
	v_fmac_f32_e32 v69, v74, v69
	v_div_scale_f32 v74, s7, v19, v64, v19
	v_fma_f32 v76, -v65, v78, v70
	s_delay_alu instid0(VALU_DEP_2) | instskip(NEXT) | instid1(VALU_DEP_2)
	v_mul_f32_e32 v80, v74, v69
	v_fmac_f32_e32 v78, v76, v12
	v_fma_f32 v76, -v67, v81, v77
	s_delay_alu instid0(VALU_DEP_3) | instskip(NEXT) | instid1(VALU_DEP_3)
	v_fma_f32 v68, -v66, v80, v74
	v_fma_f32 v63, -v65, v78, v70
	;; [unrolled: 1-line block ×3, first 2 shown]
	s_delay_alu instid0(VALU_DEP_4) | instskip(NEXT) | instid1(VALU_DEP_4)
	v_fmac_f32_e32 v81, v76, v71
	v_fmac_f32_e32 v80, v68, v69
	s_delay_alu instid0(VALU_DEP_4) | instskip(NEXT) | instid1(VALU_DEP_4)
	v_div_fmas_f32 v63, v63, v12, v78
	v_fmac_f32_e32 v82, v65, v75
	s_delay_alu instid0(VALU_DEP_4) | instskip(NEXT) | instid1(VALU_DEP_4)
	v_fma_f32 v65, -v67, v81, v77
	v_fma_f32 v12, -v66, v80, v74
	s_mov_b32 vcc_lo, s7
	v_div_fixup_f32 v21, v63, v49, v17
	s_delay_alu instid0(VALU_DEP_2)
	v_div_fmas_f32 v66, v12, v69, v80
	v_fma_f32 v12, -v73, v82, v79
	s_mov_b32 vcc_lo, s8
	v_div_fmas_f32 v65, v65, v71, v81
	s_mov_b32 vcc_lo, s9
	v_div_fixup_f32 v19, v66, v64, v19
	v_div_fmas_f32 v67, v12, v75, v82
	v_fma_mixlo_f16 v12, v61, v13, 0
	v_fma_mixlo_f16 v13, v60, v15, 0
	s_delay_alu instid0(VALU_DEP_4) | instskip(NEXT) | instid1(VALU_DEP_4)
	v_fma_mixlo_f16 v14, v58, v19, 0
	v_div_fixup_f32 v16, v67, v51, v53
	v_div_fixup_f32 v19, v65, v62, v52
	s_delay_alu instid0(VALU_DEP_4)
	v_fma_mixhi_f16 v13, v57, v20, 0
	v_fma_mixhi_f16 v12, v56, v18, 0
	;; [unrolled: 1-line block ×3, first 2 shown]
	v_fma_mixlo_f16 v15, v55, v16, 0
	v_add_co_u32 v16, vcc_lo, v30, s10
	v_add_co_ci_u32_e32 v17, vcc_lo, s11, v31, vcc_lo
	s_delay_alu instid0(VALU_DEP_3)
	v_fma_mixhi_f16 v15, v59, v19, 0
	global_store_b128 v[16:17], v[12:15], off
	s_cbranch_scc1 .LBB73_64
.LBB73_12:                              ; =>This Loop Header: Depth=1
                                        ;     Child Loop BB73_33 Depth 2
	s_waitcnt_vscnt null, 0x0
	s_barrier
	buffer_gl0_inv
	s_and_saveexec_b32 s6, s0
	s_cbranch_execz .LBB73_14
; %bb.13:                               ;   in Loop: Header=BB73_12 Depth=1
	s_clause 0x1
	global_load_b128 v[0:3], v39, s[24:25]
	global_load_b128 v[4:7], v39, s[26:27]
	s_waitcnt vmcnt(1)
	v_lshrrev_b32_e32 v41, 16, v0
	v_lshrrev_b32_e32 v42, 16, v1
	;; [unrolled: 1-line block ×4, first 2 shown]
	s_waitcnt vmcnt(0)
	v_lshrrev_b32_e32 v43, 16, v4
	v_lshrrev_b32_e32 v45, 16, v5
	;; [unrolled: 1-line block ×4, first 2 shown]
.LBB73_14:                              ;   in Loop: Header=BB73_12 Depth=1
	s_or_b32 exec_lo, exec_lo, s6
	v_cvt_f32_f16_e32 v12, v4
	s_delay_alu instid0(VALU_DEP_1) | instskip(NEXT) | instid1(VALU_DEP_1)
	v_add_f32_e32 v49, s52, v12
	v_cmp_ge_f32_e32 vcc_lo, 0x41a00000, v49
	s_and_b32 s6, s57, vcc_lo
	s_delay_alu instid0(SALU_CYCLE_1)
	s_and_saveexec_b32 s7, s6
	s_cbranch_execz .LBB73_16
; %bb.15:                               ;   in Loop: Header=BB73_12 Depth=1
	v_mul_f32_e32 v12, 0x3fb8aa3b, v49
	v_cmp_ngt_f32_e32 vcc_lo, 0xc2ce8ed0, v49
	s_delay_alu instid0(VALU_DEP_2) | instskip(SKIP_1) | instid1(VALU_DEP_2)
	v_rndne_f32_e32 v13, v12
	v_fma_f32 v14, 0x3fb8aa3b, v49, -v12
	v_sub_f32_e32 v12, v12, v13
	s_delay_alu instid0(VALU_DEP_2) | instskip(SKIP_1) | instid1(VALU_DEP_2)
	v_fmac_f32_e32 v14, 0x32a5705f, v49
	v_cvt_i32_f32_e32 v13, v13
	v_add_f32_e32 v12, v12, v14
	s_delay_alu instid0(VALU_DEP_1) | instskip(SKIP_2) | instid1(VALU_DEP_1)
	v_exp_f32_e32 v12, v12
	s_waitcnt_depctr 0xfff
	v_ldexp_f32 v12, v12, v13
	v_cndmask_b32_e32 v12, 0, v12, vcc_lo
	v_cmp_nlt_f32_e32 vcc_lo, 0x42b17218, v49
	s_delay_alu instid0(VALU_DEP_2) | instskip(NEXT) | instid1(VALU_DEP_1)
	v_cndmask_b32_e32 v14, 0x7f800000, v12, vcc_lo
	v_add_f32_e32 v15, 1.0, v14
	s_delay_alu instid0(VALU_DEP_1) | instskip(NEXT) | instid1(VALU_DEP_1)
	v_cvt_f64_f32_e32 v[12:13], v15
	v_frexp_exp_i32_f64_e32 v12, v[12:13]
	v_frexp_mant_f32_e32 v13, v15
	s_delay_alu instid0(VALU_DEP_1) | instskip(SKIP_1) | instid1(VALU_DEP_1)
	v_cmp_gt_f32_e32 vcc_lo, 0x3f2aaaab, v13
	v_add_f32_e32 v13, -1.0, v15
	v_sub_f32_e32 v17, v13, v15
	v_sub_f32_e32 v13, v14, v13
	s_delay_alu instid0(VALU_DEP_2) | instskip(NEXT) | instid1(VALU_DEP_1)
	v_add_f32_e32 v17, 1.0, v17
	v_add_f32_e32 v13, v13, v17
	v_cmp_gt_f32_e64 s6, 0x33800000, v14
	v_subrev_co_ci_u32_e32 v12, vcc_lo, 0, v12, vcc_lo
	v_cmp_eq_f32_e32 vcc_lo, 0x7f800000, v14
	s_delay_alu instid0(VALU_DEP_2) | instskip(SKIP_2) | instid1(VALU_DEP_2)
	v_sub_nc_u32_e32 v16, 0, v12
	v_cvt_f32_i32_e32 v12, v12
	s_or_b32 vcc_lo, s6, vcc_lo
	v_ldexp_f32 v15, v15, v16
	v_ldexp_f32 v13, v13, v16
	s_delay_alu instid0(VALU_DEP_2) | instskip(NEXT) | instid1(VALU_DEP_1)
	v_add_f32_e32 v18, 1.0, v15
	v_dual_add_f32 v16, -1.0, v15 :: v_dual_add_f32 v17, -1.0, v18
	s_delay_alu instid0(VALU_DEP_1) | instskip(NEXT) | instid1(VALU_DEP_2)
	v_add_f32_e32 v19, 1.0, v16
	v_sub_f32_e32 v17, v15, v17
	s_delay_alu instid0(VALU_DEP_2) | instskip(NEXT) | instid1(VALU_DEP_2)
	v_sub_f32_e32 v15, v15, v19
	v_add_f32_e32 v17, v13, v17
	s_delay_alu instid0(VALU_DEP_2) | instskip(NEXT) | instid1(VALU_DEP_2)
	v_add_f32_e32 v13, v13, v15
	v_add_f32_e32 v19, v18, v17
	s_delay_alu instid0(VALU_DEP_2) | instskip(NEXT) | instid1(VALU_DEP_2)
	v_add_f32_e32 v20, v16, v13
	v_rcp_f32_e32 v15, v19
	v_sub_f32_e32 v18, v18, v19
	s_delay_alu instid0(VALU_DEP_1) | instskip(SKIP_2) | instid1(VALU_DEP_1)
	v_dual_sub_f32 v16, v16, v20 :: v_dual_add_f32 v17, v17, v18
	s_waitcnt_depctr 0xfff
	v_mul_f32_e32 v21, v20, v15
	v_mul_f32_e32 v49, v19, v21
	s_delay_alu instid0(VALU_DEP_1) | instskip(NEXT) | instid1(VALU_DEP_1)
	v_fma_f32 v18, v21, v19, -v49
	v_fmac_f32_e32 v18, v21, v17
	s_delay_alu instid0(VALU_DEP_1) | instskip(NEXT) | instid1(VALU_DEP_1)
	v_add_f32_e32 v50, v49, v18
	v_sub_f32_e32 v51, v20, v50
	s_delay_alu instid0(VALU_DEP_1) | instskip(SKIP_1) | instid1(VALU_DEP_2)
	v_dual_sub_f32 v20, v20, v51 :: v_dual_add_f32 v13, v13, v16
	v_sub_f32_e32 v16, v50, v49
	v_sub_f32_e32 v20, v20, v50
	s_delay_alu instid0(VALU_DEP_1) | instskip(NEXT) | instid1(VALU_DEP_1)
	v_dual_sub_f32 v16, v16, v18 :: v_dual_add_f32 v13, v13, v20
	v_add_f32_e32 v13, v16, v13
	s_delay_alu instid0(VALU_DEP_1) | instskip(NEXT) | instid1(VALU_DEP_1)
	v_add_f32_e32 v16, v51, v13
	v_mul_f32_e32 v18, v15, v16
	v_sub_f32_e32 v50, v51, v16
	s_delay_alu instid0(VALU_DEP_2) | instskip(NEXT) | instid1(VALU_DEP_2)
	v_mul_f32_e32 v20, v19, v18
	v_add_f32_e32 v13, v13, v50
	s_delay_alu instid0(VALU_DEP_2) | instskip(NEXT) | instid1(VALU_DEP_1)
	v_fma_f32 v19, v18, v19, -v20
	v_fmac_f32_e32 v19, v18, v17
	s_delay_alu instid0(VALU_DEP_1) | instskip(NEXT) | instid1(VALU_DEP_1)
	v_add_f32_e32 v17, v20, v19
	v_sub_f32_e32 v49, v16, v17
	s_delay_alu instid0(VALU_DEP_1) | instskip(NEXT) | instid1(VALU_DEP_1)
	v_sub_f32_e32 v16, v16, v49
	v_sub_f32_e32 v16, v16, v17
	s_delay_alu instid0(VALU_DEP_1) | instskip(SKIP_2) | instid1(VALU_DEP_1)
	v_add_f32_e32 v13, v13, v16
	v_add_f32_e32 v16, v21, v18
	v_sub_f32_e32 v20, v17, v20
	v_sub_f32_e32 v17, v20, v19
	s_delay_alu instid0(VALU_DEP_1) | instskip(NEXT) | instid1(VALU_DEP_4)
	v_add_f32_e32 v13, v17, v13
	v_sub_f32_e32 v17, v16, v21
	s_delay_alu instid0(VALU_DEP_2) | instskip(NEXT) | instid1(VALU_DEP_2)
	v_add_f32_e32 v13, v49, v13
	v_sub_f32_e32 v17, v18, v17
	s_delay_alu instid0(VALU_DEP_2) | instskip(NEXT) | instid1(VALU_DEP_1)
	v_mul_f32_e32 v13, v15, v13
	v_add_f32_e32 v13, v17, v13
	s_delay_alu instid0(VALU_DEP_1) | instskip(NEXT) | instid1(VALU_DEP_1)
	v_add_f32_e32 v15, v16, v13
	v_mul_f32_e32 v17, v15, v15
	s_delay_alu instid0(VALU_DEP_1) | instskip(SKIP_1) | instid1(VALU_DEP_2)
	v_fmaak_f32 v18, s42, v17, 0x3ecc95a3
	v_mul_f32_e32 v19, v15, v17
	v_fmaak_f32 v17, v17, v18, 0x3f2aaada
	v_ldexp_f32 v18, v15, 1
	s_delay_alu instid0(VALU_DEP_2) | instskip(SKIP_1) | instid1(VALU_DEP_2)
	v_mul_f32_e32 v17, v19, v17
	v_sub_f32_e32 v15, v15, v16
	v_dual_mul_f32 v19, 0x3f317218, v12 :: v_dual_add_f32 v16, v18, v17
	s_delay_alu instid0(VALU_DEP_2) | instskip(NEXT) | instid1(VALU_DEP_2)
	v_sub_f32_e32 v13, v13, v15
	v_sub_f32_e32 v15, v16, v18
	s_delay_alu instid0(VALU_DEP_3) | instskip(NEXT) | instid1(VALU_DEP_3)
	v_fma_f32 v18, 0x3f317218, v12, -v19
	v_ldexp_f32 v13, v13, 1
	s_delay_alu instid0(VALU_DEP_2) | instskip(NEXT) | instid1(VALU_DEP_1)
	v_dual_sub_f32 v15, v17, v15 :: v_dual_fmac_f32 v18, 0xb102e308, v12
	v_dual_add_f32 v12, v13, v15 :: v_dual_add_f32 v13, v19, v18
	s_delay_alu instid0(VALU_DEP_1) | instskip(NEXT) | instid1(VALU_DEP_1)
	v_add_f32_e32 v15, v16, v12
	v_dual_add_f32 v17, v13, v15 :: v_dual_sub_f32 v16, v15, v16
	s_delay_alu instid0(VALU_DEP_1) | instskip(NEXT) | instid1(VALU_DEP_2)
	v_sub_f32_e32 v20, v17, v13
	v_dual_sub_f32 v19, v13, v19 :: v_dual_sub_f32 v12, v12, v16
	s_delay_alu instid0(VALU_DEP_1) | instskip(SKIP_1) | instid1(VALU_DEP_2)
	v_dual_sub_f32 v21, v17, v20 :: v_dual_sub_f32 v18, v18, v19
	v_sub_f32_e32 v15, v15, v20
	v_dual_sub_f32 v13, v13, v21 :: v_dual_add_f32 v16, v18, v12
	s_delay_alu instid0(VALU_DEP_1) | instskip(NEXT) | instid1(VALU_DEP_2)
	v_add_f32_e32 v13, v15, v13
	v_sub_f32_e32 v15, v16, v18
	s_delay_alu instid0(VALU_DEP_2) | instskip(NEXT) | instid1(VALU_DEP_2)
	v_add_f32_e32 v13, v16, v13
	v_sub_f32_e32 v16, v16, v15
	s_delay_alu instid0(VALU_DEP_2) | instskip(NEXT) | instid1(VALU_DEP_1)
	v_dual_sub_f32 v12, v12, v15 :: v_dual_add_f32 v19, v17, v13
	v_dual_sub_f32 v16, v18, v16 :: v_dual_sub_f32 v15, v19, v17
	s_delay_alu instid0(VALU_DEP_1) | instskip(NEXT) | instid1(VALU_DEP_1)
	v_dual_add_f32 v12, v12, v16 :: v_dual_sub_f32 v13, v13, v15
	v_add_f32_e32 v12, v12, v13
	s_delay_alu instid0(VALU_DEP_1) | instskip(NEXT) | instid1(VALU_DEP_1)
	v_add_f32_e32 v12, v19, v12
	v_cndmask_b32_e32 v49, v12, v14, vcc_lo
.LBB73_16:                              ;   in Loop: Header=BB73_12 Depth=1
	s_or_b32 exec_lo, exec_lo, s7
	v_cvt_f32_f16_e32 v12, v43
	s_delay_alu instid0(VALU_DEP_1) | instskip(NEXT) | instid1(VALU_DEP_1)
	v_add_f32_e32 v50, s52, v12
	v_cmp_ge_f32_e32 vcc_lo, 0x41a00000, v50
	s_and_b32 s6, s57, vcc_lo
	s_delay_alu instid0(SALU_CYCLE_1)
	s_and_saveexec_b32 s7, s6
	s_cbranch_execz .LBB73_18
; %bb.17:                               ;   in Loop: Header=BB73_12 Depth=1
	v_mul_f32_e32 v12, 0x3fb8aa3b, v50
	v_cmp_ngt_f32_e32 vcc_lo, 0xc2ce8ed0, v50
	s_delay_alu instid0(VALU_DEP_2) | instskip(SKIP_1) | instid1(VALU_DEP_2)
	v_rndne_f32_e32 v13, v12
	v_fma_f32 v14, 0x3fb8aa3b, v50, -v12
	v_sub_f32_e32 v12, v12, v13
	s_delay_alu instid0(VALU_DEP_2) | instskip(SKIP_1) | instid1(VALU_DEP_2)
	v_fmac_f32_e32 v14, 0x32a5705f, v50
	v_cvt_i32_f32_e32 v13, v13
	v_add_f32_e32 v12, v12, v14
	s_delay_alu instid0(VALU_DEP_1) | instskip(SKIP_2) | instid1(VALU_DEP_1)
	v_exp_f32_e32 v12, v12
	s_waitcnt_depctr 0xfff
	v_ldexp_f32 v12, v12, v13
	v_cndmask_b32_e32 v12, 0, v12, vcc_lo
	v_cmp_nlt_f32_e32 vcc_lo, 0x42b17218, v50
	s_delay_alu instid0(VALU_DEP_2) | instskip(NEXT) | instid1(VALU_DEP_1)
	v_cndmask_b32_e32 v14, 0x7f800000, v12, vcc_lo
	v_add_f32_e32 v15, 1.0, v14
	s_delay_alu instid0(VALU_DEP_1) | instskip(NEXT) | instid1(VALU_DEP_1)
	v_cvt_f64_f32_e32 v[12:13], v15
	v_frexp_exp_i32_f64_e32 v12, v[12:13]
	v_frexp_mant_f32_e32 v13, v15
	s_delay_alu instid0(VALU_DEP_1) | instskip(SKIP_1) | instid1(VALU_DEP_1)
	v_cmp_gt_f32_e32 vcc_lo, 0x3f2aaaab, v13
	v_add_f32_e32 v13, -1.0, v15
	v_sub_f32_e32 v17, v13, v15
	v_sub_f32_e32 v13, v14, v13
	s_delay_alu instid0(VALU_DEP_2) | instskip(NEXT) | instid1(VALU_DEP_1)
	v_add_f32_e32 v17, 1.0, v17
	v_add_f32_e32 v13, v13, v17
	v_cmp_gt_f32_e64 s6, 0x33800000, v14
	v_subrev_co_ci_u32_e32 v12, vcc_lo, 0, v12, vcc_lo
	v_cmp_eq_f32_e32 vcc_lo, 0x7f800000, v14
	s_delay_alu instid0(VALU_DEP_2) | instskip(SKIP_2) | instid1(VALU_DEP_2)
	v_sub_nc_u32_e32 v16, 0, v12
	v_cvt_f32_i32_e32 v12, v12
	s_or_b32 vcc_lo, s6, vcc_lo
	v_ldexp_f32 v15, v15, v16
	v_ldexp_f32 v13, v13, v16
	s_delay_alu instid0(VALU_DEP_2) | instskip(NEXT) | instid1(VALU_DEP_1)
	v_add_f32_e32 v18, 1.0, v15
	v_dual_add_f32 v16, -1.0, v15 :: v_dual_add_f32 v17, -1.0, v18
	s_delay_alu instid0(VALU_DEP_1) | instskip(NEXT) | instid1(VALU_DEP_2)
	v_add_f32_e32 v19, 1.0, v16
	v_sub_f32_e32 v17, v15, v17
	s_delay_alu instid0(VALU_DEP_2) | instskip(NEXT) | instid1(VALU_DEP_2)
	v_sub_f32_e32 v15, v15, v19
	v_add_f32_e32 v17, v13, v17
	s_delay_alu instid0(VALU_DEP_2) | instskip(NEXT) | instid1(VALU_DEP_1)
	v_add_f32_e32 v13, v13, v15
	v_add_f32_e32 v20, v16, v13
	s_delay_alu instid0(VALU_DEP_1) | instskip(NEXT) | instid1(VALU_DEP_1)
	v_dual_add_f32 v19, v18, v17 :: v_dual_sub_f32 v16, v16, v20
	v_rcp_f32_e32 v15, v19
	v_sub_f32_e32 v18, v18, v19
	s_delay_alu instid0(VALU_DEP_1) | instskip(SKIP_2) | instid1(VALU_DEP_1)
	v_add_f32_e32 v17, v17, v18
	s_waitcnt_depctr 0xfff
	v_mul_f32_e32 v21, v20, v15
	v_mul_f32_e32 v50, v19, v21
	s_delay_alu instid0(VALU_DEP_1) | instskip(NEXT) | instid1(VALU_DEP_1)
	v_fma_f32 v18, v21, v19, -v50
	v_fmac_f32_e32 v18, v21, v17
	s_delay_alu instid0(VALU_DEP_1) | instskip(NEXT) | instid1(VALU_DEP_1)
	v_add_f32_e32 v51, v50, v18
	v_sub_f32_e32 v52, v20, v51
	s_delay_alu instid0(VALU_DEP_1) | instskip(SKIP_1) | instid1(VALU_DEP_2)
	v_sub_f32_e32 v20, v20, v52
	v_dual_add_f32 v13, v13, v16 :: v_dual_sub_f32 v16, v51, v50
	v_sub_f32_e32 v20, v20, v51
	s_delay_alu instid0(VALU_DEP_1) | instskip(NEXT) | instid1(VALU_DEP_1)
	v_dual_sub_f32 v16, v16, v18 :: v_dual_add_f32 v13, v13, v20
	v_add_f32_e32 v13, v16, v13
	s_delay_alu instid0(VALU_DEP_1) | instskip(NEXT) | instid1(VALU_DEP_1)
	v_add_f32_e32 v16, v52, v13
	v_mul_f32_e32 v18, v15, v16
	s_delay_alu instid0(VALU_DEP_1) | instskip(NEXT) | instid1(VALU_DEP_1)
	v_dual_sub_f32 v51, v52, v16 :: v_dual_mul_f32 v20, v19, v18
	v_add_f32_e32 v13, v13, v51
	s_delay_alu instid0(VALU_DEP_2) | instskip(NEXT) | instid1(VALU_DEP_1)
	v_fma_f32 v19, v18, v19, -v20
	v_fmac_f32_e32 v19, v18, v17
	s_delay_alu instid0(VALU_DEP_1) | instskip(NEXT) | instid1(VALU_DEP_1)
	v_add_f32_e32 v17, v20, v19
	v_sub_f32_e32 v50, v16, v17
	s_delay_alu instid0(VALU_DEP_1) | instskip(NEXT) | instid1(VALU_DEP_1)
	v_sub_f32_e32 v16, v16, v50
	v_sub_f32_e32 v16, v16, v17
	s_delay_alu instid0(VALU_DEP_1) | instskip(SKIP_2) | instid1(VALU_DEP_1)
	v_add_f32_e32 v13, v13, v16
	v_add_f32_e32 v16, v21, v18
	v_sub_f32_e32 v20, v17, v20
	v_sub_f32_e32 v17, v20, v19
	s_delay_alu instid0(VALU_DEP_1) | instskip(NEXT) | instid1(VALU_DEP_4)
	v_add_f32_e32 v13, v17, v13
	v_sub_f32_e32 v17, v16, v21
	s_delay_alu instid0(VALU_DEP_2) | instskip(NEXT) | instid1(VALU_DEP_2)
	v_add_f32_e32 v13, v50, v13
	v_sub_f32_e32 v17, v18, v17
	s_delay_alu instid0(VALU_DEP_2) | instskip(NEXT) | instid1(VALU_DEP_1)
	v_mul_f32_e32 v13, v15, v13
	v_add_f32_e32 v13, v17, v13
	s_delay_alu instid0(VALU_DEP_1) | instskip(NEXT) | instid1(VALU_DEP_1)
	v_add_f32_e32 v15, v16, v13
	v_mul_f32_e32 v17, v15, v15
	s_delay_alu instid0(VALU_DEP_1) | instskip(SKIP_1) | instid1(VALU_DEP_2)
	v_fmaak_f32 v18, s42, v17, 0x3ecc95a3
	v_mul_f32_e32 v19, v15, v17
	v_fmaak_f32 v17, v17, v18, 0x3f2aaada
	v_ldexp_f32 v18, v15, 1
	s_delay_alu instid0(VALU_DEP_2) | instskip(SKIP_1) | instid1(VALU_DEP_2)
	v_mul_f32_e32 v17, v19, v17
	v_sub_f32_e32 v15, v15, v16
	v_dual_mul_f32 v19, 0x3f317218, v12 :: v_dual_add_f32 v16, v18, v17
	s_delay_alu instid0(VALU_DEP_2) | instskip(NEXT) | instid1(VALU_DEP_2)
	v_sub_f32_e32 v13, v13, v15
	v_sub_f32_e32 v15, v16, v18
	s_delay_alu instid0(VALU_DEP_3) | instskip(NEXT) | instid1(VALU_DEP_3)
	v_fma_f32 v18, 0x3f317218, v12, -v19
	v_ldexp_f32 v13, v13, 1
	s_delay_alu instid0(VALU_DEP_2) | instskip(NEXT) | instid1(VALU_DEP_1)
	v_dual_sub_f32 v15, v17, v15 :: v_dual_fmac_f32 v18, 0xb102e308, v12
	v_dual_add_f32 v12, v13, v15 :: v_dual_add_f32 v13, v19, v18
	s_delay_alu instid0(VALU_DEP_1) | instskip(NEXT) | instid1(VALU_DEP_1)
	v_add_f32_e32 v15, v16, v12
	v_dual_add_f32 v17, v13, v15 :: v_dual_sub_f32 v16, v15, v16
	s_delay_alu instid0(VALU_DEP_1) | instskip(NEXT) | instid1(VALU_DEP_2)
	v_sub_f32_e32 v20, v17, v13
	v_dual_sub_f32 v19, v13, v19 :: v_dual_sub_f32 v12, v12, v16
	s_delay_alu instid0(VALU_DEP_1) | instskip(SKIP_1) | instid1(VALU_DEP_2)
	v_dual_sub_f32 v21, v17, v20 :: v_dual_sub_f32 v18, v18, v19
	v_sub_f32_e32 v15, v15, v20
	v_dual_sub_f32 v13, v13, v21 :: v_dual_add_f32 v16, v18, v12
	s_delay_alu instid0(VALU_DEP_1) | instskip(NEXT) | instid1(VALU_DEP_2)
	v_add_f32_e32 v13, v15, v13
	v_sub_f32_e32 v15, v16, v18
	s_delay_alu instid0(VALU_DEP_2) | instskip(NEXT) | instid1(VALU_DEP_2)
	v_add_f32_e32 v13, v16, v13
	v_sub_f32_e32 v16, v16, v15
	s_delay_alu instid0(VALU_DEP_2) | instskip(NEXT) | instid1(VALU_DEP_1)
	v_dual_sub_f32 v12, v12, v15 :: v_dual_add_f32 v19, v17, v13
	v_dual_sub_f32 v16, v18, v16 :: v_dual_sub_f32 v15, v19, v17
	s_delay_alu instid0(VALU_DEP_1) | instskip(NEXT) | instid1(VALU_DEP_1)
	v_dual_add_f32 v12, v12, v16 :: v_dual_sub_f32 v13, v13, v15
	v_add_f32_e32 v12, v12, v13
	s_delay_alu instid0(VALU_DEP_1) | instskip(NEXT) | instid1(VALU_DEP_1)
	v_add_f32_e32 v12, v19, v12
	v_cndmask_b32_e32 v50, v12, v14, vcc_lo
.LBB73_18:                              ;   in Loop: Header=BB73_12 Depth=1
	s_or_b32 exec_lo, exec_lo, s7
	v_cvt_f32_f16_e32 v12, v5
	s_delay_alu instid0(VALU_DEP_1) | instskip(NEXT) | instid1(VALU_DEP_1)
	v_add_f32_e32 v51, s52, v12
	v_cmp_ge_f32_e32 vcc_lo, 0x41a00000, v51
	s_and_b32 s6, s57, vcc_lo
	s_delay_alu instid0(SALU_CYCLE_1)
	s_and_saveexec_b32 s7, s6
	s_cbranch_execz .LBB73_20
; %bb.19:                               ;   in Loop: Header=BB73_12 Depth=1
	v_mul_f32_e32 v12, 0x3fb8aa3b, v51
	v_cmp_ngt_f32_e32 vcc_lo, 0xc2ce8ed0, v51
	s_delay_alu instid0(VALU_DEP_2) | instskip(SKIP_1) | instid1(VALU_DEP_2)
	v_rndne_f32_e32 v13, v12
	v_fma_f32 v14, 0x3fb8aa3b, v51, -v12
	v_sub_f32_e32 v12, v12, v13
	s_delay_alu instid0(VALU_DEP_2) | instskip(SKIP_1) | instid1(VALU_DEP_2)
	v_fmac_f32_e32 v14, 0x32a5705f, v51
	v_cvt_i32_f32_e32 v13, v13
	v_add_f32_e32 v12, v12, v14
	s_delay_alu instid0(VALU_DEP_1) | instskip(SKIP_2) | instid1(VALU_DEP_1)
	v_exp_f32_e32 v12, v12
	s_waitcnt_depctr 0xfff
	v_ldexp_f32 v12, v12, v13
	v_cndmask_b32_e32 v12, 0, v12, vcc_lo
	v_cmp_nlt_f32_e32 vcc_lo, 0x42b17218, v51
	s_delay_alu instid0(VALU_DEP_2) | instskip(NEXT) | instid1(VALU_DEP_1)
	v_cndmask_b32_e32 v14, 0x7f800000, v12, vcc_lo
	v_add_f32_e32 v15, 1.0, v14
	s_delay_alu instid0(VALU_DEP_1) | instskip(NEXT) | instid1(VALU_DEP_1)
	v_cvt_f64_f32_e32 v[12:13], v15
	v_frexp_exp_i32_f64_e32 v12, v[12:13]
	v_frexp_mant_f32_e32 v13, v15
	s_delay_alu instid0(VALU_DEP_1) | instskip(SKIP_1) | instid1(VALU_DEP_1)
	v_cmp_gt_f32_e32 vcc_lo, 0x3f2aaaab, v13
	v_add_f32_e32 v13, -1.0, v15
	v_sub_f32_e32 v17, v13, v15
	v_sub_f32_e32 v13, v14, v13
	s_delay_alu instid0(VALU_DEP_2) | instskip(NEXT) | instid1(VALU_DEP_1)
	v_add_f32_e32 v17, 1.0, v17
	v_add_f32_e32 v13, v13, v17
	v_cmp_gt_f32_e64 s6, 0x33800000, v14
	v_subrev_co_ci_u32_e32 v12, vcc_lo, 0, v12, vcc_lo
	v_cmp_eq_f32_e32 vcc_lo, 0x7f800000, v14
	s_delay_alu instid0(VALU_DEP_2) | instskip(SKIP_2) | instid1(VALU_DEP_2)
	v_sub_nc_u32_e32 v16, 0, v12
	v_cvt_f32_i32_e32 v12, v12
	s_or_b32 vcc_lo, s6, vcc_lo
	v_ldexp_f32 v15, v15, v16
	v_ldexp_f32 v13, v13, v16
	s_delay_alu instid0(VALU_DEP_2) | instskip(NEXT) | instid1(VALU_DEP_1)
	v_add_f32_e32 v18, 1.0, v15
	v_dual_add_f32 v16, -1.0, v15 :: v_dual_add_f32 v17, -1.0, v18
	s_delay_alu instid0(VALU_DEP_1) | instskip(NEXT) | instid1(VALU_DEP_2)
	v_add_f32_e32 v19, 1.0, v16
	v_sub_f32_e32 v17, v15, v17
	s_delay_alu instid0(VALU_DEP_2) | instskip(NEXT) | instid1(VALU_DEP_2)
	v_sub_f32_e32 v15, v15, v19
	v_add_f32_e32 v17, v13, v17
	s_delay_alu instid0(VALU_DEP_2) | instskip(NEXT) | instid1(VALU_DEP_2)
	v_add_f32_e32 v13, v13, v15
	v_add_f32_e32 v19, v18, v17
	s_delay_alu instid0(VALU_DEP_2) | instskip(NEXT) | instid1(VALU_DEP_2)
	v_add_f32_e32 v20, v16, v13
	v_rcp_f32_e32 v15, v19
	v_sub_f32_e32 v18, v18, v19
	s_delay_alu instid0(VALU_DEP_1) | instskip(SKIP_2) | instid1(VALU_DEP_1)
	v_dual_sub_f32 v16, v16, v20 :: v_dual_add_f32 v17, v17, v18
	s_waitcnt_depctr 0xfff
	v_mul_f32_e32 v21, v20, v15
	v_mul_f32_e32 v51, v19, v21
	s_delay_alu instid0(VALU_DEP_1) | instskip(NEXT) | instid1(VALU_DEP_1)
	v_fma_f32 v18, v21, v19, -v51
	v_fmac_f32_e32 v18, v21, v17
	s_delay_alu instid0(VALU_DEP_1) | instskip(NEXT) | instid1(VALU_DEP_1)
	v_add_f32_e32 v52, v51, v18
	v_sub_f32_e32 v53, v20, v52
	s_delay_alu instid0(VALU_DEP_1) | instskip(NEXT) | instid1(VALU_DEP_1)
	v_sub_f32_e32 v20, v20, v53
	v_sub_f32_e32 v20, v20, v52
	v_dual_add_f32 v13, v13, v16 :: v_dual_sub_f32 v16, v52, v51
	s_delay_alu instid0(VALU_DEP_1) | instskip(NEXT) | instid1(VALU_DEP_1)
	v_dual_add_f32 v13, v13, v20 :: v_dual_sub_f32 v16, v16, v18
	v_add_f32_e32 v13, v16, v13
	s_delay_alu instid0(VALU_DEP_1) | instskip(NEXT) | instid1(VALU_DEP_1)
	v_add_f32_e32 v16, v53, v13
	v_mul_f32_e32 v18, v15, v16
	s_delay_alu instid0(VALU_DEP_1) | instskip(SKIP_1) | instid1(VALU_DEP_2)
	v_mul_f32_e32 v20, v19, v18
	v_sub_f32_e32 v52, v53, v16
	v_fma_f32 v19, v18, v19, -v20
	s_delay_alu instid0(VALU_DEP_2) | instskip(NEXT) | instid1(VALU_DEP_2)
	v_add_f32_e32 v13, v13, v52
	v_fmac_f32_e32 v19, v18, v17
	s_delay_alu instid0(VALU_DEP_1) | instskip(NEXT) | instid1(VALU_DEP_1)
	v_add_f32_e32 v17, v20, v19
	v_sub_f32_e32 v51, v16, v17
	s_delay_alu instid0(VALU_DEP_1) | instskip(NEXT) | instid1(VALU_DEP_1)
	v_sub_f32_e32 v16, v16, v51
	v_sub_f32_e32 v16, v16, v17
	s_delay_alu instid0(VALU_DEP_1) | instskip(SKIP_2) | instid1(VALU_DEP_1)
	v_add_f32_e32 v13, v13, v16
	v_add_f32_e32 v16, v21, v18
	v_sub_f32_e32 v20, v17, v20
	v_sub_f32_e32 v17, v20, v19
	s_delay_alu instid0(VALU_DEP_1) | instskip(NEXT) | instid1(VALU_DEP_4)
	v_add_f32_e32 v13, v17, v13
	v_sub_f32_e32 v17, v16, v21
	s_delay_alu instid0(VALU_DEP_2) | instskip(NEXT) | instid1(VALU_DEP_2)
	v_add_f32_e32 v13, v51, v13
	v_sub_f32_e32 v17, v18, v17
	s_delay_alu instid0(VALU_DEP_2) | instskip(NEXT) | instid1(VALU_DEP_1)
	v_mul_f32_e32 v13, v15, v13
	v_add_f32_e32 v13, v17, v13
	s_delay_alu instid0(VALU_DEP_1) | instskip(NEXT) | instid1(VALU_DEP_1)
	v_add_f32_e32 v15, v16, v13
	v_mul_f32_e32 v17, v15, v15
	s_delay_alu instid0(VALU_DEP_1) | instskip(SKIP_1) | instid1(VALU_DEP_2)
	v_fmaak_f32 v18, s42, v17, 0x3ecc95a3
	v_mul_f32_e32 v19, v15, v17
	v_fmaak_f32 v17, v17, v18, 0x3f2aaada
	v_ldexp_f32 v18, v15, 1
	s_delay_alu instid0(VALU_DEP_2) | instskip(SKIP_1) | instid1(VALU_DEP_2)
	v_mul_f32_e32 v17, v19, v17
	v_sub_f32_e32 v15, v15, v16
	v_dual_mul_f32 v19, 0x3f317218, v12 :: v_dual_add_f32 v16, v18, v17
	s_delay_alu instid0(VALU_DEP_2) | instskip(NEXT) | instid1(VALU_DEP_2)
	v_sub_f32_e32 v13, v13, v15
	v_sub_f32_e32 v15, v16, v18
	s_delay_alu instid0(VALU_DEP_3) | instskip(NEXT) | instid1(VALU_DEP_3)
	v_fma_f32 v18, 0x3f317218, v12, -v19
	v_ldexp_f32 v13, v13, 1
	s_delay_alu instid0(VALU_DEP_2) | instskip(NEXT) | instid1(VALU_DEP_1)
	v_dual_sub_f32 v15, v17, v15 :: v_dual_fmac_f32 v18, 0xb102e308, v12
	v_dual_add_f32 v12, v13, v15 :: v_dual_add_f32 v13, v19, v18
	s_delay_alu instid0(VALU_DEP_1) | instskip(NEXT) | instid1(VALU_DEP_1)
	v_add_f32_e32 v15, v16, v12
	v_dual_add_f32 v17, v13, v15 :: v_dual_sub_f32 v16, v15, v16
	s_delay_alu instid0(VALU_DEP_1) | instskip(NEXT) | instid1(VALU_DEP_2)
	v_sub_f32_e32 v20, v17, v13
	v_dual_sub_f32 v19, v13, v19 :: v_dual_sub_f32 v12, v12, v16
	s_delay_alu instid0(VALU_DEP_1) | instskip(SKIP_1) | instid1(VALU_DEP_2)
	v_dual_sub_f32 v21, v17, v20 :: v_dual_sub_f32 v18, v18, v19
	v_sub_f32_e32 v15, v15, v20
	v_dual_sub_f32 v13, v13, v21 :: v_dual_add_f32 v16, v18, v12
	s_delay_alu instid0(VALU_DEP_1) | instskip(NEXT) | instid1(VALU_DEP_2)
	v_add_f32_e32 v13, v15, v13
	v_sub_f32_e32 v15, v16, v18
	s_delay_alu instid0(VALU_DEP_2) | instskip(NEXT) | instid1(VALU_DEP_2)
	v_add_f32_e32 v13, v16, v13
	v_sub_f32_e32 v16, v16, v15
	s_delay_alu instid0(VALU_DEP_2) | instskip(NEXT) | instid1(VALU_DEP_1)
	v_dual_sub_f32 v12, v12, v15 :: v_dual_add_f32 v19, v17, v13
	v_dual_sub_f32 v16, v18, v16 :: v_dual_sub_f32 v15, v19, v17
	s_delay_alu instid0(VALU_DEP_1) | instskip(NEXT) | instid1(VALU_DEP_1)
	v_dual_add_f32 v12, v12, v16 :: v_dual_sub_f32 v13, v13, v15
	v_add_f32_e32 v12, v12, v13
	s_delay_alu instid0(VALU_DEP_1) | instskip(NEXT) | instid1(VALU_DEP_1)
	v_add_f32_e32 v12, v19, v12
	v_cndmask_b32_e32 v51, v12, v14, vcc_lo
.LBB73_20:                              ;   in Loop: Header=BB73_12 Depth=1
	s_or_b32 exec_lo, exec_lo, s7
	v_cvt_f32_f16_e32 v12, v45
	s_delay_alu instid0(VALU_DEP_1) | instskip(NEXT) | instid1(VALU_DEP_1)
	v_add_f32_e32 v52, s52, v12
	v_cmp_ge_f32_e32 vcc_lo, 0x41a00000, v52
	s_and_b32 s6, s57, vcc_lo
	s_delay_alu instid0(SALU_CYCLE_1)
	s_and_saveexec_b32 s7, s6
	s_cbranch_execz .LBB73_22
; %bb.21:                               ;   in Loop: Header=BB73_12 Depth=1
	v_mul_f32_e32 v12, 0x3fb8aa3b, v52
	v_cmp_ngt_f32_e32 vcc_lo, 0xc2ce8ed0, v52
	s_delay_alu instid0(VALU_DEP_2) | instskip(SKIP_1) | instid1(VALU_DEP_2)
	v_rndne_f32_e32 v13, v12
	v_fma_f32 v14, 0x3fb8aa3b, v52, -v12
	v_sub_f32_e32 v12, v12, v13
	s_delay_alu instid0(VALU_DEP_2) | instskip(SKIP_1) | instid1(VALU_DEP_2)
	v_fmac_f32_e32 v14, 0x32a5705f, v52
	v_cvt_i32_f32_e32 v13, v13
	v_add_f32_e32 v12, v12, v14
	s_delay_alu instid0(VALU_DEP_1) | instskip(SKIP_2) | instid1(VALU_DEP_1)
	v_exp_f32_e32 v12, v12
	s_waitcnt_depctr 0xfff
	v_ldexp_f32 v12, v12, v13
	v_cndmask_b32_e32 v12, 0, v12, vcc_lo
	v_cmp_nlt_f32_e32 vcc_lo, 0x42b17218, v52
	s_delay_alu instid0(VALU_DEP_2) | instskip(NEXT) | instid1(VALU_DEP_1)
	v_cndmask_b32_e32 v14, 0x7f800000, v12, vcc_lo
	v_add_f32_e32 v15, 1.0, v14
	s_delay_alu instid0(VALU_DEP_1) | instskip(NEXT) | instid1(VALU_DEP_1)
	v_cvt_f64_f32_e32 v[12:13], v15
	v_frexp_exp_i32_f64_e32 v12, v[12:13]
	v_frexp_mant_f32_e32 v13, v15
	s_delay_alu instid0(VALU_DEP_1) | instskip(SKIP_1) | instid1(VALU_DEP_1)
	v_cmp_gt_f32_e32 vcc_lo, 0x3f2aaaab, v13
	v_add_f32_e32 v13, -1.0, v15
	v_sub_f32_e32 v17, v13, v15
	v_sub_f32_e32 v13, v14, v13
	s_delay_alu instid0(VALU_DEP_2) | instskip(NEXT) | instid1(VALU_DEP_1)
	v_add_f32_e32 v17, 1.0, v17
	v_add_f32_e32 v13, v13, v17
	v_cmp_gt_f32_e64 s6, 0x33800000, v14
	v_subrev_co_ci_u32_e32 v12, vcc_lo, 0, v12, vcc_lo
	v_cmp_eq_f32_e32 vcc_lo, 0x7f800000, v14
	s_delay_alu instid0(VALU_DEP_2) | instskip(SKIP_2) | instid1(VALU_DEP_2)
	v_sub_nc_u32_e32 v16, 0, v12
	v_cvt_f32_i32_e32 v12, v12
	s_or_b32 vcc_lo, s6, vcc_lo
	v_ldexp_f32 v15, v15, v16
	v_ldexp_f32 v13, v13, v16
	s_delay_alu instid0(VALU_DEP_2) | instskip(NEXT) | instid1(VALU_DEP_1)
	v_add_f32_e32 v18, 1.0, v15
	v_dual_add_f32 v16, -1.0, v15 :: v_dual_add_f32 v17, -1.0, v18
	s_delay_alu instid0(VALU_DEP_1) | instskip(NEXT) | instid1(VALU_DEP_2)
	v_add_f32_e32 v19, 1.0, v16
	v_sub_f32_e32 v17, v15, v17
	s_delay_alu instid0(VALU_DEP_2) | instskip(NEXT) | instid1(VALU_DEP_2)
	v_sub_f32_e32 v15, v15, v19
	v_add_f32_e32 v17, v13, v17
	s_delay_alu instid0(VALU_DEP_2) | instskip(NEXT) | instid1(VALU_DEP_1)
	v_add_f32_e32 v13, v13, v15
	v_add_f32_e32 v20, v16, v13
	s_delay_alu instid0(VALU_DEP_1) | instskip(NEXT) | instid1(VALU_DEP_1)
	v_dual_add_f32 v19, v18, v17 :: v_dual_sub_f32 v16, v16, v20
	v_rcp_f32_e32 v15, v19
	v_sub_f32_e32 v18, v18, v19
	s_delay_alu instid0(VALU_DEP_1) | instskip(SKIP_2) | instid1(VALU_DEP_1)
	v_add_f32_e32 v17, v17, v18
	s_waitcnt_depctr 0xfff
	v_mul_f32_e32 v21, v20, v15
	v_dual_mul_f32 v52, v19, v21 :: v_dual_add_f32 v13, v13, v16
	s_delay_alu instid0(VALU_DEP_1) | instskip(NEXT) | instid1(VALU_DEP_1)
	v_fma_f32 v18, v21, v19, -v52
	v_fmac_f32_e32 v18, v21, v17
	s_delay_alu instid0(VALU_DEP_1) | instskip(NEXT) | instid1(VALU_DEP_1)
	v_add_f32_e32 v53, v52, v18
	v_sub_f32_e32 v54, v20, v53
	v_sub_f32_e32 v16, v53, v52
	s_delay_alu instid0(VALU_DEP_2) | instskip(NEXT) | instid1(VALU_DEP_1)
	v_sub_f32_e32 v20, v20, v54
	v_sub_f32_e32 v20, v20, v53
	s_delay_alu instid0(VALU_DEP_1) | instskip(NEXT) | instid1(VALU_DEP_1)
	v_dual_sub_f32 v16, v16, v18 :: v_dual_add_f32 v13, v13, v20
	v_add_f32_e32 v13, v16, v13
	s_delay_alu instid0(VALU_DEP_1) | instskip(NEXT) | instid1(VALU_DEP_1)
	v_add_f32_e32 v16, v54, v13
	v_mul_f32_e32 v18, v15, v16
	s_delay_alu instid0(VALU_DEP_1) | instskip(NEXT) | instid1(VALU_DEP_1)
	v_dual_sub_f32 v53, v54, v16 :: v_dual_mul_f32 v20, v19, v18
	v_add_f32_e32 v13, v13, v53
	s_delay_alu instid0(VALU_DEP_2) | instskip(NEXT) | instid1(VALU_DEP_1)
	v_fma_f32 v19, v18, v19, -v20
	v_fmac_f32_e32 v19, v18, v17
	s_delay_alu instid0(VALU_DEP_1) | instskip(NEXT) | instid1(VALU_DEP_1)
	v_add_f32_e32 v17, v20, v19
	v_sub_f32_e32 v52, v16, v17
	s_delay_alu instid0(VALU_DEP_1) | instskip(NEXT) | instid1(VALU_DEP_1)
	v_sub_f32_e32 v16, v16, v52
	v_sub_f32_e32 v16, v16, v17
	s_delay_alu instid0(VALU_DEP_1) | instskip(SKIP_2) | instid1(VALU_DEP_1)
	v_add_f32_e32 v13, v13, v16
	v_add_f32_e32 v16, v21, v18
	v_sub_f32_e32 v20, v17, v20
	v_sub_f32_e32 v17, v20, v19
	s_delay_alu instid0(VALU_DEP_1) | instskip(NEXT) | instid1(VALU_DEP_4)
	v_add_f32_e32 v13, v17, v13
	v_sub_f32_e32 v17, v16, v21
	s_delay_alu instid0(VALU_DEP_2) | instskip(NEXT) | instid1(VALU_DEP_2)
	v_add_f32_e32 v13, v52, v13
	v_sub_f32_e32 v17, v18, v17
	s_delay_alu instid0(VALU_DEP_2) | instskip(NEXT) | instid1(VALU_DEP_1)
	v_mul_f32_e32 v13, v15, v13
	v_add_f32_e32 v13, v17, v13
	s_delay_alu instid0(VALU_DEP_1) | instskip(NEXT) | instid1(VALU_DEP_1)
	v_add_f32_e32 v15, v16, v13
	v_mul_f32_e32 v17, v15, v15
	s_delay_alu instid0(VALU_DEP_1) | instskip(SKIP_1) | instid1(VALU_DEP_2)
	v_fmaak_f32 v18, s42, v17, 0x3ecc95a3
	v_mul_f32_e32 v19, v15, v17
	v_fmaak_f32 v17, v17, v18, 0x3f2aaada
	v_ldexp_f32 v18, v15, 1
	v_sub_f32_e32 v15, v15, v16
	s_delay_alu instid0(VALU_DEP_3) | instskip(SKIP_1) | instid1(VALU_DEP_2)
	v_mul_f32_e32 v17, v19, v17
	v_mul_f32_e32 v19, 0x3f317218, v12
	v_dual_sub_f32 v13, v13, v15 :: v_dual_add_f32 v16, v18, v17
	s_delay_alu instid0(VALU_DEP_1) | instskip(NEXT) | instid1(VALU_DEP_2)
	v_ldexp_f32 v13, v13, 1
	v_sub_f32_e32 v15, v16, v18
	s_delay_alu instid0(VALU_DEP_4) | instskip(NEXT) | instid1(VALU_DEP_1)
	v_fma_f32 v18, 0x3f317218, v12, -v19
	v_dual_sub_f32 v15, v17, v15 :: v_dual_fmac_f32 v18, 0xb102e308, v12
	s_delay_alu instid0(VALU_DEP_1) | instskip(NEXT) | instid1(VALU_DEP_1)
	v_dual_add_f32 v12, v13, v15 :: v_dual_add_f32 v13, v19, v18
	v_add_f32_e32 v15, v16, v12
	s_delay_alu instid0(VALU_DEP_2) | instskip(NEXT) | instid1(VALU_DEP_2)
	v_sub_f32_e32 v19, v13, v19
	v_dual_add_f32 v17, v13, v15 :: v_dual_sub_f32 v16, v15, v16
	s_delay_alu instid0(VALU_DEP_2) | instskip(NEXT) | instid1(VALU_DEP_2)
	v_sub_f32_e32 v18, v18, v19
	v_sub_f32_e32 v20, v17, v13
	s_delay_alu instid0(VALU_DEP_3) | instskip(NEXT) | instid1(VALU_DEP_2)
	v_sub_f32_e32 v12, v12, v16
	v_sub_f32_e32 v21, v17, v20
	;; [unrolled: 1-line block ×3, first 2 shown]
	s_delay_alu instid0(VALU_DEP_2) | instskip(NEXT) | instid1(VALU_DEP_1)
	v_dual_add_f32 v16, v18, v12 :: v_dual_sub_f32 v13, v13, v21
	v_add_f32_e32 v13, v15, v13
	s_delay_alu instid0(VALU_DEP_2) | instskip(NEXT) | instid1(VALU_DEP_2)
	v_sub_f32_e32 v15, v16, v18
	v_add_f32_e32 v13, v16, v13
	s_delay_alu instid0(VALU_DEP_2) | instskip(NEXT) | instid1(VALU_DEP_2)
	v_sub_f32_e32 v16, v16, v15
	v_dual_sub_f32 v12, v12, v15 :: v_dual_add_f32 v19, v17, v13
	s_delay_alu instid0(VALU_DEP_1) | instskip(NEXT) | instid1(VALU_DEP_1)
	v_dual_sub_f32 v16, v18, v16 :: v_dual_sub_f32 v15, v19, v17
	v_dual_add_f32 v12, v12, v16 :: v_dual_sub_f32 v13, v13, v15
	s_delay_alu instid0(VALU_DEP_1) | instskip(NEXT) | instid1(VALU_DEP_1)
	v_add_f32_e32 v12, v12, v13
	v_add_f32_e32 v12, v19, v12
	s_delay_alu instid0(VALU_DEP_1)
	v_cndmask_b32_e32 v52, v12, v14, vcc_lo
.LBB73_22:                              ;   in Loop: Header=BB73_12 Depth=1
	s_or_b32 exec_lo, exec_lo, s7
	v_cvt_f32_f16_e32 v12, v6
	s_delay_alu instid0(VALU_DEP_1) | instskip(NEXT) | instid1(VALU_DEP_1)
	v_add_f32_e32 v53, s52, v12
	v_cmp_ge_f32_e32 vcc_lo, 0x41a00000, v53
	s_and_b32 s6, s57, vcc_lo
	s_delay_alu instid0(SALU_CYCLE_1)
	s_and_saveexec_b32 s7, s6
	s_cbranch_execz .LBB73_24
; %bb.23:                               ;   in Loop: Header=BB73_12 Depth=1
	v_mul_f32_e32 v12, 0x3fb8aa3b, v53
	v_cmp_ngt_f32_e32 vcc_lo, 0xc2ce8ed0, v53
	s_delay_alu instid0(VALU_DEP_2) | instskip(SKIP_1) | instid1(VALU_DEP_2)
	v_rndne_f32_e32 v13, v12
	v_fma_f32 v14, 0x3fb8aa3b, v53, -v12
	v_sub_f32_e32 v12, v12, v13
	s_delay_alu instid0(VALU_DEP_2) | instskip(SKIP_1) | instid1(VALU_DEP_2)
	v_fmac_f32_e32 v14, 0x32a5705f, v53
	v_cvt_i32_f32_e32 v13, v13
	v_add_f32_e32 v12, v12, v14
	s_delay_alu instid0(VALU_DEP_1) | instskip(SKIP_2) | instid1(VALU_DEP_1)
	v_exp_f32_e32 v12, v12
	s_waitcnt_depctr 0xfff
	v_ldexp_f32 v12, v12, v13
	v_cndmask_b32_e32 v12, 0, v12, vcc_lo
	v_cmp_nlt_f32_e32 vcc_lo, 0x42b17218, v53
	s_delay_alu instid0(VALU_DEP_2) | instskip(NEXT) | instid1(VALU_DEP_1)
	v_cndmask_b32_e32 v14, 0x7f800000, v12, vcc_lo
	v_add_f32_e32 v15, 1.0, v14
	s_delay_alu instid0(VALU_DEP_1) | instskip(NEXT) | instid1(VALU_DEP_1)
	v_cvt_f64_f32_e32 v[12:13], v15
	v_frexp_exp_i32_f64_e32 v12, v[12:13]
	v_frexp_mant_f32_e32 v13, v15
	s_delay_alu instid0(VALU_DEP_1) | instskip(SKIP_1) | instid1(VALU_DEP_1)
	v_cmp_gt_f32_e32 vcc_lo, 0x3f2aaaab, v13
	v_add_f32_e32 v13, -1.0, v15
	v_sub_f32_e32 v17, v13, v15
	v_sub_f32_e32 v13, v14, v13
	s_delay_alu instid0(VALU_DEP_2) | instskip(NEXT) | instid1(VALU_DEP_1)
	v_add_f32_e32 v17, 1.0, v17
	v_add_f32_e32 v13, v13, v17
	v_cmp_gt_f32_e64 s6, 0x33800000, v14
	v_subrev_co_ci_u32_e32 v12, vcc_lo, 0, v12, vcc_lo
	v_cmp_eq_f32_e32 vcc_lo, 0x7f800000, v14
	s_delay_alu instid0(VALU_DEP_2) | instskip(SKIP_2) | instid1(VALU_DEP_2)
	v_sub_nc_u32_e32 v16, 0, v12
	v_cvt_f32_i32_e32 v12, v12
	s_or_b32 vcc_lo, s6, vcc_lo
	v_ldexp_f32 v15, v15, v16
	v_ldexp_f32 v13, v13, v16
	s_delay_alu instid0(VALU_DEP_2) | instskip(NEXT) | instid1(VALU_DEP_1)
	v_add_f32_e32 v18, 1.0, v15
	v_dual_add_f32 v16, -1.0, v15 :: v_dual_add_f32 v17, -1.0, v18
	s_delay_alu instid0(VALU_DEP_1) | instskip(NEXT) | instid1(VALU_DEP_2)
	v_add_f32_e32 v19, 1.0, v16
	v_sub_f32_e32 v17, v15, v17
	s_delay_alu instid0(VALU_DEP_2) | instskip(NEXT) | instid1(VALU_DEP_2)
	v_sub_f32_e32 v15, v15, v19
	v_add_f32_e32 v17, v13, v17
	s_delay_alu instid0(VALU_DEP_2) | instskip(NEXT) | instid1(VALU_DEP_2)
	v_add_f32_e32 v13, v13, v15
	v_add_f32_e32 v19, v18, v17
	s_delay_alu instid0(VALU_DEP_2) | instskip(NEXT) | instid1(VALU_DEP_2)
	v_add_f32_e32 v20, v16, v13
	v_rcp_f32_e32 v15, v19
	v_sub_f32_e32 v18, v18, v19
	s_delay_alu instid0(VALU_DEP_1) | instskip(SKIP_2) | instid1(VALU_DEP_1)
	v_dual_sub_f32 v16, v16, v20 :: v_dual_add_f32 v17, v17, v18
	s_waitcnt_depctr 0xfff
	v_mul_f32_e32 v21, v20, v15
	v_mul_f32_e32 v53, v19, v21
	s_delay_alu instid0(VALU_DEP_1) | instskip(NEXT) | instid1(VALU_DEP_1)
	v_fma_f32 v18, v21, v19, -v53
	v_fmac_f32_e32 v18, v21, v17
	s_delay_alu instid0(VALU_DEP_1) | instskip(NEXT) | instid1(VALU_DEP_1)
	v_add_f32_e32 v54, v53, v18
	v_sub_f32_e32 v55, v20, v54
	s_delay_alu instid0(VALU_DEP_1) | instskip(SKIP_1) | instid1(VALU_DEP_2)
	v_dual_sub_f32 v20, v20, v55 :: v_dual_add_f32 v13, v13, v16
	v_sub_f32_e32 v16, v54, v53
	v_sub_f32_e32 v20, v20, v54
	s_delay_alu instid0(VALU_DEP_1) | instskip(NEXT) | instid1(VALU_DEP_1)
	v_dual_sub_f32 v16, v16, v18 :: v_dual_add_f32 v13, v13, v20
	v_add_f32_e32 v13, v16, v13
	s_delay_alu instid0(VALU_DEP_1) | instskip(NEXT) | instid1(VALU_DEP_1)
	v_add_f32_e32 v16, v55, v13
	v_mul_f32_e32 v18, v15, v16
	v_sub_f32_e32 v54, v55, v16
	s_delay_alu instid0(VALU_DEP_2) | instskip(NEXT) | instid1(VALU_DEP_2)
	v_mul_f32_e32 v20, v19, v18
	v_add_f32_e32 v13, v13, v54
	s_delay_alu instid0(VALU_DEP_2) | instskip(NEXT) | instid1(VALU_DEP_1)
	v_fma_f32 v19, v18, v19, -v20
	v_fmac_f32_e32 v19, v18, v17
	s_delay_alu instid0(VALU_DEP_1) | instskip(NEXT) | instid1(VALU_DEP_1)
	v_add_f32_e32 v17, v20, v19
	v_sub_f32_e32 v53, v16, v17
	s_delay_alu instid0(VALU_DEP_1) | instskip(NEXT) | instid1(VALU_DEP_1)
	v_sub_f32_e32 v16, v16, v53
	v_sub_f32_e32 v16, v16, v17
	s_delay_alu instid0(VALU_DEP_1) | instskip(SKIP_2) | instid1(VALU_DEP_1)
	v_add_f32_e32 v13, v13, v16
	v_add_f32_e32 v16, v21, v18
	v_sub_f32_e32 v20, v17, v20
	v_sub_f32_e32 v17, v20, v19
	s_delay_alu instid0(VALU_DEP_1) | instskip(NEXT) | instid1(VALU_DEP_4)
	v_add_f32_e32 v13, v17, v13
	v_sub_f32_e32 v17, v16, v21
	s_delay_alu instid0(VALU_DEP_2) | instskip(NEXT) | instid1(VALU_DEP_2)
	v_add_f32_e32 v13, v53, v13
	v_sub_f32_e32 v17, v18, v17
	s_delay_alu instid0(VALU_DEP_2) | instskip(NEXT) | instid1(VALU_DEP_1)
	v_mul_f32_e32 v13, v15, v13
	v_add_f32_e32 v13, v17, v13
	s_delay_alu instid0(VALU_DEP_1) | instskip(NEXT) | instid1(VALU_DEP_1)
	v_add_f32_e32 v15, v16, v13
	v_mul_f32_e32 v17, v15, v15
	s_delay_alu instid0(VALU_DEP_1) | instskip(SKIP_1) | instid1(VALU_DEP_2)
	v_fmaak_f32 v18, s42, v17, 0x3ecc95a3
	v_mul_f32_e32 v19, v15, v17
	v_fmaak_f32 v17, v17, v18, 0x3f2aaada
	v_ldexp_f32 v18, v15, 1
	s_delay_alu instid0(VALU_DEP_2) | instskip(SKIP_1) | instid1(VALU_DEP_2)
	v_mul_f32_e32 v17, v19, v17
	v_sub_f32_e32 v15, v15, v16
	v_dual_mul_f32 v19, 0x3f317218, v12 :: v_dual_add_f32 v16, v18, v17
	s_delay_alu instid0(VALU_DEP_2) | instskip(NEXT) | instid1(VALU_DEP_2)
	v_sub_f32_e32 v13, v13, v15
	v_sub_f32_e32 v15, v16, v18
	s_delay_alu instid0(VALU_DEP_3) | instskip(NEXT) | instid1(VALU_DEP_3)
	v_fma_f32 v18, 0x3f317218, v12, -v19
	v_ldexp_f32 v13, v13, 1
	s_delay_alu instid0(VALU_DEP_2) | instskip(NEXT) | instid1(VALU_DEP_1)
	v_dual_sub_f32 v15, v17, v15 :: v_dual_fmac_f32 v18, 0xb102e308, v12
	v_dual_add_f32 v12, v13, v15 :: v_dual_add_f32 v13, v19, v18
	s_delay_alu instid0(VALU_DEP_1) | instskip(NEXT) | instid1(VALU_DEP_1)
	v_add_f32_e32 v15, v16, v12
	v_dual_add_f32 v17, v13, v15 :: v_dual_sub_f32 v16, v15, v16
	s_delay_alu instid0(VALU_DEP_1) | instskip(NEXT) | instid1(VALU_DEP_2)
	v_sub_f32_e32 v20, v17, v13
	v_dual_sub_f32 v19, v13, v19 :: v_dual_sub_f32 v12, v12, v16
	s_delay_alu instid0(VALU_DEP_1) | instskip(SKIP_1) | instid1(VALU_DEP_2)
	v_dual_sub_f32 v21, v17, v20 :: v_dual_sub_f32 v18, v18, v19
	v_sub_f32_e32 v15, v15, v20
	v_dual_sub_f32 v13, v13, v21 :: v_dual_add_f32 v16, v18, v12
	s_delay_alu instid0(VALU_DEP_1) | instskip(NEXT) | instid1(VALU_DEP_2)
	v_add_f32_e32 v13, v15, v13
	v_sub_f32_e32 v15, v16, v18
	s_delay_alu instid0(VALU_DEP_2) | instskip(NEXT) | instid1(VALU_DEP_2)
	v_add_f32_e32 v13, v16, v13
	v_sub_f32_e32 v16, v16, v15
	s_delay_alu instid0(VALU_DEP_2) | instskip(NEXT) | instid1(VALU_DEP_1)
	v_dual_sub_f32 v12, v12, v15 :: v_dual_add_f32 v19, v17, v13
	v_dual_sub_f32 v16, v18, v16 :: v_dual_sub_f32 v15, v19, v17
	s_delay_alu instid0(VALU_DEP_1) | instskip(NEXT) | instid1(VALU_DEP_1)
	v_dual_add_f32 v12, v12, v16 :: v_dual_sub_f32 v13, v13, v15
	v_add_f32_e32 v12, v12, v13
	s_delay_alu instid0(VALU_DEP_1) | instskip(NEXT) | instid1(VALU_DEP_1)
	v_add_f32_e32 v12, v19, v12
	v_cndmask_b32_e32 v53, v12, v14, vcc_lo
.LBB73_24:                              ;   in Loop: Header=BB73_12 Depth=1
	s_or_b32 exec_lo, exec_lo, s7
	v_cvt_f32_f16_e32 v12, v47
	s_delay_alu instid0(VALU_DEP_1) | instskip(NEXT) | instid1(VALU_DEP_1)
	v_add_f32_e32 v62, s52, v12
	v_cmp_ge_f32_e32 vcc_lo, 0x41a00000, v62
	s_and_b32 s6, s57, vcc_lo
	s_delay_alu instid0(SALU_CYCLE_1)
	s_and_saveexec_b32 s7, s6
	s_cbranch_execz .LBB73_26
; %bb.25:                               ;   in Loop: Header=BB73_12 Depth=1
	v_mul_f32_e32 v12, 0x3fb8aa3b, v62
	v_cmp_ngt_f32_e32 vcc_lo, 0xc2ce8ed0, v62
	s_delay_alu instid0(VALU_DEP_2) | instskip(SKIP_1) | instid1(VALU_DEP_2)
	v_rndne_f32_e32 v13, v12
	v_fma_f32 v14, 0x3fb8aa3b, v62, -v12
	v_sub_f32_e32 v12, v12, v13
	s_delay_alu instid0(VALU_DEP_2) | instskip(SKIP_1) | instid1(VALU_DEP_2)
	v_fmac_f32_e32 v14, 0x32a5705f, v62
	v_cvt_i32_f32_e32 v13, v13
	v_add_f32_e32 v12, v12, v14
	s_delay_alu instid0(VALU_DEP_1) | instskip(SKIP_2) | instid1(VALU_DEP_1)
	v_exp_f32_e32 v12, v12
	s_waitcnt_depctr 0xfff
	v_ldexp_f32 v12, v12, v13
	v_cndmask_b32_e32 v12, 0, v12, vcc_lo
	v_cmp_nlt_f32_e32 vcc_lo, 0x42b17218, v62
	s_delay_alu instid0(VALU_DEP_2) | instskip(NEXT) | instid1(VALU_DEP_1)
	v_cndmask_b32_e32 v14, 0x7f800000, v12, vcc_lo
	v_add_f32_e32 v15, 1.0, v14
	s_delay_alu instid0(VALU_DEP_1) | instskip(NEXT) | instid1(VALU_DEP_1)
	v_cvt_f64_f32_e32 v[12:13], v15
	v_frexp_exp_i32_f64_e32 v12, v[12:13]
	v_frexp_mant_f32_e32 v13, v15
	s_delay_alu instid0(VALU_DEP_1) | instskip(SKIP_1) | instid1(VALU_DEP_1)
	v_cmp_gt_f32_e32 vcc_lo, 0x3f2aaaab, v13
	v_add_f32_e32 v13, -1.0, v15
	v_sub_f32_e32 v17, v13, v15
	v_sub_f32_e32 v13, v14, v13
	s_delay_alu instid0(VALU_DEP_2) | instskip(NEXT) | instid1(VALU_DEP_1)
	v_add_f32_e32 v17, 1.0, v17
	v_add_f32_e32 v13, v13, v17
	v_cmp_gt_f32_e64 s6, 0x33800000, v14
	v_subrev_co_ci_u32_e32 v12, vcc_lo, 0, v12, vcc_lo
	v_cmp_eq_f32_e32 vcc_lo, 0x7f800000, v14
	s_delay_alu instid0(VALU_DEP_2) | instskip(SKIP_2) | instid1(VALU_DEP_2)
	v_sub_nc_u32_e32 v16, 0, v12
	v_cvt_f32_i32_e32 v12, v12
	s_or_b32 vcc_lo, s6, vcc_lo
	v_ldexp_f32 v15, v15, v16
	v_ldexp_f32 v13, v13, v16
	s_delay_alu instid0(VALU_DEP_2) | instskip(NEXT) | instid1(VALU_DEP_1)
	v_add_f32_e32 v18, 1.0, v15
	v_dual_add_f32 v16, -1.0, v15 :: v_dual_add_f32 v17, -1.0, v18
	s_delay_alu instid0(VALU_DEP_1) | instskip(NEXT) | instid1(VALU_DEP_2)
	v_add_f32_e32 v19, 1.0, v16
	v_sub_f32_e32 v17, v15, v17
	s_delay_alu instid0(VALU_DEP_2) | instskip(NEXT) | instid1(VALU_DEP_2)
	v_sub_f32_e32 v15, v15, v19
	v_add_f32_e32 v17, v13, v17
	s_delay_alu instid0(VALU_DEP_2) | instskip(NEXT) | instid1(VALU_DEP_1)
	v_add_f32_e32 v13, v13, v15
	v_add_f32_e32 v20, v16, v13
	s_delay_alu instid0(VALU_DEP_1) | instskip(NEXT) | instid1(VALU_DEP_1)
	v_dual_add_f32 v19, v18, v17 :: v_dual_sub_f32 v16, v16, v20
	v_rcp_f32_e32 v15, v19
	v_sub_f32_e32 v18, v18, v19
	s_delay_alu instid0(VALU_DEP_1) | instskip(SKIP_2) | instid1(VALU_DEP_1)
	v_add_f32_e32 v17, v17, v18
	s_waitcnt_depctr 0xfff
	v_mul_f32_e32 v21, v20, v15
	v_mul_f32_e32 v54, v19, v21
	s_delay_alu instid0(VALU_DEP_1) | instskip(NEXT) | instid1(VALU_DEP_1)
	v_fma_f32 v18, v21, v19, -v54
	v_fmac_f32_e32 v18, v21, v17
	s_delay_alu instid0(VALU_DEP_1) | instskip(NEXT) | instid1(VALU_DEP_1)
	v_add_f32_e32 v55, v54, v18
	v_sub_f32_e32 v56, v20, v55
	s_delay_alu instid0(VALU_DEP_1) | instskip(SKIP_1) | instid1(VALU_DEP_2)
	v_sub_f32_e32 v20, v20, v56
	v_dual_add_f32 v13, v13, v16 :: v_dual_sub_f32 v16, v55, v54
	v_sub_f32_e32 v20, v20, v55
	s_delay_alu instid0(VALU_DEP_1) | instskip(NEXT) | instid1(VALU_DEP_1)
	v_dual_sub_f32 v16, v16, v18 :: v_dual_add_f32 v13, v13, v20
	v_add_f32_e32 v13, v16, v13
	s_delay_alu instid0(VALU_DEP_1) | instskip(NEXT) | instid1(VALU_DEP_1)
	v_add_f32_e32 v16, v56, v13
	v_mul_f32_e32 v18, v15, v16
	s_delay_alu instid0(VALU_DEP_1) | instskip(NEXT) | instid1(VALU_DEP_1)
	v_dual_sub_f32 v55, v56, v16 :: v_dual_mul_f32 v20, v19, v18
	v_add_f32_e32 v13, v13, v55
	s_delay_alu instid0(VALU_DEP_2) | instskip(NEXT) | instid1(VALU_DEP_1)
	v_fma_f32 v19, v18, v19, -v20
	v_fmac_f32_e32 v19, v18, v17
	s_delay_alu instid0(VALU_DEP_1) | instskip(NEXT) | instid1(VALU_DEP_1)
	v_add_f32_e32 v17, v20, v19
	v_sub_f32_e32 v54, v16, v17
	s_delay_alu instid0(VALU_DEP_1) | instskip(NEXT) | instid1(VALU_DEP_1)
	v_sub_f32_e32 v16, v16, v54
	v_sub_f32_e32 v16, v16, v17
	s_delay_alu instid0(VALU_DEP_1) | instskip(SKIP_2) | instid1(VALU_DEP_1)
	v_add_f32_e32 v13, v13, v16
	v_add_f32_e32 v16, v21, v18
	v_sub_f32_e32 v20, v17, v20
	v_sub_f32_e32 v17, v20, v19
	s_delay_alu instid0(VALU_DEP_1) | instskip(NEXT) | instid1(VALU_DEP_4)
	v_add_f32_e32 v13, v17, v13
	v_sub_f32_e32 v17, v16, v21
	s_delay_alu instid0(VALU_DEP_2) | instskip(NEXT) | instid1(VALU_DEP_2)
	v_add_f32_e32 v13, v54, v13
	v_sub_f32_e32 v17, v18, v17
	s_delay_alu instid0(VALU_DEP_2) | instskip(NEXT) | instid1(VALU_DEP_1)
	v_mul_f32_e32 v13, v15, v13
	v_add_f32_e32 v13, v17, v13
	s_delay_alu instid0(VALU_DEP_1) | instskip(NEXT) | instid1(VALU_DEP_1)
	v_add_f32_e32 v15, v16, v13
	v_mul_f32_e32 v17, v15, v15
	s_delay_alu instid0(VALU_DEP_1) | instskip(SKIP_1) | instid1(VALU_DEP_2)
	v_fmaak_f32 v18, s42, v17, 0x3ecc95a3
	v_mul_f32_e32 v19, v15, v17
	v_fmaak_f32 v17, v17, v18, 0x3f2aaada
	v_ldexp_f32 v18, v15, 1
	s_delay_alu instid0(VALU_DEP_2) | instskip(SKIP_1) | instid1(VALU_DEP_2)
	v_mul_f32_e32 v17, v19, v17
	v_sub_f32_e32 v15, v15, v16
	v_dual_mul_f32 v19, 0x3f317218, v12 :: v_dual_add_f32 v16, v18, v17
	s_delay_alu instid0(VALU_DEP_2) | instskip(NEXT) | instid1(VALU_DEP_2)
	v_sub_f32_e32 v13, v13, v15
	v_sub_f32_e32 v15, v16, v18
	s_delay_alu instid0(VALU_DEP_3) | instskip(NEXT) | instid1(VALU_DEP_3)
	v_fma_f32 v18, 0x3f317218, v12, -v19
	v_ldexp_f32 v13, v13, 1
	s_delay_alu instid0(VALU_DEP_2) | instskip(NEXT) | instid1(VALU_DEP_1)
	v_dual_sub_f32 v15, v17, v15 :: v_dual_fmac_f32 v18, 0xb102e308, v12
	v_dual_add_f32 v12, v13, v15 :: v_dual_add_f32 v13, v19, v18
	s_delay_alu instid0(VALU_DEP_1) | instskip(NEXT) | instid1(VALU_DEP_1)
	v_add_f32_e32 v15, v16, v12
	v_dual_add_f32 v17, v13, v15 :: v_dual_sub_f32 v16, v15, v16
	s_delay_alu instid0(VALU_DEP_1) | instskip(NEXT) | instid1(VALU_DEP_2)
	v_sub_f32_e32 v20, v17, v13
	v_dual_sub_f32 v19, v13, v19 :: v_dual_sub_f32 v12, v12, v16
	s_delay_alu instid0(VALU_DEP_1) | instskip(SKIP_1) | instid1(VALU_DEP_2)
	v_dual_sub_f32 v21, v17, v20 :: v_dual_sub_f32 v18, v18, v19
	v_sub_f32_e32 v15, v15, v20
	v_dual_sub_f32 v13, v13, v21 :: v_dual_add_f32 v16, v18, v12
	s_delay_alu instid0(VALU_DEP_1) | instskip(NEXT) | instid1(VALU_DEP_2)
	v_add_f32_e32 v13, v15, v13
	v_sub_f32_e32 v15, v16, v18
	s_delay_alu instid0(VALU_DEP_2) | instskip(NEXT) | instid1(VALU_DEP_2)
	v_add_f32_e32 v13, v16, v13
	v_sub_f32_e32 v16, v16, v15
	s_delay_alu instid0(VALU_DEP_2) | instskip(NEXT) | instid1(VALU_DEP_1)
	v_dual_sub_f32 v12, v12, v15 :: v_dual_add_f32 v19, v17, v13
	v_dual_sub_f32 v16, v18, v16 :: v_dual_sub_f32 v15, v19, v17
	s_delay_alu instid0(VALU_DEP_1) | instskip(NEXT) | instid1(VALU_DEP_1)
	v_dual_add_f32 v12, v12, v16 :: v_dual_sub_f32 v13, v13, v15
	v_add_f32_e32 v12, v12, v13
	s_delay_alu instid0(VALU_DEP_1) | instskip(NEXT) | instid1(VALU_DEP_1)
	v_add_f32_e32 v12, v19, v12
	v_cndmask_b32_e32 v62, v12, v14, vcc_lo
.LBB73_26:                              ;   in Loop: Header=BB73_12 Depth=1
	s_or_b32 exec_lo, exec_lo, s7
	v_cvt_f32_f16_e32 v12, v7
	s_delay_alu instid0(VALU_DEP_1) | instskip(NEXT) | instid1(VALU_DEP_1)
	v_add_f32_e32 v63, s52, v12
	v_cmp_ge_f32_e32 vcc_lo, 0x41a00000, v63
	s_and_b32 s6, s57, vcc_lo
	s_delay_alu instid0(SALU_CYCLE_1)
	s_and_saveexec_b32 s7, s6
	s_cbranch_execz .LBB73_28
; %bb.27:                               ;   in Loop: Header=BB73_12 Depth=1
	v_mul_f32_e32 v12, 0x3fb8aa3b, v63
	v_cmp_ngt_f32_e32 vcc_lo, 0xc2ce8ed0, v63
	s_delay_alu instid0(VALU_DEP_2) | instskip(SKIP_1) | instid1(VALU_DEP_2)
	v_rndne_f32_e32 v13, v12
	v_fma_f32 v14, 0x3fb8aa3b, v63, -v12
	v_sub_f32_e32 v12, v12, v13
	s_delay_alu instid0(VALU_DEP_2) | instskip(SKIP_1) | instid1(VALU_DEP_2)
	v_fmac_f32_e32 v14, 0x32a5705f, v63
	v_cvt_i32_f32_e32 v13, v13
	v_add_f32_e32 v12, v12, v14
	s_delay_alu instid0(VALU_DEP_1) | instskip(SKIP_2) | instid1(VALU_DEP_1)
	v_exp_f32_e32 v12, v12
	s_waitcnt_depctr 0xfff
	v_ldexp_f32 v12, v12, v13
	v_cndmask_b32_e32 v12, 0, v12, vcc_lo
	v_cmp_nlt_f32_e32 vcc_lo, 0x42b17218, v63
	s_delay_alu instid0(VALU_DEP_2) | instskip(NEXT) | instid1(VALU_DEP_1)
	v_cndmask_b32_e32 v14, 0x7f800000, v12, vcc_lo
	v_add_f32_e32 v15, 1.0, v14
	s_delay_alu instid0(VALU_DEP_1) | instskip(NEXT) | instid1(VALU_DEP_1)
	v_cvt_f64_f32_e32 v[12:13], v15
	v_frexp_exp_i32_f64_e32 v12, v[12:13]
	v_frexp_mant_f32_e32 v13, v15
	s_delay_alu instid0(VALU_DEP_1) | instskip(SKIP_1) | instid1(VALU_DEP_1)
	v_cmp_gt_f32_e32 vcc_lo, 0x3f2aaaab, v13
	v_add_f32_e32 v13, -1.0, v15
	v_sub_f32_e32 v17, v13, v15
	v_sub_f32_e32 v13, v14, v13
	s_delay_alu instid0(VALU_DEP_2) | instskip(NEXT) | instid1(VALU_DEP_1)
	v_add_f32_e32 v17, 1.0, v17
	v_add_f32_e32 v13, v13, v17
	v_cmp_gt_f32_e64 s6, 0x33800000, v14
	v_subrev_co_ci_u32_e32 v12, vcc_lo, 0, v12, vcc_lo
	v_cmp_eq_f32_e32 vcc_lo, 0x7f800000, v14
	s_delay_alu instid0(VALU_DEP_2) | instskip(SKIP_2) | instid1(VALU_DEP_2)
	v_sub_nc_u32_e32 v16, 0, v12
	v_cvt_f32_i32_e32 v12, v12
	s_or_b32 vcc_lo, s6, vcc_lo
	v_ldexp_f32 v15, v15, v16
	v_ldexp_f32 v13, v13, v16
	s_delay_alu instid0(VALU_DEP_2) | instskip(NEXT) | instid1(VALU_DEP_1)
	v_add_f32_e32 v18, 1.0, v15
	v_dual_add_f32 v16, -1.0, v15 :: v_dual_add_f32 v17, -1.0, v18
	s_delay_alu instid0(VALU_DEP_1) | instskip(NEXT) | instid1(VALU_DEP_2)
	v_add_f32_e32 v19, 1.0, v16
	v_sub_f32_e32 v17, v15, v17
	s_delay_alu instid0(VALU_DEP_2) | instskip(NEXT) | instid1(VALU_DEP_2)
	v_sub_f32_e32 v15, v15, v19
	v_add_f32_e32 v17, v13, v17
	s_delay_alu instid0(VALU_DEP_2) | instskip(NEXT) | instid1(VALU_DEP_1)
	v_add_f32_e32 v13, v13, v15
	v_add_f32_e32 v20, v16, v13
	s_delay_alu instid0(VALU_DEP_1) | instskip(NEXT) | instid1(VALU_DEP_1)
	v_dual_add_f32 v19, v18, v17 :: v_dual_sub_f32 v16, v16, v20
	v_rcp_f32_e32 v15, v19
	v_sub_f32_e32 v18, v18, v19
	s_delay_alu instid0(VALU_DEP_1) | instskip(SKIP_2) | instid1(VALU_DEP_1)
	v_add_f32_e32 v17, v17, v18
	s_waitcnt_depctr 0xfff
	v_mul_f32_e32 v21, v20, v15
	v_mul_f32_e32 v54, v19, v21
	s_delay_alu instid0(VALU_DEP_1) | instskip(NEXT) | instid1(VALU_DEP_1)
	v_fma_f32 v18, v21, v19, -v54
	v_fmac_f32_e32 v18, v21, v17
	s_delay_alu instid0(VALU_DEP_1) | instskip(NEXT) | instid1(VALU_DEP_1)
	v_add_f32_e32 v55, v54, v18
	v_sub_f32_e32 v56, v20, v55
	s_delay_alu instid0(VALU_DEP_1) | instskip(SKIP_1) | instid1(VALU_DEP_2)
	v_sub_f32_e32 v20, v20, v56
	v_dual_add_f32 v13, v13, v16 :: v_dual_sub_f32 v16, v55, v54
	v_sub_f32_e32 v20, v20, v55
	s_delay_alu instid0(VALU_DEP_1) | instskip(NEXT) | instid1(VALU_DEP_1)
	v_dual_sub_f32 v16, v16, v18 :: v_dual_add_f32 v13, v13, v20
	v_add_f32_e32 v13, v16, v13
	s_delay_alu instid0(VALU_DEP_1) | instskip(NEXT) | instid1(VALU_DEP_1)
	v_add_f32_e32 v16, v56, v13
	v_mul_f32_e32 v18, v15, v16
	s_delay_alu instid0(VALU_DEP_1) | instskip(NEXT) | instid1(VALU_DEP_1)
	v_dual_sub_f32 v55, v56, v16 :: v_dual_mul_f32 v20, v19, v18
	v_add_f32_e32 v13, v13, v55
	s_delay_alu instid0(VALU_DEP_2) | instskip(NEXT) | instid1(VALU_DEP_1)
	v_fma_f32 v19, v18, v19, -v20
	v_fmac_f32_e32 v19, v18, v17
	s_delay_alu instid0(VALU_DEP_1) | instskip(NEXT) | instid1(VALU_DEP_1)
	v_add_f32_e32 v17, v20, v19
	v_sub_f32_e32 v54, v16, v17
	s_delay_alu instid0(VALU_DEP_1) | instskip(NEXT) | instid1(VALU_DEP_1)
	v_sub_f32_e32 v16, v16, v54
	v_sub_f32_e32 v16, v16, v17
	s_delay_alu instid0(VALU_DEP_1) | instskip(SKIP_2) | instid1(VALU_DEP_1)
	v_add_f32_e32 v13, v13, v16
	v_add_f32_e32 v16, v21, v18
	v_sub_f32_e32 v20, v17, v20
	v_sub_f32_e32 v17, v20, v19
	s_delay_alu instid0(VALU_DEP_1) | instskip(NEXT) | instid1(VALU_DEP_4)
	v_add_f32_e32 v13, v17, v13
	v_sub_f32_e32 v17, v16, v21
	s_delay_alu instid0(VALU_DEP_2) | instskip(NEXT) | instid1(VALU_DEP_2)
	v_add_f32_e32 v13, v54, v13
	v_sub_f32_e32 v17, v18, v17
	s_delay_alu instid0(VALU_DEP_2) | instskip(NEXT) | instid1(VALU_DEP_1)
	v_mul_f32_e32 v13, v15, v13
	v_add_f32_e32 v13, v17, v13
	s_delay_alu instid0(VALU_DEP_1) | instskip(NEXT) | instid1(VALU_DEP_1)
	v_add_f32_e32 v15, v16, v13
	v_mul_f32_e32 v17, v15, v15
	s_delay_alu instid0(VALU_DEP_1) | instskip(SKIP_1) | instid1(VALU_DEP_2)
	v_fmaak_f32 v18, s42, v17, 0x3ecc95a3
	v_mul_f32_e32 v19, v15, v17
	v_fmaak_f32 v17, v17, v18, 0x3f2aaada
	v_ldexp_f32 v18, v15, 1
	s_delay_alu instid0(VALU_DEP_2) | instskip(SKIP_1) | instid1(VALU_DEP_2)
	v_mul_f32_e32 v17, v19, v17
	v_sub_f32_e32 v15, v15, v16
	v_dual_mul_f32 v19, 0x3f317218, v12 :: v_dual_add_f32 v16, v18, v17
	s_delay_alu instid0(VALU_DEP_2) | instskip(NEXT) | instid1(VALU_DEP_2)
	v_sub_f32_e32 v13, v13, v15
	v_sub_f32_e32 v15, v16, v18
	s_delay_alu instid0(VALU_DEP_3) | instskip(NEXT) | instid1(VALU_DEP_3)
	v_fma_f32 v18, 0x3f317218, v12, -v19
	v_ldexp_f32 v13, v13, 1
	s_delay_alu instid0(VALU_DEP_2) | instskip(NEXT) | instid1(VALU_DEP_1)
	v_dual_sub_f32 v15, v17, v15 :: v_dual_fmac_f32 v18, 0xb102e308, v12
	v_dual_add_f32 v12, v13, v15 :: v_dual_add_f32 v13, v19, v18
	s_delay_alu instid0(VALU_DEP_1) | instskip(NEXT) | instid1(VALU_DEP_1)
	v_add_f32_e32 v15, v16, v12
	v_dual_add_f32 v17, v13, v15 :: v_dual_sub_f32 v16, v15, v16
	s_delay_alu instid0(VALU_DEP_1) | instskip(NEXT) | instid1(VALU_DEP_2)
	v_sub_f32_e32 v20, v17, v13
	v_dual_sub_f32 v19, v13, v19 :: v_dual_sub_f32 v12, v12, v16
	s_delay_alu instid0(VALU_DEP_1) | instskip(SKIP_1) | instid1(VALU_DEP_2)
	v_dual_sub_f32 v21, v17, v20 :: v_dual_sub_f32 v18, v18, v19
	v_sub_f32_e32 v15, v15, v20
	v_dual_sub_f32 v13, v13, v21 :: v_dual_add_f32 v16, v18, v12
	s_delay_alu instid0(VALU_DEP_1) | instskip(NEXT) | instid1(VALU_DEP_2)
	v_add_f32_e32 v13, v15, v13
	v_sub_f32_e32 v15, v16, v18
	s_delay_alu instid0(VALU_DEP_2) | instskip(NEXT) | instid1(VALU_DEP_2)
	v_add_f32_e32 v13, v16, v13
	v_sub_f32_e32 v16, v16, v15
	s_delay_alu instid0(VALU_DEP_2) | instskip(NEXT) | instid1(VALU_DEP_1)
	v_dual_sub_f32 v12, v12, v15 :: v_dual_add_f32 v19, v17, v13
	v_dual_sub_f32 v16, v18, v16 :: v_dual_sub_f32 v15, v19, v17
	s_delay_alu instid0(VALU_DEP_1) | instskip(NEXT) | instid1(VALU_DEP_1)
	v_dual_add_f32 v12, v12, v16 :: v_dual_sub_f32 v13, v13, v15
	v_add_f32_e32 v12, v12, v13
	s_delay_alu instid0(VALU_DEP_1) | instskip(NEXT) | instid1(VALU_DEP_1)
	v_add_f32_e32 v12, v19, v12
	v_cndmask_b32_e32 v63, v12, v14, vcc_lo
.LBB73_28:                              ;   in Loop: Header=BB73_12 Depth=1
	s_or_b32 exec_lo, exec_lo, s7
	v_cvt_f32_f16_e32 v12, v48
	s_delay_alu instid0(VALU_DEP_1) | instskip(NEXT) | instid1(VALU_DEP_1)
	v_add_f32_e32 v64, s52, v12
	v_cmp_ge_f32_e32 vcc_lo, 0x41a00000, v64
	s_and_b32 s6, s57, vcc_lo
	s_delay_alu instid0(SALU_CYCLE_1)
	s_and_saveexec_b32 s7, s6
	s_cbranch_execz .LBB73_30
; %bb.29:                               ;   in Loop: Header=BB73_12 Depth=1
	v_mul_f32_e32 v12, 0x3fb8aa3b, v64
	v_cmp_ngt_f32_e32 vcc_lo, 0xc2ce8ed0, v64
	s_delay_alu instid0(VALU_DEP_2) | instskip(SKIP_1) | instid1(VALU_DEP_2)
	v_rndne_f32_e32 v13, v12
	v_fma_f32 v14, 0x3fb8aa3b, v64, -v12
	v_sub_f32_e32 v12, v12, v13
	s_delay_alu instid0(VALU_DEP_2) | instskip(SKIP_1) | instid1(VALU_DEP_2)
	v_fmac_f32_e32 v14, 0x32a5705f, v64
	v_cvt_i32_f32_e32 v13, v13
	v_add_f32_e32 v12, v12, v14
	s_delay_alu instid0(VALU_DEP_1) | instskip(SKIP_2) | instid1(VALU_DEP_1)
	v_exp_f32_e32 v12, v12
	s_waitcnt_depctr 0xfff
	v_ldexp_f32 v12, v12, v13
	v_cndmask_b32_e32 v12, 0, v12, vcc_lo
	v_cmp_nlt_f32_e32 vcc_lo, 0x42b17218, v64
	s_delay_alu instid0(VALU_DEP_2) | instskip(NEXT) | instid1(VALU_DEP_1)
	v_cndmask_b32_e32 v14, 0x7f800000, v12, vcc_lo
	v_add_f32_e32 v15, 1.0, v14
	s_delay_alu instid0(VALU_DEP_1) | instskip(NEXT) | instid1(VALU_DEP_1)
	v_cvt_f64_f32_e32 v[12:13], v15
	v_frexp_exp_i32_f64_e32 v12, v[12:13]
	v_frexp_mant_f32_e32 v13, v15
	s_delay_alu instid0(VALU_DEP_1) | instskip(SKIP_1) | instid1(VALU_DEP_1)
	v_cmp_gt_f32_e32 vcc_lo, 0x3f2aaaab, v13
	v_add_f32_e32 v13, -1.0, v15
	v_sub_f32_e32 v17, v13, v15
	v_sub_f32_e32 v13, v14, v13
	s_delay_alu instid0(VALU_DEP_2) | instskip(NEXT) | instid1(VALU_DEP_1)
	v_add_f32_e32 v17, 1.0, v17
	v_add_f32_e32 v13, v13, v17
	v_cmp_gt_f32_e64 s6, 0x33800000, v14
	v_subrev_co_ci_u32_e32 v12, vcc_lo, 0, v12, vcc_lo
	v_cmp_eq_f32_e32 vcc_lo, 0x7f800000, v14
	s_delay_alu instid0(VALU_DEP_2) | instskip(SKIP_2) | instid1(VALU_DEP_2)
	v_sub_nc_u32_e32 v16, 0, v12
	v_cvt_f32_i32_e32 v12, v12
	s_or_b32 vcc_lo, s6, vcc_lo
	v_ldexp_f32 v15, v15, v16
	v_ldexp_f32 v13, v13, v16
	s_delay_alu instid0(VALU_DEP_2) | instskip(NEXT) | instid1(VALU_DEP_1)
	v_add_f32_e32 v18, 1.0, v15
	v_dual_add_f32 v16, -1.0, v15 :: v_dual_add_f32 v17, -1.0, v18
	s_delay_alu instid0(VALU_DEP_1) | instskip(NEXT) | instid1(VALU_DEP_2)
	v_add_f32_e32 v19, 1.0, v16
	v_sub_f32_e32 v17, v15, v17
	s_delay_alu instid0(VALU_DEP_2) | instskip(NEXT) | instid1(VALU_DEP_2)
	v_sub_f32_e32 v15, v15, v19
	v_add_f32_e32 v17, v13, v17
	s_delay_alu instid0(VALU_DEP_2) | instskip(NEXT) | instid1(VALU_DEP_1)
	v_add_f32_e32 v13, v13, v15
	v_add_f32_e32 v20, v16, v13
	s_delay_alu instid0(VALU_DEP_1) | instskip(NEXT) | instid1(VALU_DEP_1)
	v_dual_add_f32 v19, v18, v17 :: v_dual_sub_f32 v16, v16, v20
	v_rcp_f32_e32 v15, v19
	v_sub_f32_e32 v18, v18, v19
	s_delay_alu instid0(VALU_DEP_1) | instskip(SKIP_2) | instid1(VALU_DEP_1)
	v_add_f32_e32 v17, v17, v18
	s_waitcnt_depctr 0xfff
	v_mul_f32_e32 v21, v20, v15
	v_mul_f32_e32 v54, v19, v21
	s_delay_alu instid0(VALU_DEP_1) | instskip(NEXT) | instid1(VALU_DEP_1)
	v_fma_f32 v18, v21, v19, -v54
	v_fmac_f32_e32 v18, v21, v17
	s_delay_alu instid0(VALU_DEP_1) | instskip(NEXT) | instid1(VALU_DEP_1)
	v_add_f32_e32 v55, v54, v18
	v_sub_f32_e32 v56, v20, v55
	s_delay_alu instid0(VALU_DEP_1) | instskip(SKIP_1) | instid1(VALU_DEP_2)
	v_sub_f32_e32 v20, v20, v56
	v_dual_add_f32 v13, v13, v16 :: v_dual_sub_f32 v16, v55, v54
	v_sub_f32_e32 v20, v20, v55
	s_delay_alu instid0(VALU_DEP_1) | instskip(NEXT) | instid1(VALU_DEP_1)
	v_dual_sub_f32 v16, v16, v18 :: v_dual_add_f32 v13, v13, v20
	v_add_f32_e32 v13, v16, v13
	s_delay_alu instid0(VALU_DEP_1) | instskip(NEXT) | instid1(VALU_DEP_1)
	v_add_f32_e32 v16, v56, v13
	v_mul_f32_e32 v18, v15, v16
	s_delay_alu instid0(VALU_DEP_1) | instskip(NEXT) | instid1(VALU_DEP_1)
	v_dual_sub_f32 v55, v56, v16 :: v_dual_mul_f32 v20, v19, v18
	v_add_f32_e32 v13, v13, v55
	s_delay_alu instid0(VALU_DEP_2) | instskip(NEXT) | instid1(VALU_DEP_1)
	v_fma_f32 v19, v18, v19, -v20
	v_fmac_f32_e32 v19, v18, v17
	s_delay_alu instid0(VALU_DEP_1) | instskip(NEXT) | instid1(VALU_DEP_1)
	v_add_f32_e32 v17, v20, v19
	v_sub_f32_e32 v54, v16, v17
	s_delay_alu instid0(VALU_DEP_1) | instskip(NEXT) | instid1(VALU_DEP_1)
	v_sub_f32_e32 v16, v16, v54
	v_sub_f32_e32 v16, v16, v17
	s_delay_alu instid0(VALU_DEP_1) | instskip(SKIP_2) | instid1(VALU_DEP_1)
	v_add_f32_e32 v13, v13, v16
	v_add_f32_e32 v16, v21, v18
	v_sub_f32_e32 v20, v17, v20
	v_sub_f32_e32 v17, v20, v19
	s_delay_alu instid0(VALU_DEP_1) | instskip(NEXT) | instid1(VALU_DEP_4)
	v_add_f32_e32 v13, v17, v13
	v_sub_f32_e32 v17, v16, v21
	s_delay_alu instid0(VALU_DEP_2) | instskip(NEXT) | instid1(VALU_DEP_2)
	v_add_f32_e32 v13, v54, v13
	v_sub_f32_e32 v17, v18, v17
	s_delay_alu instid0(VALU_DEP_2) | instskip(NEXT) | instid1(VALU_DEP_1)
	v_mul_f32_e32 v13, v15, v13
	v_add_f32_e32 v13, v17, v13
	s_delay_alu instid0(VALU_DEP_1) | instskip(NEXT) | instid1(VALU_DEP_1)
	v_add_f32_e32 v15, v16, v13
	v_mul_f32_e32 v17, v15, v15
	s_delay_alu instid0(VALU_DEP_1) | instskip(SKIP_1) | instid1(VALU_DEP_2)
	v_fmaak_f32 v18, s42, v17, 0x3ecc95a3
	v_mul_f32_e32 v19, v15, v17
	v_fmaak_f32 v17, v17, v18, 0x3f2aaada
	v_ldexp_f32 v18, v15, 1
	s_delay_alu instid0(VALU_DEP_2) | instskip(SKIP_1) | instid1(VALU_DEP_2)
	v_mul_f32_e32 v17, v19, v17
	v_sub_f32_e32 v15, v15, v16
	v_dual_mul_f32 v19, 0x3f317218, v12 :: v_dual_add_f32 v16, v18, v17
	s_delay_alu instid0(VALU_DEP_2) | instskip(NEXT) | instid1(VALU_DEP_2)
	v_sub_f32_e32 v13, v13, v15
	v_sub_f32_e32 v15, v16, v18
	s_delay_alu instid0(VALU_DEP_3) | instskip(NEXT) | instid1(VALU_DEP_3)
	v_fma_f32 v18, 0x3f317218, v12, -v19
	v_ldexp_f32 v13, v13, 1
	s_delay_alu instid0(VALU_DEP_2) | instskip(NEXT) | instid1(VALU_DEP_1)
	v_dual_sub_f32 v15, v17, v15 :: v_dual_fmac_f32 v18, 0xb102e308, v12
	v_dual_add_f32 v12, v13, v15 :: v_dual_add_f32 v13, v19, v18
	s_delay_alu instid0(VALU_DEP_1) | instskip(NEXT) | instid1(VALU_DEP_1)
	v_add_f32_e32 v15, v16, v12
	v_dual_add_f32 v17, v13, v15 :: v_dual_sub_f32 v16, v15, v16
	s_delay_alu instid0(VALU_DEP_1) | instskip(NEXT) | instid1(VALU_DEP_2)
	v_sub_f32_e32 v20, v17, v13
	v_dual_sub_f32 v19, v13, v19 :: v_dual_sub_f32 v12, v12, v16
	s_delay_alu instid0(VALU_DEP_1) | instskip(SKIP_1) | instid1(VALU_DEP_2)
	v_dual_sub_f32 v21, v17, v20 :: v_dual_sub_f32 v18, v18, v19
	v_sub_f32_e32 v15, v15, v20
	v_dual_sub_f32 v13, v13, v21 :: v_dual_add_f32 v16, v18, v12
	s_delay_alu instid0(VALU_DEP_1) | instskip(NEXT) | instid1(VALU_DEP_2)
	v_add_f32_e32 v13, v15, v13
	v_sub_f32_e32 v15, v16, v18
	s_delay_alu instid0(VALU_DEP_2) | instskip(NEXT) | instid1(VALU_DEP_2)
	v_add_f32_e32 v13, v16, v13
	v_sub_f32_e32 v16, v16, v15
	s_delay_alu instid0(VALU_DEP_2) | instskip(NEXT) | instid1(VALU_DEP_1)
	v_dual_sub_f32 v12, v12, v15 :: v_dual_add_f32 v19, v17, v13
	v_dual_sub_f32 v16, v18, v16 :: v_dual_sub_f32 v15, v19, v17
	s_delay_alu instid0(VALU_DEP_1) | instskip(NEXT) | instid1(VALU_DEP_1)
	v_dual_add_f32 v12, v12, v16 :: v_dual_sub_f32 v13, v13, v15
	v_add_f32_e32 v12, v12, v13
	s_delay_alu instid0(VALU_DEP_1) | instskip(NEXT) | instid1(VALU_DEP_1)
	v_add_f32_e32 v12, v19, v12
	v_cndmask_b32_e32 v64, v12, v14, vcc_lo
.LBB73_30:                              ;   in Loop: Header=BB73_12 Depth=1
	s_or_b32 exec_lo, exec_lo, s7
	v_cvt_f32_f16_e32 v12, v3
	v_cvt_f32_f16_e32 v13, v44
	;; [unrolled: 1-line block ×8, first 2 shown]
	v_dual_mul_f32 v55, s53, v12 :: v_dual_mul_f32 v54, s53, v13
	v_dual_mul_f32 v58, s53, v14 :: v_dual_mul_f32 v57, s53, v16
	s_delay_alu instid0(VALU_DEP_3)
	v_dual_mul_f32 v60, s53, v17 :: v_dual_mul_f32 v61, s53, v19
	v_dual_mul_f32 v56, s53, v18 :: v_dual_mul_f32 v59, s53, v15
	s_lshl_b32 s28, s63, 9
	s_and_b32 vcc_lo, exec_lo, s58
	s_barrier
	buffer_gl0_inv
	s_cbranch_vccz .LBB73_62
; %bb.31:                               ;   in Loop: Header=BB73_12 Depth=1
	v_dual_mul_f32 v67, v62, v13 :: v_dual_mul_f32 v68, v53, v14
	v_add_nc_u32_e32 v13, -1, v40
	s_sub_i32 s16, s34, s28
	s_cmp_lg_u32 s63, 0
	v_dual_mul_f32 v65, v64, v15 :: v_dual_mul_f32 v66, v63, v12
	s_delay_alu instid0(VALU_DEP_2)
	v_cmp_gt_i32_e32 vcc_lo, 0, v13
	v_and_b32_e32 v12, 15, v40
	v_and_b32_e32 v14, 16, v40
	;; [unrolled: 1-line block ×3, first 2 shown]
	v_add_co_u32 v73, s6, s47, v39
	v_cndmask_b32_e32 v13, v13, v40, vcc_lo
	v_cmp_gt_u32_e32 vcc_lo, s16, v23
	s_cselect_b32 s29, -1, 0
	s_cmp_eq_u32 s63, s60
	v_add_co_ci_u32_e64 v74, null, s49, 0, s6
	v_add_co_u32 v75, s6, s37, v39
	v_cmp_gt_u32_e64 s14, s16, v32
	v_cmp_gt_u32_e64 s15, s16, v33
	s_cselect_b32 s64, -1, 0
	s_or_b32 s13, s59, vcc_lo
	v_cmp_gt_u32_e32 vcc_lo, s16, v34
	v_cmp_gt_u32_e64 s17, s16, v35
	v_cmp_gt_u32_e64 s18, s16, v36
	;; [unrolled: 1-line block ×4, first 2 shown]
	v_dual_mul_f32 v69, v52, v16 :: v_dual_mul_f32 v70, v51, v17
	v_dual_mul_f32 v71, v50, v18 :: v_dual_mul_f32 v72, v49, v19
	v_add_co_ci_u32_e64 v76, null, s50, 0, s6
	v_cmp_ne_u32_e64 s6, 0, v12
	v_cmp_lt_u32_e64 s7, 1, v12
	v_cmp_lt_u32_e64 s8, 3, v12
	;; [unrolled: 1-line block ×3, first 2 shown]
	v_cmp_ne_u32_e64 s10, 0, v14
	v_cmp_eq_u32_e64 s11, 0, v15
	v_lshlrev_b32_e32 v77, 2, v13
	v_cmp_eq_u32_e64 s12, 0, v40
	s_mov_b32 s22, 0
	s_or_b32 s14, s59, s14
	s_or_b32 s15, s59, s15
	s_or_b32 s16, s59, vcc_lo
	s_or_b32 s17, s59, s17
	s_or_b32 s18, s59, s18
	;; [unrolled: 1-line block ×4, first 2 shown]
	s_mov_b32 s30, s22
	s_mov_b32 s38, s22
	;; [unrolled: 1-line block ×5, first 2 shown]
	s_branch .LBB73_33
.LBB73_32:                              ;   in Loop: Header=BB73_33 Depth=2
	s_or_b32 exec_lo, exec_lo, s21
	v_cndmask_b32_e64 v17, v95, v19, s12
	v_cndmask_b32_e64 v18, v94, v18, s12
	s_add_i32 s65, s65, -1
	s_add_i32 s66, s66, 8
	s_add_i32 s40, s40, s51
	v_fma_f32 v17, v17, v81, v79
	v_mul_f32_e32 v18, v18, v81
	s_add_i32 s38, s38, s36
	s_add_i32 s30, s30, s48
	;; [unrolled: 1-line block ×3, first 2 shown]
	v_cndmask_b32_e64 v17, v17, v79, s5
	v_cndmask_b32_e64 v18, v18, v81, s5
	s_cmp_eq_u32 s65, 0
	s_waitcnt lgkmcnt(0)
	s_delay_alu instid0(VALU_DEP_1) | instskip(NEXT) | instid1(VALU_DEP_1)
	v_fmac_f32_e32 v17, v16, v18
	v_fmac_f32_e32 v78, v17, v83
	s_delay_alu instid0(VALU_DEP_1) | instskip(SKIP_2) | instid1(VALU_DEP_3)
	v_fmac_f32_e32 v80, v78, v85
	v_fma_mix_f32 v61, v17, v12, v61 op_sel_hi:[0,1,0]
	v_fma_mix_f32 v56, v78, v12, v56 op_sel:[0,1,0] op_sel_hi:[0,1,0]
	v_fmac_f32_e32 v82, v80, v87
	v_fma_mix_f32 v60, v80, v13, v60 op_sel_hi:[0,1,0]
	s_delay_alu instid0(VALU_DEP_2) | instskip(SKIP_1) | instid1(VALU_DEP_2)
	v_fmac_f32_e32 v84, v82, v88
	v_fma_mix_f32 v57, v82, v13, v57 op_sel:[0,1,0] op_sel_hi:[0,1,0]
	v_fmac_f32_e32 v86, v84, v93
	v_fma_mix_f32 v58, v84, v14, v58 op_sel_hi:[0,1,0]
	s_delay_alu instid0(VALU_DEP_2) | instskip(SKIP_1) | instid1(VALU_DEP_2)
	v_fmac_f32_e32 v89, v86, v91
	v_fma_mix_f32 v54, v86, v14, v54 op_sel:[0,1,0] op_sel_hi:[0,1,0]
	v_fmac_f32_e32 v90, v89, v92
	v_fma_mix_f32 v55, v89, v15, v55 op_sel_hi:[0,1,0]
	s_delay_alu instid0(VALU_DEP_2)
	v_fma_mix_f32 v59, v90, v15, v59 op_sel:[0,1,0] op_sel_hi:[0,1,0]
	s_cbranch_scc1 .LBB73_62
.LBB73_33:                              ;   Parent Loop BB73_12 Depth=1
                                        ; =>  This Inner Loop Header: Depth=2
	s_lshl_b64 s[68:69], s[22:23], 2
	s_mov_b32 s31, s23
	s_add_u32 s68, s44, s68
	s_addc_u32 s69, s46, s69
	s_lshl_b64 s[70:71], s[30:31], 1
	s_mov_b32 s39, s23
	v_add_co_u32 v12, vcc_lo, v73, s70
	v_add_co_ci_u32_e32 v13, vcc_lo, s71, v74, vcc_lo
	s_lshl_b64 s[70:71], s[38:39], 1
	s_delay_alu instid0(SALU_CYCLE_1)
	v_add_co_u32 v14, vcc_lo, v75, s70
	v_add_co_ci_u32_e32 v15, vcc_lo, s71, v76, vcc_lo
	global_load_b32 v78, v22, s[68:69]
	global_load_b128 v[16:19], v[12:13], off
	global_load_b128 v[12:15], v[14:15], off
	s_and_not1_b32 vcc_lo, exec_lo, s29
	s_cbranch_vccnz .LBB73_35
; %bb.34:                               ;   in Loop: Header=BB73_33 Depth=2
	v_mov_b32_e32 v20, s66
	ds_load_b64 v[20:21], v20
	s_cbranch_execz .LBB73_36
	s_branch .LBB73_39
.LBB73_35:                              ;   in Loop: Header=BB73_33 Depth=2
                                        ; implicit-def: $vgpr20
.LBB73_36:                              ;   in Loop: Header=BB73_33 Depth=2
	s_waitcnt lgkmcnt(0)
	v_mov_b32_e32 v21, 0
	s_and_not1_b32 vcc_lo, exec_lo, s33
	s_cbranch_vccnz .LBB73_38
; %bb.37:                               ;   in Loop: Header=BB73_33 Depth=2
	s_mov_b32 s41, s23
	s_delay_alu instid0(SALU_CYCLE_1) | instskip(NEXT) | instid1(SALU_CYCLE_1)
	s_lshl_b64 s[68:69], s[40:41], 1
	s_add_u32 s68, s54, s68
	s_addc_u32 s69, s55, s69
	global_load_u16 v20, v22, s[68:69]
	s_waitcnt vmcnt(0)
	v_cvt_f32_f16_e32 v21, v20
.LBB73_38:                              ;   in Loop: Header=BB73_33 Depth=2
	v_mov_b32_e32 v20, 1.0
.LBB73_39:                              ;   in Loop: Header=BB73_33 Depth=2
	s_waitcnt vmcnt(2)
	v_mul_f32_e32 v89, 0x3fb8aa3b, v78
	s_waitcnt vmcnt(1)
	v_cvt_f32_f16_e32 v78, v16
	v_lshrrev_b32_e32 v16, 16, v16
	v_cvt_f32_f16_e32 v80, v17
	v_cvt_f32_f16_e32 v84, v18
	v_lshrrev_b32_e32 v18, 16, v18
	v_lshrrev_b32_e32 v17, 16, v17
	v_cvt_f32_f16_e32 v16, v16
	v_cvt_f32_f16_e32 v90, v19
	v_lshrrev_b32_e32 v19, 16, v19
	v_mul_f32_e32 v78, v72, v78
	v_mul_f32_e32 v80, v70, v80
	v_dual_mul_f32 v16, v71, v16 :: v_dual_mul_f32 v79, v89, v49
	v_mul_f32_e32 v81, v89, v50
	v_mul_f32_e32 v82, v89, v51
	;; [unrolled: 1-line block ×3, first 2 shown]
	v_cvt_f32_f16_e32 v18, v18
	v_cmp_gt_f32_e32 vcc_lo, 0xc2fc0000, v79
	v_cmp_gt_f32_e64 s21, 0xc2fc0000, v81
	v_cvt_f32_f16_e32 v17, v17
	v_mul_f32_e32 v90, v66, v90
	v_cndmask_b32_e64 v80, 0, v80, s15
	v_cndmask_b32_e64 v79, 0, 0x42800000, vcc_lo
	v_cndmask_b32_e64 v81, 0, 0x42800000, s21
	v_cndmask_b32_e64 v83, 1.0, 0x1f800000, vcc_lo
	v_cmp_gt_f32_e32 vcc_lo, 0xc2fc0000, v82
	s_delay_alu instid0(VALU_DEP_4) | instskip(NEXT) | instid1(VALU_DEP_4)
	v_dual_mul_f32 v84, v68, v84 :: v_dual_fmac_f32 v79, v89, v49
	v_fmac_f32_e32 v81, v89, v50
	v_cndmask_b32_e64 v86, 1.0, 0x1f800000, s21
	v_cndmask_b32_e64 v82, 0, 0x42800000, vcc_lo
	v_cmp_gt_f32_e64 s21, 0xc2fc0000, v85
	v_exp_f32_e32 v79, v79
	v_exp_f32_e32 v81, v81
	v_mul_f32_e32 v18, v67, v18
	v_fmac_f32_e32 v82, v89, v51
	v_cndmask_b32_e64 v85, 0, 0x42800000, s21
	v_mul_f32_e32 v17, v69, v17
	v_cndmask_b32_e64 v84, 0, v84, s17
	v_cvt_f32_f16_e32 v19, v19
	s_delay_alu instid0(VALU_DEP_4) | instskip(NEXT) | instid1(TRANS32_DEP_1)
	v_fmac_f32_e32 v85, v89, v52
	v_dual_mul_f32 v83, v79, v83 :: v_dual_mul_f32 v86, v81, v86
	v_cndmask_b32_e64 v79, 0, v78, s13
	v_cndmask_b32_e64 v78, 0, v16, s14
	v_exp_f32_e32 v16, v82
	v_mul_f32_e32 v82, v89, v53
	v_cndmask_b32_e64 v81, 1.0, v83, s13
	v_cndmask_b32_e64 v83, 1.0, v86, s14
	v_cndmask_b32_e64 v86, 1.0, 0x1f800000, vcc_lo
	v_exp_f32_e32 v87, v85
	v_cmp_gt_f32_e32 vcc_lo, 0xc2fc0000, v82
	v_mul_f32_e32 v85, v89, v62
	v_mul_f32_e32 v93, v89, v64
	s_delay_alu instid0(TRANS32_DEP_2) | instskip(SKIP_3) | instid1(VALU_DEP_4)
	v_dual_mul_f32 v19, v65, v19 :: v_dual_mul_f32 v16, v16, v86
	v_cndmask_b32_e64 v82, 0, 0x42800000, vcc_lo
	v_cndmask_b32_e64 v86, 1.0, 0x1f800000, s21
	v_cmp_gt_f32_e64 s21, 0xc2fc0000, v85
	v_cndmask_b32_e64 v85, 1.0, v16, s15
	s_delay_alu instid0(VALU_DEP_4) | instskip(NEXT) | instid1(VALU_DEP_4)
	v_fmac_f32_e32 v82, v89, v53
	v_mul_f32_e32 v16, v87, v86
	s_delay_alu instid0(VALU_DEP_4) | instskip(SKIP_1) | instid1(VALU_DEP_4)
	v_cndmask_b32_e64 v88, 0, 0x42800000, s21
	v_mul_f32_e32 v86, v89, v63
	v_exp_f32_e32 v91, v82
	v_cndmask_b32_e64 v82, 0, v17, s16
	s_delay_alu instid0(VALU_DEP_3)
	v_fmac_f32_e32 v88, v89, v62
	v_cndmask_b32_e64 v17, 1.0, 0x1f800000, vcc_lo
	v_cmp_gt_f32_e32 vcc_lo, 0xc2fc0000, v86
	v_cndmask_b32_e64 v87, 1.0, v16, s16
	v_cndmask_b32_e64 v86, 0, v18, s18
	v_mul_f32_e32 v18, v83, v81
	v_exp_f32_e32 v16, v88
	v_cndmask_b32_e64 v92, 0, 0x42800000, vcc_lo
	v_mul_f32_e32 v17, v91, v17
	v_cndmask_b32_e64 v91, 1.0, 0x1f800000, s21
	v_cmp_gt_f32_e64 s21, 0xc2fc0000, v93
	s_delay_alu instid0(VALU_DEP_4) | instskip(NEXT) | instid1(VALU_DEP_4)
	v_fmac_f32_e32 v92, v89, v63
	v_cndmask_b32_e64 v88, 1.0, v17, s17
	s_delay_alu instid0(VALU_DEP_3) | instskip(NEXT) | instid1(TRANS32_DEP_1)
	v_cndmask_b32_e64 v17, 0, 0x42800000, s21
	v_mul_f32_e32 v16, v16, v91
	v_fma_f32 v91, v83, v79, v78
	v_exp_f32_e32 v92, v92
	s_delay_alu instid0(VALU_DEP_3) | instskip(NEXT) | instid1(VALU_DEP_3)
	v_fmac_f32_e32 v17, v89, v64
	v_cndmask_b32_e64 v93, 1.0, v16, s18
	v_mul_f32_e32 v16, v18, v85
	v_fma_f32 v18, v91, v85, v80
	v_cndmask_b32_e64 v89, 1.0, 0x1f800000, vcc_lo
	v_exp_f32_e32 v17, v17
	s_delay_alu instid0(VALU_DEP_2)
	v_fma_f32 v18, v18, v87, v82
	s_delay_alu instid0(TRANS32_DEP_2) | instid1(VALU_DEP_2)
	v_mul_f32_e32 v91, v92, v89
	v_cndmask_b32_e64 v89, 0, v90, s19
	v_cndmask_b32_e64 v90, 1.0, 0x1f800000, s21
	v_mul_f32_e32 v16, v16, v87
	v_fma_f32 v18, v18, v88, v84
	v_cndmask_b32_e64 v91, 1.0, v91, s19
	s_delay_alu instid0(TRANS32_DEP_1) | instid1(VALU_DEP_3)
	v_dual_mul_f32 v17, v17, v90 :: v_dual_mul_f32 v16, v16, v88
	s_delay_alu instid0(VALU_DEP_3) | instskip(SKIP_1) | instid1(VALU_DEP_3)
	v_fma_f32 v18, v18, v93, v86
	v_cndmask_b32_e64 v90, 0, v19, s20
	v_cndmask_b32_e64 v92, 1.0, v17, s20
	s_delay_alu instid0(VALU_DEP_4) | instskip(NEXT) | instid1(VALU_DEP_4)
	v_mul_f32_e32 v16, v16, v93
	v_fma_f32 v17, v18, v91, v89
	s_delay_alu instid0(VALU_DEP_2) | instskip(NEXT) | instid1(VALU_DEP_2)
	v_mul_f32_e32 v16, v16, v91
	v_fma_f32 v17, v17, v92, v90
	s_delay_alu instid0(VALU_DEP_2) | instskip(NEXT) | instid1(VALU_DEP_2)
	v_mul_f32_e32 v16, v16, v92
	v_mov_b32_dpp v18, v17 row_shr:1 row_mask:0xf bank_mask:0xf
	s_delay_alu instid0(VALU_DEP_2)
	v_mov_b32_dpp v19, v16 row_shr:1 row_mask:0xf bank_mask:0xf
	s_and_saveexec_b32 s21, s6
; %bb.40:                               ;   in Loop: Header=BB73_33 Depth=2
	s_delay_alu instid0(VALU_DEP_1) | instskip(NEXT) | instid1(VALU_DEP_1)
	v_mul_f32_e32 v19, v16, v19
	v_dual_fmac_f32 v17, v16, v18 :: v_dual_mov_b32 v16, v19
; %bb.41:                               ;   in Loop: Header=BB73_33 Depth=2
	s_or_b32 exec_lo, exec_lo, s21
	s_delay_alu instid0(VALU_DEP_1) | instskip(NEXT) | instid1(VALU_DEP_2)
	v_mov_b32_dpp v18, v16 row_shr:2 row_mask:0xf bank_mask:0xf
	v_mov_b32_dpp v19, v17 row_shr:2 row_mask:0xf bank_mask:0xf
	s_and_saveexec_b32 s21, s7
; %bb.42:                               ;   in Loop: Header=BB73_33 Depth=2
	s_delay_alu instid0(VALU_DEP_1) | instskip(NEXT) | instid1(VALU_DEP_3)
	v_fmac_f32_e32 v17, v16, v19
	v_mul_f32_e32 v16, v16, v18
; %bb.43:                               ;   in Loop: Header=BB73_33 Depth=2
	s_or_b32 exec_lo, exec_lo, s21
	s_delay_alu instid0(VALU_DEP_1) | instskip(NEXT) | instid1(VALU_DEP_3)
	v_mov_b32_dpp v18, v16 row_shr:4 row_mask:0xf bank_mask:0xf
	v_mov_b32_dpp v19, v17 row_shr:4 row_mask:0xf bank_mask:0xf
	s_and_saveexec_b32 s21, s8
; %bb.44:                               ;   in Loop: Header=BB73_33 Depth=2
	s_delay_alu instid0(VALU_DEP_1) | instskip(NEXT) | instid1(VALU_DEP_3)
	v_fmac_f32_e32 v17, v16, v19
	v_mul_f32_e32 v16, v16, v18
; %bb.45:                               ;   in Loop: Header=BB73_33 Depth=2
	s_or_b32 exec_lo, exec_lo, s21
	s_delay_alu instid0(VALU_DEP_1) | instskip(NEXT) | instid1(VALU_DEP_3)
	v_mov_b32_dpp v18, v16 row_shr:8 row_mask:0xf bank_mask:0xf
	v_mov_b32_dpp v19, v17 row_shr:8 row_mask:0xf bank_mask:0xf
	s_and_saveexec_b32 s21, s9
; %bb.46:                               ;   in Loop: Header=BB73_33 Depth=2
	s_delay_alu instid0(VALU_DEP_1) | instskip(NEXT) | instid1(VALU_DEP_3)
	v_fmac_f32_e32 v17, v16, v19
	v_mul_f32_e32 v16, v16, v18
; %bb.47:                               ;   in Loop: Header=BB73_33 Depth=2
	s_or_b32 exec_lo, exec_lo, s21
	ds_swizzle_b32 v19, v16 offset:swizzle(BROADCAST,32,15)
	ds_swizzle_b32 v18, v17 offset:swizzle(BROADCAST,32,15)
	s_and_saveexec_b32 s21, s10
	s_cbranch_execz .LBB73_49
; %bb.48:                               ;   in Loop: Header=BB73_33 Depth=2
	s_waitcnt lgkmcnt(1)
	v_mul_f32_e32 v19, v16, v19
	s_waitcnt lgkmcnt(0)
	s_delay_alu instid0(VALU_DEP_1)
	v_dual_fmac_f32 v17, v16, v18 :: v_dual_mov_b32 v16, v19
.LBB73_49:                              ;   in Loop: Header=BB73_33 Depth=2
	s_or_b32 exec_lo, exec_lo, s21
	s_and_saveexec_b32 s21, s1
	s_cbranch_execz .LBB73_51
; %bb.50:                               ;   in Loop: Header=BB73_33 Depth=2
	ds_store_b64 v24, v[16:17] offset:2112
.LBB73_51:                              ;   in Loop: Header=BB73_33 Depth=2
	s_or_b32 exec_lo, exec_lo, s21
	s_waitcnt vmcnt(0) lgkmcnt(0)
	s_waitcnt_vscnt null, 0x0
	s_barrier
	buffer_gl0_inv
	s_and_saveexec_b32 s21, s2
	s_cbranch_execz .LBB73_53
; %bb.52:                               ;   in Loop: Header=BB73_33 Depth=2
	ds_load_b64 v[18:19], v25 offset:2112
	s_waitcnt lgkmcnt(0)
	v_mov_b32_dpp v94, v18 row_shr:1 row_mask:0xf bank_mask:0xf
	v_mov_b32_dpp v95, v19 row_shr:1 row_mask:0xf bank_mask:0xf
	s_delay_alu instid0(VALU_DEP_2) | instskip(NEXT) | instid1(VALU_DEP_2)
	v_mul_f32_e32 v94, v18, v94
	v_fma_f32 v95, v18, v95, v19
	s_delay_alu instid0(VALU_DEP_2) | instskip(NEXT) | instid1(VALU_DEP_2)
	v_cndmask_b32_e64 v18, v94, v18, s11
	v_cndmask_b32_e64 v19, v95, v19, s11
	ds_store_b64 v25, v[18:19] offset:2112
.LBB73_53:                              ;   in Loop: Header=BB73_33 Depth=2
	s_or_b32 exec_lo, exec_lo, s21
	s_waitcnt lgkmcnt(0)
	s_barrier
	buffer_gl0_inv
                                        ; implicit-def: $vgpr19
	s_and_saveexec_b32 s21, s4
	s_cbranch_execz .LBB73_55
; %bb.54:                               ;   in Loop: Header=BB73_33 Depth=2
	ds_load_b64 v[18:19], v24 offset:2104
	s_waitcnt lgkmcnt(0)
	v_mul_f32_e32 v94, v16, v18
	s_delay_alu instid0(VALU_DEP_1)
	v_dual_fmac_f32 v17, v16, v19 :: v_dual_mov_b32 v16, v94
.LBB73_55:                              ;   in Loop: Header=BB73_33 Depth=2
	s_or_b32 exec_lo, exec_lo, s21
	ds_bpermute_b32 v94, v77, v16
	ds_bpermute_b32 v95, v77, v17
	s_and_saveexec_b32 s21, s3
	s_cbranch_execz .LBB73_59
; %bb.56:                               ;   in Loop: Header=BB73_33 Depth=2
	ds_load_b64 v[16:17], v22 offset:2120
	s_and_saveexec_b32 s31, s5
	s_cbranch_execz .LBB73_58
; %bb.57:                               ;   in Loop: Header=BB73_33 Depth=2
	ds_store_b64 v22, v[20:21] offset:2120
.LBB73_58:                              ;   in Loop: Header=BB73_33 Depth=2
	s_or_b32 exec_lo, exec_lo, s31
	s_waitcnt lgkmcnt(0)
	v_fmac_f32_e32 v17, v21, v16
	s_delay_alu instid0(VALU_DEP_1)
	v_dual_mul_f32 v20, v20, v16 :: v_dual_mov_b32 v21, v17
.LBB73_59:                              ;   in Loop: Header=BB73_33 Depth=2
	s_or_b32 exec_lo, exec_lo, s21
	s_waitcnt lgkmcnt(0)
	s_barrier
	buffer_gl0_inv
	ds_load_b32 v16, v22 offset:2124
	s_and_saveexec_b32 s21, s5
	s_cbranch_execz .LBB73_32
; %bb.60:                               ;   in Loop: Header=BB73_33 Depth=2
	v_mov_b32_e32 v17, s66
	s_and_not1_b32 vcc_lo, exec_lo, s64
	ds_store_b64 v17, v[20:21]
	s_cbranch_vccnz .LBB73_32
; %bb.61:                               ;   in Loop: Header=BB73_33 Depth=2
	s_mov_b32 s41, s23
	v_cvt_f16_f32_e32 v17, v21
	s_lshl_b64 s[68:69], s[40:41], 1
	s_delay_alu instid0(SALU_CYCLE_1)
	s_add_u32 s68, s54, s68
	s_addc_u32 s69, s55, s69
	global_store_b16 v22, v17, s[68:69]
	s_branch .LBB73_32
.LBB73_62:                              ;   in Loop: Header=BB73_12 Depth=1
	s_mov_b32 s29, s23
	v_cvt_f16_f32_e32 v12, v61
	v_cvt_f16_f32_e32 v18, v56
	;; [unrolled: 1-line block ×8, first 2 shown]
	s_lshl_b64 s[10:11], s[28:29], 1
	v_pack_b32_f16 v13, v13, v19
	v_add_co_u32 v16, vcc_lo, v26, s10
	v_add_co_ci_u32_e32 v17, vcc_lo, s11, v27, vcc_lo
	v_pack_b32_f16 v15, v15, v21
	v_pack_b32_f16 v14, v14, v20
	;; [unrolled: 1-line block ×3, first 2 shown]
	s_waitcnt_vscnt null, 0x0
	s_barrier
	buffer_gl0_inv
	global_store_b128 v[16:17], v[12:15], off
	s_waitcnt_vscnt null, 0x0
	s_barrier
	buffer_gl0_inv
	s_and_saveexec_b32 s6, s0
	s_cbranch_execz .LBB73_11
; %bb.63:                               ;   in Loop: Header=BB73_12 Depth=1
	v_add_co_u32 v8, vcc_lo, v28, s10
	v_add_co_ci_u32_e32 v9, vcc_lo, s11, v29, vcc_lo
	global_load_b128 v[8:11], v[8:9], off
	s_branch .LBB73_11
.LBB73_64:
	s_nop 0
	s_sendmsg sendmsg(MSG_DEALLOC_VGPRS)
	s_endpgm
	.section	.rodata,"a",@progbits
	.p2align	6, 0x0
	.amdhsa_kernel _Z25selective_scan_fwd_kernelI32Selective_Scan_fwd_kernel_traitsILi64ELi8ELi1ELb1ELb1ELb1ELb1ELb0EN3c104HalfEfS2_EEv13SSMParamsBase
		.amdhsa_group_segment_fixed_size 0
		.amdhsa_private_segment_fixed_size 0
		.amdhsa_kernarg_size 248
		.amdhsa_user_sgpr_count 14
		.amdhsa_user_sgpr_dispatch_ptr 0
		.amdhsa_user_sgpr_queue_ptr 0
		.amdhsa_user_sgpr_kernarg_segment_ptr 1
		.amdhsa_user_sgpr_dispatch_id 0
		.amdhsa_user_sgpr_private_segment_size 0
		.amdhsa_wavefront_size32 1
		.amdhsa_uses_dynamic_stack 0
		.amdhsa_enable_private_segment 0
		.amdhsa_system_sgpr_workgroup_id_x 1
		.amdhsa_system_sgpr_workgroup_id_y 1
		.amdhsa_system_sgpr_workgroup_id_z 0
		.amdhsa_system_sgpr_workgroup_info 0
		.amdhsa_system_vgpr_workitem_id 0
		.amdhsa_next_free_vgpr 96
		.amdhsa_next_free_sgpr 72
		.amdhsa_reserve_vcc 1
		.amdhsa_float_round_mode_32 0
		.amdhsa_float_round_mode_16_64 0
		.amdhsa_float_denorm_mode_32 3
		.amdhsa_float_denorm_mode_16_64 3
		.amdhsa_dx10_clamp 1
		.amdhsa_ieee_mode 1
		.amdhsa_fp16_overflow 0
		.amdhsa_workgroup_processor_mode 1
		.amdhsa_memory_ordered 1
		.amdhsa_forward_progress 0
		.amdhsa_shared_vgpr_count 0
		.amdhsa_exception_fp_ieee_invalid_op 0
		.amdhsa_exception_fp_denorm_src 0
		.amdhsa_exception_fp_ieee_div_zero 0
		.amdhsa_exception_fp_ieee_overflow 0
		.amdhsa_exception_fp_ieee_underflow 0
		.amdhsa_exception_fp_ieee_inexact 0
		.amdhsa_exception_int_div_zero 0
	.end_amdhsa_kernel
	.section	.text._Z25selective_scan_fwd_kernelI32Selective_Scan_fwd_kernel_traitsILi64ELi8ELi1ELb1ELb1ELb1ELb1ELb0EN3c104HalfEfS2_EEv13SSMParamsBase,"axG",@progbits,_Z25selective_scan_fwd_kernelI32Selective_Scan_fwd_kernel_traitsILi64ELi8ELi1ELb1ELb1ELb1ELb1ELb0EN3c104HalfEfS2_EEv13SSMParamsBase,comdat
.Lfunc_end73:
	.size	_Z25selective_scan_fwd_kernelI32Selective_Scan_fwd_kernel_traitsILi64ELi8ELi1ELb1ELb1ELb1ELb1ELb0EN3c104HalfEfS2_EEv13SSMParamsBase, .Lfunc_end73-_Z25selective_scan_fwd_kernelI32Selective_Scan_fwd_kernel_traitsILi64ELi8ELi1ELb1ELb1ELb1ELb1ELb0EN3c104HalfEfS2_EEv13SSMParamsBase
                                        ; -- End function
	.section	.AMDGPU.csdata,"",@progbits
; Kernel info:
; codeLenInByte = 11404
; NumSgprs: 74
; NumVgprs: 96
; ScratchSize: 0
; MemoryBound: 1
; FloatMode: 240
; IeeeMode: 1
; LDSByteSize: 0 bytes/workgroup (compile time only)
; SGPRBlocks: 9
; VGPRBlocks: 11
; NumSGPRsForWavesPerEU: 74
; NumVGPRsForWavesPerEU: 96
; Occupancy: 16
; WaveLimiterHint : 0
; COMPUTE_PGM_RSRC2:SCRATCH_EN: 0
; COMPUTE_PGM_RSRC2:USER_SGPR: 14
; COMPUTE_PGM_RSRC2:TRAP_HANDLER: 0
; COMPUTE_PGM_RSRC2:TGID_X_EN: 1
; COMPUTE_PGM_RSRC2:TGID_Y_EN: 1
; COMPUTE_PGM_RSRC2:TGID_Z_EN: 0
; COMPUTE_PGM_RSRC2:TIDIG_COMP_CNT: 0
	.section	.text._Z25selective_scan_fwd_kernelI32Selective_Scan_fwd_kernel_traitsILi64ELi8ELi1ELb1ELb1ELb1ELb0ELb1EN3c104HalfEfS2_EEv13SSMParamsBase,"axG",@progbits,_Z25selective_scan_fwd_kernelI32Selective_Scan_fwd_kernel_traitsILi64ELi8ELi1ELb1ELb1ELb1ELb0ELb1EN3c104HalfEfS2_EEv13SSMParamsBase,comdat
	.protected	_Z25selective_scan_fwd_kernelI32Selective_Scan_fwd_kernel_traitsILi64ELi8ELi1ELb1ELb1ELb1ELb0ELb1EN3c104HalfEfS2_EEv13SSMParamsBase ; -- Begin function _Z25selective_scan_fwd_kernelI32Selective_Scan_fwd_kernel_traitsILi64ELi8ELi1ELb1ELb1ELb1ELb0ELb1EN3c104HalfEfS2_EEv13SSMParamsBase
	.globl	_Z25selective_scan_fwd_kernelI32Selective_Scan_fwd_kernel_traitsILi64ELi8ELi1ELb1ELb1ELb1ELb0ELb1EN3c104HalfEfS2_EEv13SSMParamsBase
	.p2align	8
	.type	_Z25selective_scan_fwd_kernelI32Selective_Scan_fwd_kernel_traitsILi64ELi8ELi1ELb1ELb1ELb1ELb0ELb1EN3c104HalfEfS2_EEv13SSMParamsBase,@function
_Z25selective_scan_fwd_kernelI32Selective_Scan_fwd_kernel_traitsILi64ELi8ELi1ELb1ELb1ELb1ELb0ELb1EN3c104HalfEfS2_EEv13SSMParamsBase: ; @_Z25selective_scan_fwd_kernelI32Selective_Scan_fwd_kernel_traitsILi64ELi8ELi1ELb1ELb1ELb1ELb0ELb1EN3c104HalfEfS2_EEv13SSMParamsBase
; %bb.0:
	s_clause 0x2
	s_load_b32 s35, s[0:1], 0x18
	s_load_b128 s[4:7], s[0:1], 0xe0
	s_load_b64 s[10:11], s[0:1], 0xf0
	s_mov_b32 s12, s15
	s_ashr_i32 s15, s14, 31
	s_mov_b32 s33, 0
	s_lshl_b64 s[8:9], s[14:15], 2
	s_waitcnt lgkmcnt(0)
	s_abs_i32 s34, s35
	s_add_u32 s2, s4, s8
	v_cvt_f32_u32_e32 v1, s34
	s_addc_u32 s3, s5, s9
	s_cmp_eq_u64 s[10:11], 0
	s_delay_alu instid0(VALU_DEP_1) | instskip(SKIP_2) | instid1(VALU_DEP_1)
	v_rcp_iflag_f32_e32 v1, v1
	s_waitcnt_depctr 0xfff
	v_mul_f32_e32 v1, 0x4f7ffffe, v1
	v_cvt_u32_f32_e32 v1, v1
	s_delay_alu instid0(VALU_DEP_1)
	v_readfirstlane_b32 s36, v1
	s_cbranch_scc1 .LBB74_2
; %bb.1:
	v_mov_b32_e32 v1, 0
	s_add_u32 s4, s10, s14
	s_addc_u32 s5, s11, s15
	global_load_u8 v1, v1, s[4:5]
	s_waitcnt vmcnt(0)
	v_and_b32_e32 v1, 1, v1
	s_delay_alu instid0(VALU_DEP_1)
	v_cmp_eq_u32_e64 s33, 1, v1
.LBB74_2:
	s_load_b64 s[4:5], s[0:1], 0x20
	s_cmp_eq_u64 s[6:7], 0
	s_cbranch_scc1 .LBB74_4
; %bb.3:
	s_add_u32 s6, s6, s8
	s_addc_u32 s7, s7, s9
	s_load_b32 s14, s[6:7], 0x0
	s_waitcnt lgkmcnt(0)
	s_ashr_i32 s15, s14, 31
.LBB74_4:
	s_waitcnt lgkmcnt(0)
	s_cmp_eq_u64 s[4:5], s[14:15]
	s_cbranch_scc1 .LBB74_140
; %bb.5:
	s_load_b512 s[16:31], s[0:1], 0x88
	s_load_b64 s[10:11], s[2:3], 0x0
	s_mov_b32 s52, 0
	s_mov_b32 s53, 0
	s_waitcnt lgkmcnt(0)
	s_cmp_eq_u64 s[22:23], 0
	s_cbranch_scc1 .LBB74_7
; %bb.6:
	s_ashr_i32 s13, s12, 31
	s_delay_alu instid0(SALU_CYCLE_1) | instskip(NEXT) | instid1(SALU_CYCLE_1)
	s_lshl_b64 s[2:3], s[12:13], 2
	s_add_u32 s2, s22, s2
	s_addc_u32 s3, s23, s3
	s_load_b32 s53, s[2:3], 0x0
.LBB74_7:
	s_cmp_eq_u64 s[28:29], 0
	s_cbranch_scc1 .LBB74_9
; %bb.8:
	s_ashr_i32 s13, s12, 31
	s_delay_alu instid0(SALU_CYCLE_1) | instskip(NEXT) | instid1(SALU_CYCLE_1)
	s_lshl_b64 s[2:3], s[12:13], 2
	s_add_u32 s2, s28, s2
	s_addc_u32 s3, s29, s3
	s_load_b32 s52, s[2:3], 0x0
.LBB74_9:
	s_sub_i32 s29, s11, s10
	s_delay_alu instid0(SALU_CYCLE_1)
	s_cmp_lt_i32 s29, 1
	s_cbranch_scc1 .LBB74_140
; %bb.10:
	s_sub_i32 s2, 0, s34
	s_abs_i32 s5, s12
	s_mul_i32 s4, s2, s36
	s_clause 0x1
	s_load_b64 s[2:3], s[0:1], 0x5c
	s_load_b128 s[44:47], s[0:1], 0x4c
	s_mul_hi_u32 s4, s36, s4
	s_ashr_i32 s7, s35, 31
	s_add_i32 s36, s36, s4
	s_ashr_i32 s4, s12, 31
	s_mul_hi_u32 s6, s5, s36
	s_xor_b32 s7, s4, s7
	s_mul_i32 s8, s6, s34
	s_load_b256 s[36:43], s[0:1], 0x2c
	s_sub_i32 s4, s5, s8
	s_add_i32 s5, s6, 1
	s_sub_i32 s8, s4, s34
	s_cmp_ge_u32 s4, s34
	s_mov_b32 s35, 0
	s_cselect_b32 s5, s5, s6
	s_cselect_b32 s4, s8, s4
	s_add_i32 s6, s5, 1
	s_cmp_ge_u32 s4, s34
	s_load_b128 s[48:51], s[0:1], 0x7c
	s_cselect_b32 s4, s6, s5
	s_waitcnt lgkmcnt(0)
	s_mul_i32 s34, s10, s46
	s_xor_b32 s6, s4, s7
	s_lshl_b64 s[4:5], s[34:35], 1
	s_sub_i32 s6, s6, s7
	s_mul_i32 s34, s47, s12
	s_add_u32 s7, s24, s4
	s_addc_u32 s8, s25, s5
	s_lshl_b64 s[4:5], s[34:35], 1
	s_mul_i32 s34, s10, s2
	s_add_u32 s54, s7, s4
	s_addc_u32 s55, s8, s5
	s_lshl_b64 s[4:5], s[34:35], 1
	;; [unrolled: 4-line block ×4, first 2 shown]
	s_mul_i32 s34, s10, s38
	s_add_u32 s57, s16, s2
	s_addc_u32 s58, s17, s3
	s_load_b64 s[16:17], s[0:1], 0x6c
	s_lshl_b64 s[2:3], s[34:35], 1
	s_mul_i32 s34, s6, s41
	s_add_u32 s7, s18, s2
	s_addc_u32 s8, s19, s3
	s_lshl_b64 s[2:3], s[34:35], 1
	v_dual_mov_b32 v13, 0 :: v_dual_lshlrev_b32 v10, 3, v0
	s_mul_i32 s34, s10, s42
	s_load_b64 s[4:5], s[0:1], 0xc8
	s_add_u32 s41, s7, s2
	s_addc_u32 s51, s8, s3
	s_lshl_b64 s[2:3], s[34:35], 1
	s_mul_i32 s34, s6, s45
	s_add_u32 s7, s20, s2
	v_mbcnt_lo_u32_b32 v1, -1, 0
	v_and_b32_e32 v2, 0x100, v10
	s_addc_u32 s6, s21, s3
	s_lshl_b64 s[2:3], s[34:35], 1
	s_mul_i32 s34, s14, s48
	s_add_u32 s45, s7, s2
	s_addc_u32 s48, s6, s3
	s_lshl_b64 s[2:3], s[34:35], 1
	s_mul_i32 s34, s49, s12
	s_clause 0x1
	s_load_b32 s49, s[0:1], 0xc
	s_load_b32 s0, s[0:1], 0x28
	v_or_b32_e32 v11, v1, v2
	v_and_b32_e32 v6, 32, v0
	v_lshrrev_b32_e32 v4, 5, v2
	v_cmp_gt_u32_e64 s6, 2, v0
	s_waitcnt lgkmcnt(0)
	s_add_u32 s4, s4, s2
	v_or_b32_e32 v12, 0x60, v11
	v_or_b32_e32 v17, 0xa0, v11
	;; [unrolled: 1-line block ×3, first 2 shown]
	s_addc_u32 s5, s5, s3
	s_lshl_b64 s[2:3], s[34:35], 1
	v_lshrrev_b32_e32 v3, 5, v12
	s_add_u32 s59, s4, s2
	v_or_b32_e32 v15, 64, v11
	v_or_b32_e32 v16, 0x80, v11
	;; [unrolled: 1-line block ×3, first 2 shown]
	v_and_b32_e32 v3, 10, v3
	v_lshrrev_b32_e32 v7, 5, v17
	v_lshrrev_b32_e32 v24, 5, v19
	s_addc_u32 s60, s5, s3
	s_add_i32 s1, s29, 0x7ff
	v_lshrrev_b32_e32 v5, 5, v15
	s_lshr_b32 s61, s1, 11
	s_bitcmp1_b32 s0, 0
	v_add_lshl_u32 v3, v3, v11, 1
	v_lshrrev_b32_e32 v8, 5, v16
	v_or_b32_e32 v9, v1, v6
	v_and_b32_e32 v7, 12, v7
	v_lshrrev_b32_e32 v23, 5, v18
	v_and_b32_e32 v26, 14, v24
	s_cselect_b32 s62, -1, 0
	s_cmp_gt_i32 s49, 0
	v_add_lshl_u32 v4, v4, v11, 1
	s_cselect_b32 s63, -1, 0
	s_add_i32 s0, 0, 0x420
	v_add_lshl_u32 v5, v5, v11, 1
	v_add_nc_u32_e32 v22, 0, v3
	v_add_lshl_u32 v8, v8, v11, 1
	v_lshrrev_b32_e32 v25, 2, v9
	v_add_lshl_u32 v7, v7, v11, 1
	v_add_lshl_u32 v33, v23, v11, 1
	;; [unrolled: 1-line block ×3, first 2 shown]
	v_add_nc_u32_e32 v30, s0, v3
	v_and_b32_e32 v3, 15, v1
	s_and_b32 s1, s29, 0x1ff
	v_and_b32_e32 v27, 14, v25
	v_add_nc_u32_e32 v25, 0, v33
	v_add_nc_u32_e32 v26, 0, v34
	;; [unrolled: 1-line block ×7, first 2 shown]
	s_cmp_eq_u32 s1, 0
	v_add_nc_u32_e32 v34, s0, v34
	v_cmp_ne_u32_e64 s0, 0, v3
	v_cmp_lt_u32_e64 s1, 1, v3
	v_cmp_lt_u32_e64 s2, 3, v3
	;; [unrolled: 1-line block ×3, first 2 shown]
	v_add_nc_u32_e32 v3, -1, v1
	v_add_nc_u32_e32 v20, 0, v4
	v_lshrrev_b32_e32 v4, 2, v0
	v_or_b32_e32 v6, 31, v6
	s_mul_i32 s34, s10, s16
	v_cmp_gt_i32_e32 vcc_lo, 0, v3
	s_cselect_b32 s64, -1, 0
	v_and_b32_e32 v4, 8, v4
	s_lshl_b64 s[14:15], s[34:35], 1
	s_add_i32 s65, s61, -1
	v_cndmask_b32_e32 v3, v3, v1, vcc_lo
	s_mul_i32 s34, s17, s12
	v_cmp_eq_u32_e64 s5, v6, v0
	v_cmp_gt_u32_e64 s8, 32, v0
	v_cmp_lt_u32_e64 s9, 31, v0
	v_cmp_eq_u32_e64 s10, 0, v0
	s_add_u32 s11, s30, s14
	v_lshlrev_b32_e32 v0, 1, v1
	s_addc_u32 s14, s31, s15
	s_lshl_b64 s[12:13], s[34:35], 1
	v_add_nc_u32_e32 v35, 0, v4
	v_and_b32_e32 v4, 1, v1
	s_add_u32 s11, s11, s12
	v_lshlrev_b32_e32 v37, 2, v3
	s_addc_u32 s12, s14, s13
	v_lshlrev_b32_e32 v3, 1, v2
	v_add_co_u32 v0, s11, s11, v0
	v_add_nc_u32_e32 v21, 0, v5
	v_lshl_add_u32 v9, v9, 3, v27
	v_and_b32_e32 v5, 16, v1
	v_cmp_eq_u32_e64 s7, 0, v4
	v_add_co_ci_u32_e64 v4, null, s12, 0, s11
	v_add_co_u32 v38, vcc_lo, v0, v3
	v_or_b32_e32 v14, 32, v11
	v_add_nc_u32_e32 v23, 0, v8
	v_add_nc_u32_e32 v24, 0, v7
	v_lshl_add_u32 v27, v9, 1, 0
	v_cmp_ne_u32_e64 s4, 0, v5
	v_add_nc_u32_e32 v36, 0, v10
	v_cmp_eq_u32_e64 s11, 0, v1
	v_add_co_ci_u32_e32 v39, vcc_lo, 0, v4, vcc_lo
	v_or_b32_e32 v40, 1, v10
	v_or_b32_e32 v41, 2, v10
	;; [unrolled: 1-line block ×7, first 2 shown]
	v_lshlrev_b32_e32 v47, 1, v1
	v_lshlrev_b32_e32 v48, 1, v2
	s_mov_b32 s66, 0x3e9b6dac
	s_add_i32 s67, 0, 0x850
	s_mov_b32 s68, 0
	s_branch .LBB74_12
.LBB74_11:                              ;   in Loop: Header=BB74_12 Depth=1
	s_or_b32 exec_lo, exec_lo, s12
	s_add_u32 s56, s56, 0x400
	s_addc_u32 s36, s36, 0
	s_add_u32 s54, s54, 0x400
	s_addc_u32 s55, s55, 0
	;; [unrolled: 2-line block ×4, first 2 shown]
	s_add_i32 s68, s68, 1
	s_delay_alu instid0(SALU_CYCLE_1)
	s_cmp_eq_u32 s68, s61
	s_cbranch_scc1 .LBB74_140
.LBB74_12:                              ; =>This Loop Header: Depth=1
                                        ;     Child Loop BB74_61 Depth 2
	v_add_co_u32 v0, s12, s54, v47
	s_delay_alu instid0(VALU_DEP_1) | instskip(SKIP_1) | instid1(VALU_DEP_2)
	v_add_co_ci_u32_e64 v1, null, s55, 0, s12
	s_lshl_b32 s30, s68, 9
	v_add_co_u32 v0, vcc_lo, v0, v48
	s_sub_i32 s23, s29, s30
	s_delay_alu instid0(VALU_DEP_2)
	v_add_co_ci_u32_e32 v1, vcc_lo, 0, v1, vcc_lo
	v_cmp_gt_u32_e64 s12, s23, v11
	s_waitcnt lgkmcnt(0)
	v_mov_b32_e32 v2, 0
	s_waitcnt_vscnt null, 0x0
	s_barrier
	buffer_gl0_inv
	s_and_saveexec_b32 s13, s12
	s_cbranch_execz .LBB74_14
; %bb.13:                               ;   in Loop: Header=BB74_12 Depth=1
	global_load_u16 v2, v[0:1], off
.LBB74_14:                              ;   in Loop: Header=BB74_12 Depth=1
	s_or_b32 exec_lo, exec_lo, s13
	v_cmp_gt_u32_e64 s13, s23, v14
	v_dual_mov_b32 v3, 0 :: v_dual_mov_b32 v4, 0
	s_delay_alu instid0(VALU_DEP_2)
	s_and_saveexec_b32 s14, s13
	s_cbranch_execz .LBB74_16
; %bb.15:                               ;   in Loop: Header=BB74_12 Depth=1
	global_load_u16 v4, v[0:1], off offset:64
.LBB74_16:                              ;   in Loop: Header=BB74_12 Depth=1
	s_or_b32 exec_lo, exec_lo, s14
	v_cmp_gt_u32_e64 s14, s23, v15
	s_delay_alu instid0(VALU_DEP_1)
	s_and_saveexec_b32 s15, s14
	s_cbranch_execz .LBB74_18
; %bb.17:                               ;   in Loop: Header=BB74_12 Depth=1
	global_load_u16 v3, v[0:1], off offset:128
.LBB74_18:                              ;   in Loop: Header=BB74_12 Depth=1
	s_or_b32 exec_lo, exec_lo, s15
	v_cmp_gt_u32_e64 s15, s23, v12
	v_mov_b32_e32 v5, 0
	v_mov_b32_e32 v7, 0
	s_delay_alu instid0(VALU_DEP_3)
	s_and_saveexec_b32 s16, s15
	s_cbranch_execz .LBB74_20
; %bb.19:                               ;   in Loop: Header=BB74_12 Depth=1
	global_load_u16 v7, v[0:1], off offset:192
.LBB74_20:                              ;   in Loop: Header=BB74_12 Depth=1
	s_or_b32 exec_lo, exec_lo, s16
	v_cmp_gt_u32_e64 s16, s23, v16
	s_delay_alu instid0(VALU_DEP_1)
	s_and_saveexec_b32 s17, s16
	s_cbranch_execz .LBB74_22
; %bb.21:                               ;   in Loop: Header=BB74_12 Depth=1
	global_load_u16 v5, v[0:1], off offset:256
.LBB74_22:                              ;   in Loop: Header=BB74_12 Depth=1
	s_or_b32 exec_lo, exec_lo, s17
	v_cmp_gt_u32_e64 s17, s23, v17
	v_dual_mov_b32 v8, 0 :: v_dual_mov_b32 v9, 0
	s_delay_alu instid0(VALU_DEP_2)
	s_and_saveexec_b32 s18, s17
	s_cbranch_execz .LBB74_24
; %bb.23:                               ;   in Loop: Header=BB74_12 Depth=1
	global_load_u16 v9, v[0:1], off offset:320
.LBB74_24:                              ;   in Loop: Header=BB74_12 Depth=1
	s_or_b32 exec_lo, exec_lo, s18
	v_cmp_gt_u32_e64 s18, s23, v18
	s_delay_alu instid0(VALU_DEP_1)
	s_and_saveexec_b32 s19, s18
	s_cbranch_execz .LBB74_26
; %bb.25:                               ;   in Loop: Header=BB74_12 Depth=1
	global_load_u16 v8, v[0:1], off offset:384
.LBB74_26:                              ;   in Loop: Header=BB74_12 Depth=1
	s_or_b32 exec_lo, exec_lo, s19
	v_cmp_gt_u32_e64 s19, s23, v19
	v_dual_mov_b32 v6, 0 :: v_dual_mov_b32 v49, 0
	s_delay_alu instid0(VALU_DEP_2)
	s_and_saveexec_b32 s20, s19
	s_cbranch_execz .LBB74_28
; %bb.27:                               ;   in Loop: Header=BB74_12 Depth=1
	global_load_u16 v49, v[0:1], off offset:448
.LBB74_28:                              ;   in Loop: Header=BB74_12 Depth=1
	s_or_b32 exec_lo, exec_lo, s20
	s_waitcnt vmcnt(0)
	ds_store_b16 v20, v2
	ds_store_b16 v20, v4 offset:64
	ds_store_b16 v21, v3 offset:128
	;; [unrolled: 1-line block ×7, first 2 shown]
	; wave barrier
	ds_load_b128 v[0:3], v27
	v_add_co_u32 v4, s20, s56, v47
	s_delay_alu instid0(VALU_DEP_1) | instskip(SKIP_1) | instid1(VALU_DEP_2)
	v_add_co_ci_u32_e64 v5, null, s36, 0, s20
	s_waitcnt lgkmcnt(0)
	v_add_co_u32 v4, vcc_lo, v4, v48
	s_delay_alu instid0(VALU_DEP_2)
	v_add_co_ci_u32_e32 v5, vcc_lo, 0, v5, vcc_lo
	s_barrier
	buffer_gl0_inv
	s_and_saveexec_b32 s20, s12
	s_cbranch_execz .LBB74_30
; %bb.29:                               ;   in Loop: Header=BB74_12 Depth=1
	global_load_u16 v6, v[4:5], off
.LBB74_30:                              ;   in Loop: Header=BB74_12 Depth=1
	s_or_b32 exec_lo, exec_lo, s20
	v_dual_mov_b32 v7, 0 :: v_dual_mov_b32 v8, 0
	s_and_saveexec_b32 s20, s13
	s_cbranch_execz .LBB74_32
; %bb.31:                               ;   in Loop: Header=BB74_12 Depth=1
	global_load_u16 v8, v[4:5], off offset:64
.LBB74_32:                              ;   in Loop: Header=BB74_12 Depth=1
	s_or_b32 exec_lo, exec_lo, s20
	s_and_saveexec_b32 s20, s14
	s_cbranch_execz .LBB74_34
; %bb.33:                               ;   in Loop: Header=BB74_12 Depth=1
	global_load_u16 v7, v[4:5], off offset:128
.LBB74_34:                              ;   in Loop: Header=BB74_12 Depth=1
	s_or_b32 exec_lo, exec_lo, s20
	v_mov_b32_e32 v9, 0
	v_mov_b32_e32 v49, 0
	s_and_saveexec_b32 s20, s15
	s_cbranch_execz .LBB74_36
; %bb.35:                               ;   in Loop: Header=BB74_12 Depth=1
	global_load_u16 v49, v[4:5], off offset:192
.LBB74_36:                              ;   in Loop: Header=BB74_12 Depth=1
	s_or_b32 exec_lo, exec_lo, s20
	s_and_saveexec_b32 s20, s16
	s_cbranch_execz .LBB74_38
; %bb.37:                               ;   in Loop: Header=BB74_12 Depth=1
	global_load_u16 v9, v[4:5], off offset:256
.LBB74_38:                              ;   in Loop: Header=BB74_12 Depth=1
	s_or_b32 exec_lo, exec_lo, s20
	v_dual_mov_b32 v50, 0 :: v_dual_mov_b32 v51, 0
	s_and_saveexec_b32 s20, s17
	s_cbranch_execnz .LBB74_130
; %bb.39:                               ;   in Loop: Header=BB74_12 Depth=1
	s_or_b32 exec_lo, exec_lo, s20
	s_and_saveexec_b32 s20, s18
	s_cbranch_execnz .LBB74_131
.LBB74_40:                              ;   in Loop: Header=BB74_12 Depth=1
	s_or_b32 exec_lo, exec_lo, s20
	v_mov_b32_e32 v52, 0
	s_and_saveexec_b32 s20, s19
	s_cbranch_execz .LBB74_42
.LBB74_41:                              ;   in Loop: Header=BB74_12 Depth=1
	global_load_u16 v52, v[4:5], off offset:448
.LBB74_42:                              ;   in Loop: Header=BB74_12 Depth=1
	s_or_b32 exec_lo, exec_lo, s20
	s_waitcnt vmcnt(0)
	ds_store_b16 v20, v6
	ds_store_b16 v20, v8 offset:64
	ds_store_b16 v21, v7 offset:128
	;; [unrolled: 1-line block ×7, first 2 shown]
	; wave barrier
	ds_load_b128 v[4:7], v27
	s_waitcnt lgkmcnt(0)
	v_cvt_f32_f16_e32 v8, v4
	s_delay_alu instid0(VALU_DEP_1) | instskip(NEXT) | instid1(VALU_DEP_1)
	v_add_f32_e32 v49, s52, v8
	v_cmp_ge_f32_e32 vcc_lo, 0x41a00000, v49
	s_and_b32 s20, s62, vcc_lo
	s_delay_alu instid0(SALU_CYCLE_1)
	s_and_saveexec_b32 s21, s20
	s_cbranch_execz .LBB74_44
; %bb.43:                               ;   in Loop: Header=BB74_12 Depth=1
	v_mul_f32_e32 v8, 0x3fb8aa3b, v49
	v_cmp_ngt_f32_e32 vcc_lo, 0xc2ce8ed0, v49
	s_delay_alu instid0(VALU_DEP_2) | instskip(SKIP_1) | instid1(VALU_DEP_2)
	v_rndne_f32_e32 v9, v8
	v_fma_f32 v50, 0x3fb8aa3b, v49, -v8
	v_sub_f32_e32 v8, v8, v9
	s_delay_alu instid0(VALU_DEP_2) | instskip(SKIP_1) | instid1(VALU_DEP_2)
	v_fmac_f32_e32 v50, 0x32a5705f, v49
	v_cvt_i32_f32_e32 v9, v9
	v_add_f32_e32 v8, v8, v50
	s_delay_alu instid0(VALU_DEP_1) | instskip(SKIP_2) | instid1(VALU_DEP_1)
	v_exp_f32_e32 v8, v8
	s_waitcnt_depctr 0xfff
	v_ldexp_f32 v8, v8, v9
	v_cndmask_b32_e32 v8, 0, v8, vcc_lo
	v_cmp_nlt_f32_e32 vcc_lo, 0x42b17218, v49
	s_delay_alu instid0(VALU_DEP_2) | instskip(NEXT) | instid1(VALU_DEP_1)
	v_cndmask_b32_e32 v49, 0x7f800000, v8, vcc_lo
	v_add_f32_e32 v50, 1.0, v49
	s_delay_alu instid0(VALU_DEP_1) | instskip(NEXT) | instid1(VALU_DEP_1)
	v_cvt_f64_f32_e32 v[8:9], v50
	v_frexp_exp_i32_f64_e32 v8, v[8:9]
	v_frexp_mant_f32_e32 v9, v50
	s_delay_alu instid0(VALU_DEP_1) | instskip(SKIP_1) | instid1(VALU_DEP_1)
	v_cmp_gt_f32_e32 vcc_lo, 0x3f2aaaab, v9
	v_add_f32_e32 v9, -1.0, v50
	v_sub_f32_e32 v52, v9, v50
	v_sub_f32_e32 v9, v49, v9
	v_cmp_gt_f32_e64 s20, 0x33800000, v49
	s_delay_alu instid0(VALU_DEP_3) | instskip(NEXT) | instid1(VALU_DEP_1)
	v_add_f32_e32 v52, 1.0, v52
	v_add_f32_e32 v9, v9, v52
	v_subrev_co_ci_u32_e32 v8, vcc_lo, 0, v8, vcc_lo
	v_cmp_eq_f32_e32 vcc_lo, 0x7f800000, v49
	s_delay_alu instid0(VALU_DEP_2) | instskip(SKIP_2) | instid1(VALU_DEP_2)
	v_sub_nc_u32_e32 v51, 0, v8
	v_cvt_f32_i32_e32 v8, v8
	s_or_b32 vcc_lo, s20, vcc_lo
	v_ldexp_f32 v50, v50, v51
	v_ldexp_f32 v9, v9, v51
	s_delay_alu instid0(VALU_DEP_2) | instskip(NEXT) | instid1(VALU_DEP_1)
	v_add_f32_e32 v53, 1.0, v50
	v_dual_add_f32 v51, -1.0, v50 :: v_dual_add_f32 v52, -1.0, v53
	s_delay_alu instid0(VALU_DEP_1) | instskip(NEXT) | instid1(VALU_DEP_2)
	v_add_f32_e32 v54, 1.0, v51
	v_sub_f32_e32 v52, v50, v52
	s_delay_alu instid0(VALU_DEP_2) | instskip(NEXT) | instid1(VALU_DEP_2)
	v_sub_f32_e32 v50, v50, v54
	v_add_f32_e32 v52, v9, v52
	s_delay_alu instid0(VALU_DEP_2) | instskip(NEXT) | instid1(VALU_DEP_1)
	v_add_f32_e32 v9, v9, v50
	v_dual_add_f32 v55, v51, v9 :: v_dual_add_f32 v54, v53, v52
	s_delay_alu instid0(VALU_DEP_1) | instskip(NEXT) | instid1(VALU_DEP_2)
	v_sub_f32_e32 v51, v51, v55
	v_rcp_f32_e32 v50, v54
	v_sub_f32_e32 v53, v53, v54
	s_delay_alu instid0(VALU_DEP_1) | instskip(SKIP_2) | instid1(VALU_DEP_1)
	v_dual_add_f32 v9, v9, v51 :: v_dual_add_f32 v52, v52, v53
	s_waitcnt_depctr 0xfff
	v_mul_f32_e32 v56, v55, v50
	v_mul_f32_e32 v57, v54, v56
	s_delay_alu instid0(VALU_DEP_1) | instskip(NEXT) | instid1(VALU_DEP_1)
	v_fma_f32 v53, v56, v54, -v57
	v_fmac_f32_e32 v53, v56, v52
	s_delay_alu instid0(VALU_DEP_1) | instskip(NEXT) | instid1(VALU_DEP_1)
	v_add_f32_e32 v58, v57, v53
	v_sub_f32_e32 v59, v55, v58
	s_delay_alu instid0(VALU_DEP_1) | instskip(NEXT) | instid1(VALU_DEP_1)
	v_sub_f32_e32 v55, v55, v59
	v_sub_f32_e32 v55, v55, v58
	;; [unrolled: 1-line block ×3, first 2 shown]
	s_delay_alu instid0(VALU_DEP_2) | instskip(NEXT) | instid1(VALU_DEP_2)
	v_add_f32_e32 v9, v9, v55
	v_sub_f32_e32 v51, v51, v53
	s_delay_alu instid0(VALU_DEP_1) | instskip(NEXT) | instid1(VALU_DEP_1)
	v_add_f32_e32 v9, v51, v9
	v_add_f32_e32 v51, v59, v9
	s_delay_alu instid0(VALU_DEP_1) | instskip(NEXT) | instid1(VALU_DEP_1)
	v_mul_f32_e32 v53, v50, v51
	v_dual_sub_f32 v58, v59, v51 :: v_dual_mul_f32 v55, v54, v53
	s_delay_alu instid0(VALU_DEP_1) | instskip(NEXT) | instid1(VALU_DEP_2)
	v_add_f32_e32 v9, v9, v58
	v_fma_f32 v54, v53, v54, -v55
	s_delay_alu instid0(VALU_DEP_1) | instskip(NEXT) | instid1(VALU_DEP_1)
	v_fmac_f32_e32 v54, v53, v52
	v_add_f32_e32 v52, v55, v54
	s_delay_alu instid0(VALU_DEP_1) | instskip(NEXT) | instid1(VALU_DEP_1)
	v_sub_f32_e32 v57, v51, v52
	v_sub_f32_e32 v51, v51, v57
	s_delay_alu instid0(VALU_DEP_1) | instskip(NEXT) | instid1(VALU_DEP_1)
	v_sub_f32_e32 v51, v51, v52
	v_add_f32_e32 v9, v9, v51
	v_add_f32_e32 v51, v56, v53
	v_sub_f32_e32 v55, v52, v55
	s_delay_alu instid0(VALU_DEP_1) | instskip(NEXT) | instid1(VALU_DEP_1)
	v_sub_f32_e32 v52, v55, v54
	v_dual_add_f32 v9, v52, v9 :: v_dual_sub_f32 v52, v51, v56
	s_delay_alu instid0(VALU_DEP_1) | instskip(NEXT) | instid1(VALU_DEP_1)
	v_add_f32_e32 v9, v57, v9
	v_dual_sub_f32 v52, v53, v52 :: v_dual_mul_f32 v9, v50, v9
	s_delay_alu instid0(VALU_DEP_1) | instskip(NEXT) | instid1(VALU_DEP_1)
	v_add_f32_e32 v9, v52, v9
	v_add_f32_e32 v50, v51, v9
	s_delay_alu instid0(VALU_DEP_1) | instskip(NEXT) | instid1(VALU_DEP_1)
	v_mul_f32_e32 v52, v50, v50
	v_fmaak_f32 v53, s66, v52, 0x3ecc95a3
	v_mul_f32_e32 v54, v50, v52
	s_delay_alu instid0(VALU_DEP_2) | instskip(SKIP_2) | instid1(VALU_DEP_3)
	v_fmaak_f32 v52, v52, v53, 0x3f2aaada
	v_ldexp_f32 v53, v50, 1
	v_sub_f32_e32 v50, v50, v51
	v_mul_f32_e32 v52, v54, v52
	v_mul_f32_e32 v54, 0x3f317218, v8
	s_delay_alu instid0(VALU_DEP_2) | instskip(NEXT) | instid1(VALU_DEP_1)
	v_add_f32_e32 v51, v53, v52
	v_dual_sub_f32 v9, v9, v50 :: v_dual_sub_f32 v50, v51, v53
	s_delay_alu instid0(VALU_DEP_3) | instskip(NEXT) | instid1(VALU_DEP_2)
	v_fma_f32 v53, 0x3f317218, v8, -v54
	v_ldexp_f32 v9, v9, 1
	s_delay_alu instid0(VALU_DEP_2) | instskip(NEXT) | instid1(VALU_DEP_1)
	v_dual_sub_f32 v50, v52, v50 :: v_dual_fmac_f32 v53, 0xb102e308, v8
	v_dual_add_f32 v8, v9, v50 :: v_dual_add_f32 v9, v54, v53
	s_delay_alu instid0(VALU_DEP_1) | instskip(NEXT) | instid1(VALU_DEP_1)
	v_add_f32_e32 v50, v51, v8
	v_add_f32_e32 v52, v9, v50
	s_delay_alu instid0(VALU_DEP_1) | instskip(NEXT) | instid1(VALU_DEP_1)
	v_sub_f32_e32 v55, v52, v9
	v_sub_f32_e32 v56, v52, v55
	v_sub_f32_e32 v51, v50, v51
	v_sub_f32_e32 v50, v50, v55
	s_delay_alu instid0(VALU_DEP_2) | instskip(SKIP_1) | instid1(VALU_DEP_1)
	v_sub_f32_e32 v8, v8, v51
	v_sub_f32_e32 v54, v9, v54
	;; [unrolled: 1-line block ×3, first 2 shown]
	s_delay_alu instid0(VALU_DEP_1) | instskip(SKIP_1) | instid1(VALU_DEP_1)
	v_add_f32_e32 v51, v53, v8
	v_sub_f32_e32 v9, v9, v56
	v_add_f32_e32 v9, v50, v9
	s_delay_alu instid0(VALU_DEP_3) | instskip(NEXT) | instid1(VALU_DEP_1)
	v_sub_f32_e32 v50, v51, v53
	v_dual_sub_f32 v8, v8, v50 :: v_dual_add_f32 v9, v51, v9
	s_delay_alu instid0(VALU_DEP_1) | instskip(NEXT) | instid1(VALU_DEP_1)
	v_dual_sub_f32 v51, v51, v50 :: v_dual_add_f32 v54, v52, v9
	v_dual_sub_f32 v51, v53, v51 :: v_dual_sub_f32 v50, v54, v52
	s_delay_alu instid0(VALU_DEP_1) | instskip(NEXT) | instid1(VALU_DEP_1)
	v_dual_add_f32 v8, v8, v51 :: v_dual_sub_f32 v9, v9, v50
	v_add_f32_e32 v8, v8, v9
	s_delay_alu instid0(VALU_DEP_1) | instskip(NEXT) | instid1(VALU_DEP_1)
	v_add_f32_e32 v8, v54, v8
	v_cndmask_b32_e32 v49, v8, v49, vcc_lo
.LBB74_44:                              ;   in Loop: Header=BB74_12 Depth=1
	s_or_b32 exec_lo, exec_lo, s21
	v_lshrrev_b32_e32 v4, 16, v4
	s_delay_alu instid0(VALU_DEP_1) | instskip(NEXT) | instid1(VALU_DEP_1)
	v_cvt_f32_f16_e32 v4, v4
	v_add_f32_e32 v50, s52, v4
	s_delay_alu instid0(VALU_DEP_1) | instskip(SKIP_1) | instid1(SALU_CYCLE_1)
	v_cmp_ge_f32_e32 vcc_lo, 0x41a00000, v50
	s_and_b32 s20, s62, vcc_lo
	s_and_saveexec_b32 s21, s20
	s_cbranch_execz .LBB74_46
; %bb.45:                               ;   in Loop: Header=BB74_12 Depth=1
	v_mul_f32_e32 v4, 0x3fb8aa3b, v50
	v_cmp_ngt_f32_e32 vcc_lo, 0xc2ce8ed0, v50
	s_delay_alu instid0(VALU_DEP_2) | instskip(SKIP_1) | instid1(VALU_DEP_1)
	v_rndne_f32_e32 v8, v4
	v_fma_f32 v9, 0x3fb8aa3b, v50, -v4
	v_dual_sub_f32 v4, v4, v8 :: v_dual_fmac_f32 v9, 0x32a5705f, v50
	v_cvt_i32_f32_e32 v8, v8
	s_delay_alu instid0(VALU_DEP_2) | instskip(NEXT) | instid1(VALU_DEP_1)
	v_add_f32_e32 v4, v4, v9
	v_exp_f32_e32 v4, v4
	s_waitcnt_depctr 0xfff
	v_ldexp_f32 v4, v4, v8
	s_delay_alu instid0(VALU_DEP_1) | instskip(SKIP_1) | instid1(VALU_DEP_2)
	v_cndmask_b32_e32 v4, 0, v4, vcc_lo
	v_cmp_nlt_f32_e32 vcc_lo, 0x42b17218, v50
	v_cndmask_b32_e32 v4, 0x7f800000, v4, vcc_lo
	s_delay_alu instid0(VALU_DEP_1) | instskip(NEXT) | instid1(VALU_DEP_1)
	v_add_f32_e32 v50, 1.0, v4
	v_cvt_f64_f32_e32 v[8:9], v50
	s_delay_alu instid0(VALU_DEP_1) | instskip(SKIP_1) | instid1(VALU_DEP_1)
	v_frexp_exp_i32_f64_e32 v8, v[8:9]
	v_frexp_mant_f32_e32 v9, v50
	v_cmp_gt_f32_e32 vcc_lo, 0x3f2aaaab, v9
	v_add_f32_e32 v9, -1.0, v50
	s_delay_alu instid0(VALU_DEP_1) | instskip(NEXT) | instid1(VALU_DEP_1)
	v_dual_sub_f32 v52, v9, v50 :: v_dual_sub_f32 v9, v4, v9
	v_add_f32_e32 v52, 1.0, v52
	s_delay_alu instid0(VALU_DEP_1) | instskip(SKIP_1) | instid1(VALU_DEP_1)
	v_add_f32_e32 v9, v9, v52
	v_subrev_co_ci_u32_e32 v8, vcc_lo, 0, v8, vcc_lo
	v_sub_nc_u32_e32 v51, 0, v8
	v_cvt_f32_i32_e32 v8, v8
	s_delay_alu instid0(VALU_DEP_2) | instskip(SKIP_1) | instid1(VALU_DEP_2)
	v_ldexp_f32 v50, v50, v51
	v_ldexp_f32 v9, v9, v51
	v_add_f32_e32 v53, 1.0, v50
	v_add_f32_e32 v51, -1.0, v50
	v_cmp_eq_f32_e32 vcc_lo, 0x7f800000, v4
	v_cmp_gt_f32_e64 s20, 0x33800000, v4
	s_delay_alu instid0(VALU_DEP_4) | instskip(NEXT) | instid1(VALU_DEP_4)
	v_add_f32_e32 v52, -1.0, v53
	v_add_f32_e32 v54, 1.0, v51
	s_delay_alu instid0(VALU_DEP_3) | instskip(NEXT) | instid1(VALU_DEP_2)
	s_or_b32 vcc_lo, s20, vcc_lo
	v_sub_f32_e32 v52, v50, v52
	s_delay_alu instid0(VALU_DEP_2) | instskip(NEXT) | instid1(VALU_DEP_2)
	v_sub_f32_e32 v50, v50, v54
	v_add_f32_e32 v52, v9, v52
	s_delay_alu instid0(VALU_DEP_2) | instskip(NEXT) | instid1(VALU_DEP_1)
	v_add_f32_e32 v9, v9, v50
	v_add_f32_e32 v55, v51, v9
	s_delay_alu instid0(VALU_DEP_1) | instskip(NEXT) | instid1(VALU_DEP_1)
	v_dual_sub_f32 v51, v51, v55 :: v_dual_add_f32 v54, v53, v52
	v_add_f32_e32 v9, v9, v51
	s_delay_alu instid0(VALU_DEP_2) | instskip(SKIP_1) | instid1(VALU_DEP_1)
	v_rcp_f32_e32 v50, v54
	v_sub_f32_e32 v53, v53, v54
	v_add_f32_e32 v52, v52, v53
	s_waitcnt_depctr 0xfff
	v_mul_f32_e32 v56, v55, v50
	s_delay_alu instid0(VALU_DEP_1) | instskip(NEXT) | instid1(VALU_DEP_1)
	v_mul_f32_e32 v57, v54, v56
	v_fma_f32 v53, v56, v54, -v57
	s_delay_alu instid0(VALU_DEP_1) | instskip(NEXT) | instid1(VALU_DEP_1)
	v_fmac_f32_e32 v53, v56, v52
	v_add_f32_e32 v58, v57, v53
	s_delay_alu instid0(VALU_DEP_1) | instskip(SKIP_1) | instid1(VALU_DEP_2)
	v_sub_f32_e32 v59, v55, v58
	v_sub_f32_e32 v51, v58, v57
	;; [unrolled: 1-line block ×3, first 2 shown]
	s_delay_alu instid0(VALU_DEP_2) | instskip(NEXT) | instid1(VALU_DEP_2)
	v_sub_f32_e32 v51, v51, v53
	v_sub_f32_e32 v55, v55, v58
	s_delay_alu instid0(VALU_DEP_1) | instskip(NEXT) | instid1(VALU_DEP_1)
	v_add_f32_e32 v9, v9, v55
	v_add_f32_e32 v9, v51, v9
	s_delay_alu instid0(VALU_DEP_1) | instskip(NEXT) | instid1(VALU_DEP_1)
	v_add_f32_e32 v51, v59, v9
	v_mul_f32_e32 v53, v50, v51
	s_delay_alu instid0(VALU_DEP_1) | instskip(NEXT) | instid1(VALU_DEP_1)
	v_dual_sub_f32 v58, v59, v51 :: v_dual_mul_f32 v55, v54, v53
	v_add_f32_e32 v9, v9, v58
	s_delay_alu instid0(VALU_DEP_2) | instskip(NEXT) | instid1(VALU_DEP_1)
	v_fma_f32 v54, v53, v54, -v55
	v_fmac_f32_e32 v54, v53, v52
	s_delay_alu instid0(VALU_DEP_1) | instskip(NEXT) | instid1(VALU_DEP_1)
	v_add_f32_e32 v52, v55, v54
	v_sub_f32_e32 v57, v51, v52
	s_delay_alu instid0(VALU_DEP_1) | instskip(NEXT) | instid1(VALU_DEP_1)
	v_sub_f32_e32 v51, v51, v57
	v_sub_f32_e32 v51, v51, v52
	s_delay_alu instid0(VALU_DEP_1) | instskip(SKIP_2) | instid1(VALU_DEP_1)
	v_add_f32_e32 v9, v9, v51
	v_add_f32_e32 v51, v56, v53
	v_sub_f32_e32 v55, v52, v55
	v_sub_f32_e32 v52, v55, v54
	s_delay_alu instid0(VALU_DEP_1) | instskip(NEXT) | instid1(VALU_DEP_1)
	v_dual_add_f32 v9, v52, v9 :: v_dual_sub_f32 v52, v51, v56
	v_add_f32_e32 v9, v57, v9
	s_delay_alu instid0(VALU_DEP_1) | instskip(NEXT) | instid1(VALU_DEP_1)
	v_dual_sub_f32 v52, v53, v52 :: v_dual_mul_f32 v9, v50, v9
	v_add_f32_e32 v9, v52, v9
	s_delay_alu instid0(VALU_DEP_1) | instskip(NEXT) | instid1(VALU_DEP_1)
	v_add_f32_e32 v50, v51, v9
	v_mul_f32_e32 v52, v50, v50
	s_delay_alu instid0(VALU_DEP_1) | instskip(SKIP_1) | instid1(VALU_DEP_2)
	v_fmaak_f32 v53, s66, v52, 0x3ecc95a3
	v_mul_f32_e32 v54, v50, v52
	v_fmaak_f32 v52, v52, v53, 0x3f2aaada
	v_ldexp_f32 v53, v50, 1
	v_sub_f32_e32 v50, v50, v51
	s_delay_alu instid0(VALU_DEP_3) | instskip(SKIP_1) | instid1(VALU_DEP_2)
	v_mul_f32_e32 v52, v54, v52
	v_mul_f32_e32 v54, 0x3f317218, v8
	v_add_f32_e32 v51, v53, v52
	s_delay_alu instid0(VALU_DEP_1) | instskip(NEXT) | instid1(VALU_DEP_3)
	v_dual_sub_f32 v9, v9, v50 :: v_dual_sub_f32 v50, v51, v53
	v_fma_f32 v53, 0x3f317218, v8, -v54
	s_delay_alu instid0(VALU_DEP_2) | instskip(NEXT) | instid1(VALU_DEP_2)
	v_ldexp_f32 v9, v9, 1
	v_dual_sub_f32 v50, v52, v50 :: v_dual_fmac_f32 v53, 0xb102e308, v8
	s_delay_alu instid0(VALU_DEP_1) | instskip(NEXT) | instid1(VALU_DEP_1)
	v_dual_add_f32 v8, v9, v50 :: v_dual_add_f32 v9, v54, v53
	v_add_f32_e32 v50, v51, v8
	s_delay_alu instid0(VALU_DEP_1) | instskip(NEXT) | instid1(VALU_DEP_1)
	v_add_f32_e32 v52, v9, v50
	v_sub_f32_e32 v55, v52, v9
	s_delay_alu instid0(VALU_DEP_1) | instskip(SKIP_2) | instid1(VALU_DEP_2)
	v_sub_f32_e32 v56, v52, v55
	v_sub_f32_e32 v51, v50, v51
	;; [unrolled: 1-line block ×5, first 2 shown]
	s_delay_alu instid0(VALU_DEP_1) | instskip(NEXT) | instid1(VALU_DEP_1)
	v_sub_f32_e32 v53, v53, v54
	v_add_f32_e32 v51, v53, v8
	v_sub_f32_e32 v9, v9, v56
	s_delay_alu instid0(VALU_DEP_1) | instskip(NEXT) | instid1(VALU_DEP_3)
	v_add_f32_e32 v9, v50, v9
	v_sub_f32_e32 v50, v51, v53
	s_delay_alu instid0(VALU_DEP_1) | instskip(NEXT) | instid1(VALU_DEP_1)
	v_dual_sub_f32 v8, v8, v50 :: v_dual_add_f32 v9, v51, v9
	v_dual_sub_f32 v51, v51, v50 :: v_dual_add_f32 v54, v52, v9
	s_delay_alu instid0(VALU_DEP_1) | instskip(NEXT) | instid1(VALU_DEP_1)
	v_dual_sub_f32 v51, v53, v51 :: v_dual_sub_f32 v50, v54, v52
	v_dual_add_f32 v8, v8, v51 :: v_dual_sub_f32 v9, v9, v50
	s_delay_alu instid0(VALU_DEP_1) | instskip(NEXT) | instid1(VALU_DEP_1)
	v_add_f32_e32 v8, v8, v9
	v_add_f32_e32 v8, v54, v8
	s_delay_alu instid0(VALU_DEP_1)
	v_cndmask_b32_e32 v50, v8, v4, vcc_lo
.LBB74_46:                              ;   in Loop: Header=BB74_12 Depth=1
	s_or_b32 exec_lo, exec_lo, s21
	v_cvt_f32_f16_e32 v4, v5
	s_delay_alu instid0(VALU_DEP_1) | instskip(NEXT) | instid1(VALU_DEP_1)
	v_add_f32_e32 v51, s52, v4
	v_cmp_ge_f32_e32 vcc_lo, 0x41a00000, v51
	s_and_b32 s20, s62, vcc_lo
	s_delay_alu instid0(SALU_CYCLE_1)
	s_and_saveexec_b32 s21, s20
	s_cbranch_execz .LBB74_48
; %bb.47:                               ;   in Loop: Header=BB74_12 Depth=1
	v_mul_f32_e32 v4, 0x3fb8aa3b, v51
	v_cmp_ngt_f32_e32 vcc_lo, 0xc2ce8ed0, v51
	s_delay_alu instid0(VALU_DEP_2) | instskip(SKIP_1) | instid1(VALU_DEP_1)
	v_rndne_f32_e32 v8, v4
	v_fma_f32 v9, 0x3fb8aa3b, v51, -v4
	v_dual_sub_f32 v4, v4, v8 :: v_dual_fmac_f32 v9, 0x32a5705f, v51
	v_cvt_i32_f32_e32 v8, v8
	s_delay_alu instid0(VALU_DEP_2) | instskip(NEXT) | instid1(VALU_DEP_1)
	v_add_f32_e32 v4, v4, v9
	v_exp_f32_e32 v4, v4
	s_waitcnt_depctr 0xfff
	v_ldexp_f32 v4, v4, v8
	s_delay_alu instid0(VALU_DEP_1) | instskip(SKIP_1) | instid1(VALU_DEP_2)
	v_cndmask_b32_e32 v4, 0, v4, vcc_lo
	v_cmp_nlt_f32_e32 vcc_lo, 0x42b17218, v51
	v_cndmask_b32_e32 v4, 0x7f800000, v4, vcc_lo
	s_delay_alu instid0(VALU_DEP_1) | instskip(NEXT) | instid1(VALU_DEP_1)
	v_add_f32_e32 v51, 1.0, v4
	v_cvt_f64_f32_e32 v[8:9], v51
	s_delay_alu instid0(VALU_DEP_1) | instskip(SKIP_1) | instid1(VALU_DEP_1)
	v_frexp_exp_i32_f64_e32 v8, v[8:9]
	v_frexp_mant_f32_e32 v9, v51
	v_cmp_gt_f32_e32 vcc_lo, 0x3f2aaaab, v9
	v_add_f32_e32 v9, -1.0, v51
	s_delay_alu instid0(VALU_DEP_1) | instskip(NEXT) | instid1(VALU_DEP_1)
	v_sub_f32_e32 v53, v9, v51
	v_add_f32_e32 v53, 1.0, v53
	v_subrev_co_ci_u32_e32 v8, vcc_lo, 0, v8, vcc_lo
	s_delay_alu instid0(VALU_DEP_1) | instskip(SKIP_1) | instid1(VALU_DEP_2)
	v_sub_nc_u32_e32 v52, 0, v8
	v_cvt_f32_i32_e32 v8, v8
	v_ldexp_f32 v51, v51, v52
	s_delay_alu instid0(VALU_DEP_1) | instskip(NEXT) | instid1(VALU_DEP_1)
	v_dual_sub_f32 v9, v4, v9 :: v_dual_add_f32 v54, 1.0, v51
	v_add_f32_e32 v9, v9, v53
	v_cmp_eq_f32_e32 vcc_lo, 0x7f800000, v4
	v_cmp_gt_f32_e64 s20, 0x33800000, v4
	s_delay_alu instid0(VALU_DEP_4) | instskip(NEXT) | instid1(VALU_DEP_4)
	v_add_f32_e32 v53, -1.0, v54
	v_ldexp_f32 v9, v9, v52
	v_add_f32_e32 v52, -1.0, v51
	s_delay_alu instid0(VALU_DEP_4) | instskip(NEXT) | instid1(VALU_DEP_3)
	s_or_b32 vcc_lo, s20, vcc_lo
	v_sub_f32_e32 v53, v51, v53
	s_delay_alu instid0(VALU_DEP_2) | instskip(NEXT) | instid1(VALU_DEP_2)
	v_add_f32_e32 v55, 1.0, v52
	v_add_f32_e32 v53, v9, v53
	s_delay_alu instid0(VALU_DEP_2) | instskip(NEXT) | instid1(VALU_DEP_1)
	v_sub_f32_e32 v51, v51, v55
	v_add_f32_e32 v9, v9, v51
	s_delay_alu instid0(VALU_DEP_1) | instskip(NEXT) | instid1(VALU_DEP_1)
	v_add_f32_e32 v56, v52, v9
	v_dual_add_f32 v55, v54, v53 :: v_dual_sub_f32 v52, v52, v56
	s_delay_alu instid0(VALU_DEP_1) | instskip(SKIP_1) | instid1(VALU_DEP_1)
	v_rcp_f32_e32 v51, v55
	v_sub_f32_e32 v54, v54, v55
	v_add_f32_e32 v53, v53, v54
	s_waitcnt_depctr 0xfff
	v_mul_f32_e32 v57, v56, v51
	s_delay_alu instid0(VALU_DEP_1) | instskip(NEXT) | instid1(VALU_DEP_1)
	v_mul_f32_e32 v58, v55, v57
	v_fma_f32 v54, v57, v55, -v58
	s_delay_alu instid0(VALU_DEP_1) | instskip(SKIP_1) | instid1(VALU_DEP_2)
	v_fmac_f32_e32 v54, v57, v53
	v_add_f32_e32 v9, v9, v52
	v_add_f32_e32 v59, v58, v54
	s_delay_alu instid0(VALU_DEP_1) | instskip(SKIP_1) | instid1(VALU_DEP_2)
	v_sub_f32_e32 v60, v56, v59
	v_sub_f32_e32 v52, v59, v58
	;; [unrolled: 1-line block ×3, first 2 shown]
	s_delay_alu instid0(VALU_DEP_2) | instskip(NEXT) | instid1(VALU_DEP_2)
	v_sub_f32_e32 v52, v52, v54
	v_sub_f32_e32 v56, v56, v59
	s_delay_alu instid0(VALU_DEP_1) | instskip(NEXT) | instid1(VALU_DEP_1)
	v_add_f32_e32 v9, v9, v56
	v_add_f32_e32 v9, v52, v9
	s_delay_alu instid0(VALU_DEP_1) | instskip(NEXT) | instid1(VALU_DEP_1)
	v_add_f32_e32 v52, v60, v9
	v_mul_f32_e32 v54, v51, v52
	s_delay_alu instid0(VALU_DEP_1) | instskip(NEXT) | instid1(VALU_DEP_1)
	v_dual_sub_f32 v59, v60, v52 :: v_dual_mul_f32 v56, v55, v54
	v_add_f32_e32 v9, v9, v59
	s_delay_alu instid0(VALU_DEP_2) | instskip(NEXT) | instid1(VALU_DEP_1)
	v_fma_f32 v55, v54, v55, -v56
	v_fmac_f32_e32 v55, v54, v53
	s_delay_alu instid0(VALU_DEP_1) | instskip(NEXT) | instid1(VALU_DEP_1)
	v_add_f32_e32 v53, v56, v55
	v_sub_f32_e32 v58, v52, v53
	s_delay_alu instid0(VALU_DEP_1) | instskip(NEXT) | instid1(VALU_DEP_1)
	v_sub_f32_e32 v52, v52, v58
	v_sub_f32_e32 v52, v52, v53
	s_delay_alu instid0(VALU_DEP_1) | instskip(SKIP_2) | instid1(VALU_DEP_1)
	v_add_f32_e32 v9, v9, v52
	v_add_f32_e32 v52, v57, v54
	v_sub_f32_e32 v56, v53, v56
	v_sub_f32_e32 v53, v56, v55
	s_delay_alu instid0(VALU_DEP_1) | instskip(NEXT) | instid1(VALU_DEP_4)
	v_add_f32_e32 v9, v53, v9
	v_sub_f32_e32 v53, v52, v57
	s_delay_alu instid0(VALU_DEP_2) | instskip(NEXT) | instid1(VALU_DEP_2)
	v_add_f32_e32 v9, v58, v9
	v_sub_f32_e32 v53, v54, v53
	s_delay_alu instid0(VALU_DEP_2) | instskip(NEXT) | instid1(VALU_DEP_1)
	v_mul_f32_e32 v9, v51, v9
	v_add_f32_e32 v9, v53, v9
	s_delay_alu instid0(VALU_DEP_1) | instskip(NEXT) | instid1(VALU_DEP_1)
	v_add_f32_e32 v51, v52, v9
	v_mul_f32_e32 v53, v51, v51
	s_delay_alu instid0(VALU_DEP_1) | instskip(SKIP_1) | instid1(VALU_DEP_2)
	v_fmaak_f32 v54, s66, v53, 0x3ecc95a3
	v_mul_f32_e32 v55, v51, v53
	v_fmaak_f32 v53, v53, v54, 0x3f2aaada
	v_ldexp_f32 v54, v51, 1
	v_sub_f32_e32 v51, v51, v52
	s_delay_alu instid0(VALU_DEP_3) | instskip(SKIP_1) | instid1(VALU_DEP_2)
	v_mul_f32_e32 v53, v55, v53
	v_mul_f32_e32 v55, 0x3f317218, v8
	v_dual_sub_f32 v9, v9, v51 :: v_dual_add_f32 v52, v54, v53
	s_delay_alu instid0(VALU_DEP_1) | instskip(NEXT) | instid1(VALU_DEP_2)
	v_ldexp_f32 v9, v9, 1
	v_sub_f32_e32 v51, v52, v54
	s_delay_alu instid0(VALU_DEP_4) | instskip(NEXT) | instid1(VALU_DEP_1)
	v_fma_f32 v54, 0x3f317218, v8, -v55
	v_dual_sub_f32 v51, v53, v51 :: v_dual_fmac_f32 v54, 0xb102e308, v8
	s_delay_alu instid0(VALU_DEP_1) | instskip(NEXT) | instid1(VALU_DEP_1)
	v_dual_add_f32 v8, v9, v51 :: v_dual_add_f32 v9, v55, v54
	v_add_f32_e32 v51, v52, v8
	s_delay_alu instid0(VALU_DEP_2) | instskip(NEXT) | instid1(VALU_DEP_2)
	v_sub_f32_e32 v55, v9, v55
	v_dual_add_f32 v53, v9, v51 :: v_dual_sub_f32 v52, v51, v52
	s_delay_alu instid0(VALU_DEP_2) | instskip(NEXT) | instid1(VALU_DEP_2)
	v_sub_f32_e32 v54, v54, v55
	v_sub_f32_e32 v56, v53, v9
	s_delay_alu instid0(VALU_DEP_3) | instskip(NEXT) | instid1(VALU_DEP_2)
	v_sub_f32_e32 v8, v8, v52
	v_sub_f32_e32 v57, v53, v56
	;; [unrolled: 1-line block ×3, first 2 shown]
	s_delay_alu instid0(VALU_DEP_2) | instskip(NEXT) | instid1(VALU_DEP_1)
	v_dual_add_f32 v52, v54, v8 :: v_dual_sub_f32 v9, v9, v57
	v_add_f32_e32 v9, v51, v9
	s_delay_alu instid0(VALU_DEP_2) | instskip(NEXT) | instid1(VALU_DEP_2)
	v_sub_f32_e32 v51, v52, v54
	v_add_f32_e32 v9, v52, v9
	s_delay_alu instid0(VALU_DEP_2) | instskip(NEXT) | instid1(VALU_DEP_2)
	v_sub_f32_e32 v52, v52, v51
	v_dual_sub_f32 v8, v8, v51 :: v_dual_add_f32 v55, v53, v9
	s_delay_alu instid0(VALU_DEP_1) | instskip(NEXT) | instid1(VALU_DEP_1)
	v_dual_sub_f32 v52, v54, v52 :: v_dual_sub_f32 v51, v55, v53
	v_dual_add_f32 v8, v8, v52 :: v_dual_sub_f32 v9, v9, v51
	s_delay_alu instid0(VALU_DEP_1) | instskip(NEXT) | instid1(VALU_DEP_1)
	v_add_f32_e32 v8, v8, v9
	v_add_f32_e32 v8, v55, v8
	s_delay_alu instid0(VALU_DEP_1)
	v_cndmask_b32_e32 v51, v8, v4, vcc_lo
.LBB74_48:                              ;   in Loop: Header=BB74_12 Depth=1
	s_or_b32 exec_lo, exec_lo, s21
	v_lshrrev_b32_e32 v4, 16, v5
	s_delay_alu instid0(VALU_DEP_1) | instskip(NEXT) | instid1(VALU_DEP_1)
	v_cvt_f32_f16_e32 v4, v4
	v_add_f32_e32 v52, s52, v4
	s_delay_alu instid0(VALU_DEP_1) | instskip(SKIP_1) | instid1(SALU_CYCLE_1)
	v_cmp_ge_f32_e32 vcc_lo, 0x41a00000, v52
	s_and_b32 s20, s62, vcc_lo
	s_and_saveexec_b32 s21, s20
	s_cbranch_execz .LBB74_50
; %bb.49:                               ;   in Loop: Header=BB74_12 Depth=1
	v_mul_f32_e32 v4, 0x3fb8aa3b, v52
	v_cmp_ngt_f32_e32 vcc_lo, 0xc2ce8ed0, v52
	s_delay_alu instid0(VALU_DEP_2) | instskip(SKIP_1) | instid1(VALU_DEP_2)
	v_rndne_f32_e32 v5, v4
	v_fma_f32 v8, 0x3fb8aa3b, v52, -v4
	v_sub_f32_e32 v4, v4, v5
	s_delay_alu instid0(VALU_DEP_2) | instskip(SKIP_1) | instid1(VALU_DEP_2)
	v_fmac_f32_e32 v8, 0x32a5705f, v52
	v_cvt_i32_f32_e32 v5, v5
	v_add_f32_e32 v4, v4, v8
	s_delay_alu instid0(VALU_DEP_1) | instskip(SKIP_2) | instid1(VALU_DEP_1)
	v_exp_f32_e32 v4, v4
	s_waitcnt_depctr 0xfff
	v_ldexp_f32 v4, v4, v5
	v_cndmask_b32_e32 v4, 0, v4, vcc_lo
	v_cmp_nlt_f32_e32 vcc_lo, 0x42b17218, v52
	s_delay_alu instid0(VALU_DEP_2) | instskip(NEXT) | instid1(VALU_DEP_1)
	v_cndmask_b32_e32 v8, 0x7f800000, v4, vcc_lo
	v_add_f32_e32 v9, 1.0, v8
	s_delay_alu instid0(VALU_DEP_1) | instskip(NEXT) | instid1(VALU_DEP_1)
	v_cvt_f64_f32_e32 v[4:5], v9
	v_frexp_exp_i32_f64_e32 v4, v[4:5]
	v_frexp_mant_f32_e32 v5, v9
	s_delay_alu instid0(VALU_DEP_1) | instskip(SKIP_1) | instid1(VALU_DEP_1)
	v_cmp_gt_f32_e32 vcc_lo, 0x3f2aaaab, v5
	v_add_f32_e32 v5, -1.0, v9
	v_sub_f32_e32 v53, v5, v9
	v_sub_f32_e32 v5, v8, v5
	s_delay_alu instid0(VALU_DEP_2) | instskip(NEXT) | instid1(VALU_DEP_1)
	v_add_f32_e32 v53, 1.0, v53
	v_add_f32_e32 v5, v5, v53
	v_cmp_gt_f32_e64 s20, 0x33800000, v8
	v_subrev_co_ci_u32_e32 v4, vcc_lo, 0, v4, vcc_lo
	v_cmp_eq_f32_e32 vcc_lo, 0x7f800000, v8
	s_delay_alu instid0(VALU_DEP_2) | instskip(SKIP_2) | instid1(VALU_DEP_2)
	v_sub_nc_u32_e32 v52, 0, v4
	v_cvt_f32_i32_e32 v4, v4
	s_or_b32 vcc_lo, s20, vcc_lo
	v_ldexp_f32 v9, v9, v52
	v_ldexp_f32 v5, v5, v52
	s_delay_alu instid0(VALU_DEP_2) | instskip(NEXT) | instid1(VALU_DEP_1)
	v_add_f32_e32 v52, -1.0, v9
	v_dual_add_f32 v54, 1.0, v9 :: v_dual_add_f32 v55, 1.0, v52
	s_delay_alu instid0(VALU_DEP_1) | instskip(NEXT) | instid1(VALU_DEP_1)
	v_add_f32_e32 v53, -1.0, v54
	v_sub_f32_e32 v53, v9, v53
	s_delay_alu instid0(VALU_DEP_3) | instskip(NEXT) | instid1(VALU_DEP_2)
	v_sub_f32_e32 v9, v9, v55
	v_add_f32_e32 v53, v5, v53
	s_delay_alu instid0(VALU_DEP_2) | instskip(NEXT) | instid1(VALU_DEP_1)
	v_add_f32_e32 v5, v5, v9
	v_add_f32_e32 v56, v52, v5
	s_delay_alu instid0(VALU_DEP_1) | instskip(NEXT) | instid1(VALU_DEP_1)
	v_dual_add_f32 v55, v54, v53 :: v_dual_sub_f32 v52, v52, v56
	v_rcp_f32_e32 v9, v55
	v_sub_f32_e32 v54, v54, v55
	s_delay_alu instid0(VALU_DEP_1) | instskip(SKIP_2) | instid1(VALU_DEP_1)
	v_add_f32_e32 v53, v53, v54
	s_waitcnt_depctr 0xfff
	v_mul_f32_e32 v57, v56, v9
	v_mul_f32_e32 v58, v55, v57
	s_delay_alu instid0(VALU_DEP_1) | instskip(NEXT) | instid1(VALU_DEP_1)
	v_fma_f32 v54, v57, v55, -v58
	v_fmac_f32_e32 v54, v57, v53
	s_delay_alu instid0(VALU_DEP_1) | instskip(NEXT) | instid1(VALU_DEP_1)
	v_add_f32_e32 v59, v58, v54
	v_sub_f32_e32 v60, v56, v59
	s_delay_alu instid0(VALU_DEP_1) | instskip(SKIP_1) | instid1(VALU_DEP_2)
	v_sub_f32_e32 v56, v56, v60
	v_dual_add_f32 v5, v5, v52 :: v_dual_sub_f32 v52, v59, v58
	v_sub_f32_e32 v56, v56, v59
	s_delay_alu instid0(VALU_DEP_1) | instskip(NEXT) | instid1(VALU_DEP_1)
	v_dual_sub_f32 v52, v52, v54 :: v_dual_add_f32 v5, v5, v56
	v_add_f32_e32 v5, v52, v5
	s_delay_alu instid0(VALU_DEP_1) | instskip(NEXT) | instid1(VALU_DEP_1)
	v_add_f32_e32 v52, v60, v5
	v_mul_f32_e32 v54, v9, v52
	s_delay_alu instid0(VALU_DEP_1) | instskip(NEXT) | instid1(VALU_DEP_1)
	v_dual_sub_f32 v59, v60, v52 :: v_dual_mul_f32 v56, v55, v54
	v_add_f32_e32 v5, v5, v59
	s_delay_alu instid0(VALU_DEP_2) | instskip(NEXT) | instid1(VALU_DEP_1)
	v_fma_f32 v55, v54, v55, -v56
	v_fmac_f32_e32 v55, v54, v53
	s_delay_alu instid0(VALU_DEP_1) | instskip(NEXT) | instid1(VALU_DEP_1)
	v_add_f32_e32 v53, v56, v55
	v_sub_f32_e32 v58, v52, v53
	s_delay_alu instid0(VALU_DEP_1) | instskip(NEXT) | instid1(VALU_DEP_1)
	v_sub_f32_e32 v52, v52, v58
	v_sub_f32_e32 v52, v52, v53
	s_delay_alu instid0(VALU_DEP_1) | instskip(SKIP_2) | instid1(VALU_DEP_1)
	v_add_f32_e32 v5, v5, v52
	v_add_f32_e32 v52, v57, v54
	v_sub_f32_e32 v56, v53, v56
	v_sub_f32_e32 v53, v56, v55
	s_delay_alu instid0(VALU_DEP_1) | instskip(NEXT) | instid1(VALU_DEP_4)
	v_add_f32_e32 v5, v53, v5
	v_sub_f32_e32 v53, v52, v57
	s_delay_alu instid0(VALU_DEP_2) | instskip(NEXT) | instid1(VALU_DEP_2)
	v_add_f32_e32 v5, v58, v5
	v_sub_f32_e32 v53, v54, v53
	s_delay_alu instid0(VALU_DEP_2) | instskip(NEXT) | instid1(VALU_DEP_1)
	v_mul_f32_e32 v5, v9, v5
	v_add_f32_e32 v5, v53, v5
	s_delay_alu instid0(VALU_DEP_1) | instskip(NEXT) | instid1(VALU_DEP_1)
	v_add_f32_e32 v9, v52, v5
	v_mul_f32_e32 v53, v9, v9
	s_delay_alu instid0(VALU_DEP_1) | instskip(SKIP_1) | instid1(VALU_DEP_2)
	v_fmaak_f32 v54, s66, v53, 0x3ecc95a3
	v_mul_f32_e32 v55, v9, v53
	v_fmaak_f32 v53, v53, v54, 0x3f2aaada
	v_ldexp_f32 v54, v9, 1
	s_delay_alu instid0(VALU_DEP_2) | instskip(NEXT) | instid1(VALU_DEP_1)
	v_mul_f32_e32 v53, v55, v53
	v_dual_sub_f32 v9, v9, v52 :: v_dual_add_f32 v52, v54, v53
	s_delay_alu instid0(VALU_DEP_1) | instskip(NEXT) | instid1(VALU_DEP_2)
	v_sub_f32_e32 v5, v5, v9
	v_sub_f32_e32 v9, v52, v54
	s_delay_alu instid0(VALU_DEP_2) | instskip(NEXT) | instid1(VALU_DEP_2)
	v_ldexp_f32 v5, v5, 1
	v_sub_f32_e32 v9, v53, v9
	v_mul_f32_e32 v55, 0x3f317218, v4
	s_delay_alu instid0(VALU_DEP_1) | instskip(NEXT) | instid1(VALU_DEP_1)
	v_fma_f32 v54, 0x3f317218, v4, -v55
	v_fmac_f32_e32 v54, 0xb102e308, v4
	s_delay_alu instid0(VALU_DEP_1) | instskip(NEXT) | instid1(VALU_DEP_1)
	v_dual_add_f32 v4, v5, v9 :: v_dual_add_f32 v5, v55, v54
	v_add_f32_e32 v9, v52, v4
	s_delay_alu instid0(VALU_DEP_1) | instskip(SKIP_1) | instid1(VALU_DEP_2)
	v_add_f32_e32 v53, v5, v9
	v_sub_f32_e32 v52, v9, v52
	v_sub_f32_e32 v56, v53, v5
	s_delay_alu instid0(VALU_DEP_2) | instskip(NEXT) | instid1(VALU_DEP_2)
	v_dual_sub_f32 v4, v4, v52 :: v_dual_sub_f32 v55, v5, v55
	v_sub_f32_e32 v57, v53, v56
	s_delay_alu instid0(VALU_DEP_2) | instskip(NEXT) | instid1(VALU_DEP_1)
	v_dual_sub_f32 v9, v9, v56 :: v_dual_sub_f32 v54, v54, v55
	v_dual_sub_f32 v5, v5, v57 :: v_dual_add_f32 v52, v54, v4
	s_delay_alu instid0(VALU_DEP_1) | instskip(NEXT) | instid1(VALU_DEP_2)
	v_add_f32_e32 v5, v9, v5
	v_sub_f32_e32 v9, v52, v54
	s_delay_alu instid0(VALU_DEP_2) | instskip(NEXT) | instid1(VALU_DEP_2)
	v_add_f32_e32 v5, v52, v5
	v_sub_f32_e32 v52, v52, v9
	v_sub_f32_e32 v4, v4, v9
	s_delay_alu instid0(VALU_DEP_2) | instskip(NEXT) | instid1(VALU_DEP_1)
	v_dual_add_f32 v55, v53, v5 :: v_dual_sub_f32 v52, v54, v52
	v_dual_sub_f32 v9, v55, v53 :: v_dual_add_f32 v4, v4, v52
	s_delay_alu instid0(VALU_DEP_1) | instskip(NEXT) | instid1(VALU_DEP_1)
	v_sub_f32_e32 v5, v5, v9
	v_add_f32_e32 v4, v4, v5
	s_delay_alu instid0(VALU_DEP_1) | instskip(NEXT) | instid1(VALU_DEP_1)
	v_add_f32_e32 v4, v55, v4
	v_cndmask_b32_e32 v52, v4, v8, vcc_lo
.LBB74_50:                              ;   in Loop: Header=BB74_12 Depth=1
	s_or_b32 exec_lo, exec_lo, s21
	v_cvt_f32_f16_e32 v4, v6
	s_delay_alu instid0(VALU_DEP_1) | instskip(NEXT) | instid1(VALU_DEP_1)
	v_add_f32_e32 v53, s52, v4
	v_cmp_ge_f32_e32 vcc_lo, 0x41a00000, v53
	s_and_b32 s20, s62, vcc_lo
	s_delay_alu instid0(SALU_CYCLE_1)
	s_and_saveexec_b32 s21, s20
	s_cbranch_execz .LBB74_52
; %bb.51:                               ;   in Loop: Header=BB74_12 Depth=1
	v_mul_f32_e32 v4, 0x3fb8aa3b, v53
	v_cmp_ngt_f32_e32 vcc_lo, 0xc2ce8ed0, v53
	s_delay_alu instid0(VALU_DEP_2) | instskip(SKIP_1) | instid1(VALU_DEP_2)
	v_rndne_f32_e32 v5, v4
	v_fma_f32 v8, 0x3fb8aa3b, v53, -v4
	v_sub_f32_e32 v4, v4, v5
	s_delay_alu instid0(VALU_DEP_2) | instskip(SKIP_1) | instid1(VALU_DEP_2)
	v_fmac_f32_e32 v8, 0x32a5705f, v53
	v_cvt_i32_f32_e32 v5, v5
	v_add_f32_e32 v4, v4, v8
	s_delay_alu instid0(VALU_DEP_1) | instskip(SKIP_2) | instid1(VALU_DEP_1)
	v_exp_f32_e32 v4, v4
	s_waitcnt_depctr 0xfff
	v_ldexp_f32 v4, v4, v5
	v_cndmask_b32_e32 v4, 0, v4, vcc_lo
	v_cmp_nlt_f32_e32 vcc_lo, 0x42b17218, v53
	s_delay_alu instid0(VALU_DEP_2) | instskip(NEXT) | instid1(VALU_DEP_1)
	v_cndmask_b32_e32 v8, 0x7f800000, v4, vcc_lo
	v_add_f32_e32 v9, 1.0, v8
	s_delay_alu instid0(VALU_DEP_1) | instskip(NEXT) | instid1(VALU_DEP_1)
	v_cvt_f64_f32_e32 v[4:5], v9
	v_frexp_exp_i32_f64_e32 v4, v[4:5]
	v_frexp_mant_f32_e32 v5, v9
	s_delay_alu instid0(VALU_DEP_1) | instskip(SKIP_1) | instid1(VALU_DEP_1)
	v_cmp_gt_f32_e32 vcc_lo, 0x3f2aaaab, v5
	v_add_f32_e32 v5, -1.0, v9
	v_sub_f32_e32 v54, v5, v9
	v_subrev_co_ci_u32_e32 v4, vcc_lo, 0, v4, vcc_lo
	s_delay_alu instid0(VALU_DEP_1) | instskip(SKIP_1) | instid1(VALU_DEP_2)
	v_sub_nc_u32_e32 v53, 0, v4
	v_cvt_f32_i32_e32 v4, v4
	v_ldexp_f32 v9, v9, v53
	s_delay_alu instid0(VALU_DEP_1) | instskip(SKIP_3) | instid1(VALU_DEP_3)
	v_dual_add_f32 v54, 1.0, v54 :: v_dual_add_f32 v55, 1.0, v9
	v_sub_f32_e32 v5, v8, v5
	v_cmp_eq_f32_e32 vcc_lo, 0x7f800000, v8
	v_cmp_gt_f32_e64 s20, 0x33800000, v8
	v_add_f32_e32 v5, v5, v54
	s_delay_alu instid0(VALU_DEP_2) | instskip(NEXT) | instid1(VALU_DEP_1)
	s_or_b32 vcc_lo, s20, vcc_lo
	v_ldexp_f32 v5, v5, v53
	v_dual_add_f32 v53, -1.0, v9 :: v_dual_add_f32 v54, -1.0, v55
	s_delay_alu instid0(VALU_DEP_1) | instskip(NEXT) | instid1(VALU_DEP_2)
	v_add_f32_e32 v56, 1.0, v53
	v_sub_f32_e32 v54, v9, v54
	s_delay_alu instid0(VALU_DEP_2) | instskip(NEXT) | instid1(VALU_DEP_2)
	v_sub_f32_e32 v9, v9, v56
	v_add_f32_e32 v54, v5, v54
	s_delay_alu instid0(VALU_DEP_1) | instskip(NEXT) | instid1(VALU_DEP_1)
	v_dual_add_f32 v5, v5, v9 :: v_dual_add_f32 v56, v55, v54
	v_add_f32_e32 v57, v53, v5
	s_delay_alu instid0(VALU_DEP_2) | instskip(SKIP_1) | instid1(VALU_DEP_1)
	v_rcp_f32_e32 v9, v56
	v_sub_f32_e32 v55, v55, v56
	v_dual_sub_f32 v53, v53, v57 :: v_dual_add_f32 v54, v54, v55
	s_delay_alu instid0(VALU_DEP_1) | instskip(SKIP_2) | instid1(VALU_DEP_1)
	v_add_f32_e32 v5, v5, v53
	s_waitcnt_depctr 0xfff
	v_mul_f32_e32 v58, v57, v9
	v_mul_f32_e32 v59, v56, v58
	s_delay_alu instid0(VALU_DEP_1) | instskip(NEXT) | instid1(VALU_DEP_1)
	v_fma_f32 v55, v58, v56, -v59
	v_fmac_f32_e32 v55, v58, v54
	s_delay_alu instid0(VALU_DEP_1) | instskip(NEXT) | instid1(VALU_DEP_1)
	v_add_f32_e32 v60, v59, v55
	v_sub_f32_e32 v61, v57, v60
	v_sub_f32_e32 v53, v60, v59
	s_delay_alu instid0(VALU_DEP_2) | instskip(NEXT) | instid1(VALU_DEP_2)
	v_sub_f32_e32 v57, v57, v61
	v_sub_f32_e32 v53, v53, v55
	s_delay_alu instid0(VALU_DEP_2) | instskip(NEXT) | instid1(VALU_DEP_1)
	v_sub_f32_e32 v57, v57, v60
	v_add_f32_e32 v5, v5, v57
	s_delay_alu instid0(VALU_DEP_1) | instskip(NEXT) | instid1(VALU_DEP_1)
	v_add_f32_e32 v5, v53, v5
	v_add_f32_e32 v53, v61, v5
	s_delay_alu instid0(VALU_DEP_1) | instskip(NEXT) | instid1(VALU_DEP_1)
	v_mul_f32_e32 v55, v9, v53
	v_mul_f32_e32 v57, v56, v55
	s_delay_alu instid0(VALU_DEP_1) | instskip(NEXT) | instid1(VALU_DEP_1)
	v_fma_f32 v56, v55, v56, -v57
	v_fmac_f32_e32 v56, v55, v54
	v_sub_f32_e32 v60, v61, v53
	s_delay_alu instid0(VALU_DEP_2) | instskip(NEXT) | instid1(VALU_DEP_2)
	v_add_f32_e32 v54, v57, v56
	v_add_f32_e32 v5, v5, v60
	s_delay_alu instid0(VALU_DEP_2) | instskip(NEXT) | instid1(VALU_DEP_1)
	v_sub_f32_e32 v59, v53, v54
	v_sub_f32_e32 v53, v53, v59
	s_delay_alu instid0(VALU_DEP_1) | instskip(NEXT) | instid1(VALU_DEP_1)
	v_sub_f32_e32 v53, v53, v54
	v_add_f32_e32 v5, v5, v53
	v_add_f32_e32 v53, v58, v55
	v_sub_f32_e32 v57, v54, v57
	s_delay_alu instid0(VALU_DEP_1) | instskip(NEXT) | instid1(VALU_DEP_1)
	v_sub_f32_e32 v54, v57, v56
	v_dual_add_f32 v5, v54, v5 :: v_dual_sub_f32 v54, v53, v58
	s_delay_alu instid0(VALU_DEP_1) | instskip(NEXT) | instid1(VALU_DEP_1)
	v_add_f32_e32 v5, v59, v5
	v_dual_sub_f32 v54, v55, v54 :: v_dual_mul_f32 v5, v9, v5
	s_delay_alu instid0(VALU_DEP_1) | instskip(NEXT) | instid1(VALU_DEP_1)
	v_add_f32_e32 v5, v54, v5
	v_add_f32_e32 v9, v53, v5
	s_delay_alu instid0(VALU_DEP_1) | instskip(NEXT) | instid1(VALU_DEP_1)
	v_mul_f32_e32 v54, v9, v9
	v_fmaak_f32 v55, s66, v54, 0x3ecc95a3
	v_mul_f32_e32 v56, v9, v54
	s_delay_alu instid0(VALU_DEP_2) | instskip(SKIP_1) | instid1(VALU_DEP_2)
	v_fmaak_f32 v54, v54, v55, 0x3f2aaada
	v_ldexp_f32 v55, v9, 1
	v_dual_sub_f32 v9, v9, v53 :: v_dual_mul_f32 v54, v56, v54
	s_delay_alu instid0(VALU_DEP_1) | instskip(NEXT) | instid1(VALU_DEP_2)
	v_dual_mul_f32 v56, 0x3f317218, v4 :: v_dual_sub_f32 v5, v5, v9
	v_add_f32_e32 v53, v55, v54
	s_delay_alu instid0(VALU_DEP_2) | instskip(NEXT) | instid1(VALU_DEP_2)
	v_ldexp_f32 v5, v5, 1
	v_sub_f32_e32 v9, v53, v55
	s_delay_alu instid0(VALU_DEP_4) | instskip(NEXT) | instid1(VALU_DEP_2)
	v_fma_f32 v55, 0x3f317218, v4, -v56
	v_sub_f32_e32 v9, v54, v9
	s_delay_alu instid0(VALU_DEP_1) | instskip(NEXT) | instid1(VALU_DEP_1)
	v_dual_fmac_f32 v55, 0xb102e308, v4 :: v_dual_add_f32 v4, v5, v9
	v_add_f32_e32 v5, v56, v55
	s_delay_alu instid0(VALU_DEP_2) | instskip(NEXT) | instid1(VALU_DEP_2)
	v_add_f32_e32 v9, v53, v4
	v_sub_f32_e32 v56, v5, v56
	s_delay_alu instid0(VALU_DEP_1) | instskip(SKIP_1) | instid1(VALU_DEP_2)
	v_dual_add_f32 v54, v5, v9 :: v_dual_sub_f32 v55, v55, v56
	v_sub_f32_e32 v53, v9, v53
	v_sub_f32_e32 v57, v54, v5
	s_delay_alu instid0(VALU_DEP_2) | instskip(NEXT) | instid1(VALU_DEP_2)
	v_sub_f32_e32 v4, v4, v53
	v_sub_f32_e32 v58, v54, v57
	;; [unrolled: 1-line block ×3, first 2 shown]
	s_delay_alu instid0(VALU_DEP_3) | instskip(NEXT) | instid1(VALU_DEP_3)
	v_add_f32_e32 v53, v55, v4
	v_sub_f32_e32 v5, v5, v58
	s_delay_alu instid0(VALU_DEP_1) | instskip(NEXT) | instid1(VALU_DEP_3)
	v_add_f32_e32 v5, v9, v5
	v_sub_f32_e32 v9, v53, v55
	s_delay_alu instid0(VALU_DEP_2) | instskip(NEXT) | instid1(VALU_DEP_2)
	v_add_f32_e32 v5, v53, v5
	v_sub_f32_e32 v53, v53, v9
	v_sub_f32_e32 v4, v4, v9
	s_delay_alu instid0(VALU_DEP_3) | instskip(NEXT) | instid1(VALU_DEP_3)
	v_add_f32_e32 v56, v54, v5
	v_sub_f32_e32 v53, v55, v53
	s_delay_alu instid0(VALU_DEP_2) | instskip(NEXT) | instid1(VALU_DEP_2)
	v_sub_f32_e32 v9, v56, v54
	v_add_f32_e32 v4, v4, v53
	s_delay_alu instid0(VALU_DEP_2) | instskip(NEXT) | instid1(VALU_DEP_1)
	v_sub_f32_e32 v5, v5, v9
	v_add_f32_e32 v4, v4, v5
	s_delay_alu instid0(VALU_DEP_1) | instskip(NEXT) | instid1(VALU_DEP_1)
	v_add_f32_e32 v4, v56, v4
	v_cndmask_b32_e32 v53, v4, v8, vcc_lo
.LBB74_52:                              ;   in Loop: Header=BB74_12 Depth=1
	s_or_b32 exec_lo, exec_lo, s21
	v_lshrrev_b32_e32 v4, 16, v6
	s_delay_alu instid0(VALU_DEP_1) | instskip(NEXT) | instid1(VALU_DEP_1)
	v_cvt_f32_f16_e32 v4, v4
	v_add_f32_e32 v54, s52, v4
	s_delay_alu instid0(VALU_DEP_1) | instskip(SKIP_1) | instid1(SALU_CYCLE_1)
	v_cmp_ge_f32_e32 vcc_lo, 0x41a00000, v54
	s_and_b32 s20, s62, vcc_lo
	s_and_saveexec_b32 s21, s20
	s_cbranch_execz .LBB74_54
; %bb.53:                               ;   in Loop: Header=BB74_12 Depth=1
	v_mul_f32_e32 v4, 0x3fb8aa3b, v54
	v_cmp_ngt_f32_e32 vcc_lo, 0xc2ce8ed0, v54
	s_delay_alu instid0(VALU_DEP_2) | instskip(SKIP_1) | instid1(VALU_DEP_2)
	v_rndne_f32_e32 v5, v4
	v_fma_f32 v6, 0x3fb8aa3b, v54, -v4
	v_sub_f32_e32 v4, v4, v5
	s_delay_alu instid0(VALU_DEP_2) | instskip(SKIP_1) | instid1(VALU_DEP_2)
	v_fmac_f32_e32 v6, 0x32a5705f, v54
	v_cvt_i32_f32_e32 v5, v5
	v_add_f32_e32 v4, v4, v6
	s_delay_alu instid0(VALU_DEP_1) | instskip(SKIP_2) | instid1(VALU_DEP_1)
	v_exp_f32_e32 v4, v4
	s_waitcnt_depctr 0xfff
	v_ldexp_f32 v4, v4, v5
	v_cndmask_b32_e32 v4, 0, v4, vcc_lo
	v_cmp_nlt_f32_e32 vcc_lo, 0x42b17218, v54
	s_delay_alu instid0(VALU_DEP_2) | instskip(NEXT) | instid1(VALU_DEP_1)
	v_cndmask_b32_e32 v6, 0x7f800000, v4, vcc_lo
	v_add_f32_e32 v8, 1.0, v6
	s_delay_alu instid0(VALU_DEP_1) | instskip(NEXT) | instid1(VALU_DEP_1)
	v_cvt_f64_f32_e32 v[4:5], v8
	v_frexp_exp_i32_f64_e32 v4, v[4:5]
	v_frexp_mant_f32_e32 v5, v8
	s_delay_alu instid0(VALU_DEP_1) | instskip(SKIP_1) | instid1(VALU_DEP_1)
	v_cmp_gt_f32_e32 vcc_lo, 0x3f2aaaab, v5
	v_add_f32_e32 v5, -1.0, v8
	v_dual_sub_f32 v54, v5, v8 :: v_dual_sub_f32 v5, v6, v5
	s_delay_alu instid0(VALU_DEP_1) | instskip(NEXT) | instid1(VALU_DEP_1)
	v_add_f32_e32 v54, 1.0, v54
	v_add_f32_e32 v5, v5, v54
	v_subrev_co_ci_u32_e32 v4, vcc_lo, 0, v4, vcc_lo
	s_delay_alu instid0(VALU_DEP_1) | instskip(SKIP_1) | instid1(VALU_DEP_2)
	v_sub_nc_u32_e32 v9, 0, v4
	v_cvt_f32_i32_e32 v4, v4
	v_ldexp_f32 v8, v8, v9
	v_ldexp_f32 v5, v5, v9
	s_delay_alu instid0(VALU_DEP_2) | instskip(NEXT) | instid1(VALU_DEP_1)
	v_add_f32_e32 v55, 1.0, v8
	v_dual_add_f32 v9, -1.0, v8 :: v_dual_add_f32 v54, -1.0, v55
	s_delay_alu instid0(VALU_DEP_1) | instskip(NEXT) | instid1(VALU_DEP_2)
	v_add_f32_e32 v56, 1.0, v9
	v_sub_f32_e32 v54, v8, v54
	s_delay_alu instid0(VALU_DEP_2) | instskip(NEXT) | instid1(VALU_DEP_2)
	v_sub_f32_e32 v8, v8, v56
	v_add_f32_e32 v54, v5, v54
	s_delay_alu instid0(VALU_DEP_2) | instskip(NEXT) | instid1(VALU_DEP_1)
	v_add_f32_e32 v5, v5, v8
	v_add_f32_e32 v57, v9, v5
	v_cmp_eq_f32_e32 vcc_lo, 0x7f800000, v6
	v_cmp_gt_f32_e64 s20, 0x33800000, v6
	s_delay_alu instid0(VALU_DEP_3) | instskip(NEXT) | instid1(VALU_DEP_2)
	v_dual_sub_f32 v9, v9, v57 :: v_dual_add_f32 v56, v55, v54
	s_or_b32 vcc_lo, s20, vcc_lo
	s_delay_alu instid0(VALU_DEP_1) | instskip(NEXT) | instid1(VALU_DEP_2)
	v_add_f32_e32 v5, v5, v9
	v_rcp_f32_e32 v8, v56
	v_sub_f32_e32 v55, v55, v56
	s_delay_alu instid0(VALU_DEP_1) | instskip(SKIP_2) | instid1(VALU_DEP_1)
	v_add_f32_e32 v54, v54, v55
	s_waitcnt_depctr 0xfff
	v_mul_f32_e32 v58, v57, v8
	v_mul_f32_e32 v59, v56, v58
	s_delay_alu instid0(VALU_DEP_1) | instskip(NEXT) | instid1(VALU_DEP_1)
	v_fma_f32 v55, v58, v56, -v59
	v_fmac_f32_e32 v55, v58, v54
	s_delay_alu instid0(VALU_DEP_1) | instskip(NEXT) | instid1(VALU_DEP_1)
	v_add_f32_e32 v60, v59, v55
	v_sub_f32_e32 v61, v57, v60
	s_delay_alu instid0(VALU_DEP_1) | instskip(NEXT) | instid1(VALU_DEP_1)
	v_sub_f32_e32 v57, v57, v61
	v_sub_f32_e32 v57, v57, v60
	s_delay_alu instid0(VALU_DEP_1) | instskip(SKIP_1) | instid1(VALU_DEP_1)
	v_add_f32_e32 v5, v5, v57
	v_sub_f32_e32 v9, v60, v59
	v_sub_f32_e32 v9, v9, v55
	s_delay_alu instid0(VALU_DEP_1) | instskip(NEXT) | instid1(VALU_DEP_1)
	v_add_f32_e32 v5, v9, v5
	v_add_f32_e32 v9, v61, v5
	s_delay_alu instid0(VALU_DEP_1) | instskip(NEXT) | instid1(VALU_DEP_1)
	v_mul_f32_e32 v55, v8, v9
	v_dual_sub_f32 v60, v61, v9 :: v_dual_mul_f32 v57, v56, v55
	s_delay_alu instid0(VALU_DEP_1) | instskip(NEXT) | instid1(VALU_DEP_2)
	v_add_f32_e32 v5, v5, v60
	v_fma_f32 v56, v55, v56, -v57
	s_delay_alu instid0(VALU_DEP_1) | instskip(NEXT) | instid1(VALU_DEP_1)
	v_fmac_f32_e32 v56, v55, v54
	v_add_f32_e32 v54, v57, v56
	s_delay_alu instid0(VALU_DEP_1) | instskip(NEXT) | instid1(VALU_DEP_1)
	v_sub_f32_e32 v59, v9, v54
	v_sub_f32_e32 v9, v9, v59
	s_delay_alu instid0(VALU_DEP_1) | instskip(NEXT) | instid1(VALU_DEP_1)
	v_sub_f32_e32 v9, v9, v54
	v_add_f32_e32 v5, v5, v9
	v_add_f32_e32 v9, v58, v55
	v_sub_f32_e32 v57, v54, v57
	s_delay_alu instid0(VALU_DEP_1) | instskip(NEXT) | instid1(VALU_DEP_1)
	v_sub_f32_e32 v54, v57, v56
	v_dual_add_f32 v5, v54, v5 :: v_dual_sub_f32 v54, v9, v58
	s_delay_alu instid0(VALU_DEP_1) | instskip(NEXT) | instid1(VALU_DEP_1)
	v_add_f32_e32 v5, v59, v5
	v_dual_sub_f32 v54, v55, v54 :: v_dual_mul_f32 v5, v8, v5
	s_delay_alu instid0(VALU_DEP_1) | instskip(NEXT) | instid1(VALU_DEP_1)
	v_add_f32_e32 v5, v54, v5
	v_add_f32_e32 v8, v9, v5
	s_delay_alu instid0(VALU_DEP_1) | instskip(NEXT) | instid1(VALU_DEP_1)
	v_mul_f32_e32 v54, v8, v8
	v_fmaak_f32 v55, s66, v54, 0x3ecc95a3
	v_mul_f32_e32 v56, v8, v54
	s_delay_alu instid0(VALU_DEP_2) | instskip(SKIP_1) | instid1(VALU_DEP_2)
	v_fmaak_f32 v54, v54, v55, 0x3f2aaada
	v_ldexp_f32 v55, v8, 1
	v_mul_f32_e32 v54, v56, v54
	v_sub_f32_e32 v8, v8, v9
	s_delay_alu instid0(VALU_DEP_2) | instskip(NEXT) | instid1(VALU_DEP_2)
	v_dual_mul_f32 v56, 0x3f317218, v4 :: v_dual_add_f32 v9, v55, v54
	v_sub_f32_e32 v5, v5, v8
	s_delay_alu instid0(VALU_DEP_2) | instskip(NEXT) | instid1(VALU_DEP_3)
	v_sub_f32_e32 v8, v9, v55
	v_fma_f32 v55, 0x3f317218, v4, -v56
	s_delay_alu instid0(VALU_DEP_3) | instskip(NEXT) | instid1(VALU_DEP_3)
	v_ldexp_f32 v5, v5, 1
	v_sub_f32_e32 v8, v54, v8
	s_delay_alu instid0(VALU_DEP_3) | instskip(NEXT) | instid1(VALU_DEP_2)
	v_fmac_f32_e32 v55, 0xb102e308, v4
	v_add_f32_e32 v4, v5, v8
	s_delay_alu instid0(VALU_DEP_1) | instskip(NEXT) | instid1(VALU_DEP_1)
	v_add_f32_e32 v8, v9, v4
	v_sub_f32_e32 v9, v8, v9
	s_delay_alu instid0(VALU_DEP_1) | instskip(SKIP_1) | instid1(VALU_DEP_1)
	v_sub_f32_e32 v4, v4, v9
	v_add_f32_e32 v5, v56, v55
	v_add_f32_e32 v54, v5, v8
	s_delay_alu instid0(VALU_DEP_1) | instskip(NEXT) | instid1(VALU_DEP_1)
	v_dual_sub_f32 v56, v5, v56 :: v_dual_sub_f32 v57, v54, v5
	v_dual_sub_f32 v55, v55, v56 :: v_dual_sub_f32 v8, v8, v57
	v_sub_f32_e32 v58, v54, v57
	s_delay_alu instid0(VALU_DEP_1) | instskip(NEXT) | instid1(VALU_DEP_1)
	v_sub_f32_e32 v5, v5, v58
	v_add_f32_e32 v5, v8, v5
	s_delay_alu instid0(VALU_DEP_4) | instskip(NEXT) | instid1(VALU_DEP_1)
	v_add_f32_e32 v9, v55, v4
	v_add_f32_e32 v5, v9, v5
	s_delay_alu instid0(VALU_DEP_1) | instskip(SKIP_1) | instid1(VALU_DEP_1)
	v_add_f32_e32 v56, v54, v5
	v_sub_f32_e32 v8, v9, v55
	v_sub_f32_e32 v9, v9, v8
	;; [unrolled: 1-line block ×3, first 2 shown]
	s_delay_alu instid0(VALU_DEP_2) | instskip(NEXT) | instid1(VALU_DEP_1)
	v_dual_sub_f32 v8, v56, v54 :: v_dual_sub_f32 v9, v55, v9
	v_dual_sub_f32 v5, v5, v8 :: v_dual_add_f32 v4, v4, v9
	s_delay_alu instid0(VALU_DEP_1) | instskip(NEXT) | instid1(VALU_DEP_1)
	v_add_f32_e32 v4, v4, v5
	v_add_f32_e32 v4, v56, v4
	s_delay_alu instid0(VALU_DEP_1)
	v_cndmask_b32_e32 v54, v4, v6, vcc_lo
.LBB74_54:                              ;   in Loop: Header=BB74_12 Depth=1
	s_or_b32 exec_lo, exec_lo, s21
	v_cvt_f32_f16_e32 v4, v7
	s_delay_alu instid0(VALU_DEP_1) | instskip(NEXT) | instid1(VALU_DEP_1)
	v_add_f32_e32 v55, s52, v4
	v_cmp_ge_f32_e32 vcc_lo, 0x41a00000, v55
	s_and_b32 s20, s62, vcc_lo
	s_delay_alu instid0(SALU_CYCLE_1)
	s_and_saveexec_b32 s21, s20
	s_cbranch_execz .LBB74_56
; %bb.55:                               ;   in Loop: Header=BB74_12 Depth=1
	v_mul_f32_e32 v4, 0x3fb8aa3b, v55
	v_cmp_ngt_f32_e32 vcc_lo, 0xc2ce8ed0, v55
	s_delay_alu instid0(VALU_DEP_2) | instskip(SKIP_1) | instid1(VALU_DEP_2)
	v_rndne_f32_e32 v5, v4
	v_fma_f32 v6, 0x3fb8aa3b, v55, -v4
	v_sub_f32_e32 v4, v4, v5
	s_delay_alu instid0(VALU_DEP_2) | instskip(SKIP_1) | instid1(VALU_DEP_2)
	v_fmac_f32_e32 v6, 0x32a5705f, v55
	v_cvt_i32_f32_e32 v5, v5
	v_add_f32_e32 v4, v4, v6
	s_delay_alu instid0(VALU_DEP_1) | instskip(SKIP_2) | instid1(VALU_DEP_1)
	v_exp_f32_e32 v4, v4
	s_waitcnt_depctr 0xfff
	v_ldexp_f32 v4, v4, v5
	v_cndmask_b32_e32 v4, 0, v4, vcc_lo
	v_cmp_nlt_f32_e32 vcc_lo, 0x42b17218, v55
	s_delay_alu instid0(VALU_DEP_2) | instskip(NEXT) | instid1(VALU_DEP_1)
	v_cndmask_b32_e32 v6, 0x7f800000, v4, vcc_lo
	v_add_f32_e32 v8, 1.0, v6
	s_delay_alu instid0(VALU_DEP_1) | instskip(NEXT) | instid1(VALU_DEP_1)
	v_cvt_f64_f32_e32 v[4:5], v8
	v_frexp_exp_i32_f64_e32 v4, v[4:5]
	v_frexp_mant_f32_e32 v5, v8
	s_delay_alu instid0(VALU_DEP_1) | instskip(SKIP_1) | instid1(VALU_DEP_1)
	v_cmp_gt_f32_e32 vcc_lo, 0x3f2aaaab, v5
	v_add_f32_e32 v5, -1.0, v8
	v_sub_f32_e32 v55, v5, v8
	v_sub_f32_e32 v5, v6, v5
	s_delay_alu instid0(VALU_DEP_2) | instskip(NEXT) | instid1(VALU_DEP_1)
	v_add_f32_e32 v55, 1.0, v55
	v_add_f32_e32 v5, v5, v55
	v_cmp_gt_f32_e64 s20, 0x33800000, v6
	v_subrev_co_ci_u32_e32 v4, vcc_lo, 0, v4, vcc_lo
	v_cmp_eq_f32_e32 vcc_lo, 0x7f800000, v6
	s_delay_alu instid0(VALU_DEP_2) | instskip(SKIP_2) | instid1(VALU_DEP_2)
	v_sub_nc_u32_e32 v9, 0, v4
	v_cvt_f32_i32_e32 v4, v4
	s_or_b32 vcc_lo, s20, vcc_lo
	v_ldexp_f32 v8, v8, v9
	v_ldexp_f32 v5, v5, v9
	s_delay_alu instid0(VALU_DEP_2) | instskip(SKIP_1) | instid1(VALU_DEP_2)
	v_add_f32_e32 v56, 1.0, v8
	v_add_f32_e32 v9, -1.0, v8
	v_add_f32_e32 v55, -1.0, v56
	s_delay_alu instid0(VALU_DEP_2) | instskip(NEXT) | instid1(VALU_DEP_2)
	v_add_f32_e32 v57, 1.0, v9
	v_sub_f32_e32 v55, v8, v55
	s_delay_alu instid0(VALU_DEP_1) | instskip(NEXT) | instid1(VALU_DEP_1)
	v_dual_sub_f32 v8, v8, v57 :: v_dual_add_f32 v55, v5, v55
	v_add_f32_e32 v5, v5, v8
	s_delay_alu instid0(VALU_DEP_1) | instskip(NEXT) | instid1(VALU_DEP_1)
	v_dual_add_f32 v57, v56, v55 :: v_dual_add_f32 v58, v9, v5
	v_rcp_f32_e32 v8, v57
	s_delay_alu instid0(VALU_DEP_1) | instskip(NEXT) | instid1(VALU_DEP_1)
	v_dual_sub_f32 v56, v56, v57 :: v_dual_sub_f32 v9, v9, v58
	v_add_f32_e32 v55, v55, v56
	s_waitcnt_depctr 0xfff
	v_mul_f32_e32 v59, v58, v8
	s_delay_alu instid0(VALU_DEP_1) | instskip(NEXT) | instid1(VALU_DEP_1)
	v_mul_f32_e32 v60, v57, v59
	v_fma_f32 v56, v59, v57, -v60
	s_delay_alu instid0(VALU_DEP_1) | instskip(NEXT) | instid1(VALU_DEP_1)
	v_dual_fmac_f32 v56, v59, v55 :: v_dual_add_f32 v5, v5, v9
	v_add_f32_e32 v61, v60, v56
	s_delay_alu instid0(VALU_DEP_1) | instskip(NEXT) | instid1(VALU_DEP_1)
	v_sub_f32_e32 v62, v58, v61
	v_dual_sub_f32 v58, v58, v62 :: v_dual_sub_f32 v9, v61, v60
	s_delay_alu instid0(VALU_DEP_1) | instskip(NEXT) | instid1(VALU_DEP_1)
	v_dual_sub_f32 v58, v58, v61 :: v_dual_sub_f32 v9, v9, v56
	v_add_f32_e32 v5, v5, v58
	s_delay_alu instid0(VALU_DEP_1) | instskip(NEXT) | instid1(VALU_DEP_1)
	v_add_f32_e32 v5, v9, v5
	v_add_f32_e32 v9, v62, v5
	s_delay_alu instid0(VALU_DEP_1) | instskip(NEXT) | instid1(VALU_DEP_1)
	v_mul_f32_e32 v56, v8, v9
	v_dual_mul_f32 v58, v57, v56 :: v_dual_sub_f32 v61, v62, v9
	s_delay_alu instid0(VALU_DEP_1) | instskip(NEXT) | instid1(VALU_DEP_2)
	v_fma_f32 v57, v56, v57, -v58
	v_add_f32_e32 v5, v5, v61
	s_delay_alu instid0(VALU_DEP_2) | instskip(NEXT) | instid1(VALU_DEP_1)
	v_fmac_f32_e32 v57, v56, v55
	v_add_f32_e32 v55, v58, v57
	s_delay_alu instid0(VALU_DEP_1) | instskip(NEXT) | instid1(VALU_DEP_1)
	v_sub_f32_e32 v60, v9, v55
	v_dual_sub_f32 v58, v55, v58 :: v_dual_sub_f32 v9, v9, v60
	s_delay_alu instid0(VALU_DEP_1) | instskip(NEXT) | instid1(VALU_DEP_2)
	v_sub_f32_e32 v9, v9, v55
	v_sub_f32_e32 v55, v58, v57
	s_delay_alu instid0(VALU_DEP_2) | instskip(SKIP_1) | instid1(VALU_DEP_2)
	v_add_f32_e32 v5, v5, v9
	v_add_f32_e32 v9, v59, v56
	;; [unrolled: 1-line block ×3, first 2 shown]
	s_delay_alu instid0(VALU_DEP_2) | instskip(NEXT) | instid1(VALU_DEP_2)
	v_sub_f32_e32 v55, v9, v59
	v_add_f32_e32 v5, v60, v5
	s_delay_alu instid0(VALU_DEP_2) | instskip(NEXT) | instid1(VALU_DEP_2)
	v_sub_f32_e32 v55, v56, v55
	v_mul_f32_e32 v5, v8, v5
	s_delay_alu instid0(VALU_DEP_1) | instskip(NEXT) | instid1(VALU_DEP_1)
	v_add_f32_e32 v5, v55, v5
	v_add_f32_e32 v8, v9, v5
	s_delay_alu instid0(VALU_DEP_1) | instskip(NEXT) | instid1(VALU_DEP_1)
	v_mul_f32_e32 v55, v8, v8
	v_fmaak_f32 v56, s66, v55, 0x3ecc95a3
	v_mul_f32_e32 v57, v8, v55
	s_delay_alu instid0(VALU_DEP_2) | instskip(SKIP_1) | instid1(VALU_DEP_2)
	v_fmaak_f32 v55, v55, v56, 0x3f2aaada
	v_ldexp_f32 v56, v8, 1
	v_dual_sub_f32 v8, v8, v9 :: v_dual_mul_f32 v55, v57, v55
	v_mul_f32_e32 v57, 0x3f317218, v4
	s_delay_alu instid0(VALU_DEP_2) | instskip(NEXT) | instid1(VALU_DEP_3)
	v_sub_f32_e32 v5, v5, v8
	v_add_f32_e32 v9, v56, v55
	s_delay_alu instid0(VALU_DEP_2) | instskip(NEXT) | instid1(VALU_DEP_2)
	v_ldexp_f32 v5, v5, 1
	v_sub_f32_e32 v8, v9, v56
	v_fma_f32 v56, 0x3f317218, v4, -v57
	s_delay_alu instid0(VALU_DEP_2) | instskip(NEXT) | instid1(VALU_DEP_2)
	v_sub_f32_e32 v8, v55, v8
	v_fmac_f32_e32 v56, 0xb102e308, v4
	s_delay_alu instid0(VALU_DEP_2) | instskip(NEXT) | instid1(VALU_DEP_2)
	v_add_f32_e32 v4, v5, v8
	v_add_f32_e32 v5, v57, v56
	s_delay_alu instid0(VALU_DEP_2) | instskip(NEXT) | instid1(VALU_DEP_2)
	v_add_f32_e32 v8, v9, v4
	v_sub_f32_e32 v57, v5, v57
	s_delay_alu instid0(VALU_DEP_2) | instskip(SKIP_1) | instid1(VALU_DEP_3)
	v_add_f32_e32 v55, v5, v8
	v_sub_f32_e32 v9, v8, v9
	v_sub_f32_e32 v56, v56, v57
	s_delay_alu instid0(VALU_DEP_3) | instskip(NEXT) | instid1(VALU_DEP_1)
	v_sub_f32_e32 v58, v55, v5
	v_dual_sub_f32 v4, v4, v9 :: v_dual_sub_f32 v59, v55, v58
	v_sub_f32_e32 v8, v8, v58
	s_delay_alu instid0(VALU_DEP_2) | instskip(NEXT) | instid1(VALU_DEP_3)
	v_add_f32_e32 v9, v56, v4
	v_sub_f32_e32 v5, v5, v59
	s_delay_alu instid0(VALU_DEP_1) | instskip(NEXT) | instid1(VALU_DEP_1)
	v_dual_add_f32 v5, v8, v5 :: v_dual_sub_f32 v8, v9, v56
	v_add_f32_e32 v5, v9, v5
	s_delay_alu instid0(VALU_DEP_2) | instskip(NEXT) | instid1(VALU_DEP_2)
	v_sub_f32_e32 v9, v9, v8
	v_dual_sub_f32 v4, v4, v8 :: v_dual_add_f32 v57, v55, v5
	s_delay_alu instid0(VALU_DEP_1) | instskip(NEXT) | instid1(VALU_DEP_1)
	v_dual_sub_f32 v9, v56, v9 :: v_dual_sub_f32 v8, v57, v55
	v_dual_add_f32 v4, v4, v9 :: v_dual_sub_f32 v5, v5, v8
	s_delay_alu instid0(VALU_DEP_1) | instskip(NEXT) | instid1(VALU_DEP_1)
	v_add_f32_e32 v4, v4, v5
	v_add_f32_e32 v4, v57, v4
	s_delay_alu instid0(VALU_DEP_1)
	v_cndmask_b32_e32 v55, v4, v6, vcc_lo
.LBB74_56:                              ;   in Loop: Header=BB74_12 Depth=1
	s_or_b32 exec_lo, exec_lo, s21
	v_lshrrev_b32_e32 v4, 16, v7
	s_delay_alu instid0(VALU_DEP_1) | instskip(NEXT) | instid1(VALU_DEP_1)
	v_cvt_f32_f16_e32 v4, v4
	v_add_f32_e32 v56, s52, v4
	s_delay_alu instid0(VALU_DEP_1) | instskip(SKIP_1) | instid1(SALU_CYCLE_1)
	v_cmp_ge_f32_e32 vcc_lo, 0x41a00000, v56
	s_and_b32 s20, s62, vcc_lo
	s_and_saveexec_b32 s21, s20
	s_cbranch_execz .LBB74_58
; %bb.57:                               ;   in Loop: Header=BB74_12 Depth=1
	v_mul_f32_e32 v4, 0x3fb8aa3b, v56
	v_cmp_ngt_f32_e32 vcc_lo, 0xc2ce8ed0, v56
	s_delay_alu instid0(VALU_DEP_2) | instskip(SKIP_1) | instid1(VALU_DEP_2)
	v_rndne_f32_e32 v5, v4
	v_fma_f32 v6, 0x3fb8aa3b, v56, -v4
	v_sub_f32_e32 v4, v4, v5
	s_delay_alu instid0(VALU_DEP_2) | instskip(SKIP_1) | instid1(VALU_DEP_2)
	v_fmac_f32_e32 v6, 0x32a5705f, v56
	v_cvt_i32_f32_e32 v5, v5
	v_add_f32_e32 v4, v4, v6
	s_delay_alu instid0(VALU_DEP_1) | instskip(SKIP_2) | instid1(VALU_DEP_1)
	v_exp_f32_e32 v4, v4
	s_waitcnt_depctr 0xfff
	v_ldexp_f32 v4, v4, v5
	v_cndmask_b32_e32 v4, 0, v4, vcc_lo
	v_cmp_nlt_f32_e32 vcc_lo, 0x42b17218, v56
	s_delay_alu instid0(VALU_DEP_2) | instskip(NEXT) | instid1(VALU_DEP_1)
	v_cndmask_b32_e32 v6, 0x7f800000, v4, vcc_lo
	v_add_f32_e32 v7, 1.0, v6
	s_delay_alu instid0(VALU_DEP_1) | instskip(NEXT) | instid1(VALU_DEP_1)
	v_cvt_f64_f32_e32 v[4:5], v7
	v_frexp_exp_i32_f64_e32 v4, v[4:5]
	v_frexp_mant_f32_e32 v5, v7
	s_delay_alu instid0(VALU_DEP_1) | instskip(SKIP_1) | instid1(VALU_DEP_1)
	v_cmp_gt_f32_e32 vcc_lo, 0x3f2aaaab, v5
	v_add_f32_e32 v5, -1.0, v7
	v_sub_f32_e32 v9, v5, v7
	v_sub_f32_e32 v5, v6, v5
	s_delay_alu instid0(VALU_DEP_2) | instskip(NEXT) | instid1(VALU_DEP_1)
	v_add_f32_e32 v9, 1.0, v9
	v_add_f32_e32 v5, v5, v9
	v_cmp_gt_f32_e64 s20, 0x33800000, v6
	v_subrev_co_ci_u32_e32 v4, vcc_lo, 0, v4, vcc_lo
	v_cmp_eq_f32_e32 vcc_lo, 0x7f800000, v6
	s_delay_alu instid0(VALU_DEP_2) | instskip(SKIP_2) | instid1(VALU_DEP_2)
	v_sub_nc_u32_e32 v8, 0, v4
	v_cvt_f32_i32_e32 v4, v4
	s_or_b32 vcc_lo, s20, vcc_lo
	v_ldexp_f32 v7, v7, v8
	v_ldexp_f32 v5, v5, v8
	s_delay_alu instid0(VALU_DEP_2) | instskip(NEXT) | instid1(VALU_DEP_1)
	v_add_f32_e32 v56, 1.0, v7
	v_dual_add_f32 v8, -1.0, v7 :: v_dual_add_f32 v9, -1.0, v56
	s_delay_alu instid0(VALU_DEP_1) | instskip(NEXT) | instid1(VALU_DEP_2)
	v_add_f32_e32 v57, 1.0, v8
	v_sub_f32_e32 v9, v7, v9
	s_delay_alu instid0(VALU_DEP_2) | instskip(NEXT) | instid1(VALU_DEP_2)
	v_sub_f32_e32 v7, v7, v57
	v_add_f32_e32 v9, v5, v9
	s_delay_alu instid0(VALU_DEP_2) | instskip(NEXT) | instid1(VALU_DEP_1)
	v_add_f32_e32 v5, v5, v7
	v_add_f32_e32 v58, v8, v5
	s_delay_alu instid0(VALU_DEP_1) | instskip(NEXT) | instid1(VALU_DEP_4)
	v_sub_f32_e32 v8, v8, v58
	v_add_f32_e32 v57, v56, v9
	s_delay_alu instid0(VALU_DEP_1) | instskip(NEXT) | instid1(VALU_DEP_2)
	v_rcp_f32_e32 v7, v57
	v_dual_sub_f32 v56, v56, v57 :: v_dual_add_f32 v5, v5, v8
	s_delay_alu instid0(VALU_DEP_1) | instskip(SKIP_2) | instid1(VALU_DEP_1)
	v_add_f32_e32 v9, v9, v56
	s_waitcnt_depctr 0xfff
	v_mul_f32_e32 v59, v58, v7
	v_mul_f32_e32 v60, v57, v59
	s_delay_alu instid0(VALU_DEP_1) | instskip(NEXT) | instid1(VALU_DEP_1)
	v_fma_f32 v56, v59, v57, -v60
	v_fmac_f32_e32 v56, v59, v9
	s_delay_alu instid0(VALU_DEP_1) | instskip(NEXT) | instid1(VALU_DEP_1)
	v_add_f32_e32 v61, v60, v56
	v_sub_f32_e32 v62, v58, v61
	v_sub_f32_e32 v8, v61, v60
	s_delay_alu instid0(VALU_DEP_2) | instskip(NEXT) | instid1(VALU_DEP_1)
	v_sub_f32_e32 v58, v58, v62
	v_sub_f32_e32 v58, v58, v61
	s_delay_alu instid0(VALU_DEP_1) | instskip(NEXT) | instid1(VALU_DEP_1)
	v_dual_sub_f32 v8, v8, v56 :: v_dual_add_f32 v5, v5, v58
	v_add_f32_e32 v5, v8, v5
	s_delay_alu instid0(VALU_DEP_1) | instskip(NEXT) | instid1(VALU_DEP_1)
	v_add_f32_e32 v8, v62, v5
	v_mul_f32_e32 v56, v7, v8
	v_sub_f32_e32 v61, v62, v8
	s_delay_alu instid0(VALU_DEP_2) | instskip(NEXT) | instid1(VALU_DEP_2)
	v_mul_f32_e32 v58, v57, v56
	v_add_f32_e32 v5, v5, v61
	s_delay_alu instid0(VALU_DEP_2) | instskip(NEXT) | instid1(VALU_DEP_1)
	v_fma_f32 v57, v56, v57, -v58
	v_fmac_f32_e32 v57, v56, v9
	s_delay_alu instid0(VALU_DEP_1) | instskip(NEXT) | instid1(VALU_DEP_1)
	v_add_f32_e32 v9, v58, v57
	v_sub_f32_e32 v60, v8, v9
	s_delay_alu instid0(VALU_DEP_1) | instskip(NEXT) | instid1(VALU_DEP_1)
	v_sub_f32_e32 v8, v8, v60
	v_sub_f32_e32 v8, v8, v9
	s_delay_alu instid0(VALU_DEP_1) | instskip(SKIP_2) | instid1(VALU_DEP_1)
	v_add_f32_e32 v5, v5, v8
	v_add_f32_e32 v8, v59, v56
	v_sub_f32_e32 v58, v9, v58
	v_sub_f32_e32 v9, v58, v57
	s_delay_alu instid0(VALU_DEP_1) | instskip(NEXT) | instid1(VALU_DEP_4)
	v_add_f32_e32 v5, v9, v5
	v_sub_f32_e32 v9, v8, v59
	s_delay_alu instid0(VALU_DEP_2) | instskip(NEXT) | instid1(VALU_DEP_2)
	v_add_f32_e32 v5, v60, v5
	v_sub_f32_e32 v9, v56, v9
	s_delay_alu instid0(VALU_DEP_2) | instskip(NEXT) | instid1(VALU_DEP_1)
	v_mul_f32_e32 v5, v7, v5
	v_add_f32_e32 v5, v9, v5
	s_delay_alu instid0(VALU_DEP_1) | instskip(NEXT) | instid1(VALU_DEP_1)
	v_add_f32_e32 v7, v8, v5
	v_mul_f32_e32 v9, v7, v7
	s_delay_alu instid0(VALU_DEP_1) | instskip(SKIP_1) | instid1(VALU_DEP_2)
	v_fmaak_f32 v56, s66, v9, 0x3ecc95a3
	v_mul_f32_e32 v57, v7, v9
	v_fmaak_f32 v9, v9, v56, 0x3f2aaada
	v_ldexp_f32 v56, v7, 1
	v_sub_f32_e32 v7, v7, v8
	s_delay_alu instid0(VALU_DEP_3) | instskip(SKIP_1) | instid1(VALU_DEP_2)
	v_mul_f32_e32 v9, v57, v9
	v_mul_f32_e32 v57, 0x3f317218, v4
	v_dual_sub_f32 v5, v5, v7 :: v_dual_add_f32 v8, v56, v9
	s_delay_alu instid0(VALU_DEP_1) | instskip(NEXT) | instid1(VALU_DEP_2)
	v_ldexp_f32 v5, v5, 1
	v_sub_f32_e32 v7, v8, v56
	s_delay_alu instid0(VALU_DEP_4) | instskip(NEXT) | instid1(VALU_DEP_1)
	v_fma_f32 v56, 0x3f317218, v4, -v57
	v_dual_sub_f32 v7, v9, v7 :: v_dual_fmac_f32 v56, 0xb102e308, v4
	s_delay_alu instid0(VALU_DEP_1) | instskip(NEXT) | instid1(VALU_DEP_1)
	v_add_f32_e32 v4, v5, v7
	v_add_f32_e32 v7, v8, v4
	s_delay_alu instid0(VALU_DEP_1) | instskip(NEXT) | instid1(VALU_DEP_1)
	v_sub_f32_e32 v8, v7, v8
	v_sub_f32_e32 v4, v4, v8
	v_add_f32_e32 v5, v57, v56
	s_delay_alu instid0(VALU_DEP_1) | instskip(SKIP_1) | instid1(VALU_DEP_2)
	v_add_f32_e32 v9, v5, v7
	v_sub_f32_e32 v57, v5, v57
	v_sub_f32_e32 v58, v9, v5
	s_delay_alu instid0(VALU_DEP_1) | instskip(NEXT) | instid1(VALU_DEP_1)
	v_dual_sub_f32 v56, v56, v57 :: v_dual_sub_f32 v59, v9, v58
	v_dual_sub_f32 v7, v7, v58 :: v_dual_add_f32 v8, v56, v4
	s_delay_alu instid0(VALU_DEP_2) | instskip(NEXT) | instid1(VALU_DEP_1)
	v_sub_f32_e32 v5, v5, v59
	v_add_f32_e32 v5, v7, v5
	s_delay_alu instid0(VALU_DEP_3) | instskip(NEXT) | instid1(VALU_DEP_2)
	v_sub_f32_e32 v7, v8, v56
	v_add_f32_e32 v5, v8, v5
	s_delay_alu instid0(VALU_DEP_2) | instskip(NEXT) | instid1(VALU_DEP_2)
	v_sub_f32_e32 v8, v8, v7
	v_dual_sub_f32 v4, v4, v7 :: v_dual_add_f32 v57, v9, v5
	s_delay_alu instid0(VALU_DEP_1) | instskip(NEXT) | instid1(VALU_DEP_1)
	v_dual_sub_f32 v8, v56, v8 :: v_dual_sub_f32 v7, v57, v9
	v_dual_add_f32 v4, v4, v8 :: v_dual_sub_f32 v5, v5, v7
	s_delay_alu instid0(VALU_DEP_1) | instskip(NEXT) | instid1(VALU_DEP_1)
	v_add_f32_e32 v4, v4, v5
	v_add_f32_e32 v4, v57, v4
	s_delay_alu instid0(VALU_DEP_1)
	v_cndmask_b32_e32 v56, v4, v6, vcc_lo
.LBB74_58:                              ;   in Loop: Header=BB74_12 Depth=1
	s_or_b32 exec_lo, exec_lo, s21
	v_lshrrev_b32_e32 v5, 16, v2
	v_lshrrev_b32_e32 v6, 16, v3
	;; [unrolled: 1-line block ×4, first 2 shown]
	v_cvt_f32_f16_e32 v4, v3
	v_cvt_f32_f16_e32 v2, v2
	v_cvt_f32_f16_e32 v3, v5
	v_cvt_f32_f16_e32 v7, v6
	v_cvt_f32_f16_e32 v5, v8
	v_cvt_f32_f16_e32 v1, v1
	v_cvt_f32_f16_e32 v6, v9
	v_cvt_f32_f16_e32 v0, v0
	v_dual_mul_f32 v57, s53, v4 :: v_dual_mul_f32 v58, s53, v3
	v_mul_f32_e32 v61, s53, v2
	s_delay_alu instid0(VALU_DEP_4)
	v_dual_mul_f32 v59, s53, v5 :: v_dual_mul_f32 v60, s53, v6
	v_dual_mul_f32 v63, s53, v1 :: v_dual_mul_f32 v62, s53, v7
	v_mul_f32_e32 v64, s53, v0
	s_and_b32 vcc_lo, exec_lo, s63
	s_barrier
	buffer_gl0_inv
	s_cbranch_vccz .LBB74_122
; %bb.59:                               ;   in Loop: Header=BB74_12 Depth=1
	v_dual_mul_f32 v65, v56, v7 :: v_dual_mul_f32 v70, v55, v4
	v_add_co_u32 v7, s20, s41, v47
	s_delay_alu instid0(VALU_DEP_1) | instskip(SKIP_1) | instid1(VALU_DEP_1)
	v_add_co_ci_u32_e64 v8, null, s51, 0, s20
	v_add_co_u32 v9, s20, s45, v47
	v_add_co_ci_u32_e64 v69, null, s48, 0, s20
	s_delay_alu instid0(VALU_DEP_4) | instskip(NEXT) | instid1(VALU_DEP_4)
	v_add_co_u32 v66, vcc_lo, v7, v48
	v_add_co_ci_u32_e32 v67, vcc_lo, 0, v8, vcc_lo
	s_delay_alu instid0(VALU_DEP_4) | instskip(NEXT) | instid1(VALU_DEP_4)
	v_add_co_u32 v68, vcc_lo, v9, v48
	v_add_co_ci_u32_e32 v69, vcc_lo, 0, v69, vcc_lo
	v_cmp_gt_u32_e32 vcc_lo, s23, v10
	s_cmp_lg_u32 s68, 0
	v_cmp_gt_u32_e64 s21, s23, v40
	s_cselect_b32 s31, -1, 0
	s_cmp_eq_u32 s68, s65
	v_cmp_gt_u32_e64 s22, s23, v41
	s_cselect_b32 s69, -1, 0
	s_or_b32 s20, s64, vcc_lo
	v_cmp_gt_u32_e32 vcc_lo, s23, v42
	v_cmp_gt_u32_e64 s24, s23, v43
	v_cmp_gt_u32_e64 s25, s23, v44
	;; [unrolled: 1-line block ×4, first 2 shown]
	v_dual_mul_f32 v71, v54, v3 :: v_dual_mul_f32 v72, v53, v2
	v_dual_mul_f32 v73, v52, v5 :: v_dual_mul_f32 v76, v49, v0
	;; [unrolled: 1-line block ×3, first 2 shown]
	s_mov_b32 s34, 0
	s_or_b32 s21, s64, s21
	s_or_b32 s22, s64, s22
	s_or_b32 s23, s64, vcc_lo
	s_or_b32 s24, s64, s24
	s_or_b32 s25, s64, s25
	;; [unrolled: 1-line block ×4, first 2 shown]
	s_mov_b32 s38, s34
	s_mov_b32 s42, s34
	;; [unrolled: 1-line block ×5, first 2 shown]
	s_branch .LBB74_61
.LBB74_60:                              ;   in Loop: Header=BB74_61 Depth=2
	s_or_b32 exec_lo, exec_lo, s28
	v_cndmask_b32_e64 v5, v94, v7, s11
	v_cndmask_b32_e64 v6, v93, v6, s11
	s_add_i32 s70, s70, -1
	s_add_i32 s71, s71, 8
	s_add_i32 s46, s46, s50
	v_fma_f32 v5, v5, v80, v78
	v_mul_f32_e32 v6, v6, v80
	s_add_i32 s42, s42, s44
	s_add_i32 s38, s38, s40
	s_add_i32 s34, s34, s37
	v_cndmask_b32_e64 v5, v5, v78, s10
	v_cndmask_b32_e64 v6, v6, v80, s10
	s_cmp_eq_u32 s70, 0
	s_waitcnt lgkmcnt(0)
	s_delay_alu instid0(VALU_DEP_1) | instskip(NEXT) | instid1(VALU_DEP_1)
	v_fmac_f32_e32 v5, v4, v6
	v_fmac_f32_e32 v77, v5, v82
	v_fma_mix_f32 v64, v5, v0, v64 op_sel_hi:[0,1,0]
	s_delay_alu instid0(VALU_DEP_2) | instskip(SKIP_1) | instid1(VALU_DEP_2)
	v_fmac_f32_e32 v79, v77, v84
	v_fma_mix_f32 v60, v77, v0, v60 op_sel:[0,1,0] op_sel_hi:[0,1,0]
	v_fmac_f32_e32 v81, v79, v86
	v_fma_mix_f32 v63, v79, v1, v63 op_sel_hi:[0,1,0]
	s_delay_alu instid0(VALU_DEP_2) | instskip(SKIP_1) | instid1(VALU_DEP_2)
	v_fmac_f32_e32 v83, v81, v87
	v_fma_mix_f32 v59, v81, v1, v59 op_sel:[0,1,0] op_sel_hi:[0,1,0]
	;; [unrolled: 5-line block ×3, first 2 shown]
	v_fmac_f32_e32 v89, v88, v91
	v_fma_mix_f32 v57, v88, v3, v57 op_sel_hi:[0,1,0]
	s_delay_alu instid0(VALU_DEP_2)
	v_fma_mix_f32 v62, v89, v3, v62 op_sel:[0,1,0] op_sel_hi:[0,1,0]
	s_cbranch_scc1 .LBB74_122
.LBB74_61:                              ;   Parent Loop BB74_12 Depth=1
                                        ; =>  This Inner Loop Header: Depth=2
	s_lshl_b64 s[72:73], s[34:35], 2
	s_mov_b32 s39, s35
	s_add_u32 s72, s57, s72
	s_addc_u32 s73, s58, s73
	v_dual_mov_b32 v2, 0 :: v_dual_mov_b32 v3, 0
	global_load_b32 v77, v13, s[72:73]
	s_lshl_b64 s[72:73], s[38:39], 1
	s_delay_alu instid0(SALU_CYCLE_1)
	v_add_co_u32 v0, vcc_lo, v66, s72
	v_add_co_ci_u32_e32 v1, vcc_lo, s73, v67, vcc_lo
	s_and_saveexec_b32 s28, s12
	s_cbranch_execnz .LBB74_81
; %bb.62:                               ;   in Loop: Header=BB74_61 Depth=2
	s_or_b32 exec_lo, exec_lo, s28
	s_and_saveexec_b32 s28, s13
	s_cbranch_execnz .LBB74_82
.LBB74_63:                              ;   in Loop: Header=BB74_61 Depth=2
	s_or_b32 exec_lo, exec_lo, s28
	v_mov_b32_e32 v4, 0
	s_and_saveexec_b32 s28, s14
	s_cbranch_execnz .LBB74_83
.LBB74_64:                              ;   in Loop: Header=BB74_61 Depth=2
	s_or_b32 exec_lo, exec_lo, s28
	s_and_saveexec_b32 s28, s15
	s_cbranch_execnz .LBB74_84
.LBB74_65:                              ;   in Loop: Header=BB74_61 Depth=2
	s_or_b32 exec_lo, exec_lo, s28
	v_mov_b32_e32 v5, 0
	s_and_saveexec_b32 s28, s16
	s_cbranch_execnz .LBB74_85
.LBB74_66:                              ;   in Loop: Header=BB74_61 Depth=2
	s_or_b32 exec_lo, exec_lo, s28
	s_and_saveexec_b32 s28, s17
	s_cbranch_execnz .LBB74_86
.LBB74_67:                              ;   in Loop: Header=BB74_61 Depth=2
	s_or_b32 exec_lo, exec_lo, s28
	v_mov_b32_e32 v6, 0
	s_and_saveexec_b32 s28, s18
	s_cbranch_execnz .LBB74_87
.LBB74_68:                              ;   in Loop: Header=BB74_61 Depth=2
	s_or_b32 exec_lo, exec_lo, s28
	s_and_saveexec_b32 s28, s19
	s_cbranch_execz .LBB74_70
.LBB74_69:                              ;   in Loop: Header=BB74_61 Depth=2
	global_load_u16 v0, v[0:1], off offset:448
	s_waitcnt vmcnt(0)
	v_lshl_or_b32 v6, v0, 16, v6
.LBB74_70:                              ;   in Loop: Header=BB74_61 Depth=2
	s_or_b32 exec_lo, exec_lo, s28
	s_waitcnt vmcnt(0)
	ds_store_b16 v20, v3
	ds_store_b16 v20, v2 offset:64
	ds_store_b16 v21, v4 offset:128
	ds_store_b16_d16_hi v22, v4 offset:192
	ds_store_b16 v23, v5 offset:256
	ds_store_b16_d16_hi v24, v5 offset:320
	;; [unrolled: 2-line block ×3, first 2 shown]
	; wave barrier
	ds_load_b128 v[4:7], v27
	s_mov_b32 s43, s35
	v_dual_mov_b32 v2, 0 :: v_dual_mov_b32 v3, 0
	s_lshl_b64 s[72:73], s[42:43], 1
	s_delay_alu instid0(SALU_CYCLE_1)
	v_add_co_u32 v0, vcc_lo, v68, s72
	v_add_co_ci_u32_e32 v1, vcc_lo, s73, v69, vcc_lo
	s_and_saveexec_b32 s28, s12
	s_cbranch_execnz .LBB74_88
; %bb.71:                               ;   in Loop: Header=BB74_61 Depth=2
	s_or_b32 exec_lo, exec_lo, s28
	s_and_saveexec_b32 s28, s13
	s_cbranch_execnz .LBB74_89
.LBB74_72:                              ;   in Loop: Header=BB74_61 Depth=2
	s_or_b32 exec_lo, exec_lo, s28
	v_mov_b32_e32 v8, 0
	s_and_saveexec_b32 s28, s14
	s_cbranch_execnz .LBB74_90
.LBB74_73:                              ;   in Loop: Header=BB74_61 Depth=2
	s_or_b32 exec_lo, exec_lo, s28
	s_and_saveexec_b32 s28, s15
	s_cbranch_execnz .LBB74_91
.LBB74_74:                              ;   in Loop: Header=BB74_61 Depth=2
	s_or_b32 exec_lo, exec_lo, s28
	v_mov_b32_e32 v9, 0
	s_and_saveexec_b32 s28, s16
	s_cbranch_execnz .LBB74_92
.LBB74_75:                              ;   in Loop: Header=BB74_61 Depth=2
	s_or_b32 exec_lo, exec_lo, s28
	s_and_saveexec_b32 s28, s17
	s_cbranch_execnz .LBB74_93
.LBB74_76:                              ;   in Loop: Header=BB74_61 Depth=2
	s_or_b32 exec_lo, exec_lo, s28
	v_mov_b32_e32 v78, 0
	s_and_saveexec_b32 s28, s18
	s_cbranch_execnz .LBB74_94
.LBB74_77:                              ;   in Loop: Header=BB74_61 Depth=2
	s_or_b32 exec_lo, exec_lo, s28
	s_and_saveexec_b32 s28, s19
	s_cbranch_execz .LBB74_79
.LBB74_78:                              ;   in Loop: Header=BB74_61 Depth=2
	global_load_u16 v0, v[0:1], off offset:448
	s_waitcnt vmcnt(0)
	v_lshl_or_b32 v78, v0, 16, v78
.LBB74_79:                              ;   in Loop: Header=BB74_61 Depth=2
	s_or_b32 exec_lo, exec_lo, s28
	s_waitcnt vmcnt(0)
	ds_store_b16 v20, v3 offset:1056
	ds_store_b16 v28, v2 offset:64
	ds_store_b16 v29, v8 offset:128
	ds_store_b16_d16_hi v30, v8 offset:192
	ds_store_b16 v31, v9 offset:256
	ds_store_b16_d16_hi v32, v9 offset:320
	ds_store_b16 v33, v78 offset:384
	ds_store_b16_d16_hi v34, v78 offset:448
	; wave barrier
	ds_load_b128 v[0:3], v27 offset:1056
	s_and_not1_b32 vcc_lo, exec_lo, s31
	s_cbranch_vccnz .LBB74_95
; %bb.80:                               ;   in Loop: Header=BB74_61 Depth=2
	v_mov_b32_e32 v8, s71
	ds_load_b64 v[8:9], v8
	s_cbranch_execz .LBB74_96
	s_branch .LBB74_99
.LBB74_81:                              ;   in Loop: Header=BB74_61 Depth=2
	global_load_u16 v3, v[0:1], off
	s_or_b32 exec_lo, exec_lo, s28
	s_and_saveexec_b32 s28, s13
	s_cbranch_execz .LBB74_63
.LBB74_82:                              ;   in Loop: Header=BB74_61 Depth=2
	global_load_u16 v2, v[0:1], off offset:64
	s_or_b32 exec_lo, exec_lo, s28
	v_mov_b32_e32 v4, 0
	s_and_saveexec_b32 s28, s14
	s_cbranch_execz .LBB74_64
.LBB74_83:                              ;   in Loop: Header=BB74_61 Depth=2
	global_load_u16 v4, v[0:1], off offset:128
	s_or_b32 exec_lo, exec_lo, s28
	s_and_saveexec_b32 s28, s15
	s_cbranch_execz .LBB74_65
.LBB74_84:                              ;   in Loop: Header=BB74_61 Depth=2
	global_load_u16 v5, v[0:1], off offset:192
	s_waitcnt vmcnt(0)
	v_lshl_or_b32 v4, v5, 16, v4
	s_or_b32 exec_lo, exec_lo, s28
	v_mov_b32_e32 v5, 0
	s_and_saveexec_b32 s28, s16
	s_cbranch_execz .LBB74_66
.LBB74_85:                              ;   in Loop: Header=BB74_61 Depth=2
	global_load_u16 v5, v[0:1], off offset:256
	s_or_b32 exec_lo, exec_lo, s28
	s_and_saveexec_b32 s28, s17
	s_cbranch_execz .LBB74_67
.LBB74_86:                              ;   in Loop: Header=BB74_61 Depth=2
	global_load_u16 v6, v[0:1], off offset:320
	s_waitcnt vmcnt(0)
	v_lshl_or_b32 v5, v6, 16, v5
	s_or_b32 exec_lo, exec_lo, s28
	v_mov_b32_e32 v6, 0
	s_and_saveexec_b32 s28, s18
	s_cbranch_execz .LBB74_68
.LBB74_87:                              ;   in Loop: Header=BB74_61 Depth=2
	global_load_u16 v6, v[0:1], off offset:384
	s_or_b32 exec_lo, exec_lo, s28
	s_and_saveexec_b32 s28, s19
	s_cbranch_execnz .LBB74_69
	s_branch .LBB74_70
.LBB74_88:                              ;   in Loop: Header=BB74_61 Depth=2
	global_load_u16 v3, v[0:1], off
	s_or_b32 exec_lo, exec_lo, s28
	s_and_saveexec_b32 s28, s13
	s_cbranch_execz .LBB74_72
.LBB74_89:                              ;   in Loop: Header=BB74_61 Depth=2
	global_load_u16 v2, v[0:1], off offset:64
	s_or_b32 exec_lo, exec_lo, s28
	v_mov_b32_e32 v8, 0
	s_and_saveexec_b32 s28, s14
	s_cbranch_execz .LBB74_73
.LBB74_90:                              ;   in Loop: Header=BB74_61 Depth=2
	global_load_u16 v8, v[0:1], off offset:128
	s_or_b32 exec_lo, exec_lo, s28
	s_and_saveexec_b32 s28, s15
	s_cbranch_execz .LBB74_74
.LBB74_91:                              ;   in Loop: Header=BB74_61 Depth=2
	global_load_u16 v9, v[0:1], off offset:192
	s_waitcnt vmcnt(0)
	v_lshl_or_b32 v8, v9, 16, v8
	s_or_b32 exec_lo, exec_lo, s28
	v_mov_b32_e32 v9, 0
	s_and_saveexec_b32 s28, s16
	s_cbranch_execz .LBB74_75
.LBB74_92:                              ;   in Loop: Header=BB74_61 Depth=2
	global_load_u16 v9, v[0:1], off offset:256
	s_or_b32 exec_lo, exec_lo, s28
	s_and_saveexec_b32 s28, s17
	s_cbranch_execz .LBB74_76
.LBB74_93:                              ;   in Loop: Header=BB74_61 Depth=2
	global_load_u16 v78, v[0:1], off offset:320
	s_waitcnt vmcnt(0)
	v_lshl_or_b32 v9, v78, 16, v9
	s_or_b32 exec_lo, exec_lo, s28
	v_mov_b32_e32 v78, 0
	s_and_saveexec_b32 s28, s18
	s_cbranch_execz .LBB74_77
.LBB74_94:                              ;   in Loop: Header=BB74_61 Depth=2
	global_load_u16 v78, v[0:1], off offset:384
	s_or_b32 exec_lo, exec_lo, s28
	s_and_saveexec_b32 s28, s19
	s_cbranch_execnz .LBB74_78
	s_branch .LBB74_79
.LBB74_95:                              ;   in Loop: Header=BB74_61 Depth=2
                                        ; implicit-def: $vgpr8
.LBB74_96:                              ;   in Loop: Header=BB74_61 Depth=2
	s_waitcnt lgkmcnt(0)
	v_mov_b32_e32 v9, 0
	s_and_not1_b32 vcc_lo, exec_lo, s33
	s_cbranch_vccnz .LBB74_98
; %bb.97:                               ;   in Loop: Header=BB74_61 Depth=2
	s_mov_b32 s47, s35
	s_delay_alu instid0(SALU_CYCLE_1) | instskip(NEXT) | instid1(SALU_CYCLE_1)
	s_lshl_b64 s[72:73], s[46:47], 1
	s_add_u32 s72, s59, s72
	s_addc_u32 s73, s60, s73
	global_load_u16 v8, v13, s[72:73]
	s_waitcnt vmcnt(0)
	v_cvt_f32_f16_e32 v9, v8
.LBB74_98:                              ;   in Loop: Header=BB74_61 Depth=2
	v_mov_b32_e32 v8, 1.0
.LBB74_99:                              ;   in Loop: Header=BB74_61 Depth=2
	s_waitcnt lgkmcnt(9)
	v_lshrrev_b32_e32 v78, 16, v5
	v_lshrrev_b32_e32 v81, 16, v7
	v_cvt_f32_f16_e32 v7, v7
	v_lshrrev_b32_e32 v79, 16, v6
	v_cvt_f32_f16_e32 v5, v5
	v_cvt_f32_f16_e32 v83, v78
	v_mul_f32_e32 v88, 0x3fb8aa3b, v77
	v_cvt_f32_f16_e32 v89, v81
	v_lshrrev_b32_e32 v77, 16, v4
	v_cvt_f32_f16_e32 v4, v4
	s_delay_alu instid0(VALU_DEP_4)
	v_dual_mul_f32 v83, v73, v83 :: v_dual_mul_f32 v80, v88, v49
	v_mul_f32_e32 v7, v70, v7
	v_cvt_f32_f16_e32 v85, v79
	v_cvt_f32_f16_e32 v77, v77
	v_mul_f32_e32 v79, v88, v51
	v_cmp_gt_f32_e32 vcc_lo, 0xc2fc0000, v80
	v_mul_f32_e32 v4, v76, v4
	v_cvt_f32_f16_e32 v6, v6
	v_mul_f32_e32 v91, v88, v56
	v_mul_f32_e32 v5, v74, v5
	v_cndmask_b32_e64 v80, 0, 0x42800000, vcc_lo
	v_cndmask_b32_e64 v81, 1.0, 0x1f800000, vcc_lo
	v_dual_mul_f32 v6, v72, v6 :: v_dual_mul_f32 v85, v71, v85
	v_mul_f32_e32 v89, v65, v89
	s_delay_alu instid0(VALU_DEP_4) | instskip(NEXT) | instid1(VALU_DEP_3)
	v_fmac_f32_e32 v80, v88, v49
	v_cndmask_b32_e64 v85, 0, v85, s25
	s_delay_alu instid0(VALU_DEP_3) | instskip(NEXT) | instid1(VALU_DEP_3)
	v_cndmask_b32_e64 v89, 0, v89, s27
	v_exp_f32_e32 v78, v80
	s_waitcnt_depctr 0xfff
	v_dual_mul_f32 v82, v88, v50 :: v_dual_mul_f32 v81, v78, v81
	s_delay_alu instid0(VALU_DEP_1) | instskip(SKIP_3) | instid1(VALU_DEP_4)
	v_cmp_gt_f32_e64 s28, 0xc2fc0000, v82
	v_cndmask_b32_e64 v78, 0, v4, s20
	v_mul_f32_e32 v4, v75, v77
	v_cmp_gt_f32_e32 vcc_lo, 0xc2fc0000, v79
	v_cndmask_b32_e64 v82, 0, 0x42800000, s28
	v_cndmask_b32_e64 v84, 1.0, 0x1f800000, s28
	s_delay_alu instid0(VALU_DEP_4) | instskip(SKIP_1) | instid1(VALU_DEP_4)
	v_cndmask_b32_e64 v77, 0, v4, s21
	v_cndmask_b32_e64 v79, 0, 0x42800000, vcc_lo
	v_fmac_f32_e32 v82, v88, v50
	s_delay_alu instid0(VALU_DEP_1) | instskip(SKIP_1) | instid1(VALU_DEP_1)
	v_exp_f32_e32 v80, v82
	v_mul_f32_e32 v82, v88, v52
	v_cmp_gt_f32_e64 s28, 0xc2fc0000, v82
	s_waitcnt_depctr 0xfff
	v_mul_f32_e32 v84, v80, v84
	v_cndmask_b32_e64 v80, 1.0, v81, s20
	v_cndmask_b32_e64 v81, 0, 0x42800000, s28
	s_delay_alu instid0(VALU_DEP_3) | instskip(SKIP_1) | instid1(VALU_DEP_3)
	v_cndmask_b32_e64 v82, 1.0, v84, s21
	v_cndmask_b32_e64 v84, 1.0, 0x1f800000, vcc_lo
	v_fmac_f32_e32 v81, v88, v52
	s_delay_alu instid0(VALU_DEP_1) | instskip(SKIP_1) | instid1(VALU_DEP_1)
	v_exp_f32_e32 v81, v81
	v_fmac_f32_e32 v79, v88, v51
	v_exp_f32_e32 v4, v79
	v_mul_f32_e32 v79, v88, v53
	s_delay_alu instid0(VALU_DEP_1)
	v_cmp_gt_f32_e32 vcc_lo, 0xc2fc0000, v79
	v_cndmask_b32_e64 v79, 0, v5, s22
	v_cndmask_b32_e64 v5, 1.0, 0x1f800000, s28
	s_waitcnt_depctr 0xfff
	v_mul_f32_e32 v4, v4, v84
	v_cndmask_b32_e64 v86, 0, 0x42800000, vcc_lo
	s_delay_alu instid0(VALU_DEP_2) | instskip(SKIP_1) | instid1(VALU_DEP_3)
	v_cndmask_b32_e64 v84, 1.0, v4, s22
	v_mul_f32_e32 v87, v88, v54
	v_fmac_f32_e32 v86, v88, v53
	v_mul_f32_e32 v4, v81, v5
	v_cndmask_b32_e64 v5, 1.0, 0x1f800000, vcc_lo
	v_cndmask_b32_e64 v81, 0, v83, s23
	v_cmp_gt_f32_e64 s28, 0xc2fc0000, v87
	v_exp_f32_e32 v90, v86
	v_cndmask_b32_e64 v86, 1.0, v4, s23
	v_cndmask_b32_e64 v83, 0, v6, s24
	s_delay_alu instid0(VALU_DEP_3) | instskip(SKIP_3) | instid1(VALU_DEP_4)
	v_cndmask_b32_e64 v87, 0, 0x42800000, s28
	v_cndmask_b32_e64 v6, 1.0, 0x1f800000, s28
	v_cmp_gt_f32_e64 s28, 0xc2fc0000, v91
	v_fma_f32 v91, v82, v78, v77
	v_fmac_f32_e32 v87, v88, v54
	s_delay_alu instid0(TRANS32_DEP_1) | instskip(NEXT) | instid1(VALU_DEP_2)
	v_mul_f32_e32 v5, v90, v5
	v_exp_f32_e32 v4, v87
	v_mul_f32_e32 v87, v88, v55
	s_delay_alu instid0(VALU_DEP_1) | instskip(NEXT) | instid1(VALU_DEP_3)
	v_cmp_gt_f32_e32 vcc_lo, 0xc2fc0000, v87
	v_cndmask_b32_e64 v87, 1.0, v5, s24
	v_cndmask_b32_e64 v5, 0, 0x42800000, s28
	s_waitcnt_depctr 0xfff
	v_mul_f32_e32 v4, v4, v6
	v_cndmask_b32_e64 v90, 0, 0x42800000, vcc_lo
	v_mul_f32_e32 v6, v82, v80
	v_fmac_f32_e32 v5, v88, v56
	s_delay_alu instid0(VALU_DEP_4) | instskip(NEXT) | instid1(VALU_DEP_4)
	v_cndmask_b32_e64 v92, 1.0, v4, s25
	v_fmac_f32_e32 v90, v88, v55
	s_delay_alu instid0(VALU_DEP_4)
	v_mul_f32_e32 v4, v6, v84
	v_fma_f32 v6, v91, v84, v79
	v_cndmask_b32_e64 v88, 1.0, 0x1f800000, vcc_lo
	v_exp_f32_e32 v5, v5
	v_exp_f32_e32 v90, v90
	v_mul_f32_e32 v4, v4, v86
	v_fma_f32 v6, v6, v86, v81
	s_delay_alu instid0(VALU_DEP_2) | instskip(NEXT) | instid1(VALU_DEP_2)
	v_mul_f32_e32 v4, v4, v87
	v_fma_f32 v6, v6, v87, v83
	s_waitcnt_depctr 0xfff
	v_mul_f32_e32 v90, v90, v88
	v_cndmask_b32_e64 v88, 0, v7, s26
	v_cndmask_b32_e64 v7, 1.0, 0x1f800000, s28
	v_mul_f32_e32 v4, v4, v92
	v_fma_f32 v6, v6, v92, v85
	v_cndmask_b32_e64 v90, 1.0, v90, s26
	s_delay_alu instid0(VALU_DEP_1) | instskip(NEXT) | instid1(VALU_DEP_1)
	v_dual_mul_f32 v5, v5, v7 :: v_dual_mul_f32 v4, v4, v90
	v_cndmask_b32_e64 v91, 1.0, v5, s27
	s_delay_alu instid0(VALU_DEP_4) | instskip(NEXT) | instid1(VALU_DEP_2)
	v_fma_f32 v5, v6, v90, v88
	v_mul_f32_e32 v4, v4, v91
	s_delay_alu instid0(VALU_DEP_2) | instskip(NEXT) | instid1(VALU_DEP_2)
	v_fma_f32 v5, v5, v91, v89
	v_mov_b32_dpp v7, v4 row_shr:1 row_mask:0xf bank_mask:0xf
	s_delay_alu instid0(VALU_DEP_2)
	v_mov_b32_dpp v6, v5 row_shr:1 row_mask:0xf bank_mask:0xf
	s_and_saveexec_b32 s28, s0
; %bb.100:                              ;   in Loop: Header=BB74_61 Depth=2
	s_delay_alu instid0(VALU_DEP_2) | instskip(NEXT) | instid1(VALU_DEP_1)
	v_mul_f32_e32 v7, v4, v7
	v_dual_fmac_f32 v5, v4, v6 :: v_dual_mov_b32 v4, v7
; %bb.101:                              ;   in Loop: Header=BB74_61 Depth=2
	s_or_b32 exec_lo, exec_lo, s28
	s_delay_alu instid0(VALU_DEP_1) | instskip(NEXT) | instid1(VALU_DEP_2)
	v_mov_b32_dpp v6, v4 row_shr:2 row_mask:0xf bank_mask:0xf
	v_mov_b32_dpp v7, v5 row_shr:2 row_mask:0xf bank_mask:0xf
	s_and_saveexec_b32 s28, s1
; %bb.102:                              ;   in Loop: Header=BB74_61 Depth=2
	s_delay_alu instid0(VALU_DEP_1) | instskip(NEXT) | instid1(VALU_DEP_3)
	v_fmac_f32_e32 v5, v4, v7
	v_mul_f32_e32 v4, v4, v6
; %bb.103:                              ;   in Loop: Header=BB74_61 Depth=2
	s_or_b32 exec_lo, exec_lo, s28
	s_delay_alu instid0(VALU_DEP_1) | instskip(NEXT) | instid1(VALU_DEP_3)
	v_mov_b32_dpp v6, v4 row_shr:4 row_mask:0xf bank_mask:0xf
	v_mov_b32_dpp v7, v5 row_shr:4 row_mask:0xf bank_mask:0xf
	s_and_saveexec_b32 s28, s2
; %bb.104:                              ;   in Loop: Header=BB74_61 Depth=2
	s_delay_alu instid0(VALU_DEP_1) | instskip(NEXT) | instid1(VALU_DEP_3)
	v_fmac_f32_e32 v5, v4, v7
	v_mul_f32_e32 v4, v4, v6
; %bb.105:                              ;   in Loop: Header=BB74_61 Depth=2
	s_or_b32 exec_lo, exec_lo, s28
	s_delay_alu instid0(VALU_DEP_1) | instskip(NEXT) | instid1(VALU_DEP_3)
	v_mov_b32_dpp v6, v4 row_shr:8 row_mask:0xf bank_mask:0xf
	v_mov_b32_dpp v7, v5 row_shr:8 row_mask:0xf bank_mask:0xf
	s_and_saveexec_b32 s28, s3
; %bb.106:                              ;   in Loop: Header=BB74_61 Depth=2
	s_delay_alu instid0(VALU_DEP_1) | instskip(NEXT) | instid1(VALU_DEP_3)
	v_fmac_f32_e32 v5, v4, v7
	v_mul_f32_e32 v4, v4, v6
; %bb.107:                              ;   in Loop: Header=BB74_61 Depth=2
	s_or_b32 exec_lo, exec_lo, s28
	ds_swizzle_b32 v7, v4 offset:swizzle(BROADCAST,32,15)
	ds_swizzle_b32 v6, v5 offset:swizzle(BROADCAST,32,15)
	s_and_saveexec_b32 s28, s4
	s_cbranch_execz .LBB74_109
; %bb.108:                              ;   in Loop: Header=BB74_61 Depth=2
	s_waitcnt lgkmcnt(1)
	v_mul_f32_e32 v7, v4, v7
	s_waitcnt lgkmcnt(0)
	s_delay_alu instid0(VALU_DEP_1)
	v_dual_fmac_f32 v5, v4, v6 :: v_dual_mov_b32 v4, v7
.LBB74_109:                             ;   in Loop: Header=BB74_61 Depth=2
	s_or_b32 exec_lo, exec_lo, s28
	s_and_saveexec_b32 s28, s5
	s_cbranch_execz .LBB74_111
; %bb.110:                              ;   in Loop: Header=BB74_61 Depth=2
	ds_store_b64 v35, v[4:5] offset:2112
.LBB74_111:                             ;   in Loop: Header=BB74_61 Depth=2
	s_or_b32 exec_lo, exec_lo, s28
	s_waitcnt lgkmcnt(0)
	s_waitcnt_vscnt null, 0x0
	s_barrier
	buffer_gl0_inv
	s_and_saveexec_b32 s28, s6
	s_cbranch_execz .LBB74_113
; %bb.112:                              ;   in Loop: Header=BB74_61 Depth=2
	ds_load_b64 v[6:7], v36 offset:2112
	s_waitcnt lgkmcnt(0)
	v_mov_b32_dpp v93, v6 row_shr:1 row_mask:0xf bank_mask:0xf
	v_mov_b32_dpp v94, v7 row_shr:1 row_mask:0xf bank_mask:0xf
	s_delay_alu instid0(VALU_DEP_2) | instskip(NEXT) | instid1(VALU_DEP_2)
	v_mul_f32_e32 v93, v6, v93
	v_fma_f32 v94, v6, v94, v7
	s_delay_alu instid0(VALU_DEP_2) | instskip(NEXT) | instid1(VALU_DEP_2)
	v_cndmask_b32_e64 v6, v93, v6, s7
	v_cndmask_b32_e64 v7, v94, v7, s7
	ds_store_b64 v36, v[6:7] offset:2112
.LBB74_113:                             ;   in Loop: Header=BB74_61 Depth=2
	s_or_b32 exec_lo, exec_lo, s28
	s_waitcnt lgkmcnt(0)
	s_barrier
	buffer_gl0_inv
                                        ; implicit-def: $vgpr7
	s_and_saveexec_b32 s28, s9
	s_cbranch_execz .LBB74_115
; %bb.114:                              ;   in Loop: Header=BB74_61 Depth=2
	ds_load_b64 v[6:7], v35 offset:2104
	s_waitcnt lgkmcnt(0)
	v_mul_f32_e32 v93, v4, v6
	s_delay_alu instid0(VALU_DEP_1)
	v_dual_fmac_f32 v5, v4, v7 :: v_dual_mov_b32 v4, v93
.LBB74_115:                             ;   in Loop: Header=BB74_61 Depth=2
	s_or_b32 exec_lo, exec_lo, s28
	ds_bpermute_b32 v93, v37, v4
	ds_bpermute_b32 v94, v37, v5
	s_and_saveexec_b32 s28, s8
	s_cbranch_execz .LBB74_119
; %bb.116:                              ;   in Loop: Header=BB74_61 Depth=2
	ds_load_b64 v[4:5], v13 offset:2120
	s_and_saveexec_b32 s39, s10
	s_cbranch_execz .LBB74_118
; %bb.117:                              ;   in Loop: Header=BB74_61 Depth=2
	ds_store_b64 v13, v[8:9] offset:2120
.LBB74_118:                             ;   in Loop: Header=BB74_61 Depth=2
	s_or_b32 exec_lo, exec_lo, s39
	s_waitcnt lgkmcnt(0)
	v_fmac_f32_e32 v5, v9, v4
	s_delay_alu instid0(VALU_DEP_1)
	v_dual_mul_f32 v8, v8, v4 :: v_dual_mov_b32 v9, v5
.LBB74_119:                             ;   in Loop: Header=BB74_61 Depth=2
	s_or_b32 exec_lo, exec_lo, s28
	s_waitcnt lgkmcnt(0)
	s_barrier
	buffer_gl0_inv
	ds_load_b32 v4, v13 offset:2124
	s_and_saveexec_b32 s28, s10
	s_cbranch_execz .LBB74_60
; %bb.120:                              ;   in Loop: Header=BB74_61 Depth=2
	v_mov_b32_e32 v5, s71
	s_and_not1_b32 vcc_lo, exec_lo, s69
	ds_store_b64 v5, v[8:9]
	s_cbranch_vccnz .LBB74_60
; %bb.121:                              ;   in Loop: Header=BB74_61 Depth=2
	s_mov_b32 s47, s35
	v_cvt_f16_f32_e32 v5, v9
	s_lshl_b64 s[72:73], s[46:47], 1
	s_delay_alu instid0(SALU_CYCLE_1)
	s_add_u32 s72, s59, s72
	s_addc_u32 s73, s60, s73
	global_store_b16 v13, v5, s[72:73]
	s_branch .LBB74_60
.LBB74_122:                             ;   in Loop: Header=BB74_12 Depth=1
	v_cvt_f16_f32_e32 v0, v64
	v_cvt_f16_f32_e32 v1, v63
	;; [unrolled: 1-line block ×8, first 2 shown]
	s_waitcnt_vscnt null, 0x0
	v_pack_b32_f16 v3, v3, v4
	v_pack_b32_f16 v2, v2, v5
	;; [unrolled: 1-line block ×4, first 2 shown]
	s_barrier
	buffer_gl0_inv
	s_mov_b32 s31, s35
	ds_store_b128 v27, v[0:3]
	; wave barrier
	ds_load_u16 v8, v20 offset:64
	ds_load_u16 v7, v21 offset:128
	;; [unrolled: 1-line block ×7, first 2 shown]
	s_lshl_b64 s[20:21], s[30:31], 1
	s_delay_alu instid0(SALU_CYCLE_1)
	v_add_co_u32 v0, vcc_lo, v38, s20
	v_add_co_ci_u32_e32 v1, vcc_lo, s21, v39, vcc_lo
	s_and_saveexec_b32 s20, s12
	s_cbranch_execnz .LBB74_132
; %bb.123:                              ;   in Loop: Header=BB74_12 Depth=1
	s_or_b32 exec_lo, exec_lo, s20
	s_and_saveexec_b32 s12, s13
	s_cbranch_execnz .LBB74_133
.LBB74_124:                             ;   in Loop: Header=BB74_12 Depth=1
	s_or_b32 exec_lo, exec_lo, s12
	s_and_saveexec_b32 s12, s14
	s_cbranch_execnz .LBB74_134
.LBB74_125:                             ;   in Loop: Header=BB74_12 Depth=1
	s_or_b32 exec_lo, exec_lo, s12
	s_and_saveexec_b32 s12, s15
	s_cbranch_execnz .LBB74_135
.LBB74_126:                             ;   in Loop: Header=BB74_12 Depth=1
	s_or_b32 exec_lo, exec_lo, s12
	s_and_saveexec_b32 s12, s16
	s_cbranch_execnz .LBB74_136
.LBB74_127:                             ;   in Loop: Header=BB74_12 Depth=1
	s_or_b32 exec_lo, exec_lo, s12
	s_and_saveexec_b32 s12, s17
	s_cbranch_execnz .LBB74_137
.LBB74_128:                             ;   in Loop: Header=BB74_12 Depth=1
	s_or_b32 exec_lo, exec_lo, s12
	s_and_saveexec_b32 s12, s18
	s_cbranch_execnz .LBB74_138
.LBB74_129:                             ;   in Loop: Header=BB74_12 Depth=1
	s_or_b32 exec_lo, exec_lo, s12
	s_and_saveexec_b32 s12, s19
	s_cbranch_execz .LBB74_11
	s_branch .LBB74_139
.LBB74_130:                             ;   in Loop: Header=BB74_12 Depth=1
	global_load_u16 v51, v[4:5], off offset:320
	s_or_b32 exec_lo, exec_lo, s20
	s_and_saveexec_b32 s20, s18
	s_cbranch_execz .LBB74_40
.LBB74_131:                             ;   in Loop: Header=BB74_12 Depth=1
	global_load_u16 v50, v[4:5], off offset:384
	s_or_b32 exec_lo, exec_lo, s20
	v_mov_b32_e32 v52, 0
	s_and_saveexec_b32 s20, s19
	s_cbranch_execnz .LBB74_41
	s_branch .LBB74_42
.LBB74_132:                             ;   in Loop: Header=BB74_12 Depth=1
	ds_load_u16 v9, v20
	s_waitcnt lgkmcnt(0)
	global_store_b16 v[0:1], v9, off
	s_or_b32 exec_lo, exec_lo, s20
	s_and_saveexec_b32 s12, s13
	s_cbranch_execz .LBB74_124
.LBB74_133:                             ;   in Loop: Header=BB74_12 Depth=1
	s_waitcnt lgkmcnt(6)
	global_store_b16 v[0:1], v8, off offset:64
	s_or_b32 exec_lo, exec_lo, s12
	s_and_saveexec_b32 s12, s14
	s_cbranch_execz .LBB74_125
.LBB74_134:                             ;   in Loop: Header=BB74_12 Depth=1
	s_waitcnt lgkmcnt(5)
	global_store_b16 v[0:1], v7, off offset:128
	s_or_b32 exec_lo, exec_lo, s12
	s_and_saveexec_b32 s12, s15
	s_cbranch_execz .LBB74_126
.LBB74_135:                             ;   in Loop: Header=BB74_12 Depth=1
	s_waitcnt lgkmcnt(4)
	global_store_b16 v[0:1], v6, off offset:192
	s_or_b32 exec_lo, exec_lo, s12
	s_and_saveexec_b32 s12, s16
	s_cbranch_execz .LBB74_127
.LBB74_136:                             ;   in Loop: Header=BB74_12 Depth=1
	s_waitcnt lgkmcnt(3)
	global_store_b16 v[0:1], v5, off offset:256
	s_or_b32 exec_lo, exec_lo, s12
	s_and_saveexec_b32 s12, s17
	s_cbranch_execz .LBB74_128
.LBB74_137:                             ;   in Loop: Header=BB74_12 Depth=1
	s_waitcnt lgkmcnt(2)
	global_store_b16 v[0:1], v4, off offset:320
	s_or_b32 exec_lo, exec_lo, s12
	s_and_saveexec_b32 s12, s18
	s_cbranch_execz .LBB74_129
.LBB74_138:                             ;   in Loop: Header=BB74_12 Depth=1
	s_waitcnt lgkmcnt(1)
	global_store_b16 v[0:1], v3, off offset:384
	s_or_b32 exec_lo, exec_lo, s12
	s_and_saveexec_b32 s12, s19
	s_cbranch_execz .LBB74_11
.LBB74_139:                             ;   in Loop: Header=BB74_12 Depth=1
	s_waitcnt lgkmcnt(0)
	global_store_b16 v[0:1], v2, off offset:448
	s_branch .LBB74_11
.LBB74_140:
	s_nop 0
	s_sendmsg sendmsg(MSG_DEALLOC_VGPRS)
	s_endpgm
	.section	.rodata,"a",@progbits
	.p2align	6, 0x0
	.amdhsa_kernel _Z25selective_scan_fwd_kernelI32Selective_Scan_fwd_kernel_traitsILi64ELi8ELi1ELb1ELb1ELb1ELb0ELb1EN3c104HalfEfS2_EEv13SSMParamsBase
		.amdhsa_group_segment_fixed_size 0
		.amdhsa_private_segment_fixed_size 0
		.amdhsa_kernarg_size 248
		.amdhsa_user_sgpr_count 14
		.amdhsa_user_sgpr_dispatch_ptr 0
		.amdhsa_user_sgpr_queue_ptr 0
		.amdhsa_user_sgpr_kernarg_segment_ptr 1
		.amdhsa_user_sgpr_dispatch_id 0
		.amdhsa_user_sgpr_private_segment_size 0
		.amdhsa_wavefront_size32 1
		.amdhsa_uses_dynamic_stack 0
		.amdhsa_enable_private_segment 0
		.amdhsa_system_sgpr_workgroup_id_x 1
		.amdhsa_system_sgpr_workgroup_id_y 1
		.amdhsa_system_sgpr_workgroup_id_z 0
		.amdhsa_system_sgpr_workgroup_info 0
		.amdhsa_system_vgpr_workitem_id 0
		.amdhsa_next_free_vgpr 95
		.amdhsa_next_free_sgpr 74
		.amdhsa_reserve_vcc 1
		.amdhsa_float_round_mode_32 0
		.amdhsa_float_round_mode_16_64 0
		.amdhsa_float_denorm_mode_32 3
		.amdhsa_float_denorm_mode_16_64 3
		.amdhsa_dx10_clamp 1
		.amdhsa_ieee_mode 1
		.amdhsa_fp16_overflow 0
		.amdhsa_workgroup_processor_mode 1
		.amdhsa_memory_ordered 1
		.amdhsa_forward_progress 0
		.amdhsa_shared_vgpr_count 0
		.amdhsa_exception_fp_ieee_invalid_op 0
		.amdhsa_exception_fp_denorm_src 0
		.amdhsa_exception_fp_ieee_div_zero 0
		.amdhsa_exception_fp_ieee_overflow 0
		.amdhsa_exception_fp_ieee_underflow 0
		.amdhsa_exception_fp_ieee_inexact 0
		.amdhsa_exception_int_div_zero 0
	.end_amdhsa_kernel
	.section	.text._Z25selective_scan_fwd_kernelI32Selective_Scan_fwd_kernel_traitsILi64ELi8ELi1ELb1ELb1ELb1ELb0ELb1EN3c104HalfEfS2_EEv13SSMParamsBase,"axG",@progbits,_Z25selective_scan_fwd_kernelI32Selective_Scan_fwd_kernel_traitsILi64ELi8ELi1ELb1ELb1ELb1ELb0ELb1EN3c104HalfEfS2_EEv13SSMParamsBase,comdat
.Lfunc_end74:
	.size	_Z25selective_scan_fwd_kernelI32Selective_Scan_fwd_kernel_traitsILi64ELi8ELi1ELb1ELb1ELb1ELb0ELb1EN3c104HalfEfS2_EEv13SSMParamsBase, .Lfunc_end74-_Z25selective_scan_fwd_kernelI32Selective_Scan_fwd_kernel_traitsILi64ELi8ELi1ELb1ELb1ELb1ELb0ELb1EN3c104HalfEfS2_EEv13SSMParamsBase
                                        ; -- End function
	.section	.AMDGPU.csdata,"",@progbits
; Kernel info:
; codeLenInByte = 11780
; NumSgprs: 76
; NumVgprs: 95
; ScratchSize: 0
; MemoryBound: 0
; FloatMode: 240
; IeeeMode: 1
; LDSByteSize: 0 bytes/workgroup (compile time only)
; SGPRBlocks: 9
; VGPRBlocks: 11
; NumSGPRsForWavesPerEU: 76
; NumVGPRsForWavesPerEU: 95
; Occupancy: 16
; WaveLimiterHint : 1
; COMPUTE_PGM_RSRC2:SCRATCH_EN: 0
; COMPUTE_PGM_RSRC2:USER_SGPR: 14
; COMPUTE_PGM_RSRC2:TRAP_HANDLER: 0
; COMPUTE_PGM_RSRC2:TGID_X_EN: 1
; COMPUTE_PGM_RSRC2:TGID_Y_EN: 1
; COMPUTE_PGM_RSRC2:TGID_Z_EN: 0
; COMPUTE_PGM_RSRC2:TIDIG_COMP_CNT: 0
	.section	.text._Z25selective_scan_fwd_kernelI32Selective_Scan_fwd_kernel_traitsILi64ELi8ELi1ELb1ELb1ELb1ELb0ELb0EN3c104HalfEfS2_EEv13SSMParamsBase,"axG",@progbits,_Z25selective_scan_fwd_kernelI32Selective_Scan_fwd_kernel_traitsILi64ELi8ELi1ELb1ELb1ELb1ELb0ELb0EN3c104HalfEfS2_EEv13SSMParamsBase,comdat
	.protected	_Z25selective_scan_fwd_kernelI32Selective_Scan_fwd_kernel_traitsILi64ELi8ELi1ELb1ELb1ELb1ELb0ELb0EN3c104HalfEfS2_EEv13SSMParamsBase ; -- Begin function _Z25selective_scan_fwd_kernelI32Selective_Scan_fwd_kernel_traitsILi64ELi8ELi1ELb1ELb1ELb1ELb0ELb0EN3c104HalfEfS2_EEv13SSMParamsBase
	.globl	_Z25selective_scan_fwd_kernelI32Selective_Scan_fwd_kernel_traitsILi64ELi8ELi1ELb1ELb1ELb1ELb0ELb0EN3c104HalfEfS2_EEv13SSMParamsBase
	.p2align	8
	.type	_Z25selective_scan_fwd_kernelI32Selective_Scan_fwd_kernel_traitsILi64ELi8ELi1ELb1ELb1ELb1ELb0ELb0EN3c104HalfEfS2_EEv13SSMParamsBase,@function
_Z25selective_scan_fwd_kernelI32Selective_Scan_fwd_kernel_traitsILi64ELi8ELi1ELb1ELb1ELb1ELb0ELb0EN3c104HalfEfS2_EEv13SSMParamsBase: ; @_Z25selective_scan_fwd_kernelI32Selective_Scan_fwd_kernel_traitsILi64ELi8ELi1ELb1ELb1ELb1ELb0ELb0EN3c104HalfEfS2_EEv13SSMParamsBase
; %bb.0:
	s_clause 0x1
	s_load_b32 s11, s[0:1], 0x18
	s_load_b128 s[4:7], s[0:1], 0xe8
	s_mov_b32 s8, s15
	s_mov_b32 s33, 0
	s_waitcnt lgkmcnt(0)
	s_abs_i32 s10, s11
	s_cmp_eq_u64 s[6:7], 0
	v_cvt_f32_u32_e32 v1, s10
	s_delay_alu instid0(VALU_DEP_1) | instskip(SKIP_2) | instid1(VALU_DEP_1)
	v_rcp_iflag_f32_e32 v1, v1
	s_waitcnt_depctr 0xfff
	v_mul_f32_e32 v1, 0x4f7ffffe, v1
	v_cvt_u32_f32_e32 v1, v1
	s_delay_alu instid0(VALU_DEP_1)
	v_readfirstlane_b32 s12, v1
	s_cbranch_scc1 .LBB75_2
; %bb.1:
	v_mov_b32_e32 v1, 0
	s_ashr_i32 s3, s14, 31
	s_add_u32 s2, s6, s14
	s_addc_u32 s3, s7, s3
	global_load_u8 v1, v1, s[2:3]
	s_waitcnt vmcnt(0)
	v_and_b32_e32 v1, 1, v1
	s_delay_alu instid0(VALU_DEP_1)
	v_cmp_eq_u32_e64 s33, 1, v1
.LBB75_2:
	s_load_b64 s[6:7], s[0:1], 0x20
	s_cmp_eq_u64 s[4:5], 0
	s_cbranch_scc1 .LBB75_4
; %bb.3:
	s_ashr_i32 s15, s14, 31
	s_delay_alu instid0(SALU_CYCLE_1) | instskip(NEXT) | instid1(SALU_CYCLE_1)
	s_lshl_b64 s[2:3], s[14:15], 2
	s_add_u32 s2, s4, s2
	s_addc_u32 s3, s5, s3
	s_load_b32 s2, s[2:3], 0x0
	s_waitcnt lgkmcnt(0)
	s_ashr_i32 s3, s2, 31
	s_delay_alu instid0(SALU_CYCLE_1)
	s_cmp_eq_u64 s[6:7], s[2:3]
	s_cbranch_scc0 .LBB75_5
	s_branch .LBB75_62
.LBB75_4:
	s_mov_b32 s2, s14
	s_delay_alu instid0(SALU_CYCLE_1)
	s_ashr_i32 s3, s2, 31
	s_waitcnt lgkmcnt(0)
	s_cmp_eq_u64 s[6:7], s[2:3]
	s_cbranch_scc1 .LBB75_62
.LBB75_5:
	s_clause 0x1
	s_load_b512 s[16:31], s[0:1], 0x88
	s_load_b64 s[34:35], s[0:1], 0x8
	s_mov_b32 s48, 0
	s_mov_b32 s49, 0
	s_waitcnt lgkmcnt(0)
	s_cmp_eq_u64 s[22:23], 0
	s_cbranch_scc1 .LBB75_7
; %bb.6:
	s_ashr_i32 s9, s8, 31
	s_delay_alu instid0(SALU_CYCLE_1) | instskip(NEXT) | instid1(SALU_CYCLE_1)
	s_lshl_b64 s[4:5], s[8:9], 2
	s_add_u32 s4, s22, s4
	s_addc_u32 s5, s23, s5
	s_load_b32 s49, s[4:5], 0x0
.LBB75_7:
	s_cmp_eq_u64 s[28:29], 0
	s_cbranch_scc1 .LBB75_9
; %bb.8:
	s_ashr_i32 s9, s8, 31
	s_delay_alu instid0(SALU_CYCLE_1) | instskip(NEXT) | instid1(SALU_CYCLE_1)
	s_lshl_b64 s[4:5], s[8:9], 2
	s_add_u32 s4, s28, s4
	s_addc_u32 s5, s29, s5
	s_load_b32 s48, s[4:5], 0x0
.LBB75_9:
	s_cmp_lt_i32 s34, 1
	s_cbranch_scc1 .LBB75_62
; %bb.10:
	s_sub_i32 s3, 0, s10
	s_clause 0x1
	s_load_b64 s[4:5], s[0:1], 0x5c
	s_load_b128 s[44:47], s[0:1], 0x4c
	s_mul_i32 s3, s3, s12
	s_abs_i32 s6, s8
	s_mul_hi_u32 s3, s12, s3
	s_ashr_i32 s9, s11, 31
	s_add_i32 s12, s12, s3
	s_ashr_i32 s3, s8, 31
	s_mul_hi_u32 s7, s6, s12
	s_xor_b32 s3, s3, s9
	s_mul_i32 s11, s7, s10
	s_add_i32 s9, s7, 1
	s_sub_i32 s6, s6, s11
	s_load_b256 s[36:43], s[0:1], 0x2c
	s_sub_i32 s11, s6, s10
	s_cmp_ge_u32 s6, s10
	s_mov_b32 s23, 0
	s_cselect_b32 s7, s9, s7
	s_cselect_b32 s6, s11, s6
	s_add_i32 s9, s7, 1
	s_cmp_ge_u32 s6, s10
	s_waitcnt lgkmcnt(0)
	s_mul_i32 s22, s46, s14
	s_cselect_b32 s6, s9, s7
	v_lshrrev_b32_e32 v1, 2, v0
	s_xor_b32 s9, s6, s3
	s_lshl_b64 s[6:7], s[22:23], 1
	s_sub_i32 s3, s9, s3
	s_mul_i32 s22, s47, s8
	s_add_u32 s9, s24, s6
	s_addc_u32 s10, s25, s7
	s_lshl_b64 s[6:7], s[22:23], 1
	s_mul_i32 s22, s4, s14
	s_add_u32 s28, s9, s6
	s_addc_u32 s29, s10, s7
	s_lshl_b64 s[6:7], s[22:23], 1
	;; [unrolled: 4-line block ×3, first 2 shown]
	s_load_b128 s[24:27], s[0:1], 0x7c
	s_mul_i32 s22, s36, s8
	s_add_u32 s46, s6, s4
	s_addc_u32 s47, s7, s5
	s_lshl_b64 s[4:5], s[22:23], 2
	s_mul_i32 s22, s38, s14
	s_load_b64 s[6:7], s[0:1], 0xc8
	s_add_u32 s36, s16, s4
	s_waitcnt lgkmcnt(0)
	s_addc_u32 s27, s17, s5
	s_lshl_b64 s[4:5], s[22:23], 1
	s_mul_i32 s22, s3, s41
	s_add_u32 s9, s18, s4
	s_addc_u32 s10, s19, s5
	s_lshl_b64 s[4:5], s[22:23], 1
	s_mul_i32 s22, s42, s14
	s_add_u32 s41, s9, s4
	s_load_b32 s9, s[0:1], 0x28
	s_addc_u32 s50, s10, s5
	s_load_b64 s[10:11], s[0:1], 0x6c
	s_lshl_b64 s[4:5], s[22:23], 1
	s_mul_i32 s22, s3, s45
	s_add_u32 s12, s20, s4
	s_addc_u32 s3, s21, s5
	s_lshl_b64 s[4:5], s[22:23], 1
	s_mul_i32 s22, s2, s24
	s_add_u32 s45, s12, s4
	s_addc_u32 s51, s3, s5
	s_lshl_b64 s[0:1], s[22:23], 1
	s_mul_i32 s22, s25, s8
	s_add_u32 s2, s6, s0
	s_addc_u32 s3, s7, s1
	s_lshl_b64 s[0:1], s[22:23], 1
	v_dual_mov_b32 v18, 0 :: v_dual_and_b32 v1, 8, v1
	s_add_u32 s52, s2, s0
	s_addc_u32 s53, s3, s1
	s_add_i32 s0, s34, 0x7ff
	v_or_b32_e32 v2, 31, v0
	s_lshr_b32 s54, s0, 11
	s_waitcnt lgkmcnt(0)
	s_bitcmp1_b32 s9, 0
	s_mul_i32 s22, s10, s14
	s_cselect_b32 s55, -1, 0
	s_cmp_gt_i32 s35, 0
	v_add_nc_u32_e32 v20, 0, v1
	s_cselect_b32 s56, -1, 0
	s_and_b32 s1, s34, 0x1ff
	v_lshlrev_b32_e32 v1, 4, v0
	s_cmp_eq_u32 s1, 0
	v_lshlrev_b32_e32 v19, 3, v0
	s_cselect_b32 s57, -1, 0
	s_lshl_b64 s[6:7], s[22:23], 1
	s_add_i32 s58, s54, -1
	s_mul_i32 s22, s11, s8
	s_add_u32 s9, s30, s6
	s_addc_u32 s8, s31, s7
	s_lshl_b64 s[6:7], s[22:23], 1
	v_cmp_gt_u32_e64 s0, 64, v0
	s_add_u32 s6, s9, s6
	s_addc_u32 s7, s8, s7
	v_add_co_u32 v22, s6, s6, v1
	v_cmp_eq_u32_e64 s1, v2, v0
	v_cmp_gt_u32_e64 s2, 2, v0
	v_add_nc_u32_e32 v21, 0, v19
	v_cmp_gt_u32_e64 s3, 32, v0
	v_cmp_lt_u32_e64 s4, 31, v0
	v_cmp_eq_u32_e64 s5, 0, v0
	v_add_co_ci_u32_e64 v23, null, s7, 0, s6
	v_or_b32_e32 v24, 1, v19
	v_or_b32_e32 v25, 2, v19
	v_or_b32_e32 v26, 3, v19
	v_or_b32_e32 v27, 4, v19
	v_or_b32_e32 v28, 5, v19
	v_or_b32_e32 v29, 6, v19
	v_or_b32_e32 v30, 7, v19
	v_lshlrev_b32_e32 v31, 4, v0
	v_mbcnt_lo_u32_b32 v32, -1, 0
	s_mov_b32 s59, 0x3e9b6dac
	s_add_i32 s60, 0, 0x850
	s_mov_b32 s61, 0
                                        ; implicit-def: $vgpr40
                                        ; implicit-def: $vgpr7
                                        ; implicit-def: $vgpr39
                                        ; implicit-def: $vgpr37
                                        ; implicit-def: $vgpr35
                                        ; implicit-def: $vgpr0
                                        ; implicit-def: $vgpr33
                                        ; implicit-def: $vgpr34
                                        ; implicit-def: $vgpr36
                                        ; implicit-def: $vgpr38
	s_branch .LBB75_12
.LBB75_11:                              ;   in Loop: Header=BB75_12 Depth=1
	s_add_u32 s46, s46, 0x400
	s_addc_u32 s47, s47, 0
	s_mov_b32 s25, s23
	s_add_u32 s28, s28, 0x400
	v_cvt_f16_f32_e32 v8, v55
	v_cvt_f16_f32_e32 v14, v54
	;; [unrolled: 1-line block ×8, first 2 shown]
	s_addc_u32 s29, s29, 0
	s_lshl_b64 s[6:7], s[24:25], 1
	s_add_u32 s41, s41, 0x400
	v_add_co_u32 v12, vcc_lo, v22, s6
	s_addc_u32 s50, s50, 0
	v_add_co_ci_u32_e32 v13, vcc_lo, s7, v23, vcc_lo
	v_pack_b32_f16 v11, v17, v11
	v_pack_b32_f16 v10, v16, v10
	;; [unrolled: 1-line block ×4, first 2 shown]
	s_add_u32 s45, s45, 0x400
	s_addc_u32 s51, s51, 0
	s_add_i32 s61, s61, 1
	s_waitcnt_vscnt null, 0x0
	s_cmp_eq_u32 s61, s54
	s_barrier
	buffer_gl0_inv
	global_store_b128 v[12:13], v[8:11], off
	s_cbranch_scc1 .LBB75_62
.LBB75_12:                              ; =>This Loop Header: Depth=1
                                        ;     Child Loop BB75_33 Depth 2
	s_waitcnt_vscnt null, 0x0
	s_barrier
	buffer_gl0_inv
	s_and_saveexec_b32 s6, s0
	s_cbranch_execz .LBB75_14
; %bb.13:                               ;   in Loop: Header=BB75_12 Depth=1
	s_clause 0x1
	global_load_b128 v[0:3], v31, s[28:29]
	global_load_b128 v[4:7], v31, s[46:47]
	s_waitcnt vmcnt(1)
	v_lshrrev_b32_e32 v33, 16, v0
	v_lshrrev_b32_e32 v34, 16, v1
	;; [unrolled: 1-line block ×4, first 2 shown]
	s_waitcnt vmcnt(0)
	v_lshrrev_b32_e32 v35, 16, v4
	v_lshrrev_b32_e32 v37, 16, v5
	;; [unrolled: 1-line block ×4, first 2 shown]
.LBB75_14:                              ;   in Loop: Header=BB75_12 Depth=1
	s_or_b32 exec_lo, exec_lo, s6
	v_cvt_f32_f16_e32 v8, v4
	s_delay_alu instid0(VALU_DEP_1) | instskip(NEXT) | instid1(VALU_DEP_1)
	v_add_f32_e32 v41, s48, v8
	v_cmp_ge_f32_e32 vcc_lo, 0x41a00000, v41
	s_and_b32 s6, s55, vcc_lo
	s_delay_alu instid0(SALU_CYCLE_1)
	s_and_saveexec_b32 s7, s6
	s_cbranch_execz .LBB75_16
; %bb.15:                               ;   in Loop: Header=BB75_12 Depth=1
	v_mul_f32_e32 v8, 0x3fb8aa3b, v41
	v_cmp_ngt_f32_e32 vcc_lo, 0xc2ce8ed0, v41
	s_delay_alu instid0(VALU_DEP_2) | instskip(SKIP_1) | instid1(VALU_DEP_2)
	v_rndne_f32_e32 v9, v8
	v_fma_f32 v10, 0x3fb8aa3b, v41, -v8
	v_sub_f32_e32 v8, v8, v9
	s_delay_alu instid0(VALU_DEP_2) | instskip(SKIP_1) | instid1(VALU_DEP_2)
	v_fmac_f32_e32 v10, 0x32a5705f, v41
	v_cvt_i32_f32_e32 v9, v9
	v_add_f32_e32 v8, v8, v10
	s_delay_alu instid0(VALU_DEP_1) | instskip(SKIP_2) | instid1(VALU_DEP_1)
	v_exp_f32_e32 v8, v8
	s_waitcnt_depctr 0xfff
	v_ldexp_f32 v8, v8, v9
	v_cndmask_b32_e32 v8, 0, v8, vcc_lo
	v_cmp_nlt_f32_e32 vcc_lo, 0x42b17218, v41
	s_delay_alu instid0(VALU_DEP_2) | instskip(NEXT) | instid1(VALU_DEP_1)
	v_cndmask_b32_e32 v10, 0x7f800000, v8, vcc_lo
	v_add_f32_e32 v11, 1.0, v10
	s_delay_alu instid0(VALU_DEP_1) | instskip(NEXT) | instid1(VALU_DEP_1)
	v_cvt_f64_f32_e32 v[8:9], v11
	v_frexp_exp_i32_f64_e32 v8, v[8:9]
	v_frexp_mant_f32_e32 v9, v11
	s_delay_alu instid0(VALU_DEP_1) | instskip(SKIP_1) | instid1(VALU_DEP_1)
	v_cmp_gt_f32_e32 vcc_lo, 0x3f2aaaab, v9
	v_add_f32_e32 v9, -1.0, v11
	v_sub_f32_e32 v13, v9, v11
	v_sub_f32_e32 v9, v10, v9
	s_delay_alu instid0(VALU_DEP_2) | instskip(NEXT) | instid1(VALU_DEP_1)
	v_add_f32_e32 v13, 1.0, v13
	v_add_f32_e32 v9, v9, v13
	v_cmp_gt_f32_e64 s6, 0x33800000, v10
	v_subrev_co_ci_u32_e32 v8, vcc_lo, 0, v8, vcc_lo
	v_cmp_eq_f32_e32 vcc_lo, 0x7f800000, v10
	s_delay_alu instid0(VALU_DEP_2) | instskip(SKIP_2) | instid1(VALU_DEP_2)
	v_sub_nc_u32_e32 v12, 0, v8
	v_cvt_f32_i32_e32 v8, v8
	s_or_b32 vcc_lo, s6, vcc_lo
	v_ldexp_f32 v11, v11, v12
	v_ldexp_f32 v9, v9, v12
	s_delay_alu instid0(VALU_DEP_2) | instskip(NEXT) | instid1(VALU_DEP_1)
	v_add_f32_e32 v14, 1.0, v11
	v_dual_add_f32 v12, -1.0, v11 :: v_dual_add_f32 v13, -1.0, v14
	s_delay_alu instid0(VALU_DEP_1) | instskip(NEXT) | instid1(VALU_DEP_2)
	v_add_f32_e32 v15, 1.0, v12
	v_sub_f32_e32 v13, v11, v13
	s_delay_alu instid0(VALU_DEP_2) | instskip(NEXT) | instid1(VALU_DEP_2)
	v_sub_f32_e32 v11, v11, v15
	v_add_f32_e32 v13, v9, v13
	s_delay_alu instid0(VALU_DEP_2) | instskip(NEXT) | instid1(VALU_DEP_2)
	v_add_f32_e32 v9, v9, v11
	v_add_f32_e32 v15, v14, v13
	s_delay_alu instid0(VALU_DEP_2) | instskip(NEXT) | instid1(VALU_DEP_2)
	v_add_f32_e32 v16, v12, v9
	v_rcp_f32_e32 v11, v15
	v_sub_f32_e32 v14, v14, v15
	s_delay_alu instid0(VALU_DEP_1) | instskip(SKIP_2) | instid1(VALU_DEP_1)
	v_dual_sub_f32 v12, v12, v16 :: v_dual_add_f32 v13, v13, v14
	s_waitcnt_depctr 0xfff
	v_mul_f32_e32 v17, v16, v11
	v_mul_f32_e32 v41, v15, v17
	s_delay_alu instid0(VALU_DEP_1) | instskip(NEXT) | instid1(VALU_DEP_1)
	v_fma_f32 v14, v17, v15, -v41
	v_fmac_f32_e32 v14, v17, v13
	s_delay_alu instid0(VALU_DEP_1) | instskip(NEXT) | instid1(VALU_DEP_1)
	v_add_f32_e32 v42, v41, v14
	v_sub_f32_e32 v43, v16, v42
	s_delay_alu instid0(VALU_DEP_1) | instskip(SKIP_1) | instid1(VALU_DEP_2)
	v_dual_sub_f32 v16, v16, v43 :: v_dual_add_f32 v9, v9, v12
	v_sub_f32_e32 v12, v42, v41
	v_sub_f32_e32 v16, v16, v42
	s_delay_alu instid0(VALU_DEP_1) | instskip(NEXT) | instid1(VALU_DEP_1)
	v_dual_sub_f32 v12, v12, v14 :: v_dual_add_f32 v9, v9, v16
	v_add_f32_e32 v9, v12, v9
	s_delay_alu instid0(VALU_DEP_1) | instskip(NEXT) | instid1(VALU_DEP_1)
	v_add_f32_e32 v12, v43, v9
	v_mul_f32_e32 v14, v11, v12
	v_sub_f32_e32 v42, v43, v12
	s_delay_alu instid0(VALU_DEP_2) | instskip(NEXT) | instid1(VALU_DEP_2)
	v_mul_f32_e32 v16, v15, v14
	v_add_f32_e32 v9, v9, v42
	s_delay_alu instid0(VALU_DEP_2) | instskip(NEXT) | instid1(VALU_DEP_1)
	v_fma_f32 v15, v14, v15, -v16
	v_fmac_f32_e32 v15, v14, v13
	s_delay_alu instid0(VALU_DEP_1) | instskip(NEXT) | instid1(VALU_DEP_1)
	v_add_f32_e32 v13, v16, v15
	v_sub_f32_e32 v41, v12, v13
	s_delay_alu instid0(VALU_DEP_1) | instskip(NEXT) | instid1(VALU_DEP_1)
	v_sub_f32_e32 v12, v12, v41
	v_sub_f32_e32 v12, v12, v13
	s_delay_alu instid0(VALU_DEP_1) | instskip(SKIP_2) | instid1(VALU_DEP_1)
	v_add_f32_e32 v9, v9, v12
	v_add_f32_e32 v12, v17, v14
	v_sub_f32_e32 v16, v13, v16
	v_sub_f32_e32 v13, v16, v15
	s_delay_alu instid0(VALU_DEP_1) | instskip(NEXT) | instid1(VALU_DEP_4)
	v_add_f32_e32 v9, v13, v9
	v_sub_f32_e32 v13, v12, v17
	s_delay_alu instid0(VALU_DEP_2) | instskip(NEXT) | instid1(VALU_DEP_2)
	v_add_f32_e32 v9, v41, v9
	v_sub_f32_e32 v13, v14, v13
	s_delay_alu instid0(VALU_DEP_2) | instskip(NEXT) | instid1(VALU_DEP_1)
	v_mul_f32_e32 v9, v11, v9
	v_add_f32_e32 v9, v13, v9
	s_delay_alu instid0(VALU_DEP_1) | instskip(NEXT) | instid1(VALU_DEP_1)
	v_add_f32_e32 v11, v12, v9
	v_mul_f32_e32 v13, v11, v11
	s_delay_alu instid0(VALU_DEP_1) | instskip(SKIP_1) | instid1(VALU_DEP_2)
	v_fmaak_f32 v14, s59, v13, 0x3ecc95a3
	v_mul_f32_e32 v15, v11, v13
	v_fmaak_f32 v13, v13, v14, 0x3f2aaada
	v_ldexp_f32 v14, v11, 1
	s_delay_alu instid0(VALU_DEP_2) | instskip(SKIP_1) | instid1(VALU_DEP_2)
	v_mul_f32_e32 v13, v15, v13
	v_sub_f32_e32 v11, v11, v12
	v_dual_mul_f32 v15, 0x3f317218, v8 :: v_dual_add_f32 v12, v14, v13
	s_delay_alu instid0(VALU_DEP_2) | instskip(NEXT) | instid1(VALU_DEP_2)
	v_sub_f32_e32 v9, v9, v11
	v_sub_f32_e32 v11, v12, v14
	s_delay_alu instid0(VALU_DEP_3) | instskip(NEXT) | instid1(VALU_DEP_3)
	v_fma_f32 v14, 0x3f317218, v8, -v15
	v_ldexp_f32 v9, v9, 1
	s_delay_alu instid0(VALU_DEP_2) | instskip(NEXT) | instid1(VALU_DEP_1)
	v_dual_sub_f32 v11, v13, v11 :: v_dual_fmac_f32 v14, 0xb102e308, v8
	v_dual_add_f32 v8, v9, v11 :: v_dual_add_f32 v9, v15, v14
	s_delay_alu instid0(VALU_DEP_1) | instskip(NEXT) | instid1(VALU_DEP_1)
	v_add_f32_e32 v11, v12, v8
	v_dual_add_f32 v13, v9, v11 :: v_dual_sub_f32 v12, v11, v12
	s_delay_alu instid0(VALU_DEP_1) | instskip(NEXT) | instid1(VALU_DEP_2)
	v_sub_f32_e32 v16, v13, v9
	v_dual_sub_f32 v15, v9, v15 :: v_dual_sub_f32 v8, v8, v12
	s_delay_alu instid0(VALU_DEP_1) | instskip(SKIP_1) | instid1(VALU_DEP_2)
	v_dual_sub_f32 v17, v13, v16 :: v_dual_sub_f32 v14, v14, v15
	v_sub_f32_e32 v11, v11, v16
	v_dual_sub_f32 v9, v9, v17 :: v_dual_add_f32 v12, v14, v8
	s_delay_alu instid0(VALU_DEP_1) | instskip(NEXT) | instid1(VALU_DEP_2)
	v_add_f32_e32 v9, v11, v9
	v_sub_f32_e32 v11, v12, v14
	s_delay_alu instid0(VALU_DEP_2) | instskip(NEXT) | instid1(VALU_DEP_2)
	v_add_f32_e32 v9, v12, v9
	v_sub_f32_e32 v12, v12, v11
	s_delay_alu instid0(VALU_DEP_2) | instskip(NEXT) | instid1(VALU_DEP_1)
	v_dual_sub_f32 v8, v8, v11 :: v_dual_add_f32 v15, v13, v9
	v_dual_sub_f32 v12, v14, v12 :: v_dual_sub_f32 v11, v15, v13
	s_delay_alu instid0(VALU_DEP_1) | instskip(NEXT) | instid1(VALU_DEP_1)
	v_dual_add_f32 v8, v8, v12 :: v_dual_sub_f32 v9, v9, v11
	v_add_f32_e32 v8, v8, v9
	s_delay_alu instid0(VALU_DEP_1) | instskip(NEXT) | instid1(VALU_DEP_1)
	v_add_f32_e32 v8, v15, v8
	v_cndmask_b32_e32 v41, v8, v10, vcc_lo
.LBB75_16:                              ;   in Loop: Header=BB75_12 Depth=1
	s_or_b32 exec_lo, exec_lo, s7
	v_cvt_f32_f16_e32 v8, v35
	s_delay_alu instid0(VALU_DEP_1) | instskip(NEXT) | instid1(VALU_DEP_1)
	v_add_f32_e32 v42, s48, v8
	v_cmp_ge_f32_e32 vcc_lo, 0x41a00000, v42
	s_and_b32 s6, s55, vcc_lo
	s_delay_alu instid0(SALU_CYCLE_1)
	s_and_saveexec_b32 s7, s6
	s_cbranch_execz .LBB75_18
; %bb.17:                               ;   in Loop: Header=BB75_12 Depth=1
	v_mul_f32_e32 v8, 0x3fb8aa3b, v42
	v_cmp_ngt_f32_e32 vcc_lo, 0xc2ce8ed0, v42
	s_delay_alu instid0(VALU_DEP_2) | instskip(SKIP_1) | instid1(VALU_DEP_2)
	v_rndne_f32_e32 v9, v8
	v_fma_f32 v10, 0x3fb8aa3b, v42, -v8
	v_sub_f32_e32 v8, v8, v9
	s_delay_alu instid0(VALU_DEP_2) | instskip(SKIP_1) | instid1(VALU_DEP_2)
	v_fmac_f32_e32 v10, 0x32a5705f, v42
	v_cvt_i32_f32_e32 v9, v9
	v_add_f32_e32 v8, v8, v10
	s_delay_alu instid0(VALU_DEP_1) | instskip(SKIP_2) | instid1(VALU_DEP_1)
	v_exp_f32_e32 v8, v8
	s_waitcnt_depctr 0xfff
	v_ldexp_f32 v8, v8, v9
	v_cndmask_b32_e32 v8, 0, v8, vcc_lo
	v_cmp_nlt_f32_e32 vcc_lo, 0x42b17218, v42
	s_delay_alu instid0(VALU_DEP_2) | instskip(NEXT) | instid1(VALU_DEP_1)
	v_cndmask_b32_e32 v10, 0x7f800000, v8, vcc_lo
	v_add_f32_e32 v11, 1.0, v10
	s_delay_alu instid0(VALU_DEP_1) | instskip(NEXT) | instid1(VALU_DEP_1)
	v_cvt_f64_f32_e32 v[8:9], v11
	v_frexp_exp_i32_f64_e32 v8, v[8:9]
	v_frexp_mant_f32_e32 v9, v11
	s_delay_alu instid0(VALU_DEP_1) | instskip(SKIP_1) | instid1(VALU_DEP_1)
	v_cmp_gt_f32_e32 vcc_lo, 0x3f2aaaab, v9
	v_add_f32_e32 v9, -1.0, v11
	v_sub_f32_e32 v13, v9, v11
	v_sub_f32_e32 v9, v10, v9
	s_delay_alu instid0(VALU_DEP_2) | instskip(NEXT) | instid1(VALU_DEP_1)
	v_add_f32_e32 v13, 1.0, v13
	v_add_f32_e32 v9, v9, v13
	v_cmp_gt_f32_e64 s6, 0x33800000, v10
	v_subrev_co_ci_u32_e32 v8, vcc_lo, 0, v8, vcc_lo
	v_cmp_eq_f32_e32 vcc_lo, 0x7f800000, v10
	s_delay_alu instid0(VALU_DEP_2) | instskip(SKIP_2) | instid1(VALU_DEP_2)
	v_sub_nc_u32_e32 v12, 0, v8
	v_cvt_f32_i32_e32 v8, v8
	s_or_b32 vcc_lo, s6, vcc_lo
	v_ldexp_f32 v11, v11, v12
	v_ldexp_f32 v9, v9, v12
	s_delay_alu instid0(VALU_DEP_2) | instskip(NEXT) | instid1(VALU_DEP_1)
	v_add_f32_e32 v14, 1.0, v11
	v_dual_add_f32 v12, -1.0, v11 :: v_dual_add_f32 v13, -1.0, v14
	s_delay_alu instid0(VALU_DEP_1) | instskip(NEXT) | instid1(VALU_DEP_2)
	v_add_f32_e32 v15, 1.0, v12
	v_sub_f32_e32 v13, v11, v13
	s_delay_alu instid0(VALU_DEP_2) | instskip(NEXT) | instid1(VALU_DEP_2)
	v_sub_f32_e32 v11, v11, v15
	v_add_f32_e32 v13, v9, v13
	s_delay_alu instid0(VALU_DEP_2) | instskip(NEXT) | instid1(VALU_DEP_1)
	v_add_f32_e32 v9, v9, v11
	v_add_f32_e32 v16, v12, v9
	s_delay_alu instid0(VALU_DEP_1) | instskip(NEXT) | instid1(VALU_DEP_1)
	v_dual_add_f32 v15, v14, v13 :: v_dual_sub_f32 v12, v12, v16
	v_rcp_f32_e32 v11, v15
	v_sub_f32_e32 v14, v14, v15
	s_delay_alu instid0(VALU_DEP_1) | instskip(SKIP_2) | instid1(VALU_DEP_1)
	v_add_f32_e32 v13, v13, v14
	s_waitcnt_depctr 0xfff
	v_mul_f32_e32 v17, v16, v11
	v_mul_f32_e32 v42, v15, v17
	s_delay_alu instid0(VALU_DEP_1) | instskip(NEXT) | instid1(VALU_DEP_1)
	v_fma_f32 v14, v17, v15, -v42
	v_fmac_f32_e32 v14, v17, v13
	s_delay_alu instid0(VALU_DEP_1) | instskip(NEXT) | instid1(VALU_DEP_1)
	v_add_f32_e32 v43, v42, v14
	v_sub_f32_e32 v44, v16, v43
	s_delay_alu instid0(VALU_DEP_1) | instskip(SKIP_1) | instid1(VALU_DEP_2)
	v_sub_f32_e32 v16, v16, v44
	v_dual_add_f32 v9, v9, v12 :: v_dual_sub_f32 v12, v43, v42
	v_sub_f32_e32 v16, v16, v43
	s_delay_alu instid0(VALU_DEP_1) | instskip(NEXT) | instid1(VALU_DEP_1)
	v_dual_sub_f32 v12, v12, v14 :: v_dual_add_f32 v9, v9, v16
	v_add_f32_e32 v9, v12, v9
	s_delay_alu instid0(VALU_DEP_1) | instskip(NEXT) | instid1(VALU_DEP_1)
	v_add_f32_e32 v12, v44, v9
	v_mul_f32_e32 v14, v11, v12
	s_delay_alu instid0(VALU_DEP_1) | instskip(NEXT) | instid1(VALU_DEP_1)
	v_dual_sub_f32 v43, v44, v12 :: v_dual_mul_f32 v16, v15, v14
	v_add_f32_e32 v9, v9, v43
	s_delay_alu instid0(VALU_DEP_2) | instskip(NEXT) | instid1(VALU_DEP_1)
	v_fma_f32 v15, v14, v15, -v16
	v_fmac_f32_e32 v15, v14, v13
	s_delay_alu instid0(VALU_DEP_1) | instskip(NEXT) | instid1(VALU_DEP_1)
	v_add_f32_e32 v13, v16, v15
	v_sub_f32_e32 v42, v12, v13
	s_delay_alu instid0(VALU_DEP_1) | instskip(NEXT) | instid1(VALU_DEP_1)
	v_sub_f32_e32 v12, v12, v42
	v_sub_f32_e32 v12, v12, v13
	s_delay_alu instid0(VALU_DEP_1) | instskip(SKIP_2) | instid1(VALU_DEP_1)
	v_add_f32_e32 v9, v9, v12
	v_add_f32_e32 v12, v17, v14
	v_sub_f32_e32 v16, v13, v16
	v_sub_f32_e32 v13, v16, v15
	s_delay_alu instid0(VALU_DEP_1) | instskip(NEXT) | instid1(VALU_DEP_4)
	v_add_f32_e32 v9, v13, v9
	v_sub_f32_e32 v13, v12, v17
	s_delay_alu instid0(VALU_DEP_2) | instskip(NEXT) | instid1(VALU_DEP_2)
	v_add_f32_e32 v9, v42, v9
	v_sub_f32_e32 v13, v14, v13
	s_delay_alu instid0(VALU_DEP_2) | instskip(NEXT) | instid1(VALU_DEP_1)
	v_mul_f32_e32 v9, v11, v9
	v_add_f32_e32 v9, v13, v9
	s_delay_alu instid0(VALU_DEP_1) | instskip(NEXT) | instid1(VALU_DEP_1)
	v_add_f32_e32 v11, v12, v9
	v_mul_f32_e32 v13, v11, v11
	s_delay_alu instid0(VALU_DEP_1) | instskip(SKIP_1) | instid1(VALU_DEP_2)
	v_fmaak_f32 v14, s59, v13, 0x3ecc95a3
	v_mul_f32_e32 v15, v11, v13
	v_fmaak_f32 v13, v13, v14, 0x3f2aaada
	v_ldexp_f32 v14, v11, 1
	s_delay_alu instid0(VALU_DEP_2) | instskip(SKIP_1) | instid1(VALU_DEP_2)
	v_mul_f32_e32 v13, v15, v13
	v_sub_f32_e32 v11, v11, v12
	v_dual_mul_f32 v15, 0x3f317218, v8 :: v_dual_add_f32 v12, v14, v13
	s_delay_alu instid0(VALU_DEP_2) | instskip(NEXT) | instid1(VALU_DEP_2)
	v_sub_f32_e32 v9, v9, v11
	v_sub_f32_e32 v11, v12, v14
	s_delay_alu instid0(VALU_DEP_3) | instskip(NEXT) | instid1(VALU_DEP_3)
	v_fma_f32 v14, 0x3f317218, v8, -v15
	v_ldexp_f32 v9, v9, 1
	s_delay_alu instid0(VALU_DEP_2) | instskip(NEXT) | instid1(VALU_DEP_1)
	v_dual_sub_f32 v11, v13, v11 :: v_dual_fmac_f32 v14, 0xb102e308, v8
	v_dual_add_f32 v8, v9, v11 :: v_dual_add_f32 v9, v15, v14
	s_delay_alu instid0(VALU_DEP_1) | instskip(NEXT) | instid1(VALU_DEP_1)
	v_add_f32_e32 v11, v12, v8
	v_dual_add_f32 v13, v9, v11 :: v_dual_sub_f32 v12, v11, v12
	s_delay_alu instid0(VALU_DEP_1) | instskip(NEXT) | instid1(VALU_DEP_2)
	v_sub_f32_e32 v16, v13, v9
	v_dual_sub_f32 v15, v9, v15 :: v_dual_sub_f32 v8, v8, v12
	s_delay_alu instid0(VALU_DEP_1) | instskip(SKIP_1) | instid1(VALU_DEP_2)
	v_dual_sub_f32 v17, v13, v16 :: v_dual_sub_f32 v14, v14, v15
	v_sub_f32_e32 v11, v11, v16
	v_dual_sub_f32 v9, v9, v17 :: v_dual_add_f32 v12, v14, v8
	s_delay_alu instid0(VALU_DEP_1) | instskip(NEXT) | instid1(VALU_DEP_2)
	v_add_f32_e32 v9, v11, v9
	v_sub_f32_e32 v11, v12, v14
	s_delay_alu instid0(VALU_DEP_2) | instskip(NEXT) | instid1(VALU_DEP_2)
	v_add_f32_e32 v9, v12, v9
	v_sub_f32_e32 v12, v12, v11
	s_delay_alu instid0(VALU_DEP_2) | instskip(NEXT) | instid1(VALU_DEP_1)
	v_dual_sub_f32 v8, v8, v11 :: v_dual_add_f32 v15, v13, v9
	v_dual_sub_f32 v12, v14, v12 :: v_dual_sub_f32 v11, v15, v13
	s_delay_alu instid0(VALU_DEP_1) | instskip(NEXT) | instid1(VALU_DEP_1)
	v_dual_add_f32 v8, v8, v12 :: v_dual_sub_f32 v9, v9, v11
	v_add_f32_e32 v8, v8, v9
	s_delay_alu instid0(VALU_DEP_1) | instskip(NEXT) | instid1(VALU_DEP_1)
	v_add_f32_e32 v8, v15, v8
	v_cndmask_b32_e32 v42, v8, v10, vcc_lo
.LBB75_18:                              ;   in Loop: Header=BB75_12 Depth=1
	s_or_b32 exec_lo, exec_lo, s7
	v_cvt_f32_f16_e32 v8, v5
	s_delay_alu instid0(VALU_DEP_1) | instskip(NEXT) | instid1(VALU_DEP_1)
	v_add_f32_e32 v43, s48, v8
	v_cmp_ge_f32_e32 vcc_lo, 0x41a00000, v43
	s_and_b32 s6, s55, vcc_lo
	s_delay_alu instid0(SALU_CYCLE_1)
	s_and_saveexec_b32 s7, s6
	s_cbranch_execz .LBB75_20
; %bb.19:                               ;   in Loop: Header=BB75_12 Depth=1
	v_mul_f32_e32 v8, 0x3fb8aa3b, v43
	v_cmp_ngt_f32_e32 vcc_lo, 0xc2ce8ed0, v43
	s_delay_alu instid0(VALU_DEP_2) | instskip(SKIP_1) | instid1(VALU_DEP_2)
	v_rndne_f32_e32 v9, v8
	v_fma_f32 v10, 0x3fb8aa3b, v43, -v8
	v_sub_f32_e32 v8, v8, v9
	s_delay_alu instid0(VALU_DEP_2) | instskip(SKIP_1) | instid1(VALU_DEP_2)
	v_fmac_f32_e32 v10, 0x32a5705f, v43
	v_cvt_i32_f32_e32 v9, v9
	v_add_f32_e32 v8, v8, v10
	s_delay_alu instid0(VALU_DEP_1) | instskip(SKIP_2) | instid1(VALU_DEP_1)
	v_exp_f32_e32 v8, v8
	s_waitcnt_depctr 0xfff
	v_ldexp_f32 v8, v8, v9
	v_cndmask_b32_e32 v8, 0, v8, vcc_lo
	v_cmp_nlt_f32_e32 vcc_lo, 0x42b17218, v43
	s_delay_alu instid0(VALU_DEP_2) | instskip(NEXT) | instid1(VALU_DEP_1)
	v_cndmask_b32_e32 v10, 0x7f800000, v8, vcc_lo
	v_add_f32_e32 v11, 1.0, v10
	s_delay_alu instid0(VALU_DEP_1) | instskip(NEXT) | instid1(VALU_DEP_1)
	v_cvt_f64_f32_e32 v[8:9], v11
	v_frexp_exp_i32_f64_e32 v8, v[8:9]
	v_frexp_mant_f32_e32 v9, v11
	s_delay_alu instid0(VALU_DEP_1) | instskip(SKIP_1) | instid1(VALU_DEP_1)
	v_cmp_gt_f32_e32 vcc_lo, 0x3f2aaaab, v9
	v_add_f32_e32 v9, -1.0, v11
	v_sub_f32_e32 v13, v9, v11
	v_sub_f32_e32 v9, v10, v9
	s_delay_alu instid0(VALU_DEP_2) | instskip(NEXT) | instid1(VALU_DEP_1)
	v_add_f32_e32 v13, 1.0, v13
	v_add_f32_e32 v9, v9, v13
	v_cmp_gt_f32_e64 s6, 0x33800000, v10
	v_subrev_co_ci_u32_e32 v8, vcc_lo, 0, v8, vcc_lo
	v_cmp_eq_f32_e32 vcc_lo, 0x7f800000, v10
	s_delay_alu instid0(VALU_DEP_2) | instskip(SKIP_2) | instid1(VALU_DEP_2)
	v_sub_nc_u32_e32 v12, 0, v8
	v_cvt_f32_i32_e32 v8, v8
	s_or_b32 vcc_lo, s6, vcc_lo
	v_ldexp_f32 v11, v11, v12
	v_ldexp_f32 v9, v9, v12
	s_delay_alu instid0(VALU_DEP_2) | instskip(NEXT) | instid1(VALU_DEP_1)
	v_add_f32_e32 v14, 1.0, v11
	v_dual_add_f32 v12, -1.0, v11 :: v_dual_add_f32 v13, -1.0, v14
	s_delay_alu instid0(VALU_DEP_1) | instskip(NEXT) | instid1(VALU_DEP_2)
	v_add_f32_e32 v15, 1.0, v12
	v_sub_f32_e32 v13, v11, v13
	s_delay_alu instid0(VALU_DEP_2) | instskip(NEXT) | instid1(VALU_DEP_2)
	v_sub_f32_e32 v11, v11, v15
	v_add_f32_e32 v13, v9, v13
	s_delay_alu instid0(VALU_DEP_2) | instskip(NEXT) | instid1(VALU_DEP_2)
	v_add_f32_e32 v9, v9, v11
	v_add_f32_e32 v15, v14, v13
	s_delay_alu instid0(VALU_DEP_2) | instskip(NEXT) | instid1(VALU_DEP_2)
	v_add_f32_e32 v16, v12, v9
	v_rcp_f32_e32 v11, v15
	v_sub_f32_e32 v14, v14, v15
	s_delay_alu instid0(VALU_DEP_1) | instskip(SKIP_2) | instid1(VALU_DEP_1)
	v_dual_sub_f32 v12, v12, v16 :: v_dual_add_f32 v13, v13, v14
	s_waitcnt_depctr 0xfff
	v_mul_f32_e32 v17, v16, v11
	v_mul_f32_e32 v43, v15, v17
	s_delay_alu instid0(VALU_DEP_1) | instskip(NEXT) | instid1(VALU_DEP_1)
	v_fma_f32 v14, v17, v15, -v43
	v_fmac_f32_e32 v14, v17, v13
	s_delay_alu instid0(VALU_DEP_1) | instskip(NEXT) | instid1(VALU_DEP_1)
	v_add_f32_e32 v44, v43, v14
	v_sub_f32_e32 v45, v16, v44
	s_delay_alu instid0(VALU_DEP_1) | instskip(NEXT) | instid1(VALU_DEP_1)
	v_sub_f32_e32 v16, v16, v45
	v_sub_f32_e32 v16, v16, v44
	v_dual_add_f32 v9, v9, v12 :: v_dual_sub_f32 v12, v44, v43
	s_delay_alu instid0(VALU_DEP_1) | instskip(NEXT) | instid1(VALU_DEP_1)
	v_dual_add_f32 v9, v9, v16 :: v_dual_sub_f32 v12, v12, v14
	v_add_f32_e32 v9, v12, v9
	s_delay_alu instid0(VALU_DEP_1) | instskip(NEXT) | instid1(VALU_DEP_1)
	v_add_f32_e32 v12, v45, v9
	v_mul_f32_e32 v14, v11, v12
	s_delay_alu instid0(VALU_DEP_1) | instskip(SKIP_1) | instid1(VALU_DEP_2)
	v_mul_f32_e32 v16, v15, v14
	v_sub_f32_e32 v44, v45, v12
	v_fma_f32 v15, v14, v15, -v16
	s_delay_alu instid0(VALU_DEP_2) | instskip(NEXT) | instid1(VALU_DEP_2)
	v_add_f32_e32 v9, v9, v44
	v_fmac_f32_e32 v15, v14, v13
	s_delay_alu instid0(VALU_DEP_1) | instskip(NEXT) | instid1(VALU_DEP_1)
	v_add_f32_e32 v13, v16, v15
	v_sub_f32_e32 v43, v12, v13
	s_delay_alu instid0(VALU_DEP_1) | instskip(NEXT) | instid1(VALU_DEP_1)
	v_sub_f32_e32 v12, v12, v43
	v_sub_f32_e32 v12, v12, v13
	s_delay_alu instid0(VALU_DEP_1) | instskip(SKIP_2) | instid1(VALU_DEP_1)
	v_add_f32_e32 v9, v9, v12
	v_add_f32_e32 v12, v17, v14
	v_sub_f32_e32 v16, v13, v16
	v_sub_f32_e32 v13, v16, v15
	s_delay_alu instid0(VALU_DEP_1) | instskip(NEXT) | instid1(VALU_DEP_4)
	v_add_f32_e32 v9, v13, v9
	v_sub_f32_e32 v13, v12, v17
	s_delay_alu instid0(VALU_DEP_2) | instskip(NEXT) | instid1(VALU_DEP_2)
	v_add_f32_e32 v9, v43, v9
	v_sub_f32_e32 v13, v14, v13
	s_delay_alu instid0(VALU_DEP_2) | instskip(NEXT) | instid1(VALU_DEP_1)
	v_mul_f32_e32 v9, v11, v9
	v_add_f32_e32 v9, v13, v9
	s_delay_alu instid0(VALU_DEP_1) | instskip(NEXT) | instid1(VALU_DEP_1)
	v_add_f32_e32 v11, v12, v9
	v_mul_f32_e32 v13, v11, v11
	s_delay_alu instid0(VALU_DEP_1) | instskip(SKIP_1) | instid1(VALU_DEP_2)
	v_fmaak_f32 v14, s59, v13, 0x3ecc95a3
	v_mul_f32_e32 v15, v11, v13
	v_fmaak_f32 v13, v13, v14, 0x3f2aaada
	v_ldexp_f32 v14, v11, 1
	s_delay_alu instid0(VALU_DEP_2) | instskip(SKIP_1) | instid1(VALU_DEP_2)
	v_mul_f32_e32 v13, v15, v13
	v_sub_f32_e32 v11, v11, v12
	v_dual_mul_f32 v15, 0x3f317218, v8 :: v_dual_add_f32 v12, v14, v13
	s_delay_alu instid0(VALU_DEP_2) | instskip(NEXT) | instid1(VALU_DEP_2)
	v_sub_f32_e32 v9, v9, v11
	v_sub_f32_e32 v11, v12, v14
	s_delay_alu instid0(VALU_DEP_3) | instskip(NEXT) | instid1(VALU_DEP_3)
	v_fma_f32 v14, 0x3f317218, v8, -v15
	v_ldexp_f32 v9, v9, 1
	s_delay_alu instid0(VALU_DEP_2) | instskip(NEXT) | instid1(VALU_DEP_1)
	v_dual_sub_f32 v11, v13, v11 :: v_dual_fmac_f32 v14, 0xb102e308, v8
	v_dual_add_f32 v8, v9, v11 :: v_dual_add_f32 v9, v15, v14
	s_delay_alu instid0(VALU_DEP_1) | instskip(NEXT) | instid1(VALU_DEP_1)
	v_add_f32_e32 v11, v12, v8
	v_dual_add_f32 v13, v9, v11 :: v_dual_sub_f32 v12, v11, v12
	s_delay_alu instid0(VALU_DEP_1) | instskip(NEXT) | instid1(VALU_DEP_2)
	v_sub_f32_e32 v16, v13, v9
	v_dual_sub_f32 v15, v9, v15 :: v_dual_sub_f32 v8, v8, v12
	s_delay_alu instid0(VALU_DEP_1) | instskip(SKIP_1) | instid1(VALU_DEP_2)
	v_dual_sub_f32 v17, v13, v16 :: v_dual_sub_f32 v14, v14, v15
	v_sub_f32_e32 v11, v11, v16
	v_dual_sub_f32 v9, v9, v17 :: v_dual_add_f32 v12, v14, v8
	s_delay_alu instid0(VALU_DEP_1) | instskip(NEXT) | instid1(VALU_DEP_2)
	v_add_f32_e32 v9, v11, v9
	v_sub_f32_e32 v11, v12, v14
	s_delay_alu instid0(VALU_DEP_2) | instskip(NEXT) | instid1(VALU_DEP_2)
	v_add_f32_e32 v9, v12, v9
	v_sub_f32_e32 v12, v12, v11
	s_delay_alu instid0(VALU_DEP_2) | instskip(NEXT) | instid1(VALU_DEP_1)
	v_dual_sub_f32 v8, v8, v11 :: v_dual_add_f32 v15, v13, v9
	v_dual_sub_f32 v12, v14, v12 :: v_dual_sub_f32 v11, v15, v13
	s_delay_alu instid0(VALU_DEP_1) | instskip(NEXT) | instid1(VALU_DEP_1)
	v_dual_add_f32 v8, v8, v12 :: v_dual_sub_f32 v9, v9, v11
	v_add_f32_e32 v8, v8, v9
	s_delay_alu instid0(VALU_DEP_1) | instskip(NEXT) | instid1(VALU_DEP_1)
	v_add_f32_e32 v8, v15, v8
	v_cndmask_b32_e32 v43, v8, v10, vcc_lo
.LBB75_20:                              ;   in Loop: Header=BB75_12 Depth=1
	s_or_b32 exec_lo, exec_lo, s7
	v_cvt_f32_f16_e32 v8, v37
	s_delay_alu instid0(VALU_DEP_1) | instskip(NEXT) | instid1(VALU_DEP_1)
	v_add_f32_e32 v44, s48, v8
	v_cmp_ge_f32_e32 vcc_lo, 0x41a00000, v44
	s_and_b32 s6, s55, vcc_lo
	s_delay_alu instid0(SALU_CYCLE_1)
	s_and_saveexec_b32 s7, s6
	s_cbranch_execz .LBB75_22
; %bb.21:                               ;   in Loop: Header=BB75_12 Depth=1
	v_mul_f32_e32 v8, 0x3fb8aa3b, v44
	v_cmp_ngt_f32_e32 vcc_lo, 0xc2ce8ed0, v44
	s_delay_alu instid0(VALU_DEP_2) | instskip(SKIP_1) | instid1(VALU_DEP_2)
	v_rndne_f32_e32 v9, v8
	v_fma_f32 v10, 0x3fb8aa3b, v44, -v8
	v_sub_f32_e32 v8, v8, v9
	s_delay_alu instid0(VALU_DEP_2) | instskip(SKIP_1) | instid1(VALU_DEP_2)
	v_fmac_f32_e32 v10, 0x32a5705f, v44
	v_cvt_i32_f32_e32 v9, v9
	v_add_f32_e32 v8, v8, v10
	s_delay_alu instid0(VALU_DEP_1) | instskip(SKIP_2) | instid1(VALU_DEP_1)
	v_exp_f32_e32 v8, v8
	s_waitcnt_depctr 0xfff
	v_ldexp_f32 v8, v8, v9
	v_cndmask_b32_e32 v8, 0, v8, vcc_lo
	v_cmp_nlt_f32_e32 vcc_lo, 0x42b17218, v44
	s_delay_alu instid0(VALU_DEP_2) | instskip(NEXT) | instid1(VALU_DEP_1)
	v_cndmask_b32_e32 v10, 0x7f800000, v8, vcc_lo
	v_add_f32_e32 v11, 1.0, v10
	s_delay_alu instid0(VALU_DEP_1) | instskip(NEXT) | instid1(VALU_DEP_1)
	v_cvt_f64_f32_e32 v[8:9], v11
	v_frexp_exp_i32_f64_e32 v8, v[8:9]
	v_frexp_mant_f32_e32 v9, v11
	s_delay_alu instid0(VALU_DEP_1) | instskip(SKIP_1) | instid1(VALU_DEP_1)
	v_cmp_gt_f32_e32 vcc_lo, 0x3f2aaaab, v9
	v_add_f32_e32 v9, -1.0, v11
	v_sub_f32_e32 v13, v9, v11
	v_sub_f32_e32 v9, v10, v9
	s_delay_alu instid0(VALU_DEP_2) | instskip(NEXT) | instid1(VALU_DEP_1)
	v_add_f32_e32 v13, 1.0, v13
	v_add_f32_e32 v9, v9, v13
	v_cmp_gt_f32_e64 s6, 0x33800000, v10
	v_subrev_co_ci_u32_e32 v8, vcc_lo, 0, v8, vcc_lo
	v_cmp_eq_f32_e32 vcc_lo, 0x7f800000, v10
	s_delay_alu instid0(VALU_DEP_2) | instskip(SKIP_2) | instid1(VALU_DEP_2)
	v_sub_nc_u32_e32 v12, 0, v8
	v_cvt_f32_i32_e32 v8, v8
	s_or_b32 vcc_lo, s6, vcc_lo
	v_ldexp_f32 v11, v11, v12
	v_ldexp_f32 v9, v9, v12
	s_delay_alu instid0(VALU_DEP_2) | instskip(NEXT) | instid1(VALU_DEP_1)
	v_add_f32_e32 v14, 1.0, v11
	v_dual_add_f32 v12, -1.0, v11 :: v_dual_add_f32 v13, -1.0, v14
	s_delay_alu instid0(VALU_DEP_1) | instskip(NEXT) | instid1(VALU_DEP_2)
	v_add_f32_e32 v15, 1.0, v12
	v_sub_f32_e32 v13, v11, v13
	s_delay_alu instid0(VALU_DEP_2) | instskip(NEXT) | instid1(VALU_DEP_2)
	v_sub_f32_e32 v11, v11, v15
	v_add_f32_e32 v13, v9, v13
	s_delay_alu instid0(VALU_DEP_2) | instskip(NEXT) | instid1(VALU_DEP_1)
	v_add_f32_e32 v9, v9, v11
	v_add_f32_e32 v16, v12, v9
	s_delay_alu instid0(VALU_DEP_1) | instskip(NEXT) | instid1(VALU_DEP_1)
	v_dual_add_f32 v15, v14, v13 :: v_dual_sub_f32 v12, v12, v16
	v_rcp_f32_e32 v11, v15
	v_sub_f32_e32 v14, v14, v15
	s_delay_alu instid0(VALU_DEP_1) | instskip(SKIP_2) | instid1(VALU_DEP_1)
	v_add_f32_e32 v13, v13, v14
	s_waitcnt_depctr 0xfff
	v_mul_f32_e32 v17, v16, v11
	v_dual_mul_f32 v44, v15, v17 :: v_dual_add_f32 v9, v9, v12
	s_delay_alu instid0(VALU_DEP_1) | instskip(NEXT) | instid1(VALU_DEP_1)
	v_fma_f32 v14, v17, v15, -v44
	v_fmac_f32_e32 v14, v17, v13
	s_delay_alu instid0(VALU_DEP_1) | instskip(NEXT) | instid1(VALU_DEP_1)
	v_add_f32_e32 v45, v44, v14
	v_sub_f32_e32 v46, v16, v45
	v_sub_f32_e32 v12, v45, v44
	s_delay_alu instid0(VALU_DEP_2) | instskip(NEXT) | instid1(VALU_DEP_1)
	v_sub_f32_e32 v16, v16, v46
	v_sub_f32_e32 v16, v16, v45
	s_delay_alu instid0(VALU_DEP_1) | instskip(NEXT) | instid1(VALU_DEP_1)
	v_dual_sub_f32 v12, v12, v14 :: v_dual_add_f32 v9, v9, v16
	v_add_f32_e32 v9, v12, v9
	s_delay_alu instid0(VALU_DEP_1) | instskip(NEXT) | instid1(VALU_DEP_1)
	v_add_f32_e32 v12, v46, v9
	v_mul_f32_e32 v14, v11, v12
	s_delay_alu instid0(VALU_DEP_1) | instskip(NEXT) | instid1(VALU_DEP_1)
	v_dual_sub_f32 v45, v46, v12 :: v_dual_mul_f32 v16, v15, v14
	v_add_f32_e32 v9, v9, v45
	s_delay_alu instid0(VALU_DEP_2) | instskip(NEXT) | instid1(VALU_DEP_1)
	v_fma_f32 v15, v14, v15, -v16
	v_fmac_f32_e32 v15, v14, v13
	s_delay_alu instid0(VALU_DEP_1) | instskip(NEXT) | instid1(VALU_DEP_1)
	v_add_f32_e32 v13, v16, v15
	v_sub_f32_e32 v44, v12, v13
	s_delay_alu instid0(VALU_DEP_1) | instskip(NEXT) | instid1(VALU_DEP_1)
	v_sub_f32_e32 v12, v12, v44
	v_sub_f32_e32 v12, v12, v13
	s_delay_alu instid0(VALU_DEP_1) | instskip(SKIP_2) | instid1(VALU_DEP_1)
	v_add_f32_e32 v9, v9, v12
	v_add_f32_e32 v12, v17, v14
	v_sub_f32_e32 v16, v13, v16
	v_sub_f32_e32 v13, v16, v15
	s_delay_alu instid0(VALU_DEP_1) | instskip(NEXT) | instid1(VALU_DEP_4)
	v_add_f32_e32 v9, v13, v9
	v_sub_f32_e32 v13, v12, v17
	s_delay_alu instid0(VALU_DEP_2) | instskip(NEXT) | instid1(VALU_DEP_2)
	v_add_f32_e32 v9, v44, v9
	v_sub_f32_e32 v13, v14, v13
	s_delay_alu instid0(VALU_DEP_2) | instskip(NEXT) | instid1(VALU_DEP_1)
	v_mul_f32_e32 v9, v11, v9
	v_add_f32_e32 v9, v13, v9
	s_delay_alu instid0(VALU_DEP_1) | instskip(NEXT) | instid1(VALU_DEP_1)
	v_add_f32_e32 v11, v12, v9
	v_mul_f32_e32 v13, v11, v11
	s_delay_alu instid0(VALU_DEP_1) | instskip(SKIP_1) | instid1(VALU_DEP_2)
	v_fmaak_f32 v14, s59, v13, 0x3ecc95a3
	v_mul_f32_e32 v15, v11, v13
	v_fmaak_f32 v13, v13, v14, 0x3f2aaada
	v_ldexp_f32 v14, v11, 1
	v_sub_f32_e32 v11, v11, v12
	s_delay_alu instid0(VALU_DEP_3) | instskip(SKIP_1) | instid1(VALU_DEP_2)
	v_mul_f32_e32 v13, v15, v13
	v_mul_f32_e32 v15, 0x3f317218, v8
	v_dual_sub_f32 v9, v9, v11 :: v_dual_add_f32 v12, v14, v13
	s_delay_alu instid0(VALU_DEP_1) | instskip(NEXT) | instid1(VALU_DEP_2)
	v_ldexp_f32 v9, v9, 1
	v_sub_f32_e32 v11, v12, v14
	s_delay_alu instid0(VALU_DEP_4) | instskip(NEXT) | instid1(VALU_DEP_1)
	v_fma_f32 v14, 0x3f317218, v8, -v15
	v_dual_sub_f32 v11, v13, v11 :: v_dual_fmac_f32 v14, 0xb102e308, v8
	s_delay_alu instid0(VALU_DEP_1) | instskip(NEXT) | instid1(VALU_DEP_1)
	v_dual_add_f32 v8, v9, v11 :: v_dual_add_f32 v9, v15, v14
	v_add_f32_e32 v11, v12, v8
	s_delay_alu instid0(VALU_DEP_2) | instskip(NEXT) | instid1(VALU_DEP_2)
	v_sub_f32_e32 v15, v9, v15
	v_dual_add_f32 v13, v9, v11 :: v_dual_sub_f32 v12, v11, v12
	s_delay_alu instid0(VALU_DEP_2) | instskip(NEXT) | instid1(VALU_DEP_2)
	v_sub_f32_e32 v14, v14, v15
	v_sub_f32_e32 v16, v13, v9
	s_delay_alu instid0(VALU_DEP_3) | instskip(NEXT) | instid1(VALU_DEP_2)
	v_sub_f32_e32 v8, v8, v12
	v_sub_f32_e32 v17, v13, v16
	;; [unrolled: 1-line block ×3, first 2 shown]
	s_delay_alu instid0(VALU_DEP_2) | instskip(NEXT) | instid1(VALU_DEP_1)
	v_dual_add_f32 v12, v14, v8 :: v_dual_sub_f32 v9, v9, v17
	v_add_f32_e32 v9, v11, v9
	s_delay_alu instid0(VALU_DEP_2) | instskip(NEXT) | instid1(VALU_DEP_2)
	v_sub_f32_e32 v11, v12, v14
	v_add_f32_e32 v9, v12, v9
	s_delay_alu instid0(VALU_DEP_2) | instskip(NEXT) | instid1(VALU_DEP_2)
	v_sub_f32_e32 v12, v12, v11
	v_dual_sub_f32 v8, v8, v11 :: v_dual_add_f32 v15, v13, v9
	s_delay_alu instid0(VALU_DEP_1) | instskip(NEXT) | instid1(VALU_DEP_1)
	v_dual_sub_f32 v12, v14, v12 :: v_dual_sub_f32 v11, v15, v13
	v_dual_add_f32 v8, v8, v12 :: v_dual_sub_f32 v9, v9, v11
	s_delay_alu instid0(VALU_DEP_1) | instskip(NEXT) | instid1(VALU_DEP_1)
	v_add_f32_e32 v8, v8, v9
	v_add_f32_e32 v8, v15, v8
	s_delay_alu instid0(VALU_DEP_1)
	v_cndmask_b32_e32 v44, v8, v10, vcc_lo
.LBB75_22:                              ;   in Loop: Header=BB75_12 Depth=1
	s_or_b32 exec_lo, exec_lo, s7
	v_cvt_f32_f16_e32 v8, v6
	s_delay_alu instid0(VALU_DEP_1) | instskip(NEXT) | instid1(VALU_DEP_1)
	v_add_f32_e32 v45, s48, v8
	v_cmp_ge_f32_e32 vcc_lo, 0x41a00000, v45
	s_and_b32 s6, s55, vcc_lo
	s_delay_alu instid0(SALU_CYCLE_1)
	s_and_saveexec_b32 s7, s6
	s_cbranch_execz .LBB75_24
; %bb.23:                               ;   in Loop: Header=BB75_12 Depth=1
	v_mul_f32_e32 v8, 0x3fb8aa3b, v45
	v_cmp_ngt_f32_e32 vcc_lo, 0xc2ce8ed0, v45
	s_delay_alu instid0(VALU_DEP_2) | instskip(SKIP_1) | instid1(VALU_DEP_2)
	v_rndne_f32_e32 v9, v8
	v_fma_f32 v10, 0x3fb8aa3b, v45, -v8
	v_sub_f32_e32 v8, v8, v9
	s_delay_alu instid0(VALU_DEP_2) | instskip(SKIP_1) | instid1(VALU_DEP_2)
	v_fmac_f32_e32 v10, 0x32a5705f, v45
	v_cvt_i32_f32_e32 v9, v9
	v_add_f32_e32 v8, v8, v10
	s_delay_alu instid0(VALU_DEP_1) | instskip(SKIP_2) | instid1(VALU_DEP_1)
	v_exp_f32_e32 v8, v8
	s_waitcnt_depctr 0xfff
	v_ldexp_f32 v8, v8, v9
	v_cndmask_b32_e32 v8, 0, v8, vcc_lo
	v_cmp_nlt_f32_e32 vcc_lo, 0x42b17218, v45
	s_delay_alu instid0(VALU_DEP_2) | instskip(NEXT) | instid1(VALU_DEP_1)
	v_cndmask_b32_e32 v10, 0x7f800000, v8, vcc_lo
	v_add_f32_e32 v11, 1.0, v10
	s_delay_alu instid0(VALU_DEP_1) | instskip(NEXT) | instid1(VALU_DEP_1)
	v_cvt_f64_f32_e32 v[8:9], v11
	v_frexp_exp_i32_f64_e32 v8, v[8:9]
	v_frexp_mant_f32_e32 v9, v11
	s_delay_alu instid0(VALU_DEP_1) | instskip(SKIP_1) | instid1(VALU_DEP_1)
	v_cmp_gt_f32_e32 vcc_lo, 0x3f2aaaab, v9
	v_add_f32_e32 v9, -1.0, v11
	v_sub_f32_e32 v13, v9, v11
	v_sub_f32_e32 v9, v10, v9
	s_delay_alu instid0(VALU_DEP_2) | instskip(NEXT) | instid1(VALU_DEP_1)
	v_add_f32_e32 v13, 1.0, v13
	v_add_f32_e32 v9, v9, v13
	v_cmp_gt_f32_e64 s6, 0x33800000, v10
	v_subrev_co_ci_u32_e32 v8, vcc_lo, 0, v8, vcc_lo
	v_cmp_eq_f32_e32 vcc_lo, 0x7f800000, v10
	s_delay_alu instid0(VALU_DEP_2) | instskip(SKIP_2) | instid1(VALU_DEP_2)
	v_sub_nc_u32_e32 v12, 0, v8
	v_cvt_f32_i32_e32 v8, v8
	s_or_b32 vcc_lo, s6, vcc_lo
	v_ldexp_f32 v11, v11, v12
	v_ldexp_f32 v9, v9, v12
	s_delay_alu instid0(VALU_DEP_2) | instskip(NEXT) | instid1(VALU_DEP_1)
	v_add_f32_e32 v14, 1.0, v11
	v_dual_add_f32 v12, -1.0, v11 :: v_dual_add_f32 v13, -1.0, v14
	s_delay_alu instid0(VALU_DEP_1) | instskip(NEXT) | instid1(VALU_DEP_2)
	v_add_f32_e32 v15, 1.0, v12
	v_sub_f32_e32 v13, v11, v13
	s_delay_alu instid0(VALU_DEP_2) | instskip(NEXT) | instid1(VALU_DEP_2)
	v_sub_f32_e32 v11, v11, v15
	v_add_f32_e32 v13, v9, v13
	s_delay_alu instid0(VALU_DEP_2) | instskip(NEXT) | instid1(VALU_DEP_2)
	v_add_f32_e32 v9, v9, v11
	v_add_f32_e32 v15, v14, v13
	s_delay_alu instid0(VALU_DEP_2) | instskip(NEXT) | instid1(VALU_DEP_2)
	v_add_f32_e32 v16, v12, v9
	v_rcp_f32_e32 v11, v15
	v_sub_f32_e32 v14, v14, v15
	s_delay_alu instid0(VALU_DEP_1) | instskip(SKIP_2) | instid1(VALU_DEP_1)
	v_dual_sub_f32 v12, v12, v16 :: v_dual_add_f32 v13, v13, v14
	s_waitcnt_depctr 0xfff
	v_mul_f32_e32 v17, v16, v11
	v_mul_f32_e32 v45, v15, v17
	s_delay_alu instid0(VALU_DEP_1) | instskip(NEXT) | instid1(VALU_DEP_1)
	v_fma_f32 v14, v17, v15, -v45
	v_fmac_f32_e32 v14, v17, v13
	s_delay_alu instid0(VALU_DEP_1) | instskip(NEXT) | instid1(VALU_DEP_1)
	v_add_f32_e32 v46, v45, v14
	v_sub_f32_e32 v47, v16, v46
	s_delay_alu instid0(VALU_DEP_1) | instskip(SKIP_1) | instid1(VALU_DEP_2)
	v_dual_sub_f32 v16, v16, v47 :: v_dual_add_f32 v9, v9, v12
	v_sub_f32_e32 v12, v46, v45
	v_sub_f32_e32 v16, v16, v46
	s_delay_alu instid0(VALU_DEP_1) | instskip(NEXT) | instid1(VALU_DEP_1)
	v_dual_sub_f32 v12, v12, v14 :: v_dual_add_f32 v9, v9, v16
	v_add_f32_e32 v9, v12, v9
	s_delay_alu instid0(VALU_DEP_1) | instskip(NEXT) | instid1(VALU_DEP_1)
	v_add_f32_e32 v12, v47, v9
	v_mul_f32_e32 v14, v11, v12
	v_sub_f32_e32 v46, v47, v12
	s_delay_alu instid0(VALU_DEP_2) | instskip(NEXT) | instid1(VALU_DEP_2)
	v_mul_f32_e32 v16, v15, v14
	v_add_f32_e32 v9, v9, v46
	s_delay_alu instid0(VALU_DEP_2) | instskip(NEXT) | instid1(VALU_DEP_1)
	v_fma_f32 v15, v14, v15, -v16
	v_fmac_f32_e32 v15, v14, v13
	s_delay_alu instid0(VALU_DEP_1) | instskip(NEXT) | instid1(VALU_DEP_1)
	v_add_f32_e32 v13, v16, v15
	v_sub_f32_e32 v45, v12, v13
	s_delay_alu instid0(VALU_DEP_1) | instskip(NEXT) | instid1(VALU_DEP_1)
	v_sub_f32_e32 v12, v12, v45
	v_sub_f32_e32 v12, v12, v13
	s_delay_alu instid0(VALU_DEP_1) | instskip(SKIP_2) | instid1(VALU_DEP_1)
	v_add_f32_e32 v9, v9, v12
	v_add_f32_e32 v12, v17, v14
	v_sub_f32_e32 v16, v13, v16
	v_sub_f32_e32 v13, v16, v15
	s_delay_alu instid0(VALU_DEP_1) | instskip(NEXT) | instid1(VALU_DEP_4)
	v_add_f32_e32 v9, v13, v9
	v_sub_f32_e32 v13, v12, v17
	s_delay_alu instid0(VALU_DEP_2) | instskip(NEXT) | instid1(VALU_DEP_2)
	v_add_f32_e32 v9, v45, v9
	v_sub_f32_e32 v13, v14, v13
	s_delay_alu instid0(VALU_DEP_2) | instskip(NEXT) | instid1(VALU_DEP_1)
	v_mul_f32_e32 v9, v11, v9
	v_add_f32_e32 v9, v13, v9
	s_delay_alu instid0(VALU_DEP_1) | instskip(NEXT) | instid1(VALU_DEP_1)
	v_add_f32_e32 v11, v12, v9
	v_mul_f32_e32 v13, v11, v11
	s_delay_alu instid0(VALU_DEP_1) | instskip(SKIP_1) | instid1(VALU_DEP_2)
	v_fmaak_f32 v14, s59, v13, 0x3ecc95a3
	v_mul_f32_e32 v15, v11, v13
	v_fmaak_f32 v13, v13, v14, 0x3f2aaada
	v_ldexp_f32 v14, v11, 1
	s_delay_alu instid0(VALU_DEP_2) | instskip(SKIP_1) | instid1(VALU_DEP_2)
	v_mul_f32_e32 v13, v15, v13
	v_sub_f32_e32 v11, v11, v12
	v_dual_mul_f32 v15, 0x3f317218, v8 :: v_dual_add_f32 v12, v14, v13
	s_delay_alu instid0(VALU_DEP_2) | instskip(NEXT) | instid1(VALU_DEP_2)
	v_sub_f32_e32 v9, v9, v11
	v_sub_f32_e32 v11, v12, v14
	s_delay_alu instid0(VALU_DEP_3) | instskip(NEXT) | instid1(VALU_DEP_3)
	v_fma_f32 v14, 0x3f317218, v8, -v15
	v_ldexp_f32 v9, v9, 1
	s_delay_alu instid0(VALU_DEP_2) | instskip(NEXT) | instid1(VALU_DEP_1)
	v_dual_sub_f32 v11, v13, v11 :: v_dual_fmac_f32 v14, 0xb102e308, v8
	v_dual_add_f32 v8, v9, v11 :: v_dual_add_f32 v9, v15, v14
	s_delay_alu instid0(VALU_DEP_1) | instskip(NEXT) | instid1(VALU_DEP_1)
	v_add_f32_e32 v11, v12, v8
	v_dual_add_f32 v13, v9, v11 :: v_dual_sub_f32 v12, v11, v12
	s_delay_alu instid0(VALU_DEP_1) | instskip(NEXT) | instid1(VALU_DEP_2)
	v_sub_f32_e32 v16, v13, v9
	v_dual_sub_f32 v15, v9, v15 :: v_dual_sub_f32 v8, v8, v12
	s_delay_alu instid0(VALU_DEP_1) | instskip(SKIP_1) | instid1(VALU_DEP_2)
	v_dual_sub_f32 v17, v13, v16 :: v_dual_sub_f32 v14, v14, v15
	v_sub_f32_e32 v11, v11, v16
	v_dual_sub_f32 v9, v9, v17 :: v_dual_add_f32 v12, v14, v8
	s_delay_alu instid0(VALU_DEP_1) | instskip(NEXT) | instid1(VALU_DEP_2)
	v_add_f32_e32 v9, v11, v9
	v_sub_f32_e32 v11, v12, v14
	s_delay_alu instid0(VALU_DEP_2) | instskip(NEXT) | instid1(VALU_DEP_2)
	v_add_f32_e32 v9, v12, v9
	v_sub_f32_e32 v12, v12, v11
	s_delay_alu instid0(VALU_DEP_2) | instskip(NEXT) | instid1(VALU_DEP_1)
	v_dual_sub_f32 v8, v8, v11 :: v_dual_add_f32 v15, v13, v9
	v_dual_sub_f32 v12, v14, v12 :: v_dual_sub_f32 v11, v15, v13
	s_delay_alu instid0(VALU_DEP_1) | instskip(NEXT) | instid1(VALU_DEP_1)
	v_dual_add_f32 v8, v8, v12 :: v_dual_sub_f32 v9, v9, v11
	v_add_f32_e32 v8, v8, v9
	s_delay_alu instid0(VALU_DEP_1) | instskip(NEXT) | instid1(VALU_DEP_1)
	v_add_f32_e32 v8, v15, v8
	v_cndmask_b32_e32 v45, v8, v10, vcc_lo
.LBB75_24:                              ;   in Loop: Header=BB75_12 Depth=1
	s_or_b32 exec_lo, exec_lo, s7
	v_cvt_f32_f16_e32 v8, v39
	s_delay_alu instid0(VALU_DEP_1) | instskip(NEXT) | instid1(VALU_DEP_1)
	v_add_f32_e32 v46, s48, v8
	v_cmp_ge_f32_e32 vcc_lo, 0x41a00000, v46
	s_and_b32 s6, s55, vcc_lo
	s_delay_alu instid0(SALU_CYCLE_1)
	s_and_saveexec_b32 s7, s6
	s_cbranch_execz .LBB75_26
; %bb.25:                               ;   in Loop: Header=BB75_12 Depth=1
	v_mul_f32_e32 v8, 0x3fb8aa3b, v46
	v_cmp_ngt_f32_e32 vcc_lo, 0xc2ce8ed0, v46
	s_delay_alu instid0(VALU_DEP_2) | instskip(SKIP_1) | instid1(VALU_DEP_2)
	v_rndne_f32_e32 v9, v8
	v_fma_f32 v10, 0x3fb8aa3b, v46, -v8
	v_sub_f32_e32 v8, v8, v9
	s_delay_alu instid0(VALU_DEP_2) | instskip(SKIP_1) | instid1(VALU_DEP_2)
	v_fmac_f32_e32 v10, 0x32a5705f, v46
	v_cvt_i32_f32_e32 v9, v9
	v_add_f32_e32 v8, v8, v10
	s_delay_alu instid0(VALU_DEP_1) | instskip(SKIP_2) | instid1(VALU_DEP_1)
	v_exp_f32_e32 v8, v8
	s_waitcnt_depctr 0xfff
	v_ldexp_f32 v8, v8, v9
	v_cndmask_b32_e32 v8, 0, v8, vcc_lo
	v_cmp_nlt_f32_e32 vcc_lo, 0x42b17218, v46
	s_delay_alu instid0(VALU_DEP_2) | instskip(NEXT) | instid1(VALU_DEP_1)
	v_cndmask_b32_e32 v10, 0x7f800000, v8, vcc_lo
	v_add_f32_e32 v11, 1.0, v10
	s_delay_alu instid0(VALU_DEP_1) | instskip(NEXT) | instid1(VALU_DEP_1)
	v_cvt_f64_f32_e32 v[8:9], v11
	v_frexp_exp_i32_f64_e32 v8, v[8:9]
	v_frexp_mant_f32_e32 v9, v11
	s_delay_alu instid0(VALU_DEP_1) | instskip(SKIP_1) | instid1(VALU_DEP_1)
	v_cmp_gt_f32_e32 vcc_lo, 0x3f2aaaab, v9
	v_add_f32_e32 v9, -1.0, v11
	v_sub_f32_e32 v13, v9, v11
	v_sub_f32_e32 v9, v10, v9
	s_delay_alu instid0(VALU_DEP_2) | instskip(NEXT) | instid1(VALU_DEP_1)
	v_add_f32_e32 v13, 1.0, v13
	v_add_f32_e32 v9, v9, v13
	v_cmp_gt_f32_e64 s6, 0x33800000, v10
	v_subrev_co_ci_u32_e32 v8, vcc_lo, 0, v8, vcc_lo
	v_cmp_eq_f32_e32 vcc_lo, 0x7f800000, v10
	s_delay_alu instid0(VALU_DEP_2) | instskip(SKIP_2) | instid1(VALU_DEP_2)
	v_sub_nc_u32_e32 v12, 0, v8
	v_cvt_f32_i32_e32 v8, v8
	s_or_b32 vcc_lo, s6, vcc_lo
	v_ldexp_f32 v11, v11, v12
	v_ldexp_f32 v9, v9, v12
	s_delay_alu instid0(VALU_DEP_2) | instskip(NEXT) | instid1(VALU_DEP_1)
	v_add_f32_e32 v14, 1.0, v11
	v_dual_add_f32 v12, -1.0, v11 :: v_dual_add_f32 v13, -1.0, v14
	s_delay_alu instid0(VALU_DEP_1) | instskip(NEXT) | instid1(VALU_DEP_2)
	v_add_f32_e32 v15, 1.0, v12
	v_sub_f32_e32 v13, v11, v13
	s_delay_alu instid0(VALU_DEP_2) | instskip(NEXT) | instid1(VALU_DEP_2)
	v_sub_f32_e32 v11, v11, v15
	v_add_f32_e32 v13, v9, v13
	s_delay_alu instid0(VALU_DEP_2) | instskip(NEXT) | instid1(VALU_DEP_1)
	v_add_f32_e32 v9, v9, v11
	v_add_f32_e32 v16, v12, v9
	s_delay_alu instid0(VALU_DEP_1) | instskip(NEXT) | instid1(VALU_DEP_1)
	v_dual_add_f32 v15, v14, v13 :: v_dual_sub_f32 v12, v12, v16
	v_rcp_f32_e32 v11, v15
	v_sub_f32_e32 v14, v14, v15
	s_delay_alu instid0(VALU_DEP_1) | instskip(SKIP_2) | instid1(VALU_DEP_1)
	v_add_f32_e32 v13, v13, v14
	s_waitcnt_depctr 0xfff
	v_mul_f32_e32 v17, v16, v11
	v_mul_f32_e32 v46, v15, v17
	s_delay_alu instid0(VALU_DEP_1) | instskip(NEXT) | instid1(VALU_DEP_1)
	v_fma_f32 v14, v17, v15, -v46
	v_fmac_f32_e32 v14, v17, v13
	s_delay_alu instid0(VALU_DEP_1) | instskip(NEXT) | instid1(VALU_DEP_1)
	v_add_f32_e32 v47, v46, v14
	v_sub_f32_e32 v48, v16, v47
	s_delay_alu instid0(VALU_DEP_1) | instskip(SKIP_1) | instid1(VALU_DEP_2)
	v_sub_f32_e32 v16, v16, v48
	v_dual_add_f32 v9, v9, v12 :: v_dual_sub_f32 v12, v47, v46
	v_sub_f32_e32 v16, v16, v47
	s_delay_alu instid0(VALU_DEP_1) | instskip(NEXT) | instid1(VALU_DEP_1)
	v_dual_sub_f32 v12, v12, v14 :: v_dual_add_f32 v9, v9, v16
	v_add_f32_e32 v9, v12, v9
	s_delay_alu instid0(VALU_DEP_1) | instskip(NEXT) | instid1(VALU_DEP_1)
	v_add_f32_e32 v12, v48, v9
	v_mul_f32_e32 v14, v11, v12
	s_delay_alu instid0(VALU_DEP_1) | instskip(NEXT) | instid1(VALU_DEP_1)
	v_dual_sub_f32 v47, v48, v12 :: v_dual_mul_f32 v16, v15, v14
	v_add_f32_e32 v9, v9, v47
	s_delay_alu instid0(VALU_DEP_2) | instskip(NEXT) | instid1(VALU_DEP_1)
	v_fma_f32 v15, v14, v15, -v16
	v_fmac_f32_e32 v15, v14, v13
	s_delay_alu instid0(VALU_DEP_1) | instskip(NEXT) | instid1(VALU_DEP_1)
	v_add_f32_e32 v13, v16, v15
	v_sub_f32_e32 v46, v12, v13
	s_delay_alu instid0(VALU_DEP_1) | instskip(NEXT) | instid1(VALU_DEP_1)
	v_sub_f32_e32 v12, v12, v46
	v_sub_f32_e32 v12, v12, v13
	s_delay_alu instid0(VALU_DEP_1) | instskip(SKIP_2) | instid1(VALU_DEP_1)
	v_add_f32_e32 v9, v9, v12
	v_add_f32_e32 v12, v17, v14
	v_sub_f32_e32 v16, v13, v16
	v_sub_f32_e32 v13, v16, v15
	s_delay_alu instid0(VALU_DEP_1) | instskip(NEXT) | instid1(VALU_DEP_4)
	v_add_f32_e32 v9, v13, v9
	v_sub_f32_e32 v13, v12, v17
	s_delay_alu instid0(VALU_DEP_2) | instskip(NEXT) | instid1(VALU_DEP_2)
	v_add_f32_e32 v9, v46, v9
	v_sub_f32_e32 v13, v14, v13
	s_delay_alu instid0(VALU_DEP_2) | instskip(NEXT) | instid1(VALU_DEP_1)
	v_mul_f32_e32 v9, v11, v9
	v_add_f32_e32 v9, v13, v9
	s_delay_alu instid0(VALU_DEP_1) | instskip(NEXT) | instid1(VALU_DEP_1)
	v_add_f32_e32 v11, v12, v9
	v_mul_f32_e32 v13, v11, v11
	s_delay_alu instid0(VALU_DEP_1) | instskip(SKIP_1) | instid1(VALU_DEP_2)
	v_fmaak_f32 v14, s59, v13, 0x3ecc95a3
	v_mul_f32_e32 v15, v11, v13
	v_fmaak_f32 v13, v13, v14, 0x3f2aaada
	v_ldexp_f32 v14, v11, 1
	s_delay_alu instid0(VALU_DEP_2) | instskip(SKIP_1) | instid1(VALU_DEP_2)
	v_mul_f32_e32 v13, v15, v13
	v_sub_f32_e32 v11, v11, v12
	v_dual_mul_f32 v15, 0x3f317218, v8 :: v_dual_add_f32 v12, v14, v13
	s_delay_alu instid0(VALU_DEP_2) | instskip(NEXT) | instid1(VALU_DEP_2)
	v_sub_f32_e32 v9, v9, v11
	v_sub_f32_e32 v11, v12, v14
	s_delay_alu instid0(VALU_DEP_3) | instskip(NEXT) | instid1(VALU_DEP_3)
	v_fma_f32 v14, 0x3f317218, v8, -v15
	v_ldexp_f32 v9, v9, 1
	s_delay_alu instid0(VALU_DEP_2) | instskip(NEXT) | instid1(VALU_DEP_1)
	v_dual_sub_f32 v11, v13, v11 :: v_dual_fmac_f32 v14, 0xb102e308, v8
	v_dual_add_f32 v8, v9, v11 :: v_dual_add_f32 v9, v15, v14
	s_delay_alu instid0(VALU_DEP_1) | instskip(NEXT) | instid1(VALU_DEP_1)
	v_add_f32_e32 v11, v12, v8
	v_dual_add_f32 v13, v9, v11 :: v_dual_sub_f32 v12, v11, v12
	s_delay_alu instid0(VALU_DEP_1) | instskip(NEXT) | instid1(VALU_DEP_2)
	v_sub_f32_e32 v16, v13, v9
	v_dual_sub_f32 v15, v9, v15 :: v_dual_sub_f32 v8, v8, v12
	s_delay_alu instid0(VALU_DEP_1) | instskip(SKIP_1) | instid1(VALU_DEP_2)
	v_dual_sub_f32 v17, v13, v16 :: v_dual_sub_f32 v14, v14, v15
	v_sub_f32_e32 v11, v11, v16
	v_dual_sub_f32 v9, v9, v17 :: v_dual_add_f32 v12, v14, v8
	s_delay_alu instid0(VALU_DEP_1) | instskip(NEXT) | instid1(VALU_DEP_2)
	v_add_f32_e32 v9, v11, v9
	v_sub_f32_e32 v11, v12, v14
	s_delay_alu instid0(VALU_DEP_2) | instskip(NEXT) | instid1(VALU_DEP_2)
	v_add_f32_e32 v9, v12, v9
	v_sub_f32_e32 v12, v12, v11
	s_delay_alu instid0(VALU_DEP_2) | instskip(NEXT) | instid1(VALU_DEP_1)
	v_dual_sub_f32 v8, v8, v11 :: v_dual_add_f32 v15, v13, v9
	v_dual_sub_f32 v12, v14, v12 :: v_dual_sub_f32 v11, v15, v13
	s_delay_alu instid0(VALU_DEP_1) | instskip(NEXT) | instid1(VALU_DEP_1)
	v_dual_add_f32 v8, v8, v12 :: v_dual_sub_f32 v9, v9, v11
	v_add_f32_e32 v8, v8, v9
	s_delay_alu instid0(VALU_DEP_1) | instskip(NEXT) | instid1(VALU_DEP_1)
	v_add_f32_e32 v8, v15, v8
	v_cndmask_b32_e32 v46, v8, v10, vcc_lo
.LBB75_26:                              ;   in Loop: Header=BB75_12 Depth=1
	s_or_b32 exec_lo, exec_lo, s7
	v_cvt_f32_f16_e32 v8, v7
	s_delay_alu instid0(VALU_DEP_1) | instskip(NEXT) | instid1(VALU_DEP_1)
	v_add_f32_e32 v47, s48, v8
	v_cmp_ge_f32_e32 vcc_lo, 0x41a00000, v47
	s_and_b32 s6, s55, vcc_lo
	s_delay_alu instid0(SALU_CYCLE_1)
	s_and_saveexec_b32 s7, s6
	s_cbranch_execz .LBB75_28
; %bb.27:                               ;   in Loop: Header=BB75_12 Depth=1
	v_mul_f32_e32 v8, 0x3fb8aa3b, v47
	v_cmp_ngt_f32_e32 vcc_lo, 0xc2ce8ed0, v47
	s_delay_alu instid0(VALU_DEP_2) | instskip(SKIP_1) | instid1(VALU_DEP_2)
	v_rndne_f32_e32 v9, v8
	v_fma_f32 v10, 0x3fb8aa3b, v47, -v8
	v_sub_f32_e32 v8, v8, v9
	s_delay_alu instid0(VALU_DEP_2) | instskip(SKIP_1) | instid1(VALU_DEP_2)
	v_fmac_f32_e32 v10, 0x32a5705f, v47
	v_cvt_i32_f32_e32 v9, v9
	v_add_f32_e32 v8, v8, v10
	s_delay_alu instid0(VALU_DEP_1) | instskip(SKIP_2) | instid1(VALU_DEP_1)
	v_exp_f32_e32 v8, v8
	s_waitcnt_depctr 0xfff
	v_ldexp_f32 v8, v8, v9
	v_cndmask_b32_e32 v8, 0, v8, vcc_lo
	v_cmp_nlt_f32_e32 vcc_lo, 0x42b17218, v47
	s_delay_alu instid0(VALU_DEP_2) | instskip(NEXT) | instid1(VALU_DEP_1)
	v_cndmask_b32_e32 v10, 0x7f800000, v8, vcc_lo
	v_add_f32_e32 v11, 1.0, v10
	s_delay_alu instid0(VALU_DEP_1) | instskip(NEXT) | instid1(VALU_DEP_1)
	v_cvt_f64_f32_e32 v[8:9], v11
	v_frexp_exp_i32_f64_e32 v8, v[8:9]
	v_frexp_mant_f32_e32 v9, v11
	s_delay_alu instid0(VALU_DEP_1) | instskip(SKIP_1) | instid1(VALU_DEP_1)
	v_cmp_gt_f32_e32 vcc_lo, 0x3f2aaaab, v9
	v_add_f32_e32 v9, -1.0, v11
	v_sub_f32_e32 v13, v9, v11
	v_sub_f32_e32 v9, v10, v9
	s_delay_alu instid0(VALU_DEP_2) | instskip(NEXT) | instid1(VALU_DEP_1)
	v_add_f32_e32 v13, 1.0, v13
	v_add_f32_e32 v9, v9, v13
	v_cmp_gt_f32_e64 s6, 0x33800000, v10
	v_subrev_co_ci_u32_e32 v8, vcc_lo, 0, v8, vcc_lo
	v_cmp_eq_f32_e32 vcc_lo, 0x7f800000, v10
	s_delay_alu instid0(VALU_DEP_2) | instskip(SKIP_2) | instid1(VALU_DEP_2)
	v_sub_nc_u32_e32 v12, 0, v8
	v_cvt_f32_i32_e32 v8, v8
	s_or_b32 vcc_lo, s6, vcc_lo
	v_ldexp_f32 v11, v11, v12
	v_ldexp_f32 v9, v9, v12
	s_delay_alu instid0(VALU_DEP_2) | instskip(NEXT) | instid1(VALU_DEP_1)
	v_add_f32_e32 v14, 1.0, v11
	v_dual_add_f32 v12, -1.0, v11 :: v_dual_add_f32 v13, -1.0, v14
	s_delay_alu instid0(VALU_DEP_1) | instskip(NEXT) | instid1(VALU_DEP_2)
	v_add_f32_e32 v15, 1.0, v12
	v_sub_f32_e32 v13, v11, v13
	s_delay_alu instid0(VALU_DEP_2) | instskip(NEXT) | instid1(VALU_DEP_2)
	v_sub_f32_e32 v11, v11, v15
	v_add_f32_e32 v13, v9, v13
	s_delay_alu instid0(VALU_DEP_2) | instskip(NEXT) | instid1(VALU_DEP_2)
	v_add_f32_e32 v9, v9, v11
	v_add_f32_e32 v15, v14, v13
	s_delay_alu instid0(VALU_DEP_2) | instskip(NEXT) | instid1(VALU_DEP_2)
	v_add_f32_e32 v16, v12, v9
	v_rcp_f32_e32 v11, v15
	v_sub_f32_e32 v14, v14, v15
	s_delay_alu instid0(VALU_DEP_1) | instskip(SKIP_2) | instid1(VALU_DEP_1)
	v_dual_sub_f32 v12, v12, v16 :: v_dual_add_f32 v13, v13, v14
	s_waitcnt_depctr 0xfff
	v_mul_f32_e32 v17, v16, v11
	v_mul_f32_e32 v47, v15, v17
	s_delay_alu instid0(VALU_DEP_1) | instskip(NEXT) | instid1(VALU_DEP_1)
	v_fma_f32 v14, v17, v15, -v47
	v_fmac_f32_e32 v14, v17, v13
	s_delay_alu instid0(VALU_DEP_1) | instskip(NEXT) | instid1(VALU_DEP_1)
	v_add_f32_e32 v48, v47, v14
	v_sub_f32_e32 v49, v16, v48
	s_delay_alu instid0(VALU_DEP_1) | instskip(NEXT) | instid1(VALU_DEP_1)
	v_sub_f32_e32 v16, v16, v49
	v_sub_f32_e32 v16, v16, v48
	v_dual_add_f32 v9, v9, v12 :: v_dual_sub_f32 v12, v48, v47
	s_delay_alu instid0(VALU_DEP_1) | instskip(NEXT) | instid1(VALU_DEP_1)
	v_dual_add_f32 v9, v9, v16 :: v_dual_sub_f32 v12, v12, v14
	v_add_f32_e32 v9, v12, v9
	s_delay_alu instid0(VALU_DEP_1) | instskip(NEXT) | instid1(VALU_DEP_1)
	v_add_f32_e32 v12, v49, v9
	v_mul_f32_e32 v14, v11, v12
	s_delay_alu instid0(VALU_DEP_1) | instskip(SKIP_1) | instid1(VALU_DEP_2)
	v_mul_f32_e32 v16, v15, v14
	v_sub_f32_e32 v48, v49, v12
	v_fma_f32 v15, v14, v15, -v16
	s_delay_alu instid0(VALU_DEP_2) | instskip(NEXT) | instid1(VALU_DEP_2)
	v_add_f32_e32 v9, v9, v48
	v_fmac_f32_e32 v15, v14, v13
	s_delay_alu instid0(VALU_DEP_1) | instskip(NEXT) | instid1(VALU_DEP_1)
	v_add_f32_e32 v13, v16, v15
	v_sub_f32_e32 v47, v12, v13
	s_delay_alu instid0(VALU_DEP_1) | instskip(NEXT) | instid1(VALU_DEP_1)
	v_sub_f32_e32 v12, v12, v47
	v_sub_f32_e32 v12, v12, v13
	s_delay_alu instid0(VALU_DEP_1) | instskip(SKIP_2) | instid1(VALU_DEP_1)
	v_add_f32_e32 v9, v9, v12
	v_add_f32_e32 v12, v17, v14
	v_sub_f32_e32 v16, v13, v16
	v_sub_f32_e32 v13, v16, v15
	s_delay_alu instid0(VALU_DEP_1) | instskip(NEXT) | instid1(VALU_DEP_4)
	v_add_f32_e32 v9, v13, v9
	v_sub_f32_e32 v13, v12, v17
	s_delay_alu instid0(VALU_DEP_2) | instskip(NEXT) | instid1(VALU_DEP_2)
	v_add_f32_e32 v9, v47, v9
	v_sub_f32_e32 v13, v14, v13
	s_delay_alu instid0(VALU_DEP_2) | instskip(NEXT) | instid1(VALU_DEP_1)
	v_mul_f32_e32 v9, v11, v9
	v_add_f32_e32 v9, v13, v9
	s_delay_alu instid0(VALU_DEP_1) | instskip(NEXT) | instid1(VALU_DEP_1)
	v_add_f32_e32 v11, v12, v9
	v_mul_f32_e32 v13, v11, v11
	s_delay_alu instid0(VALU_DEP_1) | instskip(SKIP_1) | instid1(VALU_DEP_2)
	v_fmaak_f32 v14, s59, v13, 0x3ecc95a3
	v_mul_f32_e32 v15, v11, v13
	v_fmaak_f32 v13, v13, v14, 0x3f2aaada
	v_ldexp_f32 v14, v11, 1
	s_delay_alu instid0(VALU_DEP_2) | instskip(SKIP_1) | instid1(VALU_DEP_2)
	v_mul_f32_e32 v13, v15, v13
	v_sub_f32_e32 v11, v11, v12
	v_dual_mul_f32 v15, 0x3f317218, v8 :: v_dual_add_f32 v12, v14, v13
	s_delay_alu instid0(VALU_DEP_2) | instskip(NEXT) | instid1(VALU_DEP_2)
	v_sub_f32_e32 v9, v9, v11
	v_sub_f32_e32 v11, v12, v14
	s_delay_alu instid0(VALU_DEP_3) | instskip(NEXT) | instid1(VALU_DEP_3)
	v_fma_f32 v14, 0x3f317218, v8, -v15
	v_ldexp_f32 v9, v9, 1
	s_delay_alu instid0(VALU_DEP_2) | instskip(NEXT) | instid1(VALU_DEP_1)
	v_dual_sub_f32 v11, v13, v11 :: v_dual_fmac_f32 v14, 0xb102e308, v8
	v_dual_add_f32 v8, v9, v11 :: v_dual_add_f32 v9, v15, v14
	s_delay_alu instid0(VALU_DEP_1) | instskip(NEXT) | instid1(VALU_DEP_1)
	v_add_f32_e32 v11, v12, v8
	v_dual_add_f32 v13, v9, v11 :: v_dual_sub_f32 v12, v11, v12
	s_delay_alu instid0(VALU_DEP_1) | instskip(NEXT) | instid1(VALU_DEP_2)
	v_sub_f32_e32 v16, v13, v9
	v_dual_sub_f32 v15, v9, v15 :: v_dual_sub_f32 v8, v8, v12
	s_delay_alu instid0(VALU_DEP_1) | instskip(SKIP_1) | instid1(VALU_DEP_2)
	v_dual_sub_f32 v17, v13, v16 :: v_dual_sub_f32 v14, v14, v15
	v_sub_f32_e32 v11, v11, v16
	v_dual_sub_f32 v9, v9, v17 :: v_dual_add_f32 v12, v14, v8
	s_delay_alu instid0(VALU_DEP_1) | instskip(NEXT) | instid1(VALU_DEP_2)
	v_add_f32_e32 v9, v11, v9
	v_sub_f32_e32 v11, v12, v14
	s_delay_alu instid0(VALU_DEP_2) | instskip(NEXT) | instid1(VALU_DEP_2)
	v_add_f32_e32 v9, v12, v9
	v_sub_f32_e32 v12, v12, v11
	s_delay_alu instid0(VALU_DEP_2) | instskip(NEXT) | instid1(VALU_DEP_1)
	v_dual_sub_f32 v8, v8, v11 :: v_dual_add_f32 v15, v13, v9
	v_dual_sub_f32 v12, v14, v12 :: v_dual_sub_f32 v11, v15, v13
	s_delay_alu instid0(VALU_DEP_1) | instskip(NEXT) | instid1(VALU_DEP_1)
	v_dual_add_f32 v8, v8, v12 :: v_dual_sub_f32 v9, v9, v11
	v_add_f32_e32 v8, v8, v9
	s_delay_alu instid0(VALU_DEP_1) | instskip(NEXT) | instid1(VALU_DEP_1)
	v_add_f32_e32 v8, v15, v8
	v_cndmask_b32_e32 v47, v8, v10, vcc_lo
.LBB75_28:                              ;   in Loop: Header=BB75_12 Depth=1
	s_or_b32 exec_lo, exec_lo, s7
	v_cvt_f32_f16_e32 v8, v40
	s_delay_alu instid0(VALU_DEP_1) | instskip(NEXT) | instid1(VALU_DEP_1)
	v_add_f32_e32 v56, s48, v8
	v_cmp_ge_f32_e32 vcc_lo, 0x41a00000, v56
	s_and_b32 s6, s55, vcc_lo
	s_delay_alu instid0(SALU_CYCLE_1)
	s_and_saveexec_b32 s7, s6
	s_cbranch_execz .LBB75_30
; %bb.29:                               ;   in Loop: Header=BB75_12 Depth=1
	v_mul_f32_e32 v8, 0x3fb8aa3b, v56
	v_cmp_ngt_f32_e32 vcc_lo, 0xc2ce8ed0, v56
	s_delay_alu instid0(VALU_DEP_2) | instskip(SKIP_1) | instid1(VALU_DEP_2)
	v_rndne_f32_e32 v9, v8
	v_fma_f32 v10, 0x3fb8aa3b, v56, -v8
	v_sub_f32_e32 v8, v8, v9
	s_delay_alu instid0(VALU_DEP_2) | instskip(SKIP_1) | instid1(VALU_DEP_2)
	v_fmac_f32_e32 v10, 0x32a5705f, v56
	v_cvt_i32_f32_e32 v9, v9
	v_add_f32_e32 v8, v8, v10
	s_delay_alu instid0(VALU_DEP_1) | instskip(SKIP_2) | instid1(VALU_DEP_1)
	v_exp_f32_e32 v8, v8
	s_waitcnt_depctr 0xfff
	v_ldexp_f32 v8, v8, v9
	v_cndmask_b32_e32 v8, 0, v8, vcc_lo
	v_cmp_nlt_f32_e32 vcc_lo, 0x42b17218, v56
	s_delay_alu instid0(VALU_DEP_2) | instskip(NEXT) | instid1(VALU_DEP_1)
	v_cndmask_b32_e32 v10, 0x7f800000, v8, vcc_lo
	v_add_f32_e32 v11, 1.0, v10
	s_delay_alu instid0(VALU_DEP_1) | instskip(NEXT) | instid1(VALU_DEP_1)
	v_cvt_f64_f32_e32 v[8:9], v11
	v_frexp_exp_i32_f64_e32 v8, v[8:9]
	v_frexp_mant_f32_e32 v9, v11
	s_delay_alu instid0(VALU_DEP_1) | instskip(SKIP_1) | instid1(VALU_DEP_1)
	v_cmp_gt_f32_e32 vcc_lo, 0x3f2aaaab, v9
	v_add_f32_e32 v9, -1.0, v11
	v_sub_f32_e32 v13, v9, v11
	v_sub_f32_e32 v9, v10, v9
	s_delay_alu instid0(VALU_DEP_2) | instskip(NEXT) | instid1(VALU_DEP_1)
	v_add_f32_e32 v13, 1.0, v13
	v_add_f32_e32 v9, v9, v13
	v_cmp_gt_f32_e64 s6, 0x33800000, v10
	v_subrev_co_ci_u32_e32 v8, vcc_lo, 0, v8, vcc_lo
	v_cmp_eq_f32_e32 vcc_lo, 0x7f800000, v10
	s_delay_alu instid0(VALU_DEP_2) | instskip(SKIP_2) | instid1(VALU_DEP_2)
	v_sub_nc_u32_e32 v12, 0, v8
	v_cvt_f32_i32_e32 v8, v8
	s_or_b32 vcc_lo, s6, vcc_lo
	v_ldexp_f32 v11, v11, v12
	v_ldexp_f32 v9, v9, v12
	s_delay_alu instid0(VALU_DEP_2) | instskip(NEXT) | instid1(VALU_DEP_1)
	v_add_f32_e32 v14, 1.0, v11
	v_dual_add_f32 v12, -1.0, v11 :: v_dual_add_f32 v13, -1.0, v14
	s_delay_alu instid0(VALU_DEP_1) | instskip(NEXT) | instid1(VALU_DEP_2)
	v_add_f32_e32 v15, 1.0, v12
	v_sub_f32_e32 v13, v11, v13
	s_delay_alu instid0(VALU_DEP_2) | instskip(NEXT) | instid1(VALU_DEP_2)
	v_sub_f32_e32 v11, v11, v15
	v_add_f32_e32 v13, v9, v13
	s_delay_alu instid0(VALU_DEP_2) | instskip(NEXT) | instid1(VALU_DEP_1)
	v_add_f32_e32 v9, v9, v11
	v_add_f32_e32 v16, v12, v9
	s_delay_alu instid0(VALU_DEP_1) | instskip(NEXT) | instid1(VALU_DEP_1)
	v_dual_add_f32 v15, v14, v13 :: v_dual_sub_f32 v12, v12, v16
	v_rcp_f32_e32 v11, v15
	v_sub_f32_e32 v14, v14, v15
	s_delay_alu instid0(VALU_DEP_1) | instskip(SKIP_2) | instid1(VALU_DEP_1)
	v_add_f32_e32 v13, v13, v14
	s_waitcnt_depctr 0xfff
	v_mul_f32_e32 v17, v16, v11
	v_dual_mul_f32 v48, v15, v17 :: v_dual_add_f32 v9, v9, v12
	s_delay_alu instid0(VALU_DEP_1) | instskip(NEXT) | instid1(VALU_DEP_1)
	v_fma_f32 v14, v17, v15, -v48
	v_fmac_f32_e32 v14, v17, v13
	s_delay_alu instid0(VALU_DEP_1) | instskip(NEXT) | instid1(VALU_DEP_1)
	v_add_f32_e32 v49, v48, v14
	v_sub_f32_e32 v50, v16, v49
	v_sub_f32_e32 v12, v49, v48
	s_delay_alu instid0(VALU_DEP_2) | instskip(NEXT) | instid1(VALU_DEP_1)
	v_sub_f32_e32 v16, v16, v50
	v_sub_f32_e32 v16, v16, v49
	s_delay_alu instid0(VALU_DEP_1) | instskip(NEXT) | instid1(VALU_DEP_1)
	v_dual_sub_f32 v12, v12, v14 :: v_dual_add_f32 v9, v9, v16
	v_add_f32_e32 v9, v12, v9
	s_delay_alu instid0(VALU_DEP_1) | instskip(NEXT) | instid1(VALU_DEP_1)
	v_add_f32_e32 v12, v50, v9
	v_mul_f32_e32 v14, v11, v12
	s_delay_alu instid0(VALU_DEP_1) | instskip(NEXT) | instid1(VALU_DEP_1)
	v_dual_sub_f32 v49, v50, v12 :: v_dual_mul_f32 v16, v15, v14
	v_add_f32_e32 v9, v9, v49
	s_delay_alu instid0(VALU_DEP_2) | instskip(NEXT) | instid1(VALU_DEP_1)
	v_fma_f32 v15, v14, v15, -v16
	v_fmac_f32_e32 v15, v14, v13
	s_delay_alu instid0(VALU_DEP_1) | instskip(NEXT) | instid1(VALU_DEP_1)
	v_add_f32_e32 v13, v16, v15
	v_sub_f32_e32 v48, v12, v13
	s_delay_alu instid0(VALU_DEP_1) | instskip(NEXT) | instid1(VALU_DEP_1)
	v_sub_f32_e32 v12, v12, v48
	v_sub_f32_e32 v12, v12, v13
	s_delay_alu instid0(VALU_DEP_1) | instskip(SKIP_2) | instid1(VALU_DEP_1)
	v_add_f32_e32 v9, v9, v12
	v_add_f32_e32 v12, v17, v14
	v_sub_f32_e32 v16, v13, v16
	v_sub_f32_e32 v13, v16, v15
	s_delay_alu instid0(VALU_DEP_1) | instskip(NEXT) | instid1(VALU_DEP_4)
	v_add_f32_e32 v9, v13, v9
	v_sub_f32_e32 v13, v12, v17
	s_delay_alu instid0(VALU_DEP_2) | instskip(NEXT) | instid1(VALU_DEP_2)
	v_add_f32_e32 v9, v48, v9
	v_sub_f32_e32 v13, v14, v13
	s_delay_alu instid0(VALU_DEP_2) | instskip(NEXT) | instid1(VALU_DEP_1)
	v_mul_f32_e32 v9, v11, v9
	v_add_f32_e32 v9, v13, v9
	s_delay_alu instid0(VALU_DEP_1) | instskip(NEXT) | instid1(VALU_DEP_1)
	v_add_f32_e32 v11, v12, v9
	v_mul_f32_e32 v13, v11, v11
	s_delay_alu instid0(VALU_DEP_1) | instskip(SKIP_1) | instid1(VALU_DEP_2)
	v_fmaak_f32 v14, s59, v13, 0x3ecc95a3
	v_mul_f32_e32 v15, v11, v13
	v_fmaak_f32 v13, v13, v14, 0x3f2aaada
	v_ldexp_f32 v14, v11, 1
	v_sub_f32_e32 v11, v11, v12
	s_delay_alu instid0(VALU_DEP_3) | instskip(SKIP_1) | instid1(VALU_DEP_2)
	v_mul_f32_e32 v13, v15, v13
	v_mul_f32_e32 v15, 0x3f317218, v8
	v_dual_sub_f32 v9, v9, v11 :: v_dual_add_f32 v12, v14, v13
	s_delay_alu instid0(VALU_DEP_1) | instskip(NEXT) | instid1(VALU_DEP_2)
	v_ldexp_f32 v9, v9, 1
	v_sub_f32_e32 v11, v12, v14
	s_delay_alu instid0(VALU_DEP_4) | instskip(NEXT) | instid1(VALU_DEP_1)
	v_fma_f32 v14, 0x3f317218, v8, -v15
	v_dual_sub_f32 v11, v13, v11 :: v_dual_fmac_f32 v14, 0xb102e308, v8
	s_delay_alu instid0(VALU_DEP_1) | instskip(NEXT) | instid1(VALU_DEP_1)
	v_dual_add_f32 v8, v9, v11 :: v_dual_add_f32 v9, v15, v14
	v_add_f32_e32 v11, v12, v8
	s_delay_alu instid0(VALU_DEP_2) | instskip(NEXT) | instid1(VALU_DEP_2)
	v_sub_f32_e32 v15, v9, v15
	v_dual_add_f32 v13, v9, v11 :: v_dual_sub_f32 v12, v11, v12
	s_delay_alu instid0(VALU_DEP_2) | instskip(NEXT) | instid1(VALU_DEP_2)
	v_sub_f32_e32 v14, v14, v15
	v_sub_f32_e32 v16, v13, v9
	s_delay_alu instid0(VALU_DEP_3) | instskip(NEXT) | instid1(VALU_DEP_2)
	v_sub_f32_e32 v8, v8, v12
	v_sub_f32_e32 v17, v13, v16
	;; [unrolled: 1-line block ×3, first 2 shown]
	s_delay_alu instid0(VALU_DEP_2) | instskip(NEXT) | instid1(VALU_DEP_1)
	v_dual_add_f32 v12, v14, v8 :: v_dual_sub_f32 v9, v9, v17
	v_add_f32_e32 v9, v11, v9
	s_delay_alu instid0(VALU_DEP_2) | instskip(NEXT) | instid1(VALU_DEP_2)
	v_sub_f32_e32 v11, v12, v14
	v_add_f32_e32 v9, v12, v9
	s_delay_alu instid0(VALU_DEP_2) | instskip(NEXT) | instid1(VALU_DEP_2)
	v_sub_f32_e32 v12, v12, v11
	v_dual_sub_f32 v8, v8, v11 :: v_dual_add_f32 v15, v13, v9
	s_delay_alu instid0(VALU_DEP_1) | instskip(NEXT) | instid1(VALU_DEP_1)
	v_dual_sub_f32 v12, v14, v12 :: v_dual_sub_f32 v11, v15, v13
	v_dual_add_f32 v8, v8, v12 :: v_dual_sub_f32 v9, v9, v11
	s_delay_alu instid0(VALU_DEP_1) | instskip(NEXT) | instid1(VALU_DEP_1)
	v_add_f32_e32 v8, v8, v9
	v_add_f32_e32 v8, v15, v8
	s_delay_alu instid0(VALU_DEP_1)
	v_cndmask_b32_e32 v56, v8, v10, vcc_lo
.LBB75_30:                              ;   in Loop: Header=BB75_12 Depth=1
	s_or_b32 exec_lo, exec_lo, s7
	v_cvt_f32_f16_e32 v8, v3
	v_cvt_f32_f16_e32 v9, v36
	;; [unrolled: 1-line block ×8, first 2 shown]
	v_dual_mul_f32 v48, s49, v8 :: v_dual_mul_f32 v49, s49, v9
	s_delay_alu instid0(VALU_DEP_4) | instskip(NEXT) | instid1(VALU_DEP_4)
	v_dual_mul_f32 v50, s49, v10 :: v_dual_mul_f32 v51, s49, v13
	v_dual_mul_f32 v52, s49, v12 :: v_dual_mul_f32 v55, s49, v14
	s_delay_alu instid0(VALU_DEP_4)
	v_mul_f32_e32 v54, s49, v15
	v_mul_f32_e32 v53, s49, v11
	s_lshl_b32 s24, s61, 9
	s_and_b32 vcc_lo, exec_lo, s56
	s_barrier
	buffer_gl0_inv
	s_cbranch_vccz .LBB75_11
; %bb.31:                               ;   in Loop: Header=BB75_12 Depth=1
	v_dual_mul_f32 v59, v46, v9 :: v_dual_mul_f32 v60, v45, v10
	v_add_nc_u32_e32 v9, -1, v32
	s_sub_i32 s16, s34, s24
	s_cmp_lg_u32 s61, 0
	v_dual_mul_f32 v57, v56, v11 :: v_dual_mul_f32 v58, v47, v8
	s_delay_alu instid0(VALU_DEP_2)
	v_cmp_gt_i32_e32 vcc_lo, 0, v9
	v_and_b32_e32 v8, 15, v32
	v_and_b32_e32 v10, 16, v32
	;; [unrolled: 1-line block ×3, first 2 shown]
	v_add_co_u32 v65, s6, s41, v31
	v_cndmask_b32_e32 v9, v9, v32, vcc_lo
	v_cmp_gt_u32_e32 vcc_lo, s16, v19
	s_cselect_b32 s25, -1, 0
	s_cmp_eq_u32 s61, s58
	v_add_co_ci_u32_e64 v66, null, s50, 0, s6
	v_add_co_u32 v67, s6, s45, v31
	v_cmp_gt_u32_e64 s14, s16, v24
	v_cmp_gt_u32_e64 s15, s16, v25
	s_cselect_b32 s62, -1, 0
	s_or_b32 s13, s57, vcc_lo
	v_cmp_gt_u32_e32 vcc_lo, s16, v26
	v_cmp_gt_u32_e64 s17, s16, v27
	v_cmp_gt_u32_e64 s18, s16, v28
	;; [unrolled: 1-line block ×4, first 2 shown]
	v_dual_mul_f32 v61, v44, v12 :: v_dual_mul_f32 v62, v43, v13
	v_dual_mul_f32 v63, v42, v14 :: v_dual_mul_f32 v64, v41, v15
	v_add_co_ci_u32_e64 v68, null, s51, 0, s6
	v_cmp_ne_u32_e64 s6, 0, v8
	v_cmp_lt_u32_e64 s7, 1, v8
	v_cmp_lt_u32_e64 s8, 3, v8
	;; [unrolled: 1-line block ×3, first 2 shown]
	v_cmp_ne_u32_e64 s10, 0, v10
	v_cmp_eq_u32_e64 s11, 0, v11
	v_lshlrev_b32_e32 v69, 2, v9
	v_cmp_eq_u32_e64 s12, 0, v32
	s_mov_b32 s22, 0
	s_or_b32 s14, s57, s14
	s_or_b32 s15, s57, s15
	s_or_b32 s16, s57, vcc_lo
	s_or_b32 s17, s57, s17
	s_or_b32 s18, s57, s18
	;; [unrolled: 1-line block ×4, first 2 shown]
	s_mov_b32 s30, s22
	s_mov_b32 s38, s22
	;; [unrolled: 1-line block ×5, first 2 shown]
	s_branch .LBB75_33
.LBB75_32:                              ;   in Loop: Header=BB75_33 Depth=2
	s_or_b32 exec_lo, exec_lo, s21
	v_cndmask_b32_e64 v13, v87, v15, s12
	v_cndmask_b32_e64 v14, v86, v14, s12
	s_add_i32 s63, s63, -1
	s_add_i32 s64, s64, 8
	s_add_i32 s42, s42, s26
	v_fma_f32 v13, v13, v73, v71
	v_mul_f32_e32 v14, v14, v73
	s_add_i32 s38, s38, s44
	s_add_i32 s30, s30, s40
	;; [unrolled: 1-line block ×3, first 2 shown]
	v_cndmask_b32_e64 v13, v13, v71, s5
	v_cndmask_b32_e64 v14, v14, v73, s5
	s_cmp_eq_u32 s63, 0
	s_waitcnt lgkmcnt(0)
	s_delay_alu instid0(VALU_DEP_1) | instskip(NEXT) | instid1(VALU_DEP_1)
	v_fmac_f32_e32 v13, v12, v14
	v_fmac_f32_e32 v70, v13, v75
	s_delay_alu instid0(VALU_DEP_1) | instskip(SKIP_2) | instid1(VALU_DEP_3)
	v_fmac_f32_e32 v72, v70, v77
	v_fma_mix_f32 v54, v13, v8, v54 op_sel_hi:[0,1,0]
	v_fma_mix_f32 v55, v70, v8, v55 op_sel:[0,1,0] op_sel_hi:[0,1,0]
	v_fmac_f32_e32 v74, v72, v79
	v_fma_mix_f32 v51, v72, v9, v51 op_sel_hi:[0,1,0]
	s_delay_alu instid0(VALU_DEP_2) | instskip(SKIP_1) | instid1(VALU_DEP_2)
	v_fmac_f32_e32 v76, v74, v80
	v_fma_mix_f32 v52, v74, v9, v52 op_sel:[0,1,0] op_sel_hi:[0,1,0]
	v_fmac_f32_e32 v78, v76, v85
	v_fma_mix_f32 v50, v76, v10, v50 op_sel_hi:[0,1,0]
	s_delay_alu instid0(VALU_DEP_2) | instskip(SKIP_1) | instid1(VALU_DEP_2)
	v_fmac_f32_e32 v81, v78, v83
	v_fma_mix_f32 v49, v78, v10, v49 op_sel:[0,1,0] op_sel_hi:[0,1,0]
	v_fmac_f32_e32 v82, v81, v84
	v_fma_mix_f32 v48, v81, v11, v48 op_sel_hi:[0,1,0]
	s_delay_alu instid0(VALU_DEP_2)
	v_fma_mix_f32 v53, v82, v11, v53 op_sel:[0,1,0] op_sel_hi:[0,1,0]
	s_cbranch_scc1 .LBB75_11
.LBB75_33:                              ;   Parent Loop BB75_12 Depth=1
                                        ; =>  This Inner Loop Header: Depth=2
	s_lshl_b64 s[66:67], s[22:23], 2
	s_mov_b32 s31, s23
	s_add_u32 s66, s36, s66
	s_addc_u32 s67, s27, s67
	s_lshl_b64 s[68:69], s[30:31], 1
	s_mov_b32 s39, s23
	v_add_co_u32 v8, vcc_lo, v65, s68
	v_add_co_ci_u32_e32 v9, vcc_lo, s69, v66, vcc_lo
	s_lshl_b64 s[68:69], s[38:39], 1
	s_delay_alu instid0(SALU_CYCLE_1)
	v_add_co_u32 v10, vcc_lo, v67, s68
	v_add_co_ci_u32_e32 v11, vcc_lo, s69, v68, vcc_lo
	global_load_b32 v70, v18, s[66:67]
	global_load_b128 v[12:15], v[8:9], off
	global_load_b128 v[8:11], v[10:11], off
	s_and_not1_b32 vcc_lo, exec_lo, s25
	s_cbranch_vccnz .LBB75_35
; %bb.34:                               ;   in Loop: Header=BB75_33 Depth=2
	v_mov_b32_e32 v16, s64
	ds_load_b64 v[16:17], v16
	s_cbranch_execz .LBB75_36
	s_branch .LBB75_39
.LBB75_35:                              ;   in Loop: Header=BB75_33 Depth=2
                                        ; implicit-def: $vgpr16
.LBB75_36:                              ;   in Loop: Header=BB75_33 Depth=2
	s_waitcnt lgkmcnt(0)
	v_mov_b32_e32 v17, 0
	s_and_not1_b32 vcc_lo, exec_lo, s33
	s_cbranch_vccnz .LBB75_38
; %bb.37:                               ;   in Loop: Header=BB75_33 Depth=2
	s_mov_b32 s43, s23
	s_delay_alu instid0(SALU_CYCLE_1) | instskip(NEXT) | instid1(SALU_CYCLE_1)
	s_lshl_b64 s[66:67], s[42:43], 1
	s_add_u32 s66, s52, s66
	s_addc_u32 s67, s53, s67
	global_load_u16 v16, v18, s[66:67]
	s_waitcnt vmcnt(0)
	v_cvt_f32_f16_e32 v17, v16
.LBB75_38:                              ;   in Loop: Header=BB75_33 Depth=2
	v_mov_b32_e32 v16, 1.0
.LBB75_39:                              ;   in Loop: Header=BB75_33 Depth=2
	s_waitcnt vmcnt(2)
	v_mul_f32_e32 v81, 0x3fb8aa3b, v70
	s_waitcnt vmcnt(1)
	v_cvt_f32_f16_e32 v70, v12
	v_lshrrev_b32_e32 v12, 16, v12
	v_cvt_f32_f16_e32 v72, v13
	v_cvt_f32_f16_e32 v76, v14
	v_lshrrev_b32_e32 v14, 16, v14
	v_lshrrev_b32_e32 v13, 16, v13
	v_cvt_f32_f16_e32 v12, v12
	v_cvt_f32_f16_e32 v82, v15
	v_lshrrev_b32_e32 v15, 16, v15
	v_mul_f32_e32 v70, v64, v70
	v_mul_f32_e32 v72, v62, v72
	v_dual_mul_f32 v12, v63, v12 :: v_dual_mul_f32 v71, v81, v41
	v_mul_f32_e32 v73, v81, v42
	v_mul_f32_e32 v74, v81, v43
	;; [unrolled: 1-line block ×3, first 2 shown]
	v_cvt_f32_f16_e32 v14, v14
	v_cmp_gt_f32_e32 vcc_lo, 0xc2fc0000, v71
	v_cmp_gt_f32_e64 s21, 0xc2fc0000, v73
	v_cvt_f32_f16_e32 v13, v13
	v_mul_f32_e32 v82, v58, v82
	v_cndmask_b32_e64 v72, 0, v72, s15
	v_cndmask_b32_e64 v71, 0, 0x42800000, vcc_lo
	v_cndmask_b32_e64 v73, 0, 0x42800000, s21
	v_cndmask_b32_e64 v75, 1.0, 0x1f800000, vcc_lo
	v_cmp_gt_f32_e32 vcc_lo, 0xc2fc0000, v74
	s_delay_alu instid0(VALU_DEP_4) | instskip(NEXT) | instid1(VALU_DEP_4)
	v_dual_mul_f32 v76, v60, v76 :: v_dual_fmac_f32 v71, v81, v41
	v_fmac_f32_e32 v73, v81, v42
	v_cndmask_b32_e64 v78, 1.0, 0x1f800000, s21
	v_cndmask_b32_e64 v74, 0, 0x42800000, vcc_lo
	v_cmp_gt_f32_e64 s21, 0xc2fc0000, v77
	v_exp_f32_e32 v71, v71
	v_exp_f32_e32 v73, v73
	v_mul_f32_e32 v14, v59, v14
	v_fmac_f32_e32 v74, v81, v43
	v_cndmask_b32_e64 v77, 0, 0x42800000, s21
	v_mul_f32_e32 v13, v61, v13
	v_cndmask_b32_e64 v76, 0, v76, s17
	v_cvt_f32_f16_e32 v15, v15
	s_delay_alu instid0(VALU_DEP_4) | instskip(NEXT) | instid1(TRANS32_DEP_1)
	v_fmac_f32_e32 v77, v81, v44
	v_dual_mul_f32 v75, v71, v75 :: v_dual_mul_f32 v78, v73, v78
	v_cndmask_b32_e64 v71, 0, v70, s13
	v_cndmask_b32_e64 v70, 0, v12, s14
	v_exp_f32_e32 v12, v74
	v_mul_f32_e32 v74, v81, v45
	v_cndmask_b32_e64 v73, 1.0, v75, s13
	v_cndmask_b32_e64 v75, 1.0, v78, s14
	v_cndmask_b32_e64 v78, 1.0, 0x1f800000, vcc_lo
	v_exp_f32_e32 v79, v77
	v_cmp_gt_f32_e32 vcc_lo, 0xc2fc0000, v74
	v_mul_f32_e32 v77, v81, v46
	v_mul_f32_e32 v85, v81, v56
	s_delay_alu instid0(TRANS32_DEP_2) | instskip(SKIP_3) | instid1(VALU_DEP_4)
	v_dual_mul_f32 v15, v57, v15 :: v_dual_mul_f32 v12, v12, v78
	v_cndmask_b32_e64 v74, 0, 0x42800000, vcc_lo
	v_cndmask_b32_e64 v78, 1.0, 0x1f800000, s21
	v_cmp_gt_f32_e64 s21, 0xc2fc0000, v77
	v_cndmask_b32_e64 v77, 1.0, v12, s15
	s_delay_alu instid0(VALU_DEP_4) | instskip(NEXT) | instid1(VALU_DEP_4)
	v_fmac_f32_e32 v74, v81, v45
	v_mul_f32_e32 v12, v79, v78
	s_delay_alu instid0(VALU_DEP_4) | instskip(SKIP_1) | instid1(VALU_DEP_4)
	v_cndmask_b32_e64 v80, 0, 0x42800000, s21
	v_mul_f32_e32 v78, v81, v47
	v_exp_f32_e32 v83, v74
	v_cndmask_b32_e64 v74, 0, v13, s16
	s_delay_alu instid0(VALU_DEP_3)
	v_fmac_f32_e32 v80, v81, v46
	v_cndmask_b32_e64 v13, 1.0, 0x1f800000, vcc_lo
	v_cmp_gt_f32_e32 vcc_lo, 0xc2fc0000, v78
	v_cndmask_b32_e64 v79, 1.0, v12, s16
	v_cndmask_b32_e64 v78, 0, v14, s18
	v_mul_f32_e32 v14, v75, v73
	v_exp_f32_e32 v12, v80
	v_cndmask_b32_e64 v84, 0, 0x42800000, vcc_lo
	v_mul_f32_e32 v13, v83, v13
	v_cndmask_b32_e64 v83, 1.0, 0x1f800000, s21
	v_cmp_gt_f32_e64 s21, 0xc2fc0000, v85
	s_delay_alu instid0(VALU_DEP_4) | instskip(NEXT) | instid1(VALU_DEP_4)
	v_fmac_f32_e32 v84, v81, v47
	v_cndmask_b32_e64 v80, 1.0, v13, s17
	s_delay_alu instid0(VALU_DEP_3) | instskip(NEXT) | instid1(TRANS32_DEP_1)
	v_cndmask_b32_e64 v13, 0, 0x42800000, s21
	v_mul_f32_e32 v12, v12, v83
	v_fma_f32 v83, v75, v71, v70
	v_exp_f32_e32 v84, v84
	s_delay_alu instid0(VALU_DEP_3) | instskip(NEXT) | instid1(VALU_DEP_3)
	v_fmac_f32_e32 v13, v81, v56
	v_cndmask_b32_e64 v85, 1.0, v12, s18
	v_mul_f32_e32 v12, v14, v77
	v_fma_f32 v14, v83, v77, v72
	v_cndmask_b32_e64 v81, 1.0, 0x1f800000, vcc_lo
	v_exp_f32_e32 v13, v13
	s_delay_alu instid0(VALU_DEP_2)
	v_fma_f32 v14, v14, v79, v74
	s_delay_alu instid0(TRANS32_DEP_2) | instid1(VALU_DEP_2)
	v_mul_f32_e32 v83, v84, v81
	v_cndmask_b32_e64 v81, 0, v82, s19
	v_cndmask_b32_e64 v82, 1.0, 0x1f800000, s21
	v_mul_f32_e32 v12, v12, v79
	v_fma_f32 v14, v14, v80, v76
	v_cndmask_b32_e64 v83, 1.0, v83, s19
	s_delay_alu instid0(TRANS32_DEP_1) | instid1(VALU_DEP_3)
	v_dual_mul_f32 v13, v13, v82 :: v_dual_mul_f32 v12, v12, v80
	s_delay_alu instid0(VALU_DEP_3) | instskip(SKIP_1) | instid1(VALU_DEP_3)
	v_fma_f32 v14, v14, v85, v78
	v_cndmask_b32_e64 v82, 0, v15, s20
	v_cndmask_b32_e64 v84, 1.0, v13, s20
	s_delay_alu instid0(VALU_DEP_4) | instskip(NEXT) | instid1(VALU_DEP_4)
	v_mul_f32_e32 v12, v12, v85
	v_fma_f32 v13, v14, v83, v81
	s_delay_alu instid0(VALU_DEP_2) | instskip(NEXT) | instid1(VALU_DEP_2)
	v_mul_f32_e32 v12, v12, v83
	v_fma_f32 v13, v13, v84, v82
	s_delay_alu instid0(VALU_DEP_2) | instskip(NEXT) | instid1(VALU_DEP_2)
	v_mul_f32_e32 v12, v12, v84
	v_mov_b32_dpp v14, v13 row_shr:1 row_mask:0xf bank_mask:0xf
	s_delay_alu instid0(VALU_DEP_2)
	v_mov_b32_dpp v15, v12 row_shr:1 row_mask:0xf bank_mask:0xf
	s_and_saveexec_b32 s21, s6
; %bb.40:                               ;   in Loop: Header=BB75_33 Depth=2
	s_delay_alu instid0(VALU_DEP_1) | instskip(NEXT) | instid1(VALU_DEP_1)
	v_mul_f32_e32 v15, v12, v15
	v_dual_fmac_f32 v13, v12, v14 :: v_dual_mov_b32 v12, v15
; %bb.41:                               ;   in Loop: Header=BB75_33 Depth=2
	s_or_b32 exec_lo, exec_lo, s21
	s_delay_alu instid0(VALU_DEP_1) | instskip(NEXT) | instid1(VALU_DEP_2)
	v_mov_b32_dpp v14, v12 row_shr:2 row_mask:0xf bank_mask:0xf
	v_mov_b32_dpp v15, v13 row_shr:2 row_mask:0xf bank_mask:0xf
	s_and_saveexec_b32 s21, s7
; %bb.42:                               ;   in Loop: Header=BB75_33 Depth=2
	s_delay_alu instid0(VALU_DEP_1) | instskip(NEXT) | instid1(VALU_DEP_3)
	v_fmac_f32_e32 v13, v12, v15
	v_mul_f32_e32 v12, v12, v14
; %bb.43:                               ;   in Loop: Header=BB75_33 Depth=2
	s_or_b32 exec_lo, exec_lo, s21
	s_delay_alu instid0(VALU_DEP_1) | instskip(NEXT) | instid1(VALU_DEP_3)
	v_mov_b32_dpp v14, v12 row_shr:4 row_mask:0xf bank_mask:0xf
	v_mov_b32_dpp v15, v13 row_shr:4 row_mask:0xf bank_mask:0xf
	s_and_saveexec_b32 s21, s8
; %bb.44:                               ;   in Loop: Header=BB75_33 Depth=2
	s_delay_alu instid0(VALU_DEP_1) | instskip(NEXT) | instid1(VALU_DEP_3)
	v_fmac_f32_e32 v13, v12, v15
	v_mul_f32_e32 v12, v12, v14
; %bb.45:                               ;   in Loop: Header=BB75_33 Depth=2
	s_or_b32 exec_lo, exec_lo, s21
	s_delay_alu instid0(VALU_DEP_1) | instskip(NEXT) | instid1(VALU_DEP_3)
	v_mov_b32_dpp v14, v12 row_shr:8 row_mask:0xf bank_mask:0xf
	v_mov_b32_dpp v15, v13 row_shr:8 row_mask:0xf bank_mask:0xf
	s_and_saveexec_b32 s21, s9
; %bb.46:                               ;   in Loop: Header=BB75_33 Depth=2
	s_delay_alu instid0(VALU_DEP_1) | instskip(NEXT) | instid1(VALU_DEP_3)
	v_fmac_f32_e32 v13, v12, v15
	v_mul_f32_e32 v12, v12, v14
; %bb.47:                               ;   in Loop: Header=BB75_33 Depth=2
	s_or_b32 exec_lo, exec_lo, s21
	ds_swizzle_b32 v15, v12 offset:swizzle(BROADCAST,32,15)
	ds_swizzle_b32 v14, v13 offset:swizzle(BROADCAST,32,15)
	s_and_saveexec_b32 s21, s10
	s_cbranch_execz .LBB75_49
; %bb.48:                               ;   in Loop: Header=BB75_33 Depth=2
	s_waitcnt lgkmcnt(1)
	v_mul_f32_e32 v15, v12, v15
	s_waitcnt lgkmcnt(0)
	s_delay_alu instid0(VALU_DEP_1)
	v_dual_fmac_f32 v13, v12, v14 :: v_dual_mov_b32 v12, v15
.LBB75_49:                              ;   in Loop: Header=BB75_33 Depth=2
	s_or_b32 exec_lo, exec_lo, s21
	s_and_saveexec_b32 s21, s1
	s_cbranch_execz .LBB75_51
; %bb.50:                               ;   in Loop: Header=BB75_33 Depth=2
	ds_store_b64 v20, v[12:13] offset:2112
.LBB75_51:                              ;   in Loop: Header=BB75_33 Depth=2
	s_or_b32 exec_lo, exec_lo, s21
	s_waitcnt vmcnt(0) lgkmcnt(0)
	s_waitcnt_vscnt null, 0x0
	s_barrier
	buffer_gl0_inv
	s_and_saveexec_b32 s21, s2
	s_cbranch_execz .LBB75_53
; %bb.52:                               ;   in Loop: Header=BB75_33 Depth=2
	ds_load_b64 v[14:15], v21 offset:2112
	s_waitcnt lgkmcnt(0)
	v_mov_b32_dpp v86, v14 row_shr:1 row_mask:0xf bank_mask:0xf
	v_mov_b32_dpp v87, v15 row_shr:1 row_mask:0xf bank_mask:0xf
	s_delay_alu instid0(VALU_DEP_2) | instskip(NEXT) | instid1(VALU_DEP_2)
	v_mul_f32_e32 v86, v14, v86
	v_fma_f32 v87, v14, v87, v15
	s_delay_alu instid0(VALU_DEP_2) | instskip(NEXT) | instid1(VALU_DEP_2)
	v_cndmask_b32_e64 v14, v86, v14, s11
	v_cndmask_b32_e64 v15, v87, v15, s11
	ds_store_b64 v21, v[14:15] offset:2112
.LBB75_53:                              ;   in Loop: Header=BB75_33 Depth=2
	s_or_b32 exec_lo, exec_lo, s21
	s_waitcnt lgkmcnt(0)
	s_barrier
	buffer_gl0_inv
                                        ; implicit-def: $vgpr15
	s_and_saveexec_b32 s21, s4
	s_cbranch_execz .LBB75_55
; %bb.54:                               ;   in Loop: Header=BB75_33 Depth=2
	ds_load_b64 v[14:15], v20 offset:2104
	s_waitcnt lgkmcnt(0)
	v_mul_f32_e32 v86, v12, v14
	s_delay_alu instid0(VALU_DEP_1)
	v_dual_fmac_f32 v13, v12, v15 :: v_dual_mov_b32 v12, v86
.LBB75_55:                              ;   in Loop: Header=BB75_33 Depth=2
	s_or_b32 exec_lo, exec_lo, s21
	ds_bpermute_b32 v86, v69, v12
	ds_bpermute_b32 v87, v69, v13
	s_and_saveexec_b32 s21, s3
	s_cbranch_execz .LBB75_59
; %bb.56:                               ;   in Loop: Header=BB75_33 Depth=2
	ds_load_b64 v[12:13], v18 offset:2120
	s_and_saveexec_b32 s31, s5
	s_cbranch_execz .LBB75_58
; %bb.57:                               ;   in Loop: Header=BB75_33 Depth=2
	ds_store_b64 v18, v[16:17] offset:2120
.LBB75_58:                              ;   in Loop: Header=BB75_33 Depth=2
	s_or_b32 exec_lo, exec_lo, s31
	s_waitcnt lgkmcnt(0)
	v_fmac_f32_e32 v13, v17, v12
	s_delay_alu instid0(VALU_DEP_1)
	v_dual_mul_f32 v16, v16, v12 :: v_dual_mov_b32 v17, v13
.LBB75_59:                              ;   in Loop: Header=BB75_33 Depth=2
	s_or_b32 exec_lo, exec_lo, s21
	s_waitcnt lgkmcnt(0)
	s_barrier
	buffer_gl0_inv
	ds_load_b32 v12, v18 offset:2124
	s_and_saveexec_b32 s21, s5
	s_cbranch_execz .LBB75_32
; %bb.60:                               ;   in Loop: Header=BB75_33 Depth=2
	v_mov_b32_e32 v13, s64
	s_and_not1_b32 vcc_lo, exec_lo, s62
	ds_store_b64 v13, v[16:17]
	s_cbranch_vccnz .LBB75_32
; %bb.61:                               ;   in Loop: Header=BB75_33 Depth=2
	s_mov_b32 s43, s23
	v_cvt_f16_f32_e32 v13, v17
	s_lshl_b64 s[66:67], s[42:43], 1
	s_delay_alu instid0(SALU_CYCLE_1)
	s_add_u32 s66, s52, s66
	s_addc_u32 s67, s53, s67
	global_store_b16 v18, v13, s[66:67]
	s_branch .LBB75_32
.LBB75_62:
	s_nop 0
	s_sendmsg sendmsg(MSG_DEALLOC_VGPRS)
	s_endpgm
	.section	.rodata,"a",@progbits
	.p2align	6, 0x0
	.amdhsa_kernel _Z25selective_scan_fwd_kernelI32Selective_Scan_fwd_kernel_traitsILi64ELi8ELi1ELb1ELb1ELb1ELb0ELb0EN3c104HalfEfS2_EEv13SSMParamsBase
		.amdhsa_group_segment_fixed_size 0
		.amdhsa_private_segment_fixed_size 0
		.amdhsa_kernarg_size 248
		.amdhsa_user_sgpr_count 14
		.amdhsa_user_sgpr_dispatch_ptr 0
		.amdhsa_user_sgpr_queue_ptr 0
		.amdhsa_user_sgpr_kernarg_segment_ptr 1
		.amdhsa_user_sgpr_dispatch_id 0
		.amdhsa_user_sgpr_private_segment_size 0
		.amdhsa_wavefront_size32 1
		.amdhsa_uses_dynamic_stack 0
		.amdhsa_enable_private_segment 0
		.amdhsa_system_sgpr_workgroup_id_x 1
		.amdhsa_system_sgpr_workgroup_id_y 1
		.amdhsa_system_sgpr_workgroup_id_z 0
		.amdhsa_system_sgpr_workgroup_info 0
		.amdhsa_system_vgpr_workitem_id 0
		.amdhsa_next_free_vgpr 88
		.amdhsa_next_free_sgpr 70
		.amdhsa_reserve_vcc 1
		.amdhsa_float_round_mode_32 0
		.amdhsa_float_round_mode_16_64 0
		.amdhsa_float_denorm_mode_32 3
		.amdhsa_float_denorm_mode_16_64 3
		.amdhsa_dx10_clamp 1
		.amdhsa_ieee_mode 1
		.amdhsa_fp16_overflow 0
		.amdhsa_workgroup_processor_mode 1
		.amdhsa_memory_ordered 1
		.amdhsa_forward_progress 0
		.amdhsa_shared_vgpr_count 0
		.amdhsa_exception_fp_ieee_invalid_op 0
		.amdhsa_exception_fp_denorm_src 0
		.amdhsa_exception_fp_ieee_div_zero 0
		.amdhsa_exception_fp_ieee_overflow 0
		.amdhsa_exception_fp_ieee_underflow 0
		.amdhsa_exception_fp_ieee_inexact 0
		.amdhsa_exception_int_div_zero 0
	.end_amdhsa_kernel
	.section	.text._Z25selective_scan_fwd_kernelI32Selective_Scan_fwd_kernel_traitsILi64ELi8ELi1ELb1ELb1ELb1ELb0ELb0EN3c104HalfEfS2_EEv13SSMParamsBase,"axG",@progbits,_Z25selective_scan_fwd_kernelI32Selective_Scan_fwd_kernel_traitsILi64ELi8ELi1ELb1ELb1ELb1ELb0ELb0EN3c104HalfEfS2_EEv13SSMParamsBase,comdat
.Lfunc_end75:
	.size	_Z25selective_scan_fwd_kernelI32Selective_Scan_fwd_kernel_traitsILi64ELi8ELi1ELb1ELb1ELb1ELb0ELb0EN3c104HalfEfS2_EEv13SSMParamsBase, .Lfunc_end75-_Z25selective_scan_fwd_kernelI32Selective_Scan_fwd_kernel_traitsILi64ELi8ELi1ELb1ELb1ELb1ELb0ELb0EN3c104HalfEfS2_EEv13SSMParamsBase
                                        ; -- End function
	.section	.AMDGPU.csdata,"",@progbits
; Kernel info:
; codeLenInByte = 9596
; NumSgprs: 72
; NumVgprs: 88
; ScratchSize: 0
; MemoryBound: 0
; FloatMode: 240
; IeeeMode: 1
; LDSByteSize: 0 bytes/workgroup (compile time only)
; SGPRBlocks: 8
; VGPRBlocks: 10
; NumSGPRsForWavesPerEU: 72
; NumVGPRsForWavesPerEU: 88
; Occupancy: 16
; WaveLimiterHint : 0
; COMPUTE_PGM_RSRC2:SCRATCH_EN: 0
; COMPUTE_PGM_RSRC2:USER_SGPR: 14
; COMPUTE_PGM_RSRC2:TRAP_HANDLER: 0
; COMPUTE_PGM_RSRC2:TGID_X_EN: 1
; COMPUTE_PGM_RSRC2:TGID_Y_EN: 1
; COMPUTE_PGM_RSRC2:TGID_Z_EN: 0
; COMPUTE_PGM_RSRC2:TIDIG_COMP_CNT: 0
	.section	.text._Z25selective_scan_fwd_kernelI32Selective_Scan_fwd_kernel_traitsILi64ELi8ELi1ELb0ELb1ELb1ELb1ELb1EN3c104HalfEfS2_EEv13SSMParamsBase,"axG",@progbits,_Z25selective_scan_fwd_kernelI32Selective_Scan_fwd_kernel_traitsILi64ELi8ELi1ELb0ELb1ELb1ELb1ELb1EN3c104HalfEfS2_EEv13SSMParamsBase,comdat
	.protected	_Z25selective_scan_fwd_kernelI32Selective_Scan_fwd_kernel_traitsILi64ELi8ELi1ELb0ELb1ELb1ELb1ELb1EN3c104HalfEfS2_EEv13SSMParamsBase ; -- Begin function _Z25selective_scan_fwd_kernelI32Selective_Scan_fwd_kernel_traitsILi64ELi8ELi1ELb0ELb1ELb1ELb1ELb1EN3c104HalfEfS2_EEv13SSMParamsBase
	.globl	_Z25selective_scan_fwd_kernelI32Selective_Scan_fwd_kernel_traitsILi64ELi8ELi1ELb0ELb1ELb1ELb1ELb1EN3c104HalfEfS2_EEv13SSMParamsBase
	.p2align	8
	.type	_Z25selective_scan_fwd_kernelI32Selective_Scan_fwd_kernel_traitsILi64ELi8ELi1ELb0ELb1ELb1ELb1ELb1EN3c104HalfEfS2_EEv13SSMParamsBase,@function
_Z25selective_scan_fwd_kernelI32Selective_Scan_fwd_kernel_traitsILi64ELi8ELi1ELb0ELb1ELb1ELb1ELb1EN3c104HalfEfS2_EEv13SSMParamsBase: ; @_Z25selective_scan_fwd_kernelI32Selective_Scan_fwd_kernel_traitsILi64ELi8ELi1ELb0ELb1ELb1ELb1ELb1EN3c104HalfEfS2_EEv13SSMParamsBase
; %bb.0:
	s_clause 0x2
	s_load_b32 s11, s[0:1], 0x18
	s_load_b256 s[52:59], s[0:1], 0xc8
	s_load_b128 s[4:7], s[0:1], 0xe8
	s_mov_b32 s12, s15
	s_ashr_i32 s15, s14, 31
	s_mov_b32 s33, 0
	s_lshl_b64 s[8:9], s[14:15], 2
	s_waitcnt lgkmcnt(0)
	s_abs_i32 s10, s11
	s_add_u32 s2, s58, s8
	v_cvt_f32_u32_e32 v1, s10
	s_addc_u32 s3, s59, s9
	s_cmp_eq_u64 s[6:7], 0
	s_delay_alu instid0(VALU_DEP_1) | instskip(SKIP_2) | instid1(VALU_DEP_1)
	v_rcp_iflag_f32_e32 v1, v1
	s_waitcnt_depctr 0xfff
	v_mul_f32_e32 v1, 0x4f7ffffe, v1
	v_cvt_u32_f32_e32 v1, v1
	s_delay_alu instid0(VALU_DEP_1)
	v_readfirstlane_b32 s34, v1
	s_cbranch_scc1 .LBB76_2
; %bb.1:
	v_mov_b32_e32 v1, 0
	s_add_u32 s6, s6, s14
	s_addc_u32 s7, s7, s15
	global_load_u8 v1, v1, s[6:7]
	s_waitcnt vmcnt(0)
	v_and_b32_e32 v1, 1, v1
	s_delay_alu instid0(VALU_DEP_1)
	v_cmp_eq_u32_e64 s33, 1, v1
.LBB76_2:
	s_load_b64 s[6:7], s[0:1], 0x20
	s_cmp_eq_u64 s[4:5], 0
	s_cbranch_scc1 .LBB76_4
; %bb.3:
	s_add_u32 s4, s4, s8
	s_addc_u32 s5, s5, s9
	s_load_b32 s14, s[4:5], 0x0
	s_waitcnt lgkmcnt(0)
	s_ashr_i32 s15, s14, 31
.LBB76_4:
	s_waitcnt lgkmcnt(0)
	s_cmp_eq_u64 s[6:7], s[14:15]
	s_cbranch_scc1 .LBB76_172
; %bb.5:
	s_load_b512 s[16:31], s[0:1], 0x88
	s_load_b64 s[58:59], s[2:3], 0x0
	s_mov_b32 s60, 0
	s_mov_b32 s61, 0
	s_waitcnt lgkmcnt(0)
	s_cmp_eq_u64 s[22:23], 0
	s_cbranch_scc1 .LBB76_7
; %bb.6:
	s_ashr_i32 s13, s12, 31
	s_delay_alu instid0(SALU_CYCLE_1) | instskip(NEXT) | instid1(SALU_CYCLE_1)
	s_lshl_b64 s[2:3], s[12:13], 2
	s_add_u32 s2, s22, s2
	s_addc_u32 s3, s23, s3
	s_load_b32 s61, s[2:3], 0x0
.LBB76_7:
	s_cmp_eq_u64 s[28:29], 0
	s_cbranch_scc1 .LBB76_9
; %bb.8:
	s_ashr_i32 s13, s12, 31
	s_delay_alu instid0(SALU_CYCLE_1) | instskip(NEXT) | instid1(SALU_CYCLE_1)
	s_lshl_b64 s[2:3], s[12:13], 2
	s_add_u32 s2, s28, s2
	s_addc_u32 s3, s29, s3
	s_load_b32 s60, s[2:3], 0x0
.LBB76_9:
	s_sub_i32 s29, s59, s58
	s_delay_alu instid0(SALU_CYCLE_1)
	s_cmp_lt_i32 s29, 1
	s_cbranch_scc1 .LBB76_172
; %bb.10:
	s_sub_i32 s2, 0, s10
	s_load_b256 s[36:43], s[0:1], 0x4c
	s_mul_i32 s2, s2, s34
	s_abs_i32 s3, s12
	s_mul_hi_u32 s2, s34, s2
	s_ashr_i32 s5, s11, 31
	s_add_i32 s34, s34, s2
	s_ashr_i32 s2, s12, 31
	s_mul_hi_u32 s4, s3, s34
	s_xor_b32 s5, s2, s5
	s_mul_i32 s6, s4, s10
	s_load_b256 s[44:51], s[0:1], 0x2c
	s_sub_i32 s2, s3, s6
	s_add_i32 s3, s4, 1
	s_sub_i32 s6, s2, s10
	s_cmp_ge_u32 s2, s10
	s_mov_b32 s35, 0
	s_cselect_b32 s3, s3, s4
	s_cselect_b32 s2, s6, s2
	s_add_i32 s4, s3, 1
	s_cmp_ge_u32 s2, s10
	s_waitcnt lgkmcnt(0)
	s_mul_i32 s34, s58, s38
	s_cselect_b32 s4, s4, s3
	s_lshl_b64 s[2:3], s[34:35], 1
	s_xor_b32 s4, s4, s5
	s_mul_i32 s34, s39, s12
	s_sub_i32 s6, s4, s5
	s_add_u32 s4, s24, s2
	s_addc_u32 s5, s25, s3
	s_lshl_b64 s[2:3], s[34:35], 1
	s_mul_i32 s34, s58, s40
	s_add_u32 s47, s4, s2
	s_addc_u32 s51, s5, s3
	s_lshl_b64 s[2:3], s[34:35], 1
	s_mul_i32 s34, s41, s12
	;; [unrolled: 4-line block ×4, first 2 shown]
	s_add_u32 s62, s16, s2
	s_addc_u32 s63, s17, s3
	s_load_b64 s[2:3], s[0:1], 0x7c
	s_lshl_b64 s[4:5], s[34:35], 1
	s_mul_i32 s34, s6, s49
	s_add_u32 s7, s18, s4
	s_addc_u32 s8, s19, s5
	s_load_b128 s[16:19], s[0:1], 0x6c
	s_lshl_b64 s[4:5], s[34:35], 1
	s_mul_i32 s34, s58, s50
	s_add_u32 s46, s7, s4
	v_dual_mov_b32 v13, 0 :: v_dual_lshlrev_b32 v10, 3, v0
	s_addc_u32 s49, s8, s5
	s_lshl_b64 s[4:5], s[34:35], 1
	s_mul_i32 s34, s6, s37
	s_add_u32 s7, s20, s4
	s_addc_u32 s6, s21, s5
	s_lshl_b64 s[4:5], s[34:35], 1
	v_mbcnt_lo_u32_b32 v1, -1, 0
	v_and_b32_e32 v2, 0x100, v10
	s_add_u32 s50, s7, s4
	s_waitcnt lgkmcnt(0)
	s_mul_i32 s34, s14, s2
	s_addc_u32 s64, s6, s5
	s_lshl_b64 s[4:5], s[34:35], 1
	s_load_b32 s37, s[0:1], 0x84
	s_add_u32 s4, s52, s4
	s_clause 0x1
	s_load_b32 s52, s[0:1], 0xc
	s_load_b32 s0, s[0:1], 0x28
	v_or_b32_e32 v11, v1, v2
	s_mul_i32 s34, s3, s12
	s_addc_u32 s5, s53, s5
	s_lshl_b64 s[2:3], s[34:35], 1
	v_and_b32_e32 v6, 32, v0
	v_or_b32_e32 v12, 0x60, v11
	v_or_b32_e32 v17, 0xa0, v11
	;; [unrolled: 1-line block ×3, first 2 shown]
	s_add_u32 s53, s4, s2
	v_or_b32_e32 v15, 64, v11
	v_lshrrev_b32_e32 v3, 5, v12
	v_or_b32_e32 v16, 0x80, v11
	v_or_b32_e32 v18, 0xc0, v11
	v_lshrrev_b32_e32 v7, 5, v17
	v_lshrrev_b32_e32 v24, 5, v19
	v_and_b32_e32 v3, 10, v3
	s_addc_u32 s65, s5, s3
	s_add_i32 s1, s29, 0x7ff
	v_lshrrev_b32_e32 v4, 5, v2
	s_lshr_b32 s66, s1, 11
	s_waitcnt lgkmcnt(0)
	s_bitcmp1_b32 s0, 0
	v_lshrrev_b32_e32 v5, 5, v15
	v_add_lshl_u32 v3, v3, v11, 1
	v_lshrrev_b32_e32 v8, 5, v16
	v_or_b32_e32 v9, v1, v6
	v_and_b32_e32 v7, 12, v7
	v_lshrrev_b32_e32 v23, 5, v18
	v_and_b32_e32 v26, 14, v24
	s_cselect_b32 s67, -1, 0
	s_cmp_gt_i32 s52, 0
	v_add_lshl_u32 v4, v4, v11, 1
	s_cselect_b32 s68, -1, 0
	s_add_i32 s0, 0, 0x420
	v_add_lshl_u32 v5, v5, v11, 1
	v_add_nc_u32_e32 v22, 0, v3
	v_add_lshl_u32 v8, v8, v11, 1
	v_lshrrev_b32_e32 v25, 2, v9
	v_add_lshl_u32 v7, v7, v11, 1
	v_add_lshl_u32 v33, v23, v11, 1
	;; [unrolled: 1-line block ×3, first 2 shown]
	v_add_nc_u32_e32 v30, s0, v3
	v_and_b32_e32 v3, 15, v1
	s_and_b32 s1, s29, 0x1ff
	v_and_b32_e32 v27, 14, v25
	v_add_nc_u32_e32 v25, 0, v33
	v_add_nc_u32_e32 v26, 0, v34
	;; [unrolled: 1-line block ×7, first 2 shown]
	s_cmp_eq_u32 s1, 0
	v_add_nc_u32_e32 v34, s0, v34
	v_cmp_ne_u32_e64 s0, 0, v3
	v_cmp_lt_u32_e64 s1, 1, v3
	v_cmp_lt_u32_e64 s2, 3, v3
	;; [unrolled: 1-line block ×3, first 2 shown]
	v_add_nc_u32_e32 v3, -1, v1
	v_add_nc_u32_e32 v20, 0, v4
	v_lshrrev_b32_e32 v4, 2, v0
	s_mul_i32 s34, s58, s16
	v_or_b32_e32 v6, 31, v6
	v_cmp_gt_i32_e32 vcc_lo, 0, v3
	s_cselect_b32 s69, -1, 0
	s_lshl_b64 s[14:15], s[34:35], 1
	v_and_b32_e32 v4, 8, v4
	s_add_i32 s70, s66, -1
	v_cndmask_b32_e32 v3, v3, v1, vcc_lo
	s_mul_i32 s34, s17, s12
	s_add_u32 s13, s30, s14
	s_addc_u32 s16, s31, s15
	s_lshl_b64 s[14:15], s[34:35], 1
	v_cmp_eq_u32_e64 s5, v6, v0
	v_cmp_gt_u32_e64 s6, 2, v0
	v_cmp_gt_u32_e64 s8, 32, v0
	v_cmp_lt_u32_e64 s9, 31, v0
	v_cmp_eq_u32_e64 s10, 0, v0
	s_mul_i32 s34, s58, s42
	v_lshlrev_b32_e32 v0, 1, v1
	s_add_u32 s13, s13, s14
	v_add_nc_u32_e32 v35, 0, v4
	v_and_b32_e32 v4, 1, v1
	s_addc_u32 s16, s16, s15
	s_lshl_b64 s[14:15], s[34:35], 1
	v_add_nc_u32_e32 v21, 0, v5
	v_and_b32_e32 v5, 16, v1
	s_mul_i32 s34, s43, s12
	s_add_u32 s17, s54, s14
	v_lshlrev_b32_e32 v37, 2, v3
	s_addc_u32 s20, s55, s15
	s_lshl_b64 s[14:15], s[34:35], 1
	v_add_co_u32 v3, s13, s13, v0
	s_mul_i32 s34, s58, s18
	v_cmp_eq_u32_e64 s7, 0, v4
	v_add_co_ci_u32_e64 v4, null, s16, 0, s13
	s_add_u32 s16, s17, s14
	v_cmp_ne_u32_e64 s4, 0, v5
	s_addc_u32 s17, s20, s15
	s_lshl_b64 s[14:15], s[34:35], 1
	v_lshlrev_b32_e32 v5, 1, v2
	s_mul_i32 s34, s19, s12
	s_add_u32 s14, s56, s14
	s_addc_u32 s15, s57, s15
	s_lshl_b64 s[12:13], s[34:35], 1
	v_add_co_u32 v38, vcc_lo, v3, v5
	s_add_u32 s12, s14, s12
	v_add_co_u32 v3, s14, s16, v0
	v_add_co_ci_u32_e32 v39, vcc_lo, 0, v4, vcc_lo
	v_add_co_ci_u32_e64 v4, null, s17, 0, s14
	s_addc_u32 s13, s15, s13
	v_add_co_u32 v0, s12, s12, v0
	v_lshl_add_u32 v9, v9, 3, v27
	v_add_co_ci_u32_e64 v6, null, s13, 0, s12
	v_add_co_u32 v40, vcc_lo, v3, v5
	v_add_co_ci_u32_e32 v41, vcc_lo, 0, v4, vcc_lo
	v_add_co_u32 v42, vcc_lo, v0, v5
	v_or_b32_e32 v14, 32, v11
	v_add_nc_u32_e32 v23, 0, v8
	v_add_nc_u32_e32 v24, 0, v7
	v_lshl_add_u32 v27, v9, 1, 0
	v_add_nc_u32_e32 v36, 0, v10
	v_cmp_eq_u32_e64 s11, 0, v1
	v_add_co_ci_u32_e32 v43, vcc_lo, 0, v6, vcc_lo
	v_or_b32_e32 v44, 1, v10
	v_or_b32_e32 v45, 2, v10
	;; [unrolled: 1-line block ×7, first 2 shown]
	v_lshlrev_b32_e32 v51, 1, v1
	v_lshlrev_b32_e32 v52, 1, v2
	s_mov_b32 s54, 0x3e9b6dac
	s_add_i32 s55, 0, 0x850
	s_mov_b32 s56, 0xbfb8aa3b
	s_mov_b32 s57, 0xb2a5705f
	;; [unrolled: 1-line block ×3, first 2 shown]
	s_branch .LBB76_12
.LBB76_11:                              ;   in Loop: Header=BB76_12 Depth=1
	s_or_b32 exec_lo, exec_lo, s12
	s_add_u32 s59, s59, 0x400
	s_addc_u32 s44, s44, 0
	s_add_u32 s47, s47, 0x400
	s_addc_u32 s51, s51, 0
	;; [unrolled: 2-line block ×4, first 2 shown]
	s_add_i32 s58, s58, 1
	s_delay_alu instid0(SALU_CYCLE_1)
	s_cmp_lg_u32 s58, s66
	s_cbranch_scc0 .LBB76_172
.LBB76_12:                              ; =>This Loop Header: Depth=1
                                        ;     Child Loop BB76_61 Depth 2
	v_add_co_u32 v0, s12, s47, v51
	s_delay_alu instid0(VALU_DEP_1) | instskip(SKIP_1) | instid1(VALU_DEP_2)
	v_add_co_ci_u32_e64 v1, null, s51, 0, s12
	s_lshl_b32 s30, s58, 9
	v_add_co_u32 v0, vcc_lo, v0, v52
	s_sub_i32 s23, s29, s30
	s_delay_alu instid0(VALU_DEP_2)
	v_add_co_ci_u32_e32 v1, vcc_lo, 0, v1, vcc_lo
	v_cmp_gt_u32_e64 s12, s23, v11
	s_waitcnt lgkmcnt(0)
	v_mov_b32_e32 v2, 0
	s_waitcnt_vscnt null, 0x0
	s_barrier
	buffer_gl0_inv
	s_and_saveexec_b32 s13, s12
	s_cbranch_execz .LBB76_14
; %bb.13:                               ;   in Loop: Header=BB76_12 Depth=1
	global_load_u16 v2, v[0:1], off
.LBB76_14:                              ;   in Loop: Header=BB76_12 Depth=1
	s_or_b32 exec_lo, exec_lo, s13
	v_cmp_gt_u32_e64 s13, s23, v14
	v_dual_mov_b32 v3, 0 :: v_dual_mov_b32 v4, 0
	s_delay_alu instid0(VALU_DEP_2)
	s_and_saveexec_b32 s14, s13
	s_cbranch_execz .LBB76_16
; %bb.15:                               ;   in Loop: Header=BB76_12 Depth=1
	global_load_u16 v4, v[0:1], off offset:64
.LBB76_16:                              ;   in Loop: Header=BB76_12 Depth=1
	s_or_b32 exec_lo, exec_lo, s14
	v_cmp_gt_u32_e64 s14, s23, v15
	s_delay_alu instid0(VALU_DEP_1)
	s_and_saveexec_b32 s15, s14
	s_cbranch_execz .LBB76_18
; %bb.17:                               ;   in Loop: Header=BB76_12 Depth=1
	global_load_u16 v3, v[0:1], off offset:128
.LBB76_18:                              ;   in Loop: Header=BB76_12 Depth=1
	s_or_b32 exec_lo, exec_lo, s15
	v_cmp_gt_u32_e64 s15, s23, v12
	v_mov_b32_e32 v5, 0
	v_mov_b32_e32 v7, 0
	s_delay_alu instid0(VALU_DEP_3)
	s_and_saveexec_b32 s16, s15
	s_cbranch_execz .LBB76_20
; %bb.19:                               ;   in Loop: Header=BB76_12 Depth=1
	global_load_u16 v7, v[0:1], off offset:192
.LBB76_20:                              ;   in Loop: Header=BB76_12 Depth=1
	s_or_b32 exec_lo, exec_lo, s16
	v_cmp_gt_u32_e64 s16, s23, v16
	s_delay_alu instid0(VALU_DEP_1)
	s_and_saveexec_b32 s17, s16
	s_cbranch_execz .LBB76_22
; %bb.21:                               ;   in Loop: Header=BB76_12 Depth=1
	global_load_u16 v5, v[0:1], off offset:256
.LBB76_22:                              ;   in Loop: Header=BB76_12 Depth=1
	s_or_b32 exec_lo, exec_lo, s17
	v_cmp_gt_u32_e64 s17, s23, v17
	v_dual_mov_b32 v8, 0 :: v_dual_mov_b32 v9, 0
	s_delay_alu instid0(VALU_DEP_2)
	s_and_saveexec_b32 s18, s17
	s_cbranch_execz .LBB76_24
; %bb.23:                               ;   in Loop: Header=BB76_12 Depth=1
	global_load_u16 v9, v[0:1], off offset:320
.LBB76_24:                              ;   in Loop: Header=BB76_12 Depth=1
	s_or_b32 exec_lo, exec_lo, s18
	v_cmp_gt_u32_e64 s18, s23, v18
	s_delay_alu instid0(VALU_DEP_1)
	s_and_saveexec_b32 s19, s18
	s_cbranch_execz .LBB76_26
; %bb.25:                               ;   in Loop: Header=BB76_12 Depth=1
	global_load_u16 v8, v[0:1], off offset:384
.LBB76_26:                              ;   in Loop: Header=BB76_12 Depth=1
	s_or_b32 exec_lo, exec_lo, s19
	v_cmp_gt_u32_e64 s19, s23, v19
	v_dual_mov_b32 v6, 0 :: v_dual_mov_b32 v53, 0
	s_delay_alu instid0(VALU_DEP_2)
	s_and_saveexec_b32 s20, s19
	s_cbranch_execz .LBB76_28
; %bb.27:                               ;   in Loop: Header=BB76_12 Depth=1
	global_load_u16 v53, v[0:1], off offset:448
.LBB76_28:                              ;   in Loop: Header=BB76_12 Depth=1
	s_or_b32 exec_lo, exec_lo, s20
	s_waitcnt vmcnt(0)
	ds_store_b16 v20, v2
	ds_store_b16 v20, v4 offset:64
	ds_store_b16 v21, v3 offset:128
	;; [unrolled: 1-line block ×7, first 2 shown]
	; wave barrier
	ds_load_b128 v[0:3], v27
	v_add_co_u32 v4, s20, s59, v51
	s_delay_alu instid0(VALU_DEP_1) | instskip(SKIP_1) | instid1(VALU_DEP_2)
	v_add_co_ci_u32_e64 v5, null, s44, 0, s20
	s_waitcnt lgkmcnt(0)
	v_add_co_u32 v4, vcc_lo, v4, v52
	s_delay_alu instid0(VALU_DEP_2)
	v_add_co_ci_u32_e32 v5, vcc_lo, 0, v5, vcc_lo
	s_barrier
	buffer_gl0_inv
	s_and_saveexec_b32 s20, s12
	s_cbranch_execz .LBB76_30
; %bb.29:                               ;   in Loop: Header=BB76_12 Depth=1
	global_load_u16 v6, v[4:5], off
.LBB76_30:                              ;   in Loop: Header=BB76_12 Depth=1
	s_or_b32 exec_lo, exec_lo, s20
	v_dual_mov_b32 v7, 0 :: v_dual_mov_b32 v8, 0
	s_and_saveexec_b32 s20, s13
	s_cbranch_execz .LBB76_32
; %bb.31:                               ;   in Loop: Header=BB76_12 Depth=1
	global_load_u16 v8, v[4:5], off offset:64
.LBB76_32:                              ;   in Loop: Header=BB76_12 Depth=1
	s_or_b32 exec_lo, exec_lo, s20
	s_and_saveexec_b32 s20, s14
	s_cbranch_execz .LBB76_34
; %bb.33:                               ;   in Loop: Header=BB76_12 Depth=1
	global_load_u16 v7, v[4:5], off offset:128
.LBB76_34:                              ;   in Loop: Header=BB76_12 Depth=1
	s_or_b32 exec_lo, exec_lo, s20
	v_mov_b32_e32 v9, 0
	v_mov_b32_e32 v53, 0
	s_and_saveexec_b32 s20, s15
	s_cbranch_execz .LBB76_36
; %bb.35:                               ;   in Loop: Header=BB76_12 Depth=1
	global_load_u16 v53, v[4:5], off offset:192
.LBB76_36:                              ;   in Loop: Header=BB76_12 Depth=1
	s_or_b32 exec_lo, exec_lo, s20
	s_and_saveexec_b32 s20, s16
	s_cbranch_execz .LBB76_38
; %bb.37:                               ;   in Loop: Header=BB76_12 Depth=1
	global_load_u16 v9, v[4:5], off offset:256
.LBB76_38:                              ;   in Loop: Header=BB76_12 Depth=1
	s_or_b32 exec_lo, exec_lo, s20
	v_dual_mov_b32 v54, 0 :: v_dual_mov_b32 v55, 0
	s_and_saveexec_b32 s20, s17
	s_cbranch_execnz .LBB76_155
; %bb.39:                               ;   in Loop: Header=BB76_12 Depth=1
	s_or_b32 exec_lo, exec_lo, s20
	s_and_saveexec_b32 s20, s18
	s_cbranch_execnz .LBB76_156
.LBB76_40:                              ;   in Loop: Header=BB76_12 Depth=1
	s_or_b32 exec_lo, exec_lo, s20
	v_mov_b32_e32 v56, 0
	s_and_saveexec_b32 s20, s19
	s_cbranch_execz .LBB76_42
.LBB76_41:                              ;   in Loop: Header=BB76_12 Depth=1
	global_load_u16 v56, v[4:5], off offset:448
.LBB76_42:                              ;   in Loop: Header=BB76_12 Depth=1
	s_or_b32 exec_lo, exec_lo, s20
	s_waitcnt vmcnt(0)
	ds_store_b16 v20, v6
	ds_store_b16 v20, v8 offset:64
	ds_store_b16 v21, v7 offset:128
	;; [unrolled: 1-line block ×7, first 2 shown]
	; wave barrier
	ds_load_b128 v[4:7], v27
	s_waitcnt lgkmcnt(0)
	v_cvt_f32_f16_e32 v8, v4
	s_delay_alu instid0(VALU_DEP_1) | instskip(NEXT) | instid1(VALU_DEP_1)
	v_add_f32_e32 v53, s60, v8
	v_cmp_ge_f32_e32 vcc_lo, 0x41a00000, v53
	s_and_b32 s20, s67, vcc_lo
	s_delay_alu instid0(SALU_CYCLE_1)
	s_and_saveexec_b32 s21, s20
	s_cbranch_execz .LBB76_44
; %bb.43:                               ;   in Loop: Header=BB76_12 Depth=1
	v_mul_f32_e32 v8, 0x3fb8aa3b, v53
	v_cmp_ngt_f32_e32 vcc_lo, 0xc2ce8ed0, v53
	s_delay_alu instid0(VALU_DEP_2) | instskip(SKIP_1) | instid1(VALU_DEP_2)
	v_rndne_f32_e32 v9, v8
	v_fma_f32 v54, 0x3fb8aa3b, v53, -v8
	v_sub_f32_e32 v8, v8, v9
	s_delay_alu instid0(VALU_DEP_2) | instskip(SKIP_1) | instid1(VALU_DEP_2)
	v_fmac_f32_e32 v54, 0x32a5705f, v53
	v_cvt_i32_f32_e32 v9, v9
	v_add_f32_e32 v8, v8, v54
	s_delay_alu instid0(VALU_DEP_1) | instskip(SKIP_2) | instid1(VALU_DEP_1)
	v_exp_f32_e32 v8, v8
	s_waitcnt_depctr 0xfff
	v_ldexp_f32 v8, v8, v9
	v_cndmask_b32_e32 v8, 0, v8, vcc_lo
	v_cmp_nlt_f32_e32 vcc_lo, 0x42b17218, v53
	s_delay_alu instid0(VALU_DEP_2) | instskip(NEXT) | instid1(VALU_DEP_1)
	v_cndmask_b32_e32 v53, 0x7f800000, v8, vcc_lo
	v_add_f32_e32 v54, 1.0, v53
	s_delay_alu instid0(VALU_DEP_1) | instskip(NEXT) | instid1(VALU_DEP_1)
	v_cvt_f64_f32_e32 v[8:9], v54
	v_frexp_exp_i32_f64_e32 v8, v[8:9]
	v_frexp_mant_f32_e32 v9, v54
	s_delay_alu instid0(VALU_DEP_1) | instskip(SKIP_1) | instid1(VALU_DEP_1)
	v_cmp_gt_f32_e32 vcc_lo, 0x3f2aaaab, v9
	v_add_f32_e32 v9, -1.0, v54
	v_sub_f32_e32 v56, v9, v54
	v_sub_f32_e32 v9, v53, v9
	v_cmp_gt_f32_e64 s20, 0x33800000, v53
	s_delay_alu instid0(VALU_DEP_3) | instskip(NEXT) | instid1(VALU_DEP_1)
	v_add_f32_e32 v56, 1.0, v56
	v_add_f32_e32 v9, v9, v56
	v_subrev_co_ci_u32_e32 v8, vcc_lo, 0, v8, vcc_lo
	v_cmp_eq_f32_e32 vcc_lo, 0x7f800000, v53
	s_delay_alu instid0(VALU_DEP_2) | instskip(SKIP_2) | instid1(VALU_DEP_2)
	v_sub_nc_u32_e32 v55, 0, v8
	v_cvt_f32_i32_e32 v8, v8
	s_or_b32 vcc_lo, s20, vcc_lo
	v_ldexp_f32 v54, v54, v55
	v_ldexp_f32 v9, v9, v55
	s_delay_alu instid0(VALU_DEP_2) | instskip(NEXT) | instid1(VALU_DEP_1)
	v_add_f32_e32 v57, 1.0, v54
	v_dual_add_f32 v55, -1.0, v54 :: v_dual_add_f32 v56, -1.0, v57
	s_delay_alu instid0(VALU_DEP_1) | instskip(NEXT) | instid1(VALU_DEP_2)
	v_add_f32_e32 v58, 1.0, v55
	v_sub_f32_e32 v56, v54, v56
	s_delay_alu instid0(VALU_DEP_2) | instskip(NEXT) | instid1(VALU_DEP_2)
	v_sub_f32_e32 v54, v54, v58
	v_add_f32_e32 v56, v9, v56
	s_delay_alu instid0(VALU_DEP_2) | instskip(NEXT) | instid1(VALU_DEP_1)
	v_add_f32_e32 v9, v9, v54
	v_dual_add_f32 v59, v55, v9 :: v_dual_add_f32 v58, v57, v56
	s_delay_alu instid0(VALU_DEP_1) | instskip(NEXT) | instid1(VALU_DEP_2)
	v_sub_f32_e32 v55, v55, v59
	v_rcp_f32_e32 v54, v58
	v_sub_f32_e32 v57, v57, v58
	s_delay_alu instid0(VALU_DEP_1) | instskip(SKIP_2) | instid1(VALU_DEP_1)
	v_dual_add_f32 v9, v9, v55 :: v_dual_add_f32 v56, v56, v57
	s_waitcnt_depctr 0xfff
	v_mul_f32_e32 v60, v59, v54
	v_mul_f32_e32 v61, v58, v60
	s_delay_alu instid0(VALU_DEP_1) | instskip(NEXT) | instid1(VALU_DEP_1)
	v_fma_f32 v57, v60, v58, -v61
	v_fmac_f32_e32 v57, v60, v56
	s_delay_alu instid0(VALU_DEP_1) | instskip(NEXT) | instid1(VALU_DEP_1)
	v_add_f32_e32 v62, v61, v57
	v_sub_f32_e32 v63, v59, v62
	s_delay_alu instid0(VALU_DEP_1) | instskip(NEXT) | instid1(VALU_DEP_1)
	v_sub_f32_e32 v59, v59, v63
	v_sub_f32_e32 v59, v59, v62
	;; [unrolled: 1-line block ×3, first 2 shown]
	s_delay_alu instid0(VALU_DEP_2) | instskip(NEXT) | instid1(VALU_DEP_2)
	v_add_f32_e32 v9, v9, v59
	v_sub_f32_e32 v55, v55, v57
	s_delay_alu instid0(VALU_DEP_1) | instskip(NEXT) | instid1(VALU_DEP_1)
	v_add_f32_e32 v9, v55, v9
	v_add_f32_e32 v55, v63, v9
	s_delay_alu instid0(VALU_DEP_1) | instskip(NEXT) | instid1(VALU_DEP_1)
	v_mul_f32_e32 v57, v54, v55
	v_dual_sub_f32 v62, v63, v55 :: v_dual_mul_f32 v59, v58, v57
	s_delay_alu instid0(VALU_DEP_1) | instskip(NEXT) | instid1(VALU_DEP_2)
	v_add_f32_e32 v9, v9, v62
	v_fma_f32 v58, v57, v58, -v59
	s_delay_alu instid0(VALU_DEP_1) | instskip(NEXT) | instid1(VALU_DEP_1)
	v_fmac_f32_e32 v58, v57, v56
	v_add_f32_e32 v56, v59, v58
	s_delay_alu instid0(VALU_DEP_1) | instskip(NEXT) | instid1(VALU_DEP_1)
	v_sub_f32_e32 v61, v55, v56
	v_sub_f32_e32 v55, v55, v61
	s_delay_alu instid0(VALU_DEP_1) | instskip(NEXT) | instid1(VALU_DEP_1)
	v_sub_f32_e32 v55, v55, v56
	v_add_f32_e32 v9, v9, v55
	v_add_f32_e32 v55, v60, v57
	v_sub_f32_e32 v59, v56, v59
	s_delay_alu instid0(VALU_DEP_1) | instskip(NEXT) | instid1(VALU_DEP_1)
	v_sub_f32_e32 v56, v59, v58
	v_dual_add_f32 v9, v56, v9 :: v_dual_sub_f32 v56, v55, v60
	s_delay_alu instid0(VALU_DEP_1) | instskip(NEXT) | instid1(VALU_DEP_1)
	v_add_f32_e32 v9, v61, v9
	v_dual_sub_f32 v56, v57, v56 :: v_dual_mul_f32 v9, v54, v9
	s_delay_alu instid0(VALU_DEP_1) | instskip(NEXT) | instid1(VALU_DEP_1)
	v_add_f32_e32 v9, v56, v9
	v_add_f32_e32 v54, v55, v9
	s_delay_alu instid0(VALU_DEP_1) | instskip(NEXT) | instid1(VALU_DEP_1)
	v_mul_f32_e32 v56, v54, v54
	v_fmaak_f32 v57, s54, v56, 0x3ecc95a3
	v_mul_f32_e32 v58, v54, v56
	s_delay_alu instid0(VALU_DEP_2) | instskip(SKIP_2) | instid1(VALU_DEP_3)
	v_fmaak_f32 v56, v56, v57, 0x3f2aaada
	v_ldexp_f32 v57, v54, 1
	v_sub_f32_e32 v54, v54, v55
	v_mul_f32_e32 v56, v58, v56
	v_mul_f32_e32 v58, 0x3f317218, v8
	s_delay_alu instid0(VALU_DEP_2) | instskip(NEXT) | instid1(VALU_DEP_1)
	v_add_f32_e32 v55, v57, v56
	v_dual_sub_f32 v9, v9, v54 :: v_dual_sub_f32 v54, v55, v57
	s_delay_alu instid0(VALU_DEP_3) | instskip(NEXT) | instid1(VALU_DEP_2)
	v_fma_f32 v57, 0x3f317218, v8, -v58
	v_ldexp_f32 v9, v9, 1
	s_delay_alu instid0(VALU_DEP_2) | instskip(NEXT) | instid1(VALU_DEP_1)
	v_dual_sub_f32 v54, v56, v54 :: v_dual_fmac_f32 v57, 0xb102e308, v8
	v_dual_add_f32 v8, v9, v54 :: v_dual_add_f32 v9, v58, v57
	s_delay_alu instid0(VALU_DEP_1) | instskip(NEXT) | instid1(VALU_DEP_1)
	v_add_f32_e32 v54, v55, v8
	v_add_f32_e32 v56, v9, v54
	s_delay_alu instid0(VALU_DEP_1) | instskip(NEXT) | instid1(VALU_DEP_1)
	v_sub_f32_e32 v59, v56, v9
	v_sub_f32_e32 v60, v56, v59
	;; [unrolled: 1-line block ×4, first 2 shown]
	s_delay_alu instid0(VALU_DEP_2) | instskip(SKIP_1) | instid1(VALU_DEP_1)
	v_sub_f32_e32 v8, v8, v55
	v_sub_f32_e32 v58, v9, v58
	;; [unrolled: 1-line block ×3, first 2 shown]
	s_delay_alu instid0(VALU_DEP_1) | instskip(SKIP_1) | instid1(VALU_DEP_1)
	v_add_f32_e32 v55, v57, v8
	v_sub_f32_e32 v9, v9, v60
	v_add_f32_e32 v9, v54, v9
	s_delay_alu instid0(VALU_DEP_3) | instskip(NEXT) | instid1(VALU_DEP_1)
	v_sub_f32_e32 v54, v55, v57
	v_dual_sub_f32 v8, v8, v54 :: v_dual_add_f32 v9, v55, v9
	s_delay_alu instid0(VALU_DEP_1) | instskip(NEXT) | instid1(VALU_DEP_1)
	v_dual_sub_f32 v55, v55, v54 :: v_dual_add_f32 v58, v56, v9
	v_dual_sub_f32 v55, v57, v55 :: v_dual_sub_f32 v54, v58, v56
	s_delay_alu instid0(VALU_DEP_1) | instskip(NEXT) | instid1(VALU_DEP_1)
	v_dual_add_f32 v8, v8, v55 :: v_dual_sub_f32 v9, v9, v54
	v_add_f32_e32 v8, v8, v9
	s_delay_alu instid0(VALU_DEP_1) | instskip(NEXT) | instid1(VALU_DEP_1)
	v_add_f32_e32 v8, v58, v8
	v_cndmask_b32_e32 v53, v8, v53, vcc_lo
.LBB76_44:                              ;   in Loop: Header=BB76_12 Depth=1
	s_or_b32 exec_lo, exec_lo, s21
	v_lshrrev_b32_e32 v4, 16, v4
	s_delay_alu instid0(VALU_DEP_1) | instskip(NEXT) | instid1(VALU_DEP_1)
	v_cvt_f32_f16_e32 v4, v4
	v_add_f32_e32 v54, s60, v4
	s_delay_alu instid0(VALU_DEP_1) | instskip(SKIP_1) | instid1(SALU_CYCLE_1)
	v_cmp_ge_f32_e32 vcc_lo, 0x41a00000, v54
	s_and_b32 s20, s67, vcc_lo
	s_and_saveexec_b32 s21, s20
	s_cbranch_execz .LBB76_46
; %bb.45:                               ;   in Loop: Header=BB76_12 Depth=1
	v_mul_f32_e32 v4, 0x3fb8aa3b, v54
	v_cmp_ngt_f32_e32 vcc_lo, 0xc2ce8ed0, v54
	s_delay_alu instid0(VALU_DEP_2) | instskip(SKIP_1) | instid1(VALU_DEP_1)
	v_rndne_f32_e32 v8, v4
	v_fma_f32 v9, 0x3fb8aa3b, v54, -v4
	v_dual_sub_f32 v4, v4, v8 :: v_dual_fmac_f32 v9, 0x32a5705f, v54
	v_cvt_i32_f32_e32 v8, v8
	s_delay_alu instid0(VALU_DEP_2) | instskip(NEXT) | instid1(VALU_DEP_1)
	v_add_f32_e32 v4, v4, v9
	v_exp_f32_e32 v4, v4
	s_waitcnt_depctr 0xfff
	v_ldexp_f32 v4, v4, v8
	s_delay_alu instid0(VALU_DEP_1) | instskip(SKIP_1) | instid1(VALU_DEP_2)
	v_cndmask_b32_e32 v4, 0, v4, vcc_lo
	v_cmp_nlt_f32_e32 vcc_lo, 0x42b17218, v54
	v_cndmask_b32_e32 v4, 0x7f800000, v4, vcc_lo
	s_delay_alu instid0(VALU_DEP_1) | instskip(NEXT) | instid1(VALU_DEP_1)
	v_add_f32_e32 v54, 1.0, v4
	v_cvt_f64_f32_e32 v[8:9], v54
	s_delay_alu instid0(VALU_DEP_1) | instskip(SKIP_1) | instid1(VALU_DEP_1)
	v_frexp_exp_i32_f64_e32 v8, v[8:9]
	v_frexp_mant_f32_e32 v9, v54
	v_cmp_gt_f32_e32 vcc_lo, 0x3f2aaaab, v9
	v_add_f32_e32 v9, -1.0, v54
	s_delay_alu instid0(VALU_DEP_1) | instskip(NEXT) | instid1(VALU_DEP_1)
	v_dual_sub_f32 v56, v9, v54 :: v_dual_sub_f32 v9, v4, v9
	v_add_f32_e32 v56, 1.0, v56
	s_delay_alu instid0(VALU_DEP_1) | instskip(SKIP_1) | instid1(VALU_DEP_1)
	v_add_f32_e32 v9, v9, v56
	v_subrev_co_ci_u32_e32 v8, vcc_lo, 0, v8, vcc_lo
	v_sub_nc_u32_e32 v55, 0, v8
	v_cvt_f32_i32_e32 v8, v8
	s_delay_alu instid0(VALU_DEP_2) | instskip(SKIP_1) | instid1(VALU_DEP_2)
	v_ldexp_f32 v54, v54, v55
	v_ldexp_f32 v9, v9, v55
	v_add_f32_e32 v57, 1.0, v54
	v_add_f32_e32 v55, -1.0, v54
	v_cmp_eq_f32_e32 vcc_lo, 0x7f800000, v4
	v_cmp_gt_f32_e64 s20, 0x33800000, v4
	s_delay_alu instid0(VALU_DEP_4) | instskip(NEXT) | instid1(VALU_DEP_4)
	v_add_f32_e32 v56, -1.0, v57
	v_add_f32_e32 v58, 1.0, v55
	s_delay_alu instid0(VALU_DEP_3) | instskip(NEXT) | instid1(VALU_DEP_2)
	s_or_b32 vcc_lo, s20, vcc_lo
	v_sub_f32_e32 v56, v54, v56
	s_delay_alu instid0(VALU_DEP_2) | instskip(NEXT) | instid1(VALU_DEP_2)
	v_sub_f32_e32 v54, v54, v58
	v_add_f32_e32 v56, v9, v56
	s_delay_alu instid0(VALU_DEP_2) | instskip(NEXT) | instid1(VALU_DEP_1)
	v_add_f32_e32 v9, v9, v54
	v_add_f32_e32 v59, v55, v9
	s_delay_alu instid0(VALU_DEP_1) | instskip(NEXT) | instid1(VALU_DEP_1)
	v_dual_sub_f32 v55, v55, v59 :: v_dual_add_f32 v58, v57, v56
	v_add_f32_e32 v9, v9, v55
	s_delay_alu instid0(VALU_DEP_2) | instskip(SKIP_1) | instid1(VALU_DEP_1)
	v_rcp_f32_e32 v54, v58
	v_sub_f32_e32 v57, v57, v58
	v_add_f32_e32 v56, v56, v57
	s_waitcnt_depctr 0xfff
	v_mul_f32_e32 v60, v59, v54
	s_delay_alu instid0(VALU_DEP_1) | instskip(NEXT) | instid1(VALU_DEP_1)
	v_mul_f32_e32 v61, v58, v60
	v_fma_f32 v57, v60, v58, -v61
	s_delay_alu instid0(VALU_DEP_1) | instskip(NEXT) | instid1(VALU_DEP_1)
	v_fmac_f32_e32 v57, v60, v56
	v_add_f32_e32 v62, v61, v57
	s_delay_alu instid0(VALU_DEP_1) | instskip(SKIP_1) | instid1(VALU_DEP_2)
	v_sub_f32_e32 v63, v59, v62
	v_sub_f32_e32 v55, v62, v61
	;; [unrolled: 1-line block ×3, first 2 shown]
	s_delay_alu instid0(VALU_DEP_2) | instskip(NEXT) | instid1(VALU_DEP_2)
	v_sub_f32_e32 v55, v55, v57
	v_sub_f32_e32 v59, v59, v62
	s_delay_alu instid0(VALU_DEP_1) | instskip(NEXT) | instid1(VALU_DEP_1)
	v_add_f32_e32 v9, v9, v59
	v_add_f32_e32 v9, v55, v9
	s_delay_alu instid0(VALU_DEP_1) | instskip(NEXT) | instid1(VALU_DEP_1)
	v_add_f32_e32 v55, v63, v9
	v_mul_f32_e32 v57, v54, v55
	s_delay_alu instid0(VALU_DEP_1) | instskip(NEXT) | instid1(VALU_DEP_1)
	v_dual_sub_f32 v62, v63, v55 :: v_dual_mul_f32 v59, v58, v57
	v_add_f32_e32 v9, v9, v62
	s_delay_alu instid0(VALU_DEP_2) | instskip(NEXT) | instid1(VALU_DEP_1)
	v_fma_f32 v58, v57, v58, -v59
	v_fmac_f32_e32 v58, v57, v56
	s_delay_alu instid0(VALU_DEP_1) | instskip(NEXT) | instid1(VALU_DEP_1)
	v_add_f32_e32 v56, v59, v58
	v_sub_f32_e32 v61, v55, v56
	s_delay_alu instid0(VALU_DEP_1) | instskip(NEXT) | instid1(VALU_DEP_1)
	v_sub_f32_e32 v55, v55, v61
	v_sub_f32_e32 v55, v55, v56
	s_delay_alu instid0(VALU_DEP_1) | instskip(SKIP_2) | instid1(VALU_DEP_1)
	v_add_f32_e32 v9, v9, v55
	v_add_f32_e32 v55, v60, v57
	v_sub_f32_e32 v59, v56, v59
	v_sub_f32_e32 v56, v59, v58
	s_delay_alu instid0(VALU_DEP_1) | instskip(NEXT) | instid1(VALU_DEP_1)
	v_dual_add_f32 v9, v56, v9 :: v_dual_sub_f32 v56, v55, v60
	v_add_f32_e32 v9, v61, v9
	s_delay_alu instid0(VALU_DEP_1) | instskip(NEXT) | instid1(VALU_DEP_1)
	v_dual_sub_f32 v56, v57, v56 :: v_dual_mul_f32 v9, v54, v9
	v_add_f32_e32 v9, v56, v9
	s_delay_alu instid0(VALU_DEP_1) | instskip(NEXT) | instid1(VALU_DEP_1)
	v_add_f32_e32 v54, v55, v9
	v_mul_f32_e32 v56, v54, v54
	s_delay_alu instid0(VALU_DEP_1) | instskip(SKIP_1) | instid1(VALU_DEP_2)
	v_fmaak_f32 v57, s54, v56, 0x3ecc95a3
	v_mul_f32_e32 v58, v54, v56
	v_fmaak_f32 v56, v56, v57, 0x3f2aaada
	v_ldexp_f32 v57, v54, 1
	v_sub_f32_e32 v54, v54, v55
	s_delay_alu instid0(VALU_DEP_3) | instskip(SKIP_1) | instid1(VALU_DEP_2)
	v_mul_f32_e32 v56, v58, v56
	v_mul_f32_e32 v58, 0x3f317218, v8
	v_add_f32_e32 v55, v57, v56
	s_delay_alu instid0(VALU_DEP_1) | instskip(NEXT) | instid1(VALU_DEP_3)
	v_dual_sub_f32 v9, v9, v54 :: v_dual_sub_f32 v54, v55, v57
	v_fma_f32 v57, 0x3f317218, v8, -v58
	s_delay_alu instid0(VALU_DEP_2) | instskip(NEXT) | instid1(VALU_DEP_2)
	v_ldexp_f32 v9, v9, 1
	v_dual_sub_f32 v54, v56, v54 :: v_dual_fmac_f32 v57, 0xb102e308, v8
	s_delay_alu instid0(VALU_DEP_1) | instskip(NEXT) | instid1(VALU_DEP_1)
	v_dual_add_f32 v8, v9, v54 :: v_dual_add_f32 v9, v58, v57
	v_add_f32_e32 v54, v55, v8
	s_delay_alu instid0(VALU_DEP_1) | instskip(NEXT) | instid1(VALU_DEP_1)
	v_add_f32_e32 v56, v9, v54
	v_sub_f32_e32 v59, v56, v9
	s_delay_alu instid0(VALU_DEP_1) | instskip(SKIP_2) | instid1(VALU_DEP_2)
	v_sub_f32_e32 v60, v56, v59
	v_sub_f32_e32 v55, v54, v55
	;; [unrolled: 1-line block ×5, first 2 shown]
	s_delay_alu instid0(VALU_DEP_1) | instskip(NEXT) | instid1(VALU_DEP_1)
	v_sub_f32_e32 v57, v57, v58
	v_add_f32_e32 v55, v57, v8
	v_sub_f32_e32 v9, v9, v60
	s_delay_alu instid0(VALU_DEP_1) | instskip(NEXT) | instid1(VALU_DEP_3)
	v_add_f32_e32 v9, v54, v9
	v_sub_f32_e32 v54, v55, v57
	s_delay_alu instid0(VALU_DEP_1) | instskip(NEXT) | instid1(VALU_DEP_1)
	v_dual_sub_f32 v8, v8, v54 :: v_dual_add_f32 v9, v55, v9
	v_dual_sub_f32 v55, v55, v54 :: v_dual_add_f32 v58, v56, v9
	s_delay_alu instid0(VALU_DEP_1) | instskip(NEXT) | instid1(VALU_DEP_1)
	v_dual_sub_f32 v55, v57, v55 :: v_dual_sub_f32 v54, v58, v56
	v_dual_add_f32 v8, v8, v55 :: v_dual_sub_f32 v9, v9, v54
	s_delay_alu instid0(VALU_DEP_1) | instskip(NEXT) | instid1(VALU_DEP_1)
	v_add_f32_e32 v8, v8, v9
	v_add_f32_e32 v8, v58, v8
	s_delay_alu instid0(VALU_DEP_1)
	v_cndmask_b32_e32 v54, v8, v4, vcc_lo
.LBB76_46:                              ;   in Loop: Header=BB76_12 Depth=1
	s_or_b32 exec_lo, exec_lo, s21
	v_cvt_f32_f16_e32 v4, v5
	s_delay_alu instid0(VALU_DEP_1) | instskip(NEXT) | instid1(VALU_DEP_1)
	v_add_f32_e32 v55, s60, v4
	v_cmp_ge_f32_e32 vcc_lo, 0x41a00000, v55
	s_and_b32 s20, s67, vcc_lo
	s_delay_alu instid0(SALU_CYCLE_1)
	s_and_saveexec_b32 s21, s20
	s_cbranch_execz .LBB76_48
; %bb.47:                               ;   in Loop: Header=BB76_12 Depth=1
	v_mul_f32_e32 v4, 0x3fb8aa3b, v55
	v_cmp_ngt_f32_e32 vcc_lo, 0xc2ce8ed0, v55
	s_delay_alu instid0(VALU_DEP_2) | instskip(SKIP_1) | instid1(VALU_DEP_1)
	v_rndne_f32_e32 v8, v4
	v_fma_f32 v9, 0x3fb8aa3b, v55, -v4
	v_dual_sub_f32 v4, v4, v8 :: v_dual_fmac_f32 v9, 0x32a5705f, v55
	v_cvt_i32_f32_e32 v8, v8
	s_delay_alu instid0(VALU_DEP_2) | instskip(NEXT) | instid1(VALU_DEP_1)
	v_add_f32_e32 v4, v4, v9
	v_exp_f32_e32 v4, v4
	s_waitcnt_depctr 0xfff
	v_ldexp_f32 v4, v4, v8
	s_delay_alu instid0(VALU_DEP_1) | instskip(SKIP_1) | instid1(VALU_DEP_2)
	v_cndmask_b32_e32 v4, 0, v4, vcc_lo
	v_cmp_nlt_f32_e32 vcc_lo, 0x42b17218, v55
	v_cndmask_b32_e32 v4, 0x7f800000, v4, vcc_lo
	s_delay_alu instid0(VALU_DEP_1) | instskip(NEXT) | instid1(VALU_DEP_1)
	v_add_f32_e32 v55, 1.0, v4
	v_cvt_f64_f32_e32 v[8:9], v55
	s_delay_alu instid0(VALU_DEP_1) | instskip(SKIP_1) | instid1(VALU_DEP_1)
	v_frexp_exp_i32_f64_e32 v8, v[8:9]
	v_frexp_mant_f32_e32 v9, v55
	v_cmp_gt_f32_e32 vcc_lo, 0x3f2aaaab, v9
	v_add_f32_e32 v9, -1.0, v55
	s_delay_alu instid0(VALU_DEP_1) | instskip(NEXT) | instid1(VALU_DEP_1)
	v_sub_f32_e32 v57, v9, v55
	v_add_f32_e32 v57, 1.0, v57
	v_subrev_co_ci_u32_e32 v8, vcc_lo, 0, v8, vcc_lo
	s_delay_alu instid0(VALU_DEP_1) | instskip(SKIP_1) | instid1(VALU_DEP_2)
	v_sub_nc_u32_e32 v56, 0, v8
	v_cvt_f32_i32_e32 v8, v8
	v_ldexp_f32 v55, v55, v56
	s_delay_alu instid0(VALU_DEP_1) | instskip(NEXT) | instid1(VALU_DEP_1)
	v_dual_sub_f32 v9, v4, v9 :: v_dual_add_f32 v58, 1.0, v55
	v_add_f32_e32 v9, v9, v57
	v_cmp_eq_f32_e32 vcc_lo, 0x7f800000, v4
	v_cmp_gt_f32_e64 s20, 0x33800000, v4
	s_delay_alu instid0(VALU_DEP_4) | instskip(NEXT) | instid1(VALU_DEP_4)
	v_add_f32_e32 v57, -1.0, v58
	v_ldexp_f32 v9, v9, v56
	v_add_f32_e32 v56, -1.0, v55
	s_delay_alu instid0(VALU_DEP_4) | instskip(NEXT) | instid1(VALU_DEP_3)
	s_or_b32 vcc_lo, s20, vcc_lo
	v_sub_f32_e32 v57, v55, v57
	s_delay_alu instid0(VALU_DEP_2) | instskip(NEXT) | instid1(VALU_DEP_2)
	v_add_f32_e32 v59, 1.0, v56
	v_add_f32_e32 v57, v9, v57
	s_delay_alu instid0(VALU_DEP_2) | instskip(NEXT) | instid1(VALU_DEP_1)
	v_sub_f32_e32 v55, v55, v59
	v_add_f32_e32 v9, v9, v55
	s_delay_alu instid0(VALU_DEP_1) | instskip(NEXT) | instid1(VALU_DEP_1)
	v_add_f32_e32 v60, v56, v9
	v_dual_add_f32 v59, v58, v57 :: v_dual_sub_f32 v56, v56, v60
	s_delay_alu instid0(VALU_DEP_1) | instskip(SKIP_1) | instid1(VALU_DEP_1)
	v_rcp_f32_e32 v55, v59
	v_sub_f32_e32 v58, v58, v59
	v_add_f32_e32 v57, v57, v58
	s_waitcnt_depctr 0xfff
	v_mul_f32_e32 v61, v60, v55
	s_delay_alu instid0(VALU_DEP_1) | instskip(NEXT) | instid1(VALU_DEP_1)
	v_mul_f32_e32 v62, v59, v61
	v_fma_f32 v58, v61, v59, -v62
	s_delay_alu instid0(VALU_DEP_1) | instskip(SKIP_1) | instid1(VALU_DEP_2)
	v_fmac_f32_e32 v58, v61, v57
	v_add_f32_e32 v9, v9, v56
	v_add_f32_e32 v63, v62, v58
	s_delay_alu instid0(VALU_DEP_1) | instskip(SKIP_1) | instid1(VALU_DEP_2)
	v_sub_f32_e32 v64, v60, v63
	v_sub_f32_e32 v56, v63, v62
	;; [unrolled: 1-line block ×3, first 2 shown]
	s_delay_alu instid0(VALU_DEP_2) | instskip(NEXT) | instid1(VALU_DEP_2)
	v_sub_f32_e32 v56, v56, v58
	v_sub_f32_e32 v60, v60, v63
	s_delay_alu instid0(VALU_DEP_1) | instskip(NEXT) | instid1(VALU_DEP_1)
	v_add_f32_e32 v9, v9, v60
	v_add_f32_e32 v9, v56, v9
	s_delay_alu instid0(VALU_DEP_1) | instskip(NEXT) | instid1(VALU_DEP_1)
	v_add_f32_e32 v56, v64, v9
	v_mul_f32_e32 v58, v55, v56
	s_delay_alu instid0(VALU_DEP_1) | instskip(NEXT) | instid1(VALU_DEP_1)
	v_dual_sub_f32 v63, v64, v56 :: v_dual_mul_f32 v60, v59, v58
	v_add_f32_e32 v9, v9, v63
	s_delay_alu instid0(VALU_DEP_2) | instskip(NEXT) | instid1(VALU_DEP_1)
	v_fma_f32 v59, v58, v59, -v60
	v_fmac_f32_e32 v59, v58, v57
	s_delay_alu instid0(VALU_DEP_1) | instskip(NEXT) | instid1(VALU_DEP_1)
	v_add_f32_e32 v57, v60, v59
	v_sub_f32_e32 v62, v56, v57
	s_delay_alu instid0(VALU_DEP_1) | instskip(NEXT) | instid1(VALU_DEP_1)
	v_sub_f32_e32 v56, v56, v62
	v_sub_f32_e32 v56, v56, v57
	s_delay_alu instid0(VALU_DEP_1) | instskip(SKIP_2) | instid1(VALU_DEP_1)
	v_add_f32_e32 v9, v9, v56
	v_add_f32_e32 v56, v61, v58
	v_sub_f32_e32 v60, v57, v60
	v_sub_f32_e32 v57, v60, v59
	s_delay_alu instid0(VALU_DEP_1) | instskip(NEXT) | instid1(VALU_DEP_4)
	v_add_f32_e32 v9, v57, v9
	v_sub_f32_e32 v57, v56, v61
	s_delay_alu instid0(VALU_DEP_2) | instskip(NEXT) | instid1(VALU_DEP_2)
	v_add_f32_e32 v9, v62, v9
	v_sub_f32_e32 v57, v58, v57
	s_delay_alu instid0(VALU_DEP_2) | instskip(NEXT) | instid1(VALU_DEP_1)
	v_mul_f32_e32 v9, v55, v9
	v_add_f32_e32 v9, v57, v9
	s_delay_alu instid0(VALU_DEP_1) | instskip(NEXT) | instid1(VALU_DEP_1)
	v_add_f32_e32 v55, v56, v9
	v_mul_f32_e32 v57, v55, v55
	s_delay_alu instid0(VALU_DEP_1) | instskip(SKIP_1) | instid1(VALU_DEP_2)
	v_fmaak_f32 v58, s54, v57, 0x3ecc95a3
	v_mul_f32_e32 v59, v55, v57
	v_fmaak_f32 v57, v57, v58, 0x3f2aaada
	v_ldexp_f32 v58, v55, 1
	v_sub_f32_e32 v55, v55, v56
	s_delay_alu instid0(VALU_DEP_3) | instskip(SKIP_1) | instid1(VALU_DEP_2)
	v_mul_f32_e32 v57, v59, v57
	v_mul_f32_e32 v59, 0x3f317218, v8
	v_dual_sub_f32 v9, v9, v55 :: v_dual_add_f32 v56, v58, v57
	s_delay_alu instid0(VALU_DEP_1) | instskip(NEXT) | instid1(VALU_DEP_2)
	v_ldexp_f32 v9, v9, 1
	v_sub_f32_e32 v55, v56, v58
	s_delay_alu instid0(VALU_DEP_4) | instskip(NEXT) | instid1(VALU_DEP_1)
	v_fma_f32 v58, 0x3f317218, v8, -v59
	v_dual_sub_f32 v55, v57, v55 :: v_dual_fmac_f32 v58, 0xb102e308, v8
	s_delay_alu instid0(VALU_DEP_1) | instskip(NEXT) | instid1(VALU_DEP_1)
	v_dual_add_f32 v8, v9, v55 :: v_dual_add_f32 v9, v59, v58
	v_add_f32_e32 v55, v56, v8
	s_delay_alu instid0(VALU_DEP_2) | instskip(NEXT) | instid1(VALU_DEP_2)
	v_sub_f32_e32 v59, v9, v59
	v_dual_add_f32 v57, v9, v55 :: v_dual_sub_f32 v56, v55, v56
	s_delay_alu instid0(VALU_DEP_2) | instskip(NEXT) | instid1(VALU_DEP_2)
	v_sub_f32_e32 v58, v58, v59
	v_sub_f32_e32 v60, v57, v9
	s_delay_alu instid0(VALU_DEP_3) | instskip(NEXT) | instid1(VALU_DEP_2)
	v_sub_f32_e32 v8, v8, v56
	v_sub_f32_e32 v61, v57, v60
	;; [unrolled: 1-line block ×3, first 2 shown]
	s_delay_alu instid0(VALU_DEP_2) | instskip(NEXT) | instid1(VALU_DEP_1)
	v_dual_add_f32 v56, v58, v8 :: v_dual_sub_f32 v9, v9, v61
	v_add_f32_e32 v9, v55, v9
	s_delay_alu instid0(VALU_DEP_2) | instskip(NEXT) | instid1(VALU_DEP_2)
	v_sub_f32_e32 v55, v56, v58
	v_add_f32_e32 v9, v56, v9
	s_delay_alu instid0(VALU_DEP_2) | instskip(NEXT) | instid1(VALU_DEP_2)
	v_sub_f32_e32 v56, v56, v55
	v_dual_sub_f32 v8, v8, v55 :: v_dual_add_f32 v59, v57, v9
	s_delay_alu instid0(VALU_DEP_1) | instskip(NEXT) | instid1(VALU_DEP_1)
	v_dual_sub_f32 v56, v58, v56 :: v_dual_sub_f32 v55, v59, v57
	v_dual_add_f32 v8, v8, v56 :: v_dual_sub_f32 v9, v9, v55
	s_delay_alu instid0(VALU_DEP_1) | instskip(NEXT) | instid1(VALU_DEP_1)
	v_add_f32_e32 v8, v8, v9
	v_add_f32_e32 v8, v59, v8
	s_delay_alu instid0(VALU_DEP_1)
	v_cndmask_b32_e32 v55, v8, v4, vcc_lo
.LBB76_48:                              ;   in Loop: Header=BB76_12 Depth=1
	s_or_b32 exec_lo, exec_lo, s21
	v_lshrrev_b32_e32 v4, 16, v5
	s_delay_alu instid0(VALU_DEP_1) | instskip(NEXT) | instid1(VALU_DEP_1)
	v_cvt_f32_f16_e32 v4, v4
	v_add_f32_e32 v56, s60, v4
	s_delay_alu instid0(VALU_DEP_1) | instskip(SKIP_1) | instid1(SALU_CYCLE_1)
	v_cmp_ge_f32_e32 vcc_lo, 0x41a00000, v56
	s_and_b32 s20, s67, vcc_lo
	s_and_saveexec_b32 s21, s20
	s_cbranch_execz .LBB76_50
; %bb.49:                               ;   in Loop: Header=BB76_12 Depth=1
	v_mul_f32_e32 v4, 0x3fb8aa3b, v56
	v_cmp_ngt_f32_e32 vcc_lo, 0xc2ce8ed0, v56
	s_delay_alu instid0(VALU_DEP_2) | instskip(SKIP_1) | instid1(VALU_DEP_2)
	v_rndne_f32_e32 v5, v4
	v_fma_f32 v8, 0x3fb8aa3b, v56, -v4
	v_sub_f32_e32 v4, v4, v5
	s_delay_alu instid0(VALU_DEP_2) | instskip(SKIP_1) | instid1(VALU_DEP_2)
	v_fmac_f32_e32 v8, 0x32a5705f, v56
	v_cvt_i32_f32_e32 v5, v5
	v_add_f32_e32 v4, v4, v8
	s_delay_alu instid0(VALU_DEP_1) | instskip(SKIP_2) | instid1(VALU_DEP_1)
	v_exp_f32_e32 v4, v4
	s_waitcnt_depctr 0xfff
	v_ldexp_f32 v4, v4, v5
	v_cndmask_b32_e32 v4, 0, v4, vcc_lo
	v_cmp_nlt_f32_e32 vcc_lo, 0x42b17218, v56
	s_delay_alu instid0(VALU_DEP_2) | instskip(NEXT) | instid1(VALU_DEP_1)
	v_cndmask_b32_e32 v8, 0x7f800000, v4, vcc_lo
	v_add_f32_e32 v9, 1.0, v8
	s_delay_alu instid0(VALU_DEP_1) | instskip(NEXT) | instid1(VALU_DEP_1)
	v_cvt_f64_f32_e32 v[4:5], v9
	v_frexp_exp_i32_f64_e32 v4, v[4:5]
	v_frexp_mant_f32_e32 v5, v9
	s_delay_alu instid0(VALU_DEP_1) | instskip(SKIP_1) | instid1(VALU_DEP_1)
	v_cmp_gt_f32_e32 vcc_lo, 0x3f2aaaab, v5
	v_add_f32_e32 v5, -1.0, v9
	v_sub_f32_e32 v57, v5, v9
	v_sub_f32_e32 v5, v8, v5
	s_delay_alu instid0(VALU_DEP_2) | instskip(NEXT) | instid1(VALU_DEP_1)
	v_add_f32_e32 v57, 1.0, v57
	v_add_f32_e32 v5, v5, v57
	v_cmp_gt_f32_e64 s20, 0x33800000, v8
	v_subrev_co_ci_u32_e32 v4, vcc_lo, 0, v4, vcc_lo
	v_cmp_eq_f32_e32 vcc_lo, 0x7f800000, v8
	s_delay_alu instid0(VALU_DEP_2) | instskip(SKIP_2) | instid1(VALU_DEP_2)
	v_sub_nc_u32_e32 v56, 0, v4
	v_cvt_f32_i32_e32 v4, v4
	s_or_b32 vcc_lo, s20, vcc_lo
	v_ldexp_f32 v9, v9, v56
	v_ldexp_f32 v5, v5, v56
	s_delay_alu instid0(VALU_DEP_2) | instskip(NEXT) | instid1(VALU_DEP_1)
	v_add_f32_e32 v56, -1.0, v9
	v_dual_add_f32 v58, 1.0, v9 :: v_dual_add_f32 v59, 1.0, v56
	s_delay_alu instid0(VALU_DEP_1) | instskip(NEXT) | instid1(VALU_DEP_1)
	v_add_f32_e32 v57, -1.0, v58
	v_sub_f32_e32 v57, v9, v57
	s_delay_alu instid0(VALU_DEP_3) | instskip(NEXT) | instid1(VALU_DEP_2)
	v_sub_f32_e32 v9, v9, v59
	v_add_f32_e32 v57, v5, v57
	s_delay_alu instid0(VALU_DEP_2) | instskip(NEXT) | instid1(VALU_DEP_1)
	v_add_f32_e32 v5, v5, v9
	v_add_f32_e32 v60, v56, v5
	s_delay_alu instid0(VALU_DEP_1) | instskip(NEXT) | instid1(VALU_DEP_1)
	v_dual_add_f32 v59, v58, v57 :: v_dual_sub_f32 v56, v56, v60
	v_rcp_f32_e32 v9, v59
	v_sub_f32_e32 v58, v58, v59
	s_delay_alu instid0(VALU_DEP_1) | instskip(SKIP_2) | instid1(VALU_DEP_1)
	v_add_f32_e32 v57, v57, v58
	s_waitcnt_depctr 0xfff
	v_mul_f32_e32 v61, v60, v9
	v_mul_f32_e32 v62, v59, v61
	s_delay_alu instid0(VALU_DEP_1) | instskip(NEXT) | instid1(VALU_DEP_1)
	v_fma_f32 v58, v61, v59, -v62
	v_fmac_f32_e32 v58, v61, v57
	s_delay_alu instid0(VALU_DEP_1) | instskip(NEXT) | instid1(VALU_DEP_1)
	v_add_f32_e32 v63, v62, v58
	v_sub_f32_e32 v64, v60, v63
	s_delay_alu instid0(VALU_DEP_1) | instskip(SKIP_1) | instid1(VALU_DEP_2)
	v_sub_f32_e32 v60, v60, v64
	v_dual_add_f32 v5, v5, v56 :: v_dual_sub_f32 v56, v63, v62
	v_sub_f32_e32 v60, v60, v63
	s_delay_alu instid0(VALU_DEP_1) | instskip(NEXT) | instid1(VALU_DEP_1)
	v_dual_sub_f32 v56, v56, v58 :: v_dual_add_f32 v5, v5, v60
	v_add_f32_e32 v5, v56, v5
	s_delay_alu instid0(VALU_DEP_1) | instskip(NEXT) | instid1(VALU_DEP_1)
	v_add_f32_e32 v56, v64, v5
	v_mul_f32_e32 v58, v9, v56
	s_delay_alu instid0(VALU_DEP_1) | instskip(NEXT) | instid1(VALU_DEP_1)
	v_dual_sub_f32 v63, v64, v56 :: v_dual_mul_f32 v60, v59, v58
	v_add_f32_e32 v5, v5, v63
	s_delay_alu instid0(VALU_DEP_2) | instskip(NEXT) | instid1(VALU_DEP_1)
	v_fma_f32 v59, v58, v59, -v60
	v_fmac_f32_e32 v59, v58, v57
	s_delay_alu instid0(VALU_DEP_1) | instskip(NEXT) | instid1(VALU_DEP_1)
	v_add_f32_e32 v57, v60, v59
	v_sub_f32_e32 v62, v56, v57
	s_delay_alu instid0(VALU_DEP_1) | instskip(NEXT) | instid1(VALU_DEP_1)
	v_sub_f32_e32 v56, v56, v62
	v_sub_f32_e32 v56, v56, v57
	s_delay_alu instid0(VALU_DEP_1) | instskip(SKIP_2) | instid1(VALU_DEP_1)
	v_add_f32_e32 v5, v5, v56
	v_add_f32_e32 v56, v61, v58
	v_sub_f32_e32 v60, v57, v60
	v_sub_f32_e32 v57, v60, v59
	s_delay_alu instid0(VALU_DEP_1) | instskip(NEXT) | instid1(VALU_DEP_4)
	v_add_f32_e32 v5, v57, v5
	v_sub_f32_e32 v57, v56, v61
	s_delay_alu instid0(VALU_DEP_2) | instskip(NEXT) | instid1(VALU_DEP_2)
	v_add_f32_e32 v5, v62, v5
	v_sub_f32_e32 v57, v58, v57
	s_delay_alu instid0(VALU_DEP_2) | instskip(NEXT) | instid1(VALU_DEP_1)
	v_mul_f32_e32 v5, v9, v5
	v_add_f32_e32 v5, v57, v5
	s_delay_alu instid0(VALU_DEP_1) | instskip(NEXT) | instid1(VALU_DEP_1)
	v_add_f32_e32 v9, v56, v5
	v_mul_f32_e32 v57, v9, v9
	s_delay_alu instid0(VALU_DEP_1) | instskip(SKIP_1) | instid1(VALU_DEP_2)
	v_fmaak_f32 v58, s54, v57, 0x3ecc95a3
	v_mul_f32_e32 v59, v9, v57
	v_fmaak_f32 v57, v57, v58, 0x3f2aaada
	v_ldexp_f32 v58, v9, 1
	s_delay_alu instid0(VALU_DEP_2) | instskip(NEXT) | instid1(VALU_DEP_1)
	v_mul_f32_e32 v57, v59, v57
	v_dual_sub_f32 v9, v9, v56 :: v_dual_add_f32 v56, v58, v57
	s_delay_alu instid0(VALU_DEP_1) | instskip(NEXT) | instid1(VALU_DEP_2)
	v_sub_f32_e32 v5, v5, v9
	v_sub_f32_e32 v9, v56, v58
	s_delay_alu instid0(VALU_DEP_2) | instskip(NEXT) | instid1(VALU_DEP_2)
	v_ldexp_f32 v5, v5, 1
	v_sub_f32_e32 v9, v57, v9
	v_mul_f32_e32 v59, 0x3f317218, v4
	s_delay_alu instid0(VALU_DEP_1) | instskip(NEXT) | instid1(VALU_DEP_1)
	v_fma_f32 v58, 0x3f317218, v4, -v59
	v_fmac_f32_e32 v58, 0xb102e308, v4
	s_delay_alu instid0(VALU_DEP_1) | instskip(NEXT) | instid1(VALU_DEP_1)
	v_dual_add_f32 v4, v5, v9 :: v_dual_add_f32 v5, v59, v58
	v_add_f32_e32 v9, v56, v4
	s_delay_alu instid0(VALU_DEP_1) | instskip(SKIP_1) | instid1(VALU_DEP_2)
	v_add_f32_e32 v57, v5, v9
	v_sub_f32_e32 v56, v9, v56
	v_sub_f32_e32 v60, v57, v5
	s_delay_alu instid0(VALU_DEP_2) | instskip(NEXT) | instid1(VALU_DEP_2)
	v_dual_sub_f32 v4, v4, v56 :: v_dual_sub_f32 v59, v5, v59
	v_sub_f32_e32 v61, v57, v60
	s_delay_alu instid0(VALU_DEP_2) | instskip(NEXT) | instid1(VALU_DEP_1)
	v_dual_sub_f32 v9, v9, v60 :: v_dual_sub_f32 v58, v58, v59
	v_dual_sub_f32 v5, v5, v61 :: v_dual_add_f32 v56, v58, v4
	s_delay_alu instid0(VALU_DEP_1) | instskip(NEXT) | instid1(VALU_DEP_2)
	v_add_f32_e32 v5, v9, v5
	v_sub_f32_e32 v9, v56, v58
	s_delay_alu instid0(VALU_DEP_2) | instskip(NEXT) | instid1(VALU_DEP_2)
	v_add_f32_e32 v5, v56, v5
	v_sub_f32_e32 v56, v56, v9
	v_sub_f32_e32 v4, v4, v9
	s_delay_alu instid0(VALU_DEP_2) | instskip(NEXT) | instid1(VALU_DEP_1)
	v_dual_add_f32 v59, v57, v5 :: v_dual_sub_f32 v56, v58, v56
	v_dual_sub_f32 v9, v59, v57 :: v_dual_add_f32 v4, v4, v56
	s_delay_alu instid0(VALU_DEP_1) | instskip(NEXT) | instid1(VALU_DEP_1)
	v_sub_f32_e32 v5, v5, v9
	v_add_f32_e32 v4, v4, v5
	s_delay_alu instid0(VALU_DEP_1) | instskip(NEXT) | instid1(VALU_DEP_1)
	v_add_f32_e32 v4, v59, v4
	v_cndmask_b32_e32 v56, v4, v8, vcc_lo
.LBB76_50:                              ;   in Loop: Header=BB76_12 Depth=1
	s_or_b32 exec_lo, exec_lo, s21
	v_cvt_f32_f16_e32 v4, v6
	s_delay_alu instid0(VALU_DEP_1) | instskip(NEXT) | instid1(VALU_DEP_1)
	v_add_f32_e32 v65, s60, v4
	v_cmp_ge_f32_e32 vcc_lo, 0x41a00000, v65
	s_and_b32 s20, s67, vcc_lo
	s_delay_alu instid0(SALU_CYCLE_1)
	s_and_saveexec_b32 s21, s20
	s_cbranch_execz .LBB76_52
; %bb.51:                               ;   in Loop: Header=BB76_12 Depth=1
	v_mul_f32_e32 v4, 0x3fb8aa3b, v65
	v_cmp_ngt_f32_e32 vcc_lo, 0xc2ce8ed0, v65
	s_delay_alu instid0(VALU_DEP_2) | instskip(SKIP_1) | instid1(VALU_DEP_2)
	v_rndne_f32_e32 v5, v4
	v_fma_f32 v8, 0x3fb8aa3b, v65, -v4
	v_sub_f32_e32 v4, v4, v5
	s_delay_alu instid0(VALU_DEP_2) | instskip(SKIP_1) | instid1(VALU_DEP_2)
	v_fmac_f32_e32 v8, 0x32a5705f, v65
	v_cvt_i32_f32_e32 v5, v5
	v_add_f32_e32 v4, v4, v8
	s_delay_alu instid0(VALU_DEP_1) | instskip(SKIP_2) | instid1(VALU_DEP_1)
	v_exp_f32_e32 v4, v4
	s_waitcnt_depctr 0xfff
	v_ldexp_f32 v4, v4, v5
	v_cndmask_b32_e32 v4, 0, v4, vcc_lo
	v_cmp_nlt_f32_e32 vcc_lo, 0x42b17218, v65
	s_delay_alu instid0(VALU_DEP_2) | instskip(NEXT) | instid1(VALU_DEP_1)
	v_cndmask_b32_e32 v8, 0x7f800000, v4, vcc_lo
	v_add_f32_e32 v9, 1.0, v8
	s_delay_alu instid0(VALU_DEP_1) | instskip(NEXT) | instid1(VALU_DEP_1)
	v_cvt_f64_f32_e32 v[4:5], v9
	v_frexp_exp_i32_f64_e32 v4, v[4:5]
	v_frexp_mant_f32_e32 v5, v9
	s_delay_alu instid0(VALU_DEP_1) | instskip(SKIP_1) | instid1(VALU_DEP_1)
	v_cmp_gt_f32_e32 vcc_lo, 0x3f2aaaab, v5
	v_add_f32_e32 v5, -1.0, v9
	v_sub_f32_e32 v58, v5, v9
	v_subrev_co_ci_u32_e32 v4, vcc_lo, 0, v4, vcc_lo
	s_delay_alu instid0(VALU_DEP_1) | instskip(SKIP_1) | instid1(VALU_DEP_2)
	v_sub_nc_u32_e32 v57, 0, v4
	v_cvt_f32_i32_e32 v4, v4
	v_ldexp_f32 v9, v9, v57
	s_delay_alu instid0(VALU_DEP_1) | instskip(SKIP_3) | instid1(VALU_DEP_3)
	v_dual_add_f32 v58, 1.0, v58 :: v_dual_add_f32 v59, 1.0, v9
	v_sub_f32_e32 v5, v8, v5
	v_cmp_eq_f32_e32 vcc_lo, 0x7f800000, v8
	v_cmp_gt_f32_e64 s20, 0x33800000, v8
	v_add_f32_e32 v5, v5, v58
	s_delay_alu instid0(VALU_DEP_2) | instskip(NEXT) | instid1(VALU_DEP_1)
	s_or_b32 vcc_lo, s20, vcc_lo
	v_ldexp_f32 v5, v5, v57
	v_dual_add_f32 v57, -1.0, v9 :: v_dual_add_f32 v58, -1.0, v59
	s_delay_alu instid0(VALU_DEP_1) | instskip(NEXT) | instid1(VALU_DEP_2)
	v_add_f32_e32 v60, 1.0, v57
	v_sub_f32_e32 v58, v9, v58
	s_delay_alu instid0(VALU_DEP_2) | instskip(NEXT) | instid1(VALU_DEP_2)
	v_sub_f32_e32 v9, v9, v60
	v_add_f32_e32 v58, v5, v58
	s_delay_alu instid0(VALU_DEP_1) | instskip(NEXT) | instid1(VALU_DEP_1)
	v_dual_add_f32 v5, v5, v9 :: v_dual_add_f32 v60, v59, v58
	v_add_f32_e32 v61, v57, v5
	s_delay_alu instid0(VALU_DEP_2) | instskip(SKIP_1) | instid1(VALU_DEP_1)
	v_rcp_f32_e32 v9, v60
	v_sub_f32_e32 v59, v59, v60
	v_dual_sub_f32 v57, v57, v61 :: v_dual_add_f32 v58, v58, v59
	s_delay_alu instid0(VALU_DEP_1) | instskip(SKIP_2) | instid1(VALU_DEP_1)
	v_add_f32_e32 v5, v5, v57
	s_waitcnt_depctr 0xfff
	v_mul_f32_e32 v62, v61, v9
	v_mul_f32_e32 v63, v60, v62
	s_delay_alu instid0(VALU_DEP_1) | instskip(NEXT) | instid1(VALU_DEP_1)
	v_fma_f32 v59, v62, v60, -v63
	v_fmac_f32_e32 v59, v62, v58
	s_delay_alu instid0(VALU_DEP_1) | instskip(NEXT) | instid1(VALU_DEP_1)
	v_add_f32_e32 v64, v63, v59
	v_sub_f32_e32 v65, v61, v64
	v_sub_f32_e32 v57, v64, v63
	s_delay_alu instid0(VALU_DEP_2) | instskip(NEXT) | instid1(VALU_DEP_2)
	v_sub_f32_e32 v61, v61, v65
	v_sub_f32_e32 v57, v57, v59
	s_delay_alu instid0(VALU_DEP_2) | instskip(NEXT) | instid1(VALU_DEP_1)
	v_sub_f32_e32 v61, v61, v64
	v_add_f32_e32 v5, v5, v61
	s_delay_alu instid0(VALU_DEP_1) | instskip(NEXT) | instid1(VALU_DEP_1)
	v_add_f32_e32 v5, v57, v5
	v_add_f32_e32 v57, v65, v5
	s_delay_alu instid0(VALU_DEP_1) | instskip(NEXT) | instid1(VALU_DEP_1)
	v_mul_f32_e32 v59, v9, v57
	v_mul_f32_e32 v61, v60, v59
	s_delay_alu instid0(VALU_DEP_1) | instskip(NEXT) | instid1(VALU_DEP_1)
	v_fma_f32 v60, v59, v60, -v61
	v_fmac_f32_e32 v60, v59, v58
	v_sub_f32_e32 v64, v65, v57
	s_delay_alu instid0(VALU_DEP_2) | instskip(NEXT) | instid1(VALU_DEP_2)
	v_add_f32_e32 v58, v61, v60
	v_add_f32_e32 v5, v5, v64
	s_delay_alu instid0(VALU_DEP_2) | instskip(NEXT) | instid1(VALU_DEP_1)
	v_sub_f32_e32 v63, v57, v58
	v_sub_f32_e32 v57, v57, v63
	s_delay_alu instid0(VALU_DEP_1) | instskip(NEXT) | instid1(VALU_DEP_1)
	v_sub_f32_e32 v57, v57, v58
	v_add_f32_e32 v5, v5, v57
	v_add_f32_e32 v57, v62, v59
	v_sub_f32_e32 v61, v58, v61
	s_delay_alu instid0(VALU_DEP_1) | instskip(NEXT) | instid1(VALU_DEP_1)
	v_sub_f32_e32 v58, v61, v60
	v_dual_add_f32 v5, v58, v5 :: v_dual_sub_f32 v58, v57, v62
	s_delay_alu instid0(VALU_DEP_1) | instskip(NEXT) | instid1(VALU_DEP_1)
	v_add_f32_e32 v5, v63, v5
	v_dual_sub_f32 v58, v59, v58 :: v_dual_mul_f32 v5, v9, v5
	s_delay_alu instid0(VALU_DEP_1) | instskip(NEXT) | instid1(VALU_DEP_1)
	v_add_f32_e32 v5, v58, v5
	v_add_f32_e32 v9, v57, v5
	s_delay_alu instid0(VALU_DEP_1) | instskip(NEXT) | instid1(VALU_DEP_1)
	v_mul_f32_e32 v58, v9, v9
	v_fmaak_f32 v59, s54, v58, 0x3ecc95a3
	v_mul_f32_e32 v60, v9, v58
	s_delay_alu instid0(VALU_DEP_2) | instskip(SKIP_1) | instid1(VALU_DEP_2)
	v_fmaak_f32 v58, v58, v59, 0x3f2aaada
	v_ldexp_f32 v59, v9, 1
	v_dual_sub_f32 v9, v9, v57 :: v_dual_mul_f32 v58, v60, v58
	s_delay_alu instid0(VALU_DEP_1) | instskip(NEXT) | instid1(VALU_DEP_2)
	v_dual_mul_f32 v60, 0x3f317218, v4 :: v_dual_sub_f32 v5, v5, v9
	v_add_f32_e32 v57, v59, v58
	s_delay_alu instid0(VALU_DEP_2) | instskip(NEXT) | instid1(VALU_DEP_2)
	v_ldexp_f32 v5, v5, 1
	v_sub_f32_e32 v9, v57, v59
	s_delay_alu instid0(VALU_DEP_4) | instskip(NEXT) | instid1(VALU_DEP_2)
	v_fma_f32 v59, 0x3f317218, v4, -v60
	v_sub_f32_e32 v9, v58, v9
	s_delay_alu instid0(VALU_DEP_1) | instskip(NEXT) | instid1(VALU_DEP_1)
	v_dual_fmac_f32 v59, 0xb102e308, v4 :: v_dual_add_f32 v4, v5, v9
	v_add_f32_e32 v5, v60, v59
	s_delay_alu instid0(VALU_DEP_2) | instskip(NEXT) | instid1(VALU_DEP_2)
	v_add_f32_e32 v9, v57, v4
	v_sub_f32_e32 v60, v5, v60
	s_delay_alu instid0(VALU_DEP_1) | instskip(SKIP_1) | instid1(VALU_DEP_2)
	v_dual_add_f32 v58, v5, v9 :: v_dual_sub_f32 v59, v59, v60
	v_sub_f32_e32 v57, v9, v57
	v_sub_f32_e32 v61, v58, v5
	s_delay_alu instid0(VALU_DEP_2) | instskip(NEXT) | instid1(VALU_DEP_2)
	v_sub_f32_e32 v4, v4, v57
	v_sub_f32_e32 v62, v58, v61
	;; [unrolled: 1-line block ×3, first 2 shown]
	s_delay_alu instid0(VALU_DEP_3) | instskip(NEXT) | instid1(VALU_DEP_3)
	v_add_f32_e32 v57, v59, v4
	v_sub_f32_e32 v5, v5, v62
	s_delay_alu instid0(VALU_DEP_1) | instskip(NEXT) | instid1(VALU_DEP_3)
	v_add_f32_e32 v5, v9, v5
	v_sub_f32_e32 v9, v57, v59
	s_delay_alu instid0(VALU_DEP_2) | instskip(NEXT) | instid1(VALU_DEP_2)
	v_add_f32_e32 v5, v57, v5
	v_sub_f32_e32 v57, v57, v9
	v_sub_f32_e32 v4, v4, v9
	s_delay_alu instid0(VALU_DEP_3) | instskip(NEXT) | instid1(VALU_DEP_3)
	v_add_f32_e32 v60, v58, v5
	v_sub_f32_e32 v57, v59, v57
	s_delay_alu instid0(VALU_DEP_2) | instskip(NEXT) | instid1(VALU_DEP_2)
	v_sub_f32_e32 v9, v60, v58
	v_add_f32_e32 v4, v4, v57
	s_delay_alu instid0(VALU_DEP_2) | instskip(NEXT) | instid1(VALU_DEP_1)
	v_sub_f32_e32 v5, v5, v9
	v_add_f32_e32 v4, v4, v5
	s_delay_alu instid0(VALU_DEP_1) | instskip(NEXT) | instid1(VALU_DEP_1)
	v_add_f32_e32 v4, v60, v4
	v_cndmask_b32_e32 v65, v4, v8, vcc_lo
.LBB76_52:                              ;   in Loop: Header=BB76_12 Depth=1
	s_or_b32 exec_lo, exec_lo, s21
	v_lshrrev_b32_e32 v4, 16, v6
	s_delay_alu instid0(VALU_DEP_1) | instskip(NEXT) | instid1(VALU_DEP_1)
	v_cvt_f32_f16_e32 v4, v4
	v_add_f32_e32 v66, s60, v4
	s_delay_alu instid0(VALU_DEP_1) | instskip(SKIP_1) | instid1(SALU_CYCLE_1)
	v_cmp_ge_f32_e32 vcc_lo, 0x41a00000, v66
	s_and_b32 s20, s67, vcc_lo
	s_and_saveexec_b32 s21, s20
	s_cbranch_execz .LBB76_54
; %bb.53:                               ;   in Loop: Header=BB76_12 Depth=1
	v_mul_f32_e32 v4, 0x3fb8aa3b, v66
	v_cmp_ngt_f32_e32 vcc_lo, 0xc2ce8ed0, v66
	s_delay_alu instid0(VALU_DEP_2) | instskip(SKIP_1) | instid1(VALU_DEP_2)
	v_rndne_f32_e32 v5, v4
	v_fma_f32 v6, 0x3fb8aa3b, v66, -v4
	v_sub_f32_e32 v4, v4, v5
	s_delay_alu instid0(VALU_DEP_2) | instskip(SKIP_1) | instid1(VALU_DEP_2)
	v_fmac_f32_e32 v6, 0x32a5705f, v66
	v_cvt_i32_f32_e32 v5, v5
	v_add_f32_e32 v4, v4, v6
	s_delay_alu instid0(VALU_DEP_1) | instskip(SKIP_2) | instid1(VALU_DEP_1)
	v_exp_f32_e32 v4, v4
	s_waitcnt_depctr 0xfff
	v_ldexp_f32 v4, v4, v5
	v_cndmask_b32_e32 v4, 0, v4, vcc_lo
	v_cmp_nlt_f32_e32 vcc_lo, 0x42b17218, v66
	s_delay_alu instid0(VALU_DEP_2) | instskip(NEXT) | instid1(VALU_DEP_1)
	v_cndmask_b32_e32 v6, 0x7f800000, v4, vcc_lo
	v_add_f32_e32 v8, 1.0, v6
	s_delay_alu instid0(VALU_DEP_1) | instskip(NEXT) | instid1(VALU_DEP_1)
	v_cvt_f64_f32_e32 v[4:5], v8
	v_frexp_exp_i32_f64_e32 v4, v[4:5]
	v_frexp_mant_f32_e32 v5, v8
	s_delay_alu instid0(VALU_DEP_1) | instskip(SKIP_1) | instid1(VALU_DEP_1)
	v_cmp_gt_f32_e32 vcc_lo, 0x3f2aaaab, v5
	v_add_f32_e32 v5, -1.0, v8
	v_sub_f32_e32 v57, v5, v8
	v_sub_f32_e32 v5, v6, v5
	s_delay_alu instid0(VALU_DEP_2) | instskip(NEXT) | instid1(VALU_DEP_1)
	v_add_f32_e32 v57, 1.0, v57
	v_add_f32_e32 v5, v5, v57
	v_subrev_co_ci_u32_e32 v4, vcc_lo, 0, v4, vcc_lo
	s_delay_alu instid0(VALU_DEP_1) | instskip(SKIP_1) | instid1(VALU_DEP_2)
	v_sub_nc_u32_e32 v9, 0, v4
	v_cvt_f32_i32_e32 v4, v4
	v_ldexp_f32 v8, v8, v9
	v_ldexp_f32 v5, v5, v9
	s_delay_alu instid0(VALU_DEP_2) | instskip(SKIP_1) | instid1(VALU_DEP_2)
	v_add_f32_e32 v58, 1.0, v8
	v_add_f32_e32 v9, -1.0, v8
	v_add_f32_e32 v57, -1.0, v58
	s_delay_alu instid0(VALU_DEP_2) | instskip(SKIP_2) | instid1(VALU_DEP_4)
	v_add_f32_e32 v59, 1.0, v9
	v_cmp_eq_f32_e32 vcc_lo, 0x7f800000, v6
	v_cmp_gt_f32_e64 s20, 0x33800000, v6
	v_sub_f32_e32 v57, v8, v57
	s_delay_alu instid0(VALU_DEP_4) | instskip(NEXT) | instid1(VALU_DEP_3)
	v_sub_f32_e32 v8, v8, v59
	s_or_b32 vcc_lo, s20, vcc_lo
	s_delay_alu instid0(VALU_DEP_2) | instskip(NEXT) | instid1(VALU_DEP_2)
	v_add_f32_e32 v57, v5, v57
	v_add_f32_e32 v5, v5, v8
	s_delay_alu instid0(VALU_DEP_1) | instskip(NEXT) | instid1(VALU_DEP_3)
	v_add_f32_e32 v60, v9, v5
	v_add_f32_e32 v59, v58, v57
	s_delay_alu instid0(VALU_DEP_1) | instskip(SKIP_1) | instid1(VALU_DEP_1)
	v_rcp_f32_e32 v8, v59
	v_sub_f32_e32 v58, v58, v59
	v_add_f32_e32 v57, v57, v58
	s_waitcnt_depctr 0xfff
	v_mul_f32_e32 v61, v60, v8
	s_delay_alu instid0(VALU_DEP_1) | instskip(NEXT) | instid1(VALU_DEP_1)
	v_mul_f32_e32 v62, v59, v61
	v_fma_f32 v58, v61, v59, -v62
	s_delay_alu instid0(VALU_DEP_1) | instskip(NEXT) | instid1(VALU_DEP_1)
	v_fmac_f32_e32 v58, v61, v57
	v_add_f32_e32 v63, v62, v58
	s_delay_alu instid0(VALU_DEP_1) | instskip(NEXT) | instid1(VALU_DEP_1)
	v_dual_sub_f32 v9, v9, v60 :: v_dual_sub_f32 v64, v60, v63
	v_sub_f32_e32 v60, v60, v64
	s_delay_alu instid0(VALU_DEP_1) | instskip(SKIP_1) | instid1(VALU_DEP_2)
	v_dual_sub_f32 v60, v60, v63 :: v_dual_add_f32 v5, v5, v9
	v_sub_f32_e32 v9, v63, v62
	v_add_f32_e32 v5, v5, v60
	s_delay_alu instid0(VALU_DEP_2) | instskip(NEXT) | instid1(VALU_DEP_1)
	v_sub_f32_e32 v9, v9, v58
	v_add_f32_e32 v5, v9, v5
	s_delay_alu instid0(VALU_DEP_1) | instskip(NEXT) | instid1(VALU_DEP_1)
	v_add_f32_e32 v9, v64, v5
	v_mul_f32_e32 v58, v8, v9
	s_delay_alu instid0(VALU_DEP_1) | instskip(NEXT) | instid1(VALU_DEP_1)
	v_mul_f32_e32 v60, v59, v58
	v_fma_f32 v59, v58, v59, -v60
	s_delay_alu instid0(VALU_DEP_1) | instskip(NEXT) | instid1(VALU_DEP_1)
	v_fmac_f32_e32 v59, v58, v57
	v_add_f32_e32 v57, v60, v59
	s_delay_alu instid0(VALU_DEP_1) | instskip(SKIP_2) | instid1(VALU_DEP_2)
	v_sub_f32_e32 v60, v57, v60
	v_sub_f32_e32 v62, v9, v57
	;; [unrolled: 1-line block ×4, first 2 shown]
	s_delay_alu instid0(VALU_DEP_2) | instskip(NEXT) | instid1(VALU_DEP_2)
	v_add_f32_e32 v5, v5, v63
	v_sub_f32_e32 v9, v9, v57
	v_sub_f32_e32 v57, v60, v59
	s_delay_alu instid0(VALU_DEP_2) | instskip(SKIP_1) | instid1(VALU_DEP_2)
	v_add_f32_e32 v5, v5, v9
	v_add_f32_e32 v9, v61, v58
	;; [unrolled: 1-line block ×3, first 2 shown]
	s_delay_alu instid0(VALU_DEP_2) | instskip(NEXT) | instid1(VALU_DEP_2)
	v_sub_f32_e32 v57, v9, v61
	v_add_f32_e32 v5, v62, v5
	s_delay_alu instid0(VALU_DEP_2) | instskip(NEXT) | instid1(VALU_DEP_2)
	v_sub_f32_e32 v57, v58, v57
	v_mul_f32_e32 v5, v8, v5
	s_delay_alu instid0(VALU_DEP_1) | instskip(NEXT) | instid1(VALU_DEP_1)
	v_add_f32_e32 v5, v57, v5
	v_add_f32_e32 v8, v9, v5
	s_delay_alu instid0(VALU_DEP_1) | instskip(NEXT) | instid1(VALU_DEP_1)
	v_mul_f32_e32 v57, v8, v8
	v_fmaak_f32 v58, s54, v57, 0x3ecc95a3
	v_mul_f32_e32 v59, v8, v57
	s_delay_alu instid0(VALU_DEP_2) | instskip(SKIP_2) | instid1(VALU_DEP_3)
	v_fmaak_f32 v57, v57, v58, 0x3f2aaada
	v_ldexp_f32 v58, v8, 1
	v_sub_f32_e32 v8, v8, v9
	v_mul_f32_e32 v57, v59, v57
	v_mul_f32_e32 v59, 0x3f317218, v4
	s_delay_alu instid0(VALU_DEP_3) | instskip(NEXT) | instid1(VALU_DEP_3)
	v_sub_f32_e32 v5, v5, v8
	v_add_f32_e32 v9, v58, v57
	s_delay_alu instid0(VALU_DEP_2) | instskip(NEXT) | instid1(VALU_DEP_2)
	v_ldexp_f32 v5, v5, 1
	v_sub_f32_e32 v8, v9, v58
	v_fma_f32 v58, 0x3f317218, v4, -v59
	s_delay_alu instid0(VALU_DEP_2) | instskip(NEXT) | instid1(VALU_DEP_2)
	v_sub_f32_e32 v8, v57, v8
	v_fmac_f32_e32 v58, 0xb102e308, v4
	s_delay_alu instid0(VALU_DEP_1) | instskip(NEXT) | instid1(VALU_DEP_1)
	v_dual_add_f32 v4, v5, v8 :: v_dual_add_f32 v5, v59, v58
	v_add_f32_e32 v8, v9, v4
	s_delay_alu instid0(VALU_DEP_1) | instskip(SKIP_1) | instid1(VALU_DEP_2)
	v_add_f32_e32 v57, v5, v8
	v_sub_f32_e32 v9, v8, v9
	v_sub_f32_e32 v60, v57, v5
	s_delay_alu instid0(VALU_DEP_2) | instskip(NEXT) | instid1(VALU_DEP_1)
	v_dual_sub_f32 v59, v5, v59 :: v_dual_sub_f32 v4, v4, v9
	v_dual_sub_f32 v61, v57, v60 :: v_dual_sub_f32 v58, v58, v59
	s_delay_alu instid0(VALU_DEP_1) | instskip(NEXT) | instid1(VALU_DEP_2)
	v_dual_sub_f32 v8, v8, v60 :: v_dual_sub_f32 v5, v5, v61
	v_add_f32_e32 v9, v58, v4
	s_delay_alu instid0(VALU_DEP_1) | instskip(NEXT) | instid1(VALU_DEP_1)
	v_dual_add_f32 v5, v8, v5 :: v_dual_sub_f32 v8, v9, v58
	v_add_f32_e32 v5, v9, v5
	s_delay_alu instid0(VALU_DEP_2) | instskip(NEXT) | instid1(VALU_DEP_2)
	v_sub_f32_e32 v9, v9, v8
	v_dual_sub_f32 v4, v4, v8 :: v_dual_add_f32 v59, v57, v5
	s_delay_alu instid0(VALU_DEP_2) | instskip(NEXT) | instid1(VALU_DEP_2)
	v_sub_f32_e32 v9, v58, v9
	v_sub_f32_e32 v8, v59, v57
	s_delay_alu instid0(VALU_DEP_1) | instskip(NEXT) | instid1(VALU_DEP_1)
	v_dual_add_f32 v4, v4, v9 :: v_dual_sub_f32 v5, v5, v8
	v_add_f32_e32 v4, v4, v5
	s_delay_alu instid0(VALU_DEP_1) | instskip(NEXT) | instid1(VALU_DEP_1)
	v_add_f32_e32 v4, v59, v4
	v_cndmask_b32_e32 v66, v4, v6, vcc_lo
.LBB76_54:                              ;   in Loop: Header=BB76_12 Depth=1
	s_or_b32 exec_lo, exec_lo, s21
	v_cvt_f32_f16_e32 v4, v7
	s_delay_alu instid0(VALU_DEP_1) | instskip(NEXT) | instid1(VALU_DEP_1)
	v_add_f32_e32 v67, s60, v4
	v_cmp_ge_f32_e32 vcc_lo, 0x41a00000, v67
	s_and_b32 s20, s67, vcc_lo
	s_delay_alu instid0(SALU_CYCLE_1)
	s_and_saveexec_b32 s21, s20
	s_cbranch_execz .LBB76_56
; %bb.55:                               ;   in Loop: Header=BB76_12 Depth=1
	v_mul_f32_e32 v4, 0x3fb8aa3b, v67
	v_cmp_ngt_f32_e32 vcc_lo, 0xc2ce8ed0, v67
	s_delay_alu instid0(VALU_DEP_2) | instskip(SKIP_1) | instid1(VALU_DEP_2)
	v_rndne_f32_e32 v5, v4
	v_fma_f32 v6, 0x3fb8aa3b, v67, -v4
	v_sub_f32_e32 v4, v4, v5
	s_delay_alu instid0(VALU_DEP_2) | instskip(SKIP_1) | instid1(VALU_DEP_2)
	v_fmac_f32_e32 v6, 0x32a5705f, v67
	v_cvt_i32_f32_e32 v5, v5
	v_add_f32_e32 v4, v4, v6
	s_delay_alu instid0(VALU_DEP_1) | instskip(SKIP_2) | instid1(VALU_DEP_1)
	v_exp_f32_e32 v4, v4
	s_waitcnt_depctr 0xfff
	v_ldexp_f32 v4, v4, v5
	v_cndmask_b32_e32 v4, 0, v4, vcc_lo
	v_cmp_nlt_f32_e32 vcc_lo, 0x42b17218, v67
	s_delay_alu instid0(VALU_DEP_2) | instskip(NEXT) | instid1(VALU_DEP_1)
	v_cndmask_b32_e32 v6, 0x7f800000, v4, vcc_lo
	v_add_f32_e32 v8, 1.0, v6
	s_delay_alu instid0(VALU_DEP_1) | instskip(NEXT) | instid1(VALU_DEP_1)
	v_cvt_f64_f32_e32 v[4:5], v8
	v_frexp_exp_i32_f64_e32 v4, v[4:5]
	v_frexp_mant_f32_e32 v5, v8
	s_delay_alu instid0(VALU_DEP_1) | instskip(SKIP_1) | instid1(VALU_DEP_1)
	v_cmp_gt_f32_e32 vcc_lo, 0x3f2aaaab, v5
	v_add_f32_e32 v5, -1.0, v8
	v_sub_f32_e32 v57, v5, v8
	v_sub_f32_e32 v5, v6, v5
	s_delay_alu instid0(VALU_DEP_2) | instskip(NEXT) | instid1(VALU_DEP_1)
	v_add_f32_e32 v57, 1.0, v57
	v_add_f32_e32 v5, v5, v57
	v_subrev_co_ci_u32_e32 v4, vcc_lo, 0, v4, vcc_lo
	s_delay_alu instid0(VALU_DEP_1) | instskip(SKIP_1) | instid1(VALU_DEP_2)
	v_sub_nc_u32_e32 v9, 0, v4
	v_cvt_f32_i32_e32 v4, v4
	v_ldexp_f32 v8, v8, v9
	v_ldexp_f32 v5, v5, v9
	s_delay_alu instid0(VALU_DEP_2) | instskip(SKIP_1) | instid1(VALU_DEP_2)
	v_add_f32_e32 v58, 1.0, v8
	v_add_f32_e32 v9, -1.0, v8
	v_add_f32_e32 v57, -1.0, v58
	s_delay_alu instid0(VALU_DEP_2) | instskip(SKIP_2) | instid1(VALU_DEP_4)
	v_add_f32_e32 v59, 1.0, v9
	v_cmp_eq_f32_e32 vcc_lo, 0x7f800000, v6
	v_cmp_gt_f32_e64 s20, 0x33800000, v6
	v_sub_f32_e32 v57, v8, v57
	s_delay_alu instid0(VALU_DEP_4) | instskip(NEXT) | instid1(VALU_DEP_3)
	v_sub_f32_e32 v8, v8, v59
	s_or_b32 vcc_lo, s20, vcc_lo
	s_delay_alu instid0(VALU_DEP_2) | instskip(NEXT) | instid1(VALU_DEP_2)
	v_add_f32_e32 v57, v5, v57
	v_add_f32_e32 v5, v5, v8
	s_delay_alu instid0(VALU_DEP_1) | instskip(NEXT) | instid1(VALU_DEP_3)
	v_add_f32_e32 v60, v9, v5
	v_add_f32_e32 v59, v58, v57
	s_delay_alu instid0(VALU_DEP_1) | instskip(SKIP_1) | instid1(VALU_DEP_1)
	v_rcp_f32_e32 v8, v59
	v_sub_f32_e32 v58, v58, v59
	v_add_f32_e32 v57, v57, v58
	s_waitcnt_depctr 0xfff
	v_mul_f32_e32 v61, v60, v8
	s_delay_alu instid0(VALU_DEP_1) | instskip(NEXT) | instid1(VALU_DEP_1)
	v_mul_f32_e32 v62, v59, v61
	v_fma_f32 v58, v61, v59, -v62
	s_delay_alu instid0(VALU_DEP_1) | instskip(NEXT) | instid1(VALU_DEP_1)
	v_fmac_f32_e32 v58, v61, v57
	v_add_f32_e32 v63, v62, v58
	s_delay_alu instid0(VALU_DEP_1) | instskip(NEXT) | instid1(VALU_DEP_1)
	v_dual_sub_f32 v9, v9, v60 :: v_dual_sub_f32 v64, v60, v63
	v_sub_f32_e32 v60, v60, v64
	s_delay_alu instid0(VALU_DEP_1) | instskip(SKIP_1) | instid1(VALU_DEP_2)
	v_dual_sub_f32 v60, v60, v63 :: v_dual_add_f32 v5, v5, v9
	v_sub_f32_e32 v9, v63, v62
	v_add_f32_e32 v5, v5, v60
	s_delay_alu instid0(VALU_DEP_2) | instskip(NEXT) | instid1(VALU_DEP_1)
	v_sub_f32_e32 v9, v9, v58
	v_add_f32_e32 v5, v9, v5
	s_delay_alu instid0(VALU_DEP_1) | instskip(NEXT) | instid1(VALU_DEP_1)
	v_add_f32_e32 v9, v64, v5
	v_mul_f32_e32 v58, v8, v9
	s_delay_alu instid0(VALU_DEP_1) | instskip(NEXT) | instid1(VALU_DEP_1)
	v_mul_f32_e32 v60, v59, v58
	v_fma_f32 v59, v58, v59, -v60
	s_delay_alu instid0(VALU_DEP_1) | instskip(NEXT) | instid1(VALU_DEP_1)
	v_fmac_f32_e32 v59, v58, v57
	v_add_f32_e32 v57, v60, v59
	s_delay_alu instid0(VALU_DEP_1) | instskip(SKIP_2) | instid1(VALU_DEP_2)
	v_sub_f32_e32 v60, v57, v60
	v_sub_f32_e32 v62, v9, v57
	;; [unrolled: 1-line block ×4, first 2 shown]
	s_delay_alu instid0(VALU_DEP_2) | instskip(NEXT) | instid1(VALU_DEP_2)
	v_add_f32_e32 v5, v5, v63
	v_sub_f32_e32 v9, v9, v57
	v_sub_f32_e32 v57, v60, v59
	s_delay_alu instid0(VALU_DEP_2) | instskip(SKIP_1) | instid1(VALU_DEP_2)
	v_add_f32_e32 v5, v5, v9
	v_add_f32_e32 v9, v61, v58
	;; [unrolled: 1-line block ×3, first 2 shown]
	s_delay_alu instid0(VALU_DEP_2) | instskip(NEXT) | instid1(VALU_DEP_2)
	v_sub_f32_e32 v57, v9, v61
	v_add_f32_e32 v5, v62, v5
	s_delay_alu instid0(VALU_DEP_2) | instskip(NEXT) | instid1(VALU_DEP_2)
	v_sub_f32_e32 v57, v58, v57
	v_mul_f32_e32 v5, v8, v5
	s_delay_alu instid0(VALU_DEP_1) | instskip(NEXT) | instid1(VALU_DEP_1)
	v_add_f32_e32 v5, v57, v5
	v_add_f32_e32 v8, v9, v5
	s_delay_alu instid0(VALU_DEP_1) | instskip(NEXT) | instid1(VALU_DEP_1)
	v_mul_f32_e32 v57, v8, v8
	v_fmaak_f32 v58, s54, v57, 0x3ecc95a3
	v_mul_f32_e32 v59, v8, v57
	s_delay_alu instid0(VALU_DEP_2) | instskip(SKIP_2) | instid1(VALU_DEP_3)
	v_fmaak_f32 v57, v57, v58, 0x3f2aaada
	v_ldexp_f32 v58, v8, 1
	v_sub_f32_e32 v8, v8, v9
	v_mul_f32_e32 v57, v59, v57
	v_mul_f32_e32 v59, 0x3f317218, v4
	s_delay_alu instid0(VALU_DEP_3) | instskip(NEXT) | instid1(VALU_DEP_3)
	v_sub_f32_e32 v5, v5, v8
	v_add_f32_e32 v9, v58, v57
	s_delay_alu instid0(VALU_DEP_2) | instskip(NEXT) | instid1(VALU_DEP_2)
	v_ldexp_f32 v5, v5, 1
	v_sub_f32_e32 v8, v9, v58
	v_fma_f32 v58, 0x3f317218, v4, -v59
	s_delay_alu instid0(VALU_DEP_2) | instskip(NEXT) | instid1(VALU_DEP_2)
	v_sub_f32_e32 v8, v57, v8
	v_fmac_f32_e32 v58, 0xb102e308, v4
	s_delay_alu instid0(VALU_DEP_1) | instskip(NEXT) | instid1(VALU_DEP_1)
	v_dual_add_f32 v4, v5, v8 :: v_dual_add_f32 v5, v59, v58
	v_add_f32_e32 v8, v9, v4
	s_delay_alu instid0(VALU_DEP_1) | instskip(SKIP_1) | instid1(VALU_DEP_2)
	v_add_f32_e32 v57, v5, v8
	v_sub_f32_e32 v9, v8, v9
	v_sub_f32_e32 v60, v57, v5
	s_delay_alu instid0(VALU_DEP_2) | instskip(NEXT) | instid1(VALU_DEP_1)
	v_dual_sub_f32 v59, v5, v59 :: v_dual_sub_f32 v4, v4, v9
	v_dual_sub_f32 v61, v57, v60 :: v_dual_sub_f32 v58, v58, v59
	s_delay_alu instid0(VALU_DEP_1) | instskip(NEXT) | instid1(VALU_DEP_2)
	v_dual_sub_f32 v8, v8, v60 :: v_dual_sub_f32 v5, v5, v61
	v_add_f32_e32 v9, v58, v4
	s_delay_alu instid0(VALU_DEP_1) | instskip(NEXT) | instid1(VALU_DEP_1)
	v_dual_add_f32 v5, v8, v5 :: v_dual_sub_f32 v8, v9, v58
	v_add_f32_e32 v5, v9, v5
	s_delay_alu instid0(VALU_DEP_2) | instskip(NEXT) | instid1(VALU_DEP_2)
	v_sub_f32_e32 v9, v9, v8
	v_dual_sub_f32 v4, v4, v8 :: v_dual_add_f32 v59, v57, v5
	s_delay_alu instid0(VALU_DEP_2) | instskip(NEXT) | instid1(VALU_DEP_2)
	v_sub_f32_e32 v9, v58, v9
	v_sub_f32_e32 v8, v59, v57
	s_delay_alu instid0(VALU_DEP_1) | instskip(NEXT) | instid1(VALU_DEP_1)
	v_dual_add_f32 v4, v4, v9 :: v_dual_sub_f32 v5, v5, v8
	v_add_f32_e32 v4, v4, v5
	s_delay_alu instid0(VALU_DEP_1) | instskip(NEXT) | instid1(VALU_DEP_1)
	v_add_f32_e32 v4, v59, v4
	v_cndmask_b32_e32 v67, v4, v6, vcc_lo
.LBB76_56:                              ;   in Loop: Header=BB76_12 Depth=1
	s_or_b32 exec_lo, exec_lo, s21
	v_lshrrev_b32_e32 v4, 16, v7
	s_delay_alu instid0(VALU_DEP_1) | instskip(NEXT) | instid1(VALU_DEP_1)
	v_cvt_f32_f16_e32 v4, v4
	v_add_f32_e32 v68, s60, v4
	s_delay_alu instid0(VALU_DEP_1) | instskip(SKIP_1) | instid1(SALU_CYCLE_1)
	v_cmp_ge_f32_e32 vcc_lo, 0x41a00000, v68
	s_and_b32 s20, s67, vcc_lo
	s_and_saveexec_b32 s21, s20
	s_cbranch_execz .LBB76_58
; %bb.57:                               ;   in Loop: Header=BB76_12 Depth=1
	v_mul_f32_e32 v4, 0x3fb8aa3b, v68
	v_cmp_ngt_f32_e32 vcc_lo, 0xc2ce8ed0, v68
	s_delay_alu instid0(VALU_DEP_2) | instskip(SKIP_1) | instid1(VALU_DEP_2)
	v_rndne_f32_e32 v5, v4
	v_fma_f32 v6, 0x3fb8aa3b, v68, -v4
	v_sub_f32_e32 v4, v4, v5
	s_delay_alu instid0(VALU_DEP_2) | instskip(SKIP_1) | instid1(VALU_DEP_2)
	v_fmac_f32_e32 v6, 0x32a5705f, v68
	v_cvt_i32_f32_e32 v5, v5
	v_add_f32_e32 v4, v4, v6
	s_delay_alu instid0(VALU_DEP_1) | instskip(SKIP_2) | instid1(VALU_DEP_1)
	v_exp_f32_e32 v4, v4
	s_waitcnt_depctr 0xfff
	v_ldexp_f32 v4, v4, v5
	v_cndmask_b32_e32 v4, 0, v4, vcc_lo
	v_cmp_nlt_f32_e32 vcc_lo, 0x42b17218, v68
	s_delay_alu instid0(VALU_DEP_2) | instskip(NEXT) | instid1(VALU_DEP_1)
	v_cndmask_b32_e32 v6, 0x7f800000, v4, vcc_lo
	v_add_f32_e32 v7, 1.0, v6
	s_delay_alu instid0(VALU_DEP_1) | instskip(NEXT) | instid1(VALU_DEP_1)
	v_cvt_f64_f32_e32 v[4:5], v7
	v_frexp_exp_i32_f64_e32 v4, v[4:5]
	v_frexp_mant_f32_e32 v5, v7
	s_delay_alu instid0(VALU_DEP_1) | instskip(SKIP_1) | instid1(VALU_DEP_1)
	v_cmp_gt_f32_e32 vcc_lo, 0x3f2aaaab, v5
	v_add_f32_e32 v5, -1.0, v7
	v_sub_f32_e32 v9, v5, v7
	s_delay_alu instid0(VALU_DEP_1) | instskip(SKIP_1) | instid1(VALU_DEP_1)
	v_add_f32_e32 v9, 1.0, v9
	v_subrev_co_ci_u32_e32 v4, vcc_lo, 0, v4, vcc_lo
	v_sub_nc_u32_e32 v8, 0, v4
	v_cvt_f32_i32_e32 v4, v4
	s_delay_alu instid0(VALU_DEP_2) | instskip(NEXT) | instid1(VALU_DEP_1)
	v_ldexp_f32 v7, v7, v8
	v_add_f32_e32 v57, 1.0, v7
	v_sub_f32_e32 v5, v6, v5
	v_cmp_eq_f32_e32 vcc_lo, 0x7f800000, v6
	v_cmp_gt_f32_e64 s20, 0x33800000, v6
	s_delay_alu instid0(VALU_DEP_3) | instskip(NEXT) | instid1(VALU_DEP_2)
	v_add_f32_e32 v5, v5, v9
	s_or_b32 vcc_lo, s20, vcc_lo
	s_delay_alu instid0(VALU_DEP_1) | instskip(SKIP_1) | instid1(VALU_DEP_1)
	v_ldexp_f32 v5, v5, v8
	v_dual_add_f32 v8, -1.0, v7 :: v_dual_add_f32 v9, -1.0, v57
	v_dual_add_f32 v58, 1.0, v8 :: v_dual_sub_f32 v9, v7, v9
	s_delay_alu instid0(VALU_DEP_1) | instskip(NEXT) | instid1(VALU_DEP_1)
	v_add_f32_e32 v9, v5, v9
	v_dual_sub_f32 v7, v7, v58 :: v_dual_add_f32 v58, v57, v9
	s_delay_alu instid0(VALU_DEP_1) | instskip(NEXT) | instid1(VALU_DEP_2)
	v_add_f32_e32 v5, v5, v7
	v_rcp_f32_e32 v7, v58
	s_delay_alu instid0(VALU_DEP_1) | instskip(NEXT) | instid1(VALU_DEP_1)
	v_add_f32_e32 v59, v8, v5
	v_dual_sub_f32 v57, v57, v58 :: v_dual_sub_f32 v8, v8, v59
	s_waitcnt_depctr 0xfff
	v_dual_mul_f32 v60, v59, v7 :: v_dual_add_f32 v9, v9, v57
	v_add_f32_e32 v5, v5, v8
	s_delay_alu instid0(VALU_DEP_2) | instskip(NEXT) | instid1(VALU_DEP_1)
	v_mul_f32_e32 v61, v58, v60
	v_fma_f32 v57, v60, v58, -v61
	s_delay_alu instid0(VALU_DEP_1) | instskip(NEXT) | instid1(VALU_DEP_1)
	v_fmac_f32_e32 v57, v60, v9
	v_add_f32_e32 v62, v61, v57
	s_delay_alu instid0(VALU_DEP_1) | instskip(NEXT) | instid1(VALU_DEP_1)
	v_sub_f32_e32 v63, v59, v62
	v_dual_sub_f32 v59, v59, v63 :: v_dual_sub_f32 v8, v62, v61
	s_delay_alu instid0(VALU_DEP_1) | instskip(NEXT) | instid1(VALU_DEP_1)
	v_dual_sub_f32 v59, v59, v62 :: v_dual_sub_f32 v8, v8, v57
	v_add_f32_e32 v5, v5, v59
	s_delay_alu instid0(VALU_DEP_1) | instskip(NEXT) | instid1(VALU_DEP_1)
	v_add_f32_e32 v5, v8, v5
	v_add_f32_e32 v8, v63, v5
	s_delay_alu instid0(VALU_DEP_1) | instskip(NEXT) | instid1(VALU_DEP_1)
	v_mul_f32_e32 v57, v7, v8
	v_mul_f32_e32 v59, v58, v57
	s_delay_alu instid0(VALU_DEP_1) | instskip(NEXT) | instid1(VALU_DEP_1)
	v_fma_f32 v58, v57, v58, -v59
	v_fmac_f32_e32 v58, v57, v9
	v_sub_f32_e32 v62, v63, v8
	s_delay_alu instid0(VALU_DEP_2) | instskip(NEXT) | instid1(VALU_DEP_2)
	v_add_f32_e32 v9, v59, v58
	v_add_f32_e32 v5, v5, v62
	s_delay_alu instid0(VALU_DEP_2) | instskip(NEXT) | instid1(VALU_DEP_1)
	v_sub_f32_e32 v61, v8, v9
	v_dual_sub_f32 v59, v9, v59 :: v_dual_sub_f32 v8, v8, v61
	s_delay_alu instid0(VALU_DEP_1) | instskip(NEXT) | instid1(VALU_DEP_1)
	v_dual_sub_f32 v8, v8, v9 :: v_dual_sub_f32 v9, v59, v58
	v_dual_add_f32 v5, v5, v8 :: v_dual_add_f32 v8, v60, v57
	s_delay_alu instid0(VALU_DEP_1) | instskip(NEXT) | instid1(VALU_DEP_2)
	v_add_f32_e32 v5, v9, v5
	v_sub_f32_e32 v9, v8, v60
	s_delay_alu instid0(VALU_DEP_2) | instskip(NEXT) | instid1(VALU_DEP_2)
	v_add_f32_e32 v5, v61, v5
	v_sub_f32_e32 v9, v57, v9
	s_delay_alu instid0(VALU_DEP_2) | instskip(NEXT) | instid1(VALU_DEP_1)
	v_mul_f32_e32 v5, v7, v5
	v_add_f32_e32 v5, v9, v5
	s_delay_alu instid0(VALU_DEP_1) | instskip(NEXT) | instid1(VALU_DEP_1)
	v_add_f32_e32 v7, v8, v5
	v_mul_f32_e32 v9, v7, v7
	s_delay_alu instid0(VALU_DEP_1) | instskip(SKIP_1) | instid1(VALU_DEP_2)
	v_fmaak_f32 v57, s54, v9, 0x3ecc95a3
	v_mul_f32_e32 v58, v7, v9
	v_fmaak_f32 v9, v9, v57, 0x3f2aaada
	v_ldexp_f32 v57, v7, 1
	s_delay_alu instid0(VALU_DEP_2) | instskip(SKIP_2) | instid1(VALU_DEP_3)
	v_mul_f32_e32 v9, v58, v9
	v_sub_f32_e32 v7, v7, v8
	v_mul_f32_e32 v58, 0x3f317218, v4
	v_add_f32_e32 v8, v57, v9
	s_delay_alu instid0(VALU_DEP_3) | instskip(NEXT) | instid1(VALU_DEP_2)
	v_sub_f32_e32 v5, v5, v7
	v_sub_f32_e32 v7, v8, v57
	s_delay_alu instid0(VALU_DEP_4) | instskip(NEXT) | instid1(VALU_DEP_3)
	v_fma_f32 v57, 0x3f317218, v4, -v58
	v_ldexp_f32 v5, v5, 1
	s_delay_alu instid0(VALU_DEP_3) | instskip(NEXT) | instid1(VALU_DEP_1)
	v_sub_f32_e32 v7, v9, v7
	v_dual_fmac_f32 v57, 0xb102e308, v4 :: v_dual_add_f32 v4, v5, v7
	s_delay_alu instid0(VALU_DEP_1) | instskip(NEXT) | instid1(VALU_DEP_1)
	v_add_f32_e32 v5, v58, v57
	v_dual_add_f32 v7, v8, v4 :: v_dual_sub_f32 v58, v5, v58
	s_delay_alu instid0(VALU_DEP_1) | instskip(NEXT) | instid1(VALU_DEP_2)
	v_dual_add_f32 v9, v5, v7 :: v_dual_sub_f32 v8, v7, v8
	v_sub_f32_e32 v57, v57, v58
	s_delay_alu instid0(VALU_DEP_2) | instskip(NEXT) | instid1(VALU_DEP_1)
	v_dual_sub_f32 v59, v9, v5 :: v_dual_sub_f32 v4, v4, v8
	v_sub_f32_e32 v60, v9, v59
	s_delay_alu instid0(VALU_DEP_2) | instskip(NEXT) | instid1(VALU_DEP_2)
	v_dual_sub_f32 v7, v7, v59 :: v_dual_add_f32 v8, v57, v4
	v_sub_f32_e32 v5, v5, v60
	s_delay_alu instid0(VALU_DEP_1) | instskip(NEXT) | instid1(VALU_DEP_3)
	v_add_f32_e32 v5, v7, v5
	v_sub_f32_e32 v7, v8, v57
	s_delay_alu instid0(VALU_DEP_2) | instskip(NEXT) | instid1(VALU_DEP_2)
	v_add_f32_e32 v5, v8, v5
	v_sub_f32_e32 v8, v8, v7
	v_sub_f32_e32 v4, v4, v7
	s_delay_alu instid0(VALU_DEP_3) | instskip(NEXT) | instid1(VALU_DEP_1)
	v_add_f32_e32 v58, v9, v5
	v_dual_sub_f32 v8, v57, v8 :: v_dual_sub_f32 v7, v58, v9
	s_delay_alu instid0(VALU_DEP_1) | instskip(NEXT) | instid1(VALU_DEP_1)
	v_dual_add_f32 v4, v4, v8 :: v_dual_sub_f32 v5, v5, v7
	v_add_f32_e32 v4, v4, v5
	s_delay_alu instid0(VALU_DEP_1) | instskip(NEXT) | instid1(VALU_DEP_1)
	v_add_f32_e32 v4, v58, v4
	v_cndmask_b32_e32 v68, v4, v6, vcc_lo
.LBB76_58:                              ;   in Loop: Header=BB76_12 Depth=1
	s_or_b32 exec_lo, exec_lo, s21
	v_lshrrev_b32_e32 v5, 16, v2
	v_lshrrev_b32_e32 v6, 16, v3
	;; [unrolled: 1-line block ×4, first 2 shown]
	v_cvt_f32_f16_e32 v4, v3
	v_cvt_f32_f16_e32 v2, v2
	;; [unrolled: 1-line block ×8, first 2 shown]
	v_dual_mul_f32 v60, s61, v4 :: v_dual_mul_f32 v57, s61, v3
	v_dual_mul_f32 v62, s61, v2 :: v_dual_mul_f32 v59, s61, v5
	s_delay_alu instid0(VALU_DEP_4) | instskip(NEXT) | instid1(VALU_DEP_4)
	v_dual_mul_f32 v63, s61, v1 :: v_dual_mul_f32 v58, s61, v6
	v_dual_mul_f32 v64, s61, v0 :: v_dual_mul_f32 v61, s61, v7
	s_and_b32 vcc_lo, exec_lo, s68
	s_barrier
	buffer_gl0_inv
	s_cbranch_vccz .LBB76_122
; %bb.59:                               ;   in Loop: Header=BB76_12 Depth=1
	v_dual_mul_f32 v69, v68, v7 :: v_dual_mul_f32 v74, v67, v4
	v_add_co_u32 v7, s20, s46, v51
	s_delay_alu instid0(VALU_DEP_1) | instskip(SKIP_1) | instid1(VALU_DEP_1)
	v_add_co_ci_u32_e64 v8, null, s49, 0, s20
	v_add_co_u32 v9, s20, s50, v51
	v_add_co_ci_u32_e64 v73, null, s64, 0, s20
	s_delay_alu instid0(VALU_DEP_4) | instskip(NEXT) | instid1(VALU_DEP_4)
	v_add_co_u32 v70, vcc_lo, v7, v52
	v_add_co_ci_u32_e32 v71, vcc_lo, 0, v8, vcc_lo
	s_delay_alu instid0(VALU_DEP_4) | instskip(NEXT) | instid1(VALU_DEP_4)
	v_add_co_u32 v72, vcc_lo, v9, v52
	v_add_co_ci_u32_e32 v73, vcc_lo, 0, v73, vcc_lo
	v_cmp_gt_u32_e32 vcc_lo, s23, v10
	s_cmp_lg_u32 s58, 0
	v_cmp_gt_u32_e64 s21, s23, v44
	s_cselect_b32 s31, -1, 0
	s_cmp_eq_u32 s58, s70
	v_cmp_gt_u32_e64 s22, s23, v45
	s_cselect_b32 s71, -1, 0
	s_or_b32 s20, s69, vcc_lo
	v_cmp_gt_u32_e32 vcc_lo, s23, v46
	v_cmp_gt_u32_e64 s24, s23, v47
	v_cmp_gt_u32_e64 s25, s23, v48
	;; [unrolled: 1-line block ×4, first 2 shown]
	v_dual_mul_f32 v75, v66, v3 :: v_dual_mul_f32 v76, v65, v2
	v_dual_mul_f32 v77, v56, v5 :: v_dual_mul_f32 v80, v53, v0
	;; [unrolled: 1-line block ×3, first 2 shown]
	s_mov_b32 s34, 0
	s_or_b32 s21, s69, s21
	s_or_b32 s22, s69, s22
	s_or_b32 s23, s69, vcc_lo
	s_or_b32 s24, s69, s24
	s_or_b32 s25, s69, s25
	;; [unrolled: 1-line block ×4, first 2 shown]
	s_mov_b32 s38, s34
	s_mov_b32 s40, s34
	;; [unrolled: 1-line block ×5, first 2 shown]
	s_branch .LBB76_61
.LBB76_60:                              ;   in Loop: Header=BB76_61 Depth=2
	s_or_b32 exec_lo, exec_lo, s28
	v_cndmask_b32_e64 v5, v98, v7, s11
	v_cndmask_b32_e64 v6, v97, v6, s11
	s_add_i32 s72, s72, -1
	s_add_i32 s73, s73, 8
	s_add_i32 s42, s42, s37
	v_fma_f32 v5, v5, v84, v82
	v_mul_f32_e32 v6, v6, v84
	s_add_i32 s40, s40, s36
	s_add_i32 s38, s38, s48
	;; [unrolled: 1-line block ×3, first 2 shown]
	v_cndmask_b32_e64 v5, v5, v82, s10
	v_cndmask_b32_e64 v6, v6, v84, s10
	s_cmp_eq_u32 s72, 0
	s_waitcnt lgkmcnt(0)
	s_delay_alu instid0(VALU_DEP_1) | instskip(NEXT) | instid1(VALU_DEP_1)
	v_fmac_f32_e32 v5, v4, v6
	v_fmac_f32_e32 v81, v5, v86
	v_fma_mix_f32 v64, v5, v0, v64 op_sel_hi:[0,1,0]
	s_delay_alu instid0(VALU_DEP_2) | instskip(SKIP_1) | instid1(VALU_DEP_2)
	v_fmac_f32_e32 v83, v81, v88
	v_fma_mix_f32 v58, v81, v0, v58 op_sel:[0,1,0] op_sel_hi:[0,1,0]
	v_fmac_f32_e32 v85, v83, v90
	v_fma_mix_f32 v63, v83, v1, v63 op_sel_hi:[0,1,0]
	s_delay_alu instid0(VALU_DEP_2) | instskip(SKIP_1) | instid1(VALU_DEP_2)
	v_fmac_f32_e32 v87, v85, v91
	v_fma_mix_f32 v59, v85, v1, v59 op_sel:[0,1,0] op_sel_hi:[0,1,0]
	;; [unrolled: 5-line block ×3, first 2 shown]
	v_fmac_f32_e32 v93, v92, v95
	v_fma_mix_f32 v60, v92, v3, v60 op_sel_hi:[0,1,0]
	s_delay_alu instid0(VALU_DEP_2)
	v_fma_mix_f32 v61, v93, v3, v61 op_sel:[0,1,0] op_sel_hi:[0,1,0]
	s_cbranch_scc1 .LBB76_122
.LBB76_61:                              ;   Parent Loop BB76_12 Depth=1
                                        ; =>  This Inner Loop Header: Depth=2
	s_lshl_b64 s[74:75], s[34:35], 2
	s_mov_b32 s39, s35
	s_add_u32 s74, s62, s74
	s_addc_u32 s75, s63, s75
	v_dual_mov_b32 v2, 0 :: v_dual_mov_b32 v3, 0
	global_load_b32 v81, v13, s[74:75]
	s_lshl_b64 s[74:75], s[38:39], 1
	s_delay_alu instid0(SALU_CYCLE_1)
	v_add_co_u32 v0, vcc_lo, v70, s74
	v_add_co_ci_u32_e32 v1, vcc_lo, s75, v71, vcc_lo
	s_and_saveexec_b32 s28, s12
	s_cbranch_execnz .LBB76_81
; %bb.62:                               ;   in Loop: Header=BB76_61 Depth=2
	s_or_b32 exec_lo, exec_lo, s28
	s_and_saveexec_b32 s28, s13
	s_cbranch_execnz .LBB76_82
.LBB76_63:                              ;   in Loop: Header=BB76_61 Depth=2
	s_or_b32 exec_lo, exec_lo, s28
	v_mov_b32_e32 v4, 0
	s_and_saveexec_b32 s28, s14
	s_cbranch_execnz .LBB76_83
.LBB76_64:                              ;   in Loop: Header=BB76_61 Depth=2
	s_or_b32 exec_lo, exec_lo, s28
	s_and_saveexec_b32 s28, s15
	s_cbranch_execnz .LBB76_84
.LBB76_65:                              ;   in Loop: Header=BB76_61 Depth=2
	s_or_b32 exec_lo, exec_lo, s28
	v_mov_b32_e32 v5, 0
	s_and_saveexec_b32 s28, s16
	s_cbranch_execnz .LBB76_85
.LBB76_66:                              ;   in Loop: Header=BB76_61 Depth=2
	s_or_b32 exec_lo, exec_lo, s28
	s_and_saveexec_b32 s28, s17
	s_cbranch_execnz .LBB76_86
.LBB76_67:                              ;   in Loop: Header=BB76_61 Depth=2
	s_or_b32 exec_lo, exec_lo, s28
	v_mov_b32_e32 v6, 0
	s_and_saveexec_b32 s28, s18
	s_cbranch_execnz .LBB76_87
.LBB76_68:                              ;   in Loop: Header=BB76_61 Depth=2
	s_or_b32 exec_lo, exec_lo, s28
	s_and_saveexec_b32 s28, s19
	s_cbranch_execz .LBB76_70
.LBB76_69:                              ;   in Loop: Header=BB76_61 Depth=2
	global_load_u16 v0, v[0:1], off offset:448
	s_waitcnt vmcnt(0)
	v_lshl_or_b32 v6, v0, 16, v6
.LBB76_70:                              ;   in Loop: Header=BB76_61 Depth=2
	s_or_b32 exec_lo, exec_lo, s28
	s_waitcnt vmcnt(0)
	ds_store_b16 v20, v3
	ds_store_b16 v20, v2 offset:64
	ds_store_b16 v21, v4 offset:128
	ds_store_b16_d16_hi v22, v4 offset:192
	ds_store_b16 v23, v5 offset:256
	ds_store_b16_d16_hi v24, v5 offset:320
	;; [unrolled: 2-line block ×3, first 2 shown]
	; wave barrier
	ds_load_b128 v[4:7], v27
	s_mov_b32 s41, s35
	v_dual_mov_b32 v2, 0 :: v_dual_mov_b32 v3, 0
	s_lshl_b64 s[74:75], s[40:41], 1
	s_delay_alu instid0(SALU_CYCLE_1)
	v_add_co_u32 v0, vcc_lo, v72, s74
	v_add_co_ci_u32_e32 v1, vcc_lo, s75, v73, vcc_lo
	s_and_saveexec_b32 s28, s12
	s_cbranch_execnz .LBB76_88
; %bb.71:                               ;   in Loop: Header=BB76_61 Depth=2
	s_or_b32 exec_lo, exec_lo, s28
	s_and_saveexec_b32 s28, s13
	s_cbranch_execnz .LBB76_89
.LBB76_72:                              ;   in Loop: Header=BB76_61 Depth=2
	s_or_b32 exec_lo, exec_lo, s28
	v_mov_b32_e32 v8, 0
	s_and_saveexec_b32 s28, s14
	s_cbranch_execnz .LBB76_90
.LBB76_73:                              ;   in Loop: Header=BB76_61 Depth=2
	s_or_b32 exec_lo, exec_lo, s28
	s_and_saveexec_b32 s28, s15
	s_cbranch_execnz .LBB76_91
.LBB76_74:                              ;   in Loop: Header=BB76_61 Depth=2
	s_or_b32 exec_lo, exec_lo, s28
	v_mov_b32_e32 v9, 0
	s_and_saveexec_b32 s28, s16
	s_cbranch_execnz .LBB76_92
.LBB76_75:                              ;   in Loop: Header=BB76_61 Depth=2
	s_or_b32 exec_lo, exec_lo, s28
	s_and_saveexec_b32 s28, s17
	s_cbranch_execnz .LBB76_93
.LBB76_76:                              ;   in Loop: Header=BB76_61 Depth=2
	s_or_b32 exec_lo, exec_lo, s28
	v_mov_b32_e32 v82, 0
	s_and_saveexec_b32 s28, s18
	s_cbranch_execnz .LBB76_94
.LBB76_77:                              ;   in Loop: Header=BB76_61 Depth=2
	s_or_b32 exec_lo, exec_lo, s28
	s_and_saveexec_b32 s28, s19
	s_cbranch_execz .LBB76_79
.LBB76_78:                              ;   in Loop: Header=BB76_61 Depth=2
	global_load_u16 v0, v[0:1], off offset:448
	s_waitcnt vmcnt(0)
	v_lshl_or_b32 v82, v0, 16, v82
.LBB76_79:                              ;   in Loop: Header=BB76_61 Depth=2
	s_or_b32 exec_lo, exec_lo, s28
	s_waitcnt vmcnt(0)
	ds_store_b16 v20, v3 offset:1056
	ds_store_b16 v28, v2 offset:64
	;; [unrolled: 1-line block ×3, first 2 shown]
	ds_store_b16_d16_hi v30, v8 offset:192
	ds_store_b16 v31, v9 offset:256
	ds_store_b16_d16_hi v32, v9 offset:320
	ds_store_b16 v33, v82 offset:384
	ds_store_b16_d16_hi v34, v82 offset:448
	; wave barrier
	ds_load_b128 v[0:3], v27 offset:1056
	s_and_not1_b32 vcc_lo, exec_lo, s31
	s_cbranch_vccnz .LBB76_95
; %bb.80:                               ;   in Loop: Header=BB76_61 Depth=2
	v_mov_b32_e32 v8, s73
	ds_load_b64 v[8:9], v8
	s_cbranch_execz .LBB76_96
	s_branch .LBB76_99
.LBB76_81:                              ;   in Loop: Header=BB76_61 Depth=2
	global_load_u16 v3, v[0:1], off
	s_or_b32 exec_lo, exec_lo, s28
	s_and_saveexec_b32 s28, s13
	s_cbranch_execz .LBB76_63
.LBB76_82:                              ;   in Loop: Header=BB76_61 Depth=2
	global_load_u16 v2, v[0:1], off offset:64
	s_or_b32 exec_lo, exec_lo, s28
	v_mov_b32_e32 v4, 0
	s_and_saveexec_b32 s28, s14
	s_cbranch_execz .LBB76_64
.LBB76_83:                              ;   in Loop: Header=BB76_61 Depth=2
	global_load_u16 v4, v[0:1], off offset:128
	s_or_b32 exec_lo, exec_lo, s28
	s_and_saveexec_b32 s28, s15
	s_cbranch_execz .LBB76_65
.LBB76_84:                              ;   in Loop: Header=BB76_61 Depth=2
	global_load_u16 v5, v[0:1], off offset:192
	s_waitcnt vmcnt(0)
	v_lshl_or_b32 v4, v5, 16, v4
	s_or_b32 exec_lo, exec_lo, s28
	v_mov_b32_e32 v5, 0
	s_and_saveexec_b32 s28, s16
	s_cbranch_execz .LBB76_66
.LBB76_85:                              ;   in Loop: Header=BB76_61 Depth=2
	global_load_u16 v5, v[0:1], off offset:256
	s_or_b32 exec_lo, exec_lo, s28
	s_and_saveexec_b32 s28, s17
	s_cbranch_execz .LBB76_67
.LBB76_86:                              ;   in Loop: Header=BB76_61 Depth=2
	global_load_u16 v6, v[0:1], off offset:320
	s_waitcnt vmcnt(0)
	v_lshl_or_b32 v5, v6, 16, v5
	s_or_b32 exec_lo, exec_lo, s28
	v_mov_b32_e32 v6, 0
	s_and_saveexec_b32 s28, s18
	s_cbranch_execz .LBB76_68
.LBB76_87:                              ;   in Loop: Header=BB76_61 Depth=2
	global_load_u16 v6, v[0:1], off offset:384
	s_or_b32 exec_lo, exec_lo, s28
	s_and_saveexec_b32 s28, s19
	s_cbranch_execnz .LBB76_69
	s_branch .LBB76_70
.LBB76_88:                              ;   in Loop: Header=BB76_61 Depth=2
	global_load_u16 v3, v[0:1], off
	s_or_b32 exec_lo, exec_lo, s28
	s_and_saveexec_b32 s28, s13
	s_cbranch_execz .LBB76_72
.LBB76_89:                              ;   in Loop: Header=BB76_61 Depth=2
	global_load_u16 v2, v[0:1], off offset:64
	s_or_b32 exec_lo, exec_lo, s28
	v_mov_b32_e32 v8, 0
	s_and_saveexec_b32 s28, s14
	s_cbranch_execz .LBB76_73
.LBB76_90:                              ;   in Loop: Header=BB76_61 Depth=2
	global_load_u16 v8, v[0:1], off offset:128
	s_or_b32 exec_lo, exec_lo, s28
	s_and_saveexec_b32 s28, s15
	s_cbranch_execz .LBB76_74
.LBB76_91:                              ;   in Loop: Header=BB76_61 Depth=2
	global_load_u16 v9, v[0:1], off offset:192
	s_waitcnt vmcnt(0)
	v_lshl_or_b32 v8, v9, 16, v8
	s_or_b32 exec_lo, exec_lo, s28
	v_mov_b32_e32 v9, 0
	s_and_saveexec_b32 s28, s16
	s_cbranch_execz .LBB76_75
.LBB76_92:                              ;   in Loop: Header=BB76_61 Depth=2
	global_load_u16 v9, v[0:1], off offset:256
	s_or_b32 exec_lo, exec_lo, s28
	s_and_saveexec_b32 s28, s17
	s_cbranch_execz .LBB76_76
.LBB76_93:                              ;   in Loop: Header=BB76_61 Depth=2
	global_load_u16 v82, v[0:1], off offset:320
	s_waitcnt vmcnt(0)
	v_lshl_or_b32 v9, v82, 16, v9
	s_or_b32 exec_lo, exec_lo, s28
	v_mov_b32_e32 v82, 0
	s_and_saveexec_b32 s28, s18
	s_cbranch_execz .LBB76_77
.LBB76_94:                              ;   in Loop: Header=BB76_61 Depth=2
	global_load_u16 v82, v[0:1], off offset:384
	s_or_b32 exec_lo, exec_lo, s28
	s_and_saveexec_b32 s28, s19
	s_cbranch_execnz .LBB76_78
	s_branch .LBB76_79
.LBB76_95:                              ;   in Loop: Header=BB76_61 Depth=2
                                        ; implicit-def: $vgpr8
.LBB76_96:                              ;   in Loop: Header=BB76_61 Depth=2
	s_waitcnt lgkmcnt(0)
	v_mov_b32_e32 v9, 0
	s_and_not1_b32 vcc_lo, exec_lo, s33
	s_cbranch_vccnz .LBB76_98
; %bb.97:                               ;   in Loop: Header=BB76_61 Depth=2
	s_mov_b32 s43, s35
	s_delay_alu instid0(SALU_CYCLE_1) | instskip(NEXT) | instid1(SALU_CYCLE_1)
	s_lshl_b64 s[74:75], s[42:43], 1
	s_add_u32 s74, s53, s74
	s_addc_u32 s75, s65, s75
	global_load_u16 v8, v13, s[74:75]
	s_waitcnt vmcnt(0)
	v_cvt_f32_f16_e32 v9, v8
.LBB76_98:                              ;   in Loop: Header=BB76_61 Depth=2
	v_mov_b32_e32 v8, 1.0
.LBB76_99:                              ;   in Loop: Header=BB76_61 Depth=2
	s_waitcnt lgkmcnt(9)
	v_lshrrev_b32_e32 v82, 16, v5
	v_lshrrev_b32_e32 v85, 16, v7
	v_cvt_f32_f16_e32 v7, v7
	v_lshrrev_b32_e32 v83, 16, v6
	v_cvt_f32_f16_e32 v5, v5
	v_cvt_f32_f16_e32 v87, v82
	v_mul_f32_e32 v92, 0x3fb8aa3b, v81
	v_cvt_f32_f16_e32 v93, v85
	v_lshrrev_b32_e32 v81, 16, v4
	v_cvt_f32_f16_e32 v4, v4
	s_delay_alu instid0(VALU_DEP_4)
	v_dual_mul_f32 v87, v77, v87 :: v_dual_mul_f32 v84, v92, v53
	v_mul_f32_e32 v7, v74, v7
	v_cvt_f32_f16_e32 v89, v83
	v_cvt_f32_f16_e32 v81, v81
	v_mul_f32_e32 v83, v92, v55
	v_cmp_gt_f32_e32 vcc_lo, 0xc2fc0000, v84
	v_mul_f32_e32 v4, v80, v4
	v_cvt_f32_f16_e32 v6, v6
	v_mul_f32_e32 v95, v92, v68
	v_mul_f32_e32 v5, v78, v5
	v_cndmask_b32_e64 v84, 0, 0x42800000, vcc_lo
	v_cndmask_b32_e64 v85, 1.0, 0x1f800000, vcc_lo
	v_dual_mul_f32 v6, v76, v6 :: v_dual_mul_f32 v89, v75, v89
	v_mul_f32_e32 v93, v69, v93
	s_delay_alu instid0(VALU_DEP_4) | instskip(NEXT) | instid1(VALU_DEP_3)
	v_fmac_f32_e32 v84, v92, v53
	v_cndmask_b32_e64 v89, 0, v89, s25
	s_delay_alu instid0(VALU_DEP_3) | instskip(NEXT) | instid1(VALU_DEP_3)
	v_cndmask_b32_e64 v93, 0, v93, s27
	v_exp_f32_e32 v82, v84
	s_waitcnt_depctr 0xfff
	v_dual_mul_f32 v86, v92, v54 :: v_dual_mul_f32 v85, v82, v85
	s_delay_alu instid0(VALU_DEP_1) | instskip(SKIP_3) | instid1(VALU_DEP_4)
	v_cmp_gt_f32_e64 s28, 0xc2fc0000, v86
	v_cndmask_b32_e64 v82, 0, v4, s20
	v_mul_f32_e32 v4, v79, v81
	v_cmp_gt_f32_e32 vcc_lo, 0xc2fc0000, v83
	v_cndmask_b32_e64 v86, 0, 0x42800000, s28
	v_cndmask_b32_e64 v88, 1.0, 0x1f800000, s28
	s_delay_alu instid0(VALU_DEP_4) | instskip(SKIP_1) | instid1(VALU_DEP_4)
	v_cndmask_b32_e64 v81, 0, v4, s21
	v_cndmask_b32_e64 v83, 0, 0x42800000, vcc_lo
	v_fmac_f32_e32 v86, v92, v54
	s_delay_alu instid0(VALU_DEP_1) | instskip(SKIP_1) | instid1(VALU_DEP_1)
	v_exp_f32_e32 v84, v86
	v_mul_f32_e32 v86, v92, v56
	v_cmp_gt_f32_e64 s28, 0xc2fc0000, v86
	s_waitcnt_depctr 0xfff
	v_mul_f32_e32 v88, v84, v88
	v_cndmask_b32_e64 v84, 1.0, v85, s20
	v_cndmask_b32_e64 v85, 0, 0x42800000, s28
	s_delay_alu instid0(VALU_DEP_3) | instskip(SKIP_1) | instid1(VALU_DEP_3)
	v_cndmask_b32_e64 v86, 1.0, v88, s21
	v_cndmask_b32_e64 v88, 1.0, 0x1f800000, vcc_lo
	v_fmac_f32_e32 v85, v92, v56
	s_delay_alu instid0(VALU_DEP_1) | instskip(SKIP_1) | instid1(VALU_DEP_1)
	v_exp_f32_e32 v85, v85
	v_fmac_f32_e32 v83, v92, v55
	v_exp_f32_e32 v4, v83
	v_mul_f32_e32 v83, v92, v65
	s_delay_alu instid0(VALU_DEP_1)
	v_cmp_gt_f32_e32 vcc_lo, 0xc2fc0000, v83
	v_cndmask_b32_e64 v83, 0, v5, s22
	v_cndmask_b32_e64 v5, 1.0, 0x1f800000, s28
	s_waitcnt_depctr 0xfff
	v_mul_f32_e32 v4, v4, v88
	v_cndmask_b32_e64 v90, 0, 0x42800000, vcc_lo
	s_delay_alu instid0(VALU_DEP_2) | instskip(SKIP_1) | instid1(VALU_DEP_3)
	v_cndmask_b32_e64 v88, 1.0, v4, s22
	v_mul_f32_e32 v91, v92, v66
	v_fmac_f32_e32 v90, v92, v65
	v_mul_f32_e32 v4, v85, v5
	v_cndmask_b32_e64 v5, 1.0, 0x1f800000, vcc_lo
	v_cndmask_b32_e64 v85, 0, v87, s23
	v_cmp_gt_f32_e64 s28, 0xc2fc0000, v91
	v_exp_f32_e32 v94, v90
	v_cndmask_b32_e64 v90, 1.0, v4, s23
	v_cndmask_b32_e64 v87, 0, v6, s24
	s_delay_alu instid0(VALU_DEP_3) | instskip(SKIP_3) | instid1(VALU_DEP_4)
	v_cndmask_b32_e64 v91, 0, 0x42800000, s28
	v_cndmask_b32_e64 v6, 1.0, 0x1f800000, s28
	v_cmp_gt_f32_e64 s28, 0xc2fc0000, v95
	v_fma_f32 v95, v86, v82, v81
	v_fmac_f32_e32 v91, v92, v66
	s_delay_alu instid0(TRANS32_DEP_1) | instskip(NEXT) | instid1(VALU_DEP_2)
	v_mul_f32_e32 v5, v94, v5
	v_exp_f32_e32 v4, v91
	v_mul_f32_e32 v91, v92, v67
	s_delay_alu instid0(VALU_DEP_1) | instskip(NEXT) | instid1(VALU_DEP_3)
	v_cmp_gt_f32_e32 vcc_lo, 0xc2fc0000, v91
	v_cndmask_b32_e64 v91, 1.0, v5, s24
	v_cndmask_b32_e64 v5, 0, 0x42800000, s28
	s_waitcnt_depctr 0xfff
	v_mul_f32_e32 v4, v4, v6
	v_cndmask_b32_e64 v94, 0, 0x42800000, vcc_lo
	v_mul_f32_e32 v6, v86, v84
	v_fmac_f32_e32 v5, v92, v68
	s_delay_alu instid0(VALU_DEP_4) | instskip(NEXT) | instid1(VALU_DEP_4)
	v_cndmask_b32_e64 v96, 1.0, v4, s25
	v_fmac_f32_e32 v94, v92, v67
	s_delay_alu instid0(VALU_DEP_4)
	v_mul_f32_e32 v4, v6, v88
	v_fma_f32 v6, v95, v88, v83
	v_cndmask_b32_e64 v92, 1.0, 0x1f800000, vcc_lo
	v_exp_f32_e32 v5, v5
	v_exp_f32_e32 v94, v94
	v_mul_f32_e32 v4, v4, v90
	v_fma_f32 v6, v6, v90, v85
	s_delay_alu instid0(VALU_DEP_2) | instskip(NEXT) | instid1(VALU_DEP_2)
	v_mul_f32_e32 v4, v4, v91
	v_fma_f32 v6, v6, v91, v87
	s_waitcnt_depctr 0xfff
	v_mul_f32_e32 v94, v94, v92
	v_cndmask_b32_e64 v92, 0, v7, s26
	v_cndmask_b32_e64 v7, 1.0, 0x1f800000, s28
	v_mul_f32_e32 v4, v4, v96
	v_fma_f32 v6, v6, v96, v89
	v_cndmask_b32_e64 v94, 1.0, v94, s26
	s_delay_alu instid0(VALU_DEP_1) | instskip(NEXT) | instid1(VALU_DEP_1)
	v_dual_mul_f32 v5, v5, v7 :: v_dual_mul_f32 v4, v4, v94
	v_cndmask_b32_e64 v95, 1.0, v5, s27
	s_delay_alu instid0(VALU_DEP_4) | instskip(NEXT) | instid1(VALU_DEP_2)
	v_fma_f32 v5, v6, v94, v92
	v_mul_f32_e32 v4, v4, v95
	s_delay_alu instid0(VALU_DEP_2) | instskip(NEXT) | instid1(VALU_DEP_2)
	v_fma_f32 v5, v5, v95, v93
	v_mov_b32_dpp v7, v4 row_shr:1 row_mask:0xf bank_mask:0xf
	s_delay_alu instid0(VALU_DEP_2)
	v_mov_b32_dpp v6, v5 row_shr:1 row_mask:0xf bank_mask:0xf
	s_and_saveexec_b32 s28, s0
; %bb.100:                              ;   in Loop: Header=BB76_61 Depth=2
	s_delay_alu instid0(VALU_DEP_2) | instskip(NEXT) | instid1(VALU_DEP_1)
	v_mul_f32_e32 v7, v4, v7
	v_dual_fmac_f32 v5, v4, v6 :: v_dual_mov_b32 v4, v7
; %bb.101:                              ;   in Loop: Header=BB76_61 Depth=2
	s_or_b32 exec_lo, exec_lo, s28
	s_delay_alu instid0(VALU_DEP_1) | instskip(NEXT) | instid1(VALU_DEP_2)
	v_mov_b32_dpp v6, v4 row_shr:2 row_mask:0xf bank_mask:0xf
	v_mov_b32_dpp v7, v5 row_shr:2 row_mask:0xf bank_mask:0xf
	s_and_saveexec_b32 s28, s1
; %bb.102:                              ;   in Loop: Header=BB76_61 Depth=2
	s_delay_alu instid0(VALU_DEP_1) | instskip(NEXT) | instid1(VALU_DEP_3)
	v_fmac_f32_e32 v5, v4, v7
	v_mul_f32_e32 v4, v4, v6
; %bb.103:                              ;   in Loop: Header=BB76_61 Depth=2
	s_or_b32 exec_lo, exec_lo, s28
	s_delay_alu instid0(VALU_DEP_1) | instskip(NEXT) | instid1(VALU_DEP_3)
	v_mov_b32_dpp v6, v4 row_shr:4 row_mask:0xf bank_mask:0xf
	v_mov_b32_dpp v7, v5 row_shr:4 row_mask:0xf bank_mask:0xf
	s_and_saveexec_b32 s28, s2
; %bb.104:                              ;   in Loop: Header=BB76_61 Depth=2
	s_delay_alu instid0(VALU_DEP_1) | instskip(NEXT) | instid1(VALU_DEP_3)
	v_fmac_f32_e32 v5, v4, v7
	v_mul_f32_e32 v4, v4, v6
; %bb.105:                              ;   in Loop: Header=BB76_61 Depth=2
	s_or_b32 exec_lo, exec_lo, s28
	s_delay_alu instid0(VALU_DEP_1) | instskip(NEXT) | instid1(VALU_DEP_3)
	v_mov_b32_dpp v6, v4 row_shr:8 row_mask:0xf bank_mask:0xf
	v_mov_b32_dpp v7, v5 row_shr:8 row_mask:0xf bank_mask:0xf
	s_and_saveexec_b32 s28, s3
; %bb.106:                              ;   in Loop: Header=BB76_61 Depth=2
	s_delay_alu instid0(VALU_DEP_1) | instskip(NEXT) | instid1(VALU_DEP_3)
	v_fmac_f32_e32 v5, v4, v7
	v_mul_f32_e32 v4, v4, v6
; %bb.107:                              ;   in Loop: Header=BB76_61 Depth=2
	s_or_b32 exec_lo, exec_lo, s28
	ds_swizzle_b32 v7, v4 offset:swizzle(BROADCAST,32,15)
	ds_swizzle_b32 v6, v5 offset:swizzle(BROADCAST,32,15)
	s_and_saveexec_b32 s28, s4
	s_cbranch_execz .LBB76_109
; %bb.108:                              ;   in Loop: Header=BB76_61 Depth=2
	s_waitcnt lgkmcnt(1)
	v_mul_f32_e32 v7, v4, v7
	s_waitcnt lgkmcnt(0)
	s_delay_alu instid0(VALU_DEP_1)
	v_dual_fmac_f32 v5, v4, v6 :: v_dual_mov_b32 v4, v7
.LBB76_109:                             ;   in Loop: Header=BB76_61 Depth=2
	s_or_b32 exec_lo, exec_lo, s28
	s_and_saveexec_b32 s28, s5
	s_cbranch_execz .LBB76_111
; %bb.110:                              ;   in Loop: Header=BB76_61 Depth=2
	ds_store_b64 v35, v[4:5] offset:2112
.LBB76_111:                             ;   in Loop: Header=BB76_61 Depth=2
	s_or_b32 exec_lo, exec_lo, s28
	s_waitcnt lgkmcnt(0)
	s_waitcnt_vscnt null, 0x0
	s_barrier
	buffer_gl0_inv
	s_and_saveexec_b32 s28, s6
	s_cbranch_execz .LBB76_113
; %bb.112:                              ;   in Loop: Header=BB76_61 Depth=2
	ds_load_b64 v[6:7], v36 offset:2112
	s_waitcnt lgkmcnt(0)
	v_mov_b32_dpp v97, v6 row_shr:1 row_mask:0xf bank_mask:0xf
	v_mov_b32_dpp v98, v7 row_shr:1 row_mask:0xf bank_mask:0xf
	s_delay_alu instid0(VALU_DEP_2) | instskip(NEXT) | instid1(VALU_DEP_2)
	v_mul_f32_e32 v97, v6, v97
	v_fma_f32 v98, v6, v98, v7
	s_delay_alu instid0(VALU_DEP_2) | instskip(NEXT) | instid1(VALU_DEP_2)
	v_cndmask_b32_e64 v6, v97, v6, s7
	v_cndmask_b32_e64 v7, v98, v7, s7
	ds_store_b64 v36, v[6:7] offset:2112
.LBB76_113:                             ;   in Loop: Header=BB76_61 Depth=2
	s_or_b32 exec_lo, exec_lo, s28
	s_waitcnt lgkmcnt(0)
	s_barrier
	buffer_gl0_inv
                                        ; implicit-def: $vgpr7
	s_and_saveexec_b32 s28, s9
	s_cbranch_execz .LBB76_115
; %bb.114:                              ;   in Loop: Header=BB76_61 Depth=2
	ds_load_b64 v[6:7], v35 offset:2104
	s_waitcnt lgkmcnt(0)
	v_mul_f32_e32 v97, v4, v6
	s_delay_alu instid0(VALU_DEP_1)
	v_dual_fmac_f32 v5, v4, v7 :: v_dual_mov_b32 v4, v97
.LBB76_115:                             ;   in Loop: Header=BB76_61 Depth=2
	s_or_b32 exec_lo, exec_lo, s28
	ds_bpermute_b32 v97, v37, v4
	ds_bpermute_b32 v98, v37, v5
	s_and_saveexec_b32 s28, s8
	s_cbranch_execz .LBB76_119
; %bb.116:                              ;   in Loop: Header=BB76_61 Depth=2
	ds_load_b64 v[4:5], v13 offset:2120
	s_and_saveexec_b32 s39, s10
	s_cbranch_execz .LBB76_118
; %bb.117:                              ;   in Loop: Header=BB76_61 Depth=2
	ds_store_b64 v13, v[8:9] offset:2120
.LBB76_118:                             ;   in Loop: Header=BB76_61 Depth=2
	s_or_b32 exec_lo, exec_lo, s39
	s_waitcnt lgkmcnt(0)
	v_fmac_f32_e32 v5, v9, v4
	s_delay_alu instid0(VALU_DEP_1)
	v_dual_mul_f32 v8, v8, v4 :: v_dual_mov_b32 v9, v5
.LBB76_119:                             ;   in Loop: Header=BB76_61 Depth=2
	s_or_b32 exec_lo, exec_lo, s28
	s_waitcnt lgkmcnt(0)
	s_barrier
	buffer_gl0_inv
	ds_load_b32 v4, v13 offset:2124
	s_and_saveexec_b32 s28, s10
	s_cbranch_execz .LBB76_60
; %bb.120:                              ;   in Loop: Header=BB76_61 Depth=2
	v_mov_b32_e32 v5, s73
	s_and_not1_b32 vcc_lo, exec_lo, s71
	ds_store_b64 v5, v[8:9]
	s_cbranch_vccnz .LBB76_60
; %bb.121:                              ;   in Loop: Header=BB76_61 Depth=2
	s_mov_b32 s43, s35
	v_cvt_f16_f32_e32 v5, v9
	s_lshl_b64 s[74:75], s[42:43], 1
	s_delay_alu instid0(SALU_CYCLE_1)
	s_add_u32 s74, s53, s74
	s_addc_u32 s75, s65, s75
	global_store_b16 v13, v5, s[74:75]
	s_branch .LBB76_60
.LBB76_122:                             ;   in Loop: Header=BB76_12 Depth=1
	v_cvt_f16_f32_e32 v0, v64
	v_cvt_f16_f32_e32 v1, v63
	;; [unrolled: 1-line block ×8, first 2 shown]
	s_waitcnt_vscnt null, 0x0
	v_pack_b32_f16 v3, v3, v4
	v_pack_b32_f16 v2, v2, v5
	;; [unrolled: 1-line block ×4, first 2 shown]
	s_barrier
	buffer_gl0_inv
	s_mov_b32 s31, s35
	ds_store_b128 v27, v[0:3]
	; wave barrier
	ds_load_u16 v8, v20 offset:64
	ds_load_u16 v7, v21 offset:128
	;; [unrolled: 1-line block ×7, first 2 shown]
	s_lshl_b64 s[24:25], s[30:31], 1
	s_delay_alu instid0(SALU_CYCLE_1)
	v_add_co_u32 v0, vcc_lo, v38, s24
	v_add_co_ci_u32_e32 v1, vcc_lo, s25, v39, vcc_lo
	s_and_saveexec_b32 s20, s12
	s_cbranch_execnz .LBB76_157
; %bb.123:                              ;   in Loop: Header=BB76_12 Depth=1
	s_or_b32 exec_lo, exec_lo, s20
	s_and_saveexec_b32 s20, s13
	s_cbranch_execnz .LBB76_158
.LBB76_124:                             ;   in Loop: Header=BB76_12 Depth=1
	s_or_b32 exec_lo, exec_lo, s20
	s_and_saveexec_b32 s20, s14
	s_cbranch_execnz .LBB76_159
.LBB76_125:                             ;   in Loop: Header=BB76_12 Depth=1
	s_or_b32 exec_lo, exec_lo, s20
	s_and_saveexec_b32 s20, s15
	s_cbranch_execnz .LBB76_160
.LBB76_126:                             ;   in Loop: Header=BB76_12 Depth=1
	s_or_b32 exec_lo, exec_lo, s20
	s_and_saveexec_b32 s20, s16
	s_cbranch_execnz .LBB76_161
.LBB76_127:                             ;   in Loop: Header=BB76_12 Depth=1
	s_or_b32 exec_lo, exec_lo, s20
	s_and_saveexec_b32 s20, s17
	s_cbranch_execnz .LBB76_162
.LBB76_128:                             ;   in Loop: Header=BB76_12 Depth=1
	s_or_b32 exec_lo, exec_lo, s20
	s_and_saveexec_b32 s20, s18
	s_cbranch_execnz .LBB76_163
.LBB76_129:                             ;   in Loop: Header=BB76_12 Depth=1
	s_or_b32 exec_lo, exec_lo, s20
	s_and_saveexec_b32 s20, s19
	s_cbranch_execz .LBB76_131
.LBB76_130:                             ;   in Loop: Header=BB76_12 Depth=1
	s_waitcnt lgkmcnt(0)
	global_store_b16 v[0:1], v2, off offset:448
.LBB76_131:                             ;   in Loop: Header=BB76_12 Depth=1
	s_or_b32 exec_lo, exec_lo, s20
	v_add_co_u32 v0, vcc_lo, v40, s24
	v_add_co_ci_u32_e32 v1, vcc_lo, s25, v41, vcc_lo
	s_waitcnt lgkmcnt(0)
	v_dual_mov_b32 v2, 0 :: v_dual_mov_b32 v3, 0
	s_waitcnt_vscnt null, 0x0
	s_barrier
	buffer_gl0_inv
	s_and_saveexec_b32 s20, s12
	s_cbranch_execz .LBB76_133
; %bb.132:                              ;   in Loop: Header=BB76_12 Depth=1
	global_load_u16 v3, v[0:1], off
.LBB76_133:                             ;   in Loop: Header=BB76_12 Depth=1
	s_or_b32 exec_lo, exec_lo, s20
	s_and_saveexec_b32 s20, s13
	s_cbranch_execz .LBB76_135
; %bb.134:                              ;   in Loop: Header=BB76_12 Depth=1
	global_load_u16 v2, v[0:1], off offset:64
.LBB76_135:                             ;   in Loop: Header=BB76_12 Depth=1
	s_or_b32 exec_lo, exec_lo, s20
	v_dual_mov_b32 v4, 0 :: v_dual_mov_b32 v5, 0
	s_and_saveexec_b32 s20, s14
	s_cbranch_execz .LBB76_137
; %bb.136:                              ;   in Loop: Header=BB76_12 Depth=1
	global_load_u16 v5, v[0:1], off offset:128
.LBB76_137:                             ;   in Loop: Header=BB76_12 Depth=1
	s_or_b32 exec_lo, exec_lo, s20
	s_and_saveexec_b32 s20, s15
	s_cbranch_execz .LBB76_139
; %bb.138:                              ;   in Loop: Header=BB76_12 Depth=1
	global_load_u16 v4, v[0:1], off offset:192
.LBB76_139:                             ;   in Loop: Header=BB76_12 Depth=1
	s_or_b32 exec_lo, exec_lo, s20
	v_dual_mov_b32 v6, 0 :: v_dual_mov_b32 v7, 0
	s_and_saveexec_b32 s20, s16
	s_cbranch_execz .LBB76_141
; %bb.140:                              ;   in Loop: Header=BB76_12 Depth=1
	global_load_u16 v7, v[0:1], off offset:256
.LBB76_141:                             ;   in Loop: Header=BB76_12 Depth=1
	;; [unrolled: 13-line block ×3, first 2 shown]
	s_or_b32 exec_lo, exec_lo, s20
	s_and_saveexec_b32 s20, s19
	s_cbranch_execz .LBB76_147
; %bb.146:                              ;   in Loop: Header=BB76_12 Depth=1
	global_load_u16 v8, v[0:1], off offset:448
.LBB76_147:                             ;   in Loop: Header=BB76_12 Depth=1
	s_or_b32 exec_lo, exec_lo, s20
	s_waitcnt vmcnt(0)
	ds_store_b16 v20, v3
	ds_store_b16 v20, v2 offset:64
	ds_store_b16 v21, v5 offset:128
	ds_store_b16 v22, v4 offset:192
	ds_store_b16 v23, v7 offset:256
	ds_store_b16 v24, v6 offset:320
	ds_store_b16 v25, v9 offset:384
	ds_store_b16 v26, v8 offset:448
	; wave barrier
	ds_load_b128 v[0:3], v27
	s_waitcnt lgkmcnt(0)
	s_barrier
	buffer_gl0_inv
	v_cvt_f32_f16_e32 v6, v1
	v_lshrrev_b32_e32 v4, 16, v0
	v_cvt_f32_f16_e32 v7, v0
	v_lshrrev_b32_e32 v5, 16, v1
	s_delay_alu instid0(VALU_DEP_4) | instskip(NEXT) | instid1(VALU_DEP_4)
	v_mul_f32_e32 v8, 0xbfb8aa3b, v6
	v_cvt_f32_f16_e32 v4, v4
	s_delay_alu instid0(VALU_DEP_4) | instskip(NEXT) | instid1(VALU_DEP_4)
	v_mul_f32_e32 v9, 0xbfb8aa3b, v7
	v_cvt_f32_f16_e32 v5, v5
	v_cmp_nlt_f32_e32 vcc_lo, 0x42ce8ed0, v6
	v_rndne_f32_e32 v55, v8
	v_fma_mix_f32 v56, v1, s56, -v8 op_sel_hi:[1,0,0]
	s_delay_alu instid0(VALU_DEP_4)
	v_dual_mul_f32 v53, 0xbfb8aa3b, v4 :: v_dual_mul_f32 v54, 0xbfb8aa3b, v5
	v_rndne_f32_e32 v65, v9
	v_fma_mix_f32 v66, v0, s56, -v9 op_sel_hi:[1,0,0]
	v_sub_f32_e32 v8, v8, v55
	v_fma_mix_f32 v56, v1, s57, v56 op_sel_hi:[1,0,0]
	v_rndne_f32_e32 v67, v53
	v_sub_f32_e32 v9, v9, v65
	v_fma_mix_f32 v68, v0, s56, -v53 op_sel:[1,0,0] op_sel_hi:[1,0,0]
	v_fma_mix_f32 v66, v0, s57, v66 op_sel_hi:[1,0,0]
	v_add_f32_e32 v8, v8, v56
	v_rndne_f32_e32 v69, v54
	v_fma_mix_f32 v70, v1, s56, -v54 op_sel:[1,0,0] op_sel_hi:[1,0,0]
	v_sub_f32_e32 v53, v53, v67
	v_fma_mix_f32 v0, v0, s57, v68 op_sel:[1,0,0] op_sel_hi:[1,0,0]
	s_delay_alu instid0(VALU_DEP_4) | instskip(SKIP_2) | instid1(VALU_DEP_3)
	v_dual_add_f32 v9, v9, v66 :: v_dual_sub_f32 v54, v54, v69
	v_exp_f32_e32 v8, v8
	v_fma_mix_f32 v1, v1, s57, v70 op_sel:[1,0,0] op_sel_hi:[1,0,0]
	v_add_f32_e32 v0, v53, v0
	s_delay_alu instid0(VALU_DEP_3)
	v_exp_f32_e32 v9, v9
	v_cvt_i32_f32_e32 v55, v55
	v_cvt_i32_f32_e32 v56, v65
	v_add_f32_e32 v1, v54, v1
	v_exp_f32_e32 v0, v0
	v_cvt_i32_f32_e32 v65, v67
	v_cvt_i32_f32_e32 v66, v69
	v_ldexp_f32 v8, v8, v55
	v_exp_f32_e32 v1, v1
	v_lshrrev_b32_e32 v54, 16, v2
	v_ldexp_f32 v9, v9, v56
	v_cvt_f32_f16_e32 v67, v3
	v_cndmask_b32_e32 v8, 0, v8, vcc_lo
	v_cmp_nlt_f32_e32 vcc_lo, 0x42ce8ed0, v7
	v_ldexp_f32 v0, v0, v65
	v_cvt_f32_f16_e32 v54, v54
	v_lshrrev_b32_e32 v53, 16, v3
	v_cndmask_b32_e32 v9, 0, v9, vcc_lo
	v_cmp_nlt_f32_e32 vcc_lo, 0x42ce8ed0, v4
	v_ldexp_f32 v1, v1, v66
	s_delay_alu instid0(VALU_DEP_4) | instskip(SKIP_2) | instid1(VALU_DEP_4)
	v_cvt_f32_f16_e32 v53, v53
	v_cndmask_b32_e32 v0, 0, v0, vcc_lo
	v_cmp_nlt_f32_e32 vcc_lo, 0x42ce8ed0, v5
	v_cndmask_b32_e32 v1, 0, v1, vcc_lo
	v_cmp_ngt_f32_e32 vcc_lo, 0xc2b17218, v6
	v_cndmask_b32_e32 v8, 0x7f800000, v8, vcc_lo
	v_cmp_ngt_f32_e32 vcc_lo, 0xc2b17218, v4
	;; [unrolled: 2-line block ×4, first 2 shown]
	s_delay_alu instid0(VALU_DEP_2) | instskip(SKIP_1) | instid1(VALU_DEP_2)
	v_dual_add_f32 v1, 1.0, v1 :: v_dual_add_f32 v8, 1.0, v8
	v_cndmask_b32_e32 v9, 0x7f800000, v9, vcc_lo
	v_div_scale_f32 v65, null, v1, v1, v5
	s_delay_alu instid0(VALU_DEP_3) | instskip(NEXT) | instid1(VALU_DEP_3)
	v_div_scale_f32 v55, null, v8, v8, v6
	v_dual_add_f32 v9, 1.0, v9 :: v_dual_add_f32 v0, 1.0, v0
	s_delay_alu instid0(VALU_DEP_3) | instskip(NEXT) | instid1(VALU_DEP_2)
	v_rcp_f32_e32 v69, v65
	v_rcp_f32_e32 v66, v55
	v_div_scale_f32 v70, s20, v6, v8, v6
	s_delay_alu instid0(VALU_DEP_2) | instskip(SKIP_2) | instid1(VALU_DEP_3)
	v_div_scale_f32 v56, null, v0, v0, v4
	v_div_scale_f32 v76, s21, v5, v1, v5
	v_div_scale_f32 v72, vcc_lo, v4, v0, v4
	v_rcp_f32_e32 v68, v56
	s_waitcnt_depctr 0xfff
	v_fma_f32 v73, -v55, v66, 1.0
	v_fma_f32 v75, -v65, v69, 1.0
	v_div_scale_f32 v71, null, v9, v9, v7
	s_delay_alu instid0(VALU_DEP_2) | instskip(SKIP_2) | instid1(VALU_DEP_3)
	v_dual_fmac_f32 v66, v73, v66 :: v_dual_fmac_f32 v69, v75, v69
	v_mul_f32_e32 v73, 0xbfb8aa3b, v54
	v_fma_f32 v74, -v56, v68, 1.0
	v_dual_mul_f32 v75, v70, v66 :: v_dual_mul_f32 v78, v76, v69
	s_delay_alu instid0(VALU_DEP_3) | instskip(SKIP_1) | instid1(VALU_DEP_4)
	v_rndne_f32_e32 v80, v73
	v_fma_mix_f32 v84, v2, s56, -v73 op_sel:[1,0,0] op_sel_hi:[1,0,0]
	v_fmac_f32_e32 v68, v74, v68
	s_delay_alu instid0(VALU_DEP_4) | instskip(SKIP_2) | instid1(VALU_DEP_3)
	v_fma_f32 v81, -v55, v75, v70
	v_fma_f32 v83, -v65, v78, v76
	v_rcp_f32_e32 v74, v71
	v_mul_f32_e32 v77, v72, v68
	s_delay_alu instid0(VALU_DEP_2) | instskip(NEXT) | instid1(VALU_DEP_2)
	v_dual_fmac_f32 v75, v81, v66 :: v_dual_fmac_f32 v78, v83, v69
	v_fma_f32 v82, -v56, v77, v72
	s_delay_alu instid0(VALU_DEP_2)
	v_fma_f32 v65, -v65, v78, v76
	v_mul_f32_e32 v76, 0xbfb8aa3b, v67
	s_waitcnt_depctr 0xfff
	v_fma_f32 v85, -v71, v74, 1.0
	v_fmac_f32_e32 v77, v82, v68
	v_mul_f32_e32 v79, 0xbfb8aa3b, v53
	v_fma_f32 v55, -v55, v75, v70
	v_fma_mix_f32 v70, v2, s57, v84 op_sel:[1,0,0] op_sel_hi:[1,0,0]
	v_fmac_f32_e32 v74, v85, v74
	v_fma_f32 v56, -v56, v77, v72
	v_rndne_f32_e32 v72, v79
	s_delay_alu instid0(VALU_DEP_2)
	v_div_fmas_f32 v56, v56, v68, v77
	s_mov_b32 vcc_lo, s21
	v_fma_mix_f32 v68, v3, s56, -v79 op_sel:[1,0,0] op_sel_hi:[1,0,0]
	v_div_fmas_f32 v65, v65, v69, v78
	s_mov_b32 vcc_lo, s20
	v_div_fixup_f32 v4, v56, v0, v4
	v_div_fmas_f32 v55, v55, v66, v75
	v_cvt_f32_f16_e32 v66, v2
	v_fma_mix_f32 v68, v3, s57, v68 op_sel:[1,0,0] op_sel_hi:[1,0,0]
	v_fma_mix_f32 v75, v3, s56, -v76 op_sel_hi:[1,0,0]
	v_cmp_nlt_f32_e32 vcc_lo, 0x42ce8ed0, v54
	v_div_fixup_f32 v5, v65, v1, v5
	v_mul_f32_e32 v77, 0xbfb8aa3b, v66
	v_div_fixup_f32 v0, v55, v8, v6
	v_fma_mix_f32 v3, v3, s57, v75 op_sel_hi:[1,0,0]
	s_delay_alu instid0(VALU_DEP_3) | instskip(NEXT) | instid1(VALU_DEP_1)
	v_fma_mix_f32 v78, v2, s56, -v77 op_sel_hi:[1,0,0]
	v_fma_mix_f32 v2, v2, s57, v78 op_sel_hi:[1,0,0]
	v_sub_f32_e32 v73, v73, v80
	s_delay_alu instid0(VALU_DEP_1) | instskip(SKIP_2) | instid1(VALU_DEP_3)
	v_dual_add_f32 v69, v73, v70 :: v_dual_sub_f32 v70, v79, v72
	v_rndne_f32_e32 v73, v76
	v_cvt_i32_f32_e32 v72, v72
	v_exp_f32_e32 v69, v69
	s_delay_alu instid0(VALU_DEP_3) | instskip(SKIP_3) | instid1(VALU_DEP_4)
	v_add_f32_e32 v68, v70, v68
	v_cvt_i32_f32_e32 v70, v80
	v_rndne_f32_e32 v75, v77
	v_sub_f32_e32 v76, v76, v73
	v_exp_f32_e32 v68, v68
	s_waitcnt_depctr 0xfff
	v_ldexp_f32 v69, v69, v70
	s_delay_alu instid0(VALU_DEP_1) | instskip(SKIP_2) | instid1(VALU_DEP_3)
	v_dual_sub_f32 v70, v77, v75 :: v_dual_cndmask_b32 v69, 0, v69
	v_cmp_ngt_f32_e32 vcc_lo, 0xc2b17218, v54
	v_ldexp_f32 v68, v68, v72
	v_add_f32_e32 v2, v70, v2
	v_cvt_i32_f32_e32 v70, v73
	v_cndmask_b32_e32 v69, 0x7f800000, v69, vcc_lo
	v_cmp_nlt_f32_e32 vcc_lo, 0x42ce8ed0, v53
	v_add_f32_e32 v3, v76, v3
	v_exp_f32_e32 v2, v2
	v_cndmask_b32_e32 v68, 0, v68, vcc_lo
	s_delay_alu instid0(VALU_DEP_2) | instskip(SKIP_4) | instid1(VALU_DEP_1)
	v_exp_f32_e32 v3, v3
	v_cmp_nlt_f32_e32 vcc_lo, 0x42ce8ed0, v67
	s_waitcnt_depctr 0xfff
	v_ldexp_f32 v3, v3, v70
	v_cvt_i32_f32_e32 v70, v75
	v_ldexp_f32 v2, v2, v70
	s_delay_alu instid0(VALU_DEP_3) | instskip(SKIP_3) | instid1(VALU_DEP_2)
	v_cndmask_b32_e32 v3, 0, v3, vcc_lo
	v_cmp_ngt_f32_e32 vcc_lo, 0xc2b17218, v53
	v_cndmask_b32_e32 v68, 0x7f800000, v68, vcc_lo
	v_cmp_ngt_f32_e32 vcc_lo, 0xc2b17218, v67
	v_dual_add_f32 v68, 1.0, v68 :: v_dual_add_f32 v69, 1.0, v69
	v_cndmask_b32_e32 v3, 0x7f800000, v3, vcc_lo
	v_cmp_nlt_f32_e32 vcc_lo, 0x42ce8ed0, v66
	s_delay_alu instid0(VALU_DEP_3) | instskip(NEXT) | instid1(VALU_DEP_4)
	v_div_scale_f32 v73, null, v68, v68, v53
	v_div_scale_f32 v70, null, v69, v69, v54
	v_cndmask_b32_e32 v2, 0, v2, vcc_lo
	s_delay_alu instid0(VALU_DEP_3) | instskip(SKIP_1) | instid1(VALU_DEP_3)
	v_rcp_f32_e32 v77, v73
	v_cmp_ngt_f32_e32 vcc_lo, 0xc2b17218, v66
	v_rcp_f32_e32 v72, v70
	s_waitcnt_depctr 0xfff
	v_fma_f32 v82, -v73, v77, 1.0
	v_cndmask_b32_e32 v2, 0x7f800000, v2, vcc_lo
	v_div_scale_f32 v76, vcc_lo, v7, v9, v7
	v_fma_f32 v78, -v70, v72, 1.0
	s_delay_alu instid0(VALU_DEP_3) | instskip(NEXT) | instid1(VALU_DEP_3)
	v_dual_fmac_f32 v77, v82, v77 :: v_dual_add_f32 v2, 1.0, v2
	v_dual_add_f32 v3, 1.0, v3 :: v_dual_mul_f32 v80, v76, v74
	v_div_scale_f32 v82, s21, v53, v68, v53
	s_delay_alu instid0(VALU_DEP_3) | instskip(NEXT) | instid1(VALU_DEP_3)
	v_div_scale_f32 v81, null, v2, v2, v66
	v_div_scale_f32 v75, null, v3, v3, v67
	s_delay_alu instid0(VALU_DEP_4) | instskip(NEXT) | instid1(VALU_DEP_3)
	v_fma_f32 v84, -v71, v80, v76
	v_rcp_f32_e32 v83, v81
	s_delay_alu instid0(VALU_DEP_2)
	v_rcp_f32_e32 v79, v75
	s_waitcnt_depctr 0xfff
	v_fma_f32 v87, -v81, v83, 1.0
	v_fmac_f32_e32 v80, v84, v74
	v_fma_f32 v85, -v75, v79, 1.0
	v_fmac_f32_e32 v72, v78, v72
	v_div_scale_f32 v78, s20, v54, v69, v54
	v_fmac_f32_e32 v83, v87, v83
	s_delay_alu instid0(VALU_DEP_4) | instskip(SKIP_1) | instid1(VALU_DEP_4)
	v_fmac_f32_e32 v79, v85, v79
	v_div_scale_f32 v85, s22, v67, v3, v67
	v_mul_f32_e32 v86, v78, v72
	v_div_scale_f32 v87, s23, v66, v2, v66
	s_delay_alu instid0(VALU_DEP_3) | instskip(SKIP_1) | instid1(VALU_DEP_4)
	v_mul_f32_e32 v89, v85, v79
	v_fma_f32 v71, -v71, v80, v76
	v_fma_f32 v84, -v70, v86, v78
	s_delay_alu instid0(VALU_DEP_4) | instskip(NEXT) | instid1(VALU_DEP_3)
	v_mul_f32_e32 v90, v87, v83
	v_div_fmas_f32 v71, v71, v74, v80
	s_delay_alu instid0(VALU_DEP_3)
	v_fmac_f32_e32 v86, v84, v72
	v_fma_f32 v84, -v75, v89, v85
	v_mul_f32_e32 v88, v82, v77
	v_fma_f32 v74, -v81, v90, v87
	s_mov_b32 vcc_lo, s20
	v_fma_f32 v70, -v70, v86, v78
	v_fmac_f32_e32 v89, v84, v79
	v_fma_f32 v76, -v73, v88, v82
	v_fmac_f32_e32 v90, v74, v83
	v_div_fixup_f32 v6, v71, v9, v7
	v_div_fmas_f32 v70, v70, v72, v86
	s_mov_b32 vcc_lo, s21
	v_fmac_f32_e32 v88, v76, v77
	v_fma_f32 v74, -v81, v90, v87
	s_delay_alu instid0(VALU_DEP_3) | instskip(NEXT) | instid1(VALU_DEP_3)
	v_div_fixup_f32 v7, v70, v69, v54
	v_fma_f32 v72, -v73, v88, v82
	v_fma_f32 v73, -v75, v89, v85
	s_delay_alu instid0(VALU_DEP_2) | instskip(SKIP_1) | instid1(VALU_DEP_2)
	v_div_fmas_f32 v72, v72, v77, v88
	s_mov_b32 vcc_lo, s22
	v_div_fmas_f32 v73, v73, v79, v89
	s_mov_b32 vcc_lo, s23
	s_delay_alu instid0(VALU_DEP_2) | instskip(SKIP_1) | instid1(VALU_DEP_3)
	v_div_fixup_f32 v8, v72, v68, v53
	v_div_fmas_f32 v74, v74, v83, v90
	v_div_fixup_f32 v1, v73, v3, v67
	s_delay_alu instid0(VALU_DEP_2) | instskip(NEXT) | instid1(VALU_DEP_2)
	v_div_fixup_f32 v2, v74, v2, v66
	v_fma_mixlo_f16 v3, v60, v1, 0
	v_fma_mixlo_f16 v1, v63, v0, 0
	;; [unrolled: 1-line block ×3, first 2 shown]
	s_delay_alu instid0(VALU_DEP_4) | instskip(NEXT) | instid1(VALU_DEP_4)
	v_fma_mixlo_f16 v2, v62, v2, 0
	v_fma_mixhi_f16 v3, v61, v8, 0
	s_delay_alu instid0(VALU_DEP_4) | instskip(NEXT) | instid1(VALU_DEP_4)
	v_fma_mixhi_f16 v1, v59, v5, 0
	v_fma_mixhi_f16 v0, v58, v4, 0
	s_delay_alu instid0(VALU_DEP_4)
	v_fma_mixhi_f16 v2, v57, v7, 0
	ds_store_b128 v27, v[0:3]
	; wave barrier
	ds_load_u16 v8, v20 offset:64
	ds_load_u16 v7, v21 offset:128
	;; [unrolled: 1-line block ×7, first 2 shown]
	v_add_co_u32 v0, vcc_lo, v42, s24
	v_add_co_ci_u32_e32 v1, vcc_lo, s25, v43, vcc_lo
	s_and_saveexec_b32 s20, s12
	s_cbranch_execnz .LBB76_164
; %bb.148:                              ;   in Loop: Header=BB76_12 Depth=1
	s_or_b32 exec_lo, exec_lo, s20
	s_and_saveexec_b32 s12, s13
	s_cbranch_execnz .LBB76_165
.LBB76_149:                             ;   in Loop: Header=BB76_12 Depth=1
	s_or_b32 exec_lo, exec_lo, s12
	s_and_saveexec_b32 s12, s14
	s_cbranch_execnz .LBB76_166
.LBB76_150:                             ;   in Loop: Header=BB76_12 Depth=1
	s_or_b32 exec_lo, exec_lo, s12
	s_and_saveexec_b32 s12, s15
	s_cbranch_execnz .LBB76_167
.LBB76_151:                             ;   in Loop: Header=BB76_12 Depth=1
	s_or_b32 exec_lo, exec_lo, s12
	s_and_saveexec_b32 s12, s16
	s_cbranch_execnz .LBB76_168
.LBB76_152:                             ;   in Loop: Header=BB76_12 Depth=1
	s_or_b32 exec_lo, exec_lo, s12
	s_and_saveexec_b32 s12, s17
	s_cbranch_execnz .LBB76_169
.LBB76_153:                             ;   in Loop: Header=BB76_12 Depth=1
	s_or_b32 exec_lo, exec_lo, s12
	s_and_saveexec_b32 s12, s18
	s_cbranch_execnz .LBB76_170
.LBB76_154:                             ;   in Loop: Header=BB76_12 Depth=1
	s_or_b32 exec_lo, exec_lo, s12
	s_and_saveexec_b32 s12, s19
	s_cbranch_execz .LBB76_11
	s_branch .LBB76_171
.LBB76_155:                             ;   in Loop: Header=BB76_12 Depth=1
	global_load_u16 v55, v[4:5], off offset:320
	s_or_b32 exec_lo, exec_lo, s20
	s_and_saveexec_b32 s20, s18
	s_cbranch_execz .LBB76_40
.LBB76_156:                             ;   in Loop: Header=BB76_12 Depth=1
	global_load_u16 v54, v[4:5], off offset:384
	s_or_b32 exec_lo, exec_lo, s20
	v_mov_b32_e32 v56, 0
	s_and_saveexec_b32 s20, s19
	s_cbranch_execnz .LBB76_41
	s_branch .LBB76_42
.LBB76_157:                             ;   in Loop: Header=BB76_12 Depth=1
	ds_load_u16 v9, v20
	s_waitcnt lgkmcnt(0)
	global_store_b16 v[0:1], v9, off
	s_or_b32 exec_lo, exec_lo, s20
	s_and_saveexec_b32 s20, s13
	s_cbranch_execz .LBB76_124
.LBB76_158:                             ;   in Loop: Header=BB76_12 Depth=1
	s_waitcnt lgkmcnt(6)
	global_store_b16 v[0:1], v8, off offset:64
	s_or_b32 exec_lo, exec_lo, s20
	s_and_saveexec_b32 s20, s14
	s_cbranch_execz .LBB76_125
.LBB76_159:                             ;   in Loop: Header=BB76_12 Depth=1
	s_waitcnt lgkmcnt(5)
	global_store_b16 v[0:1], v7, off offset:128
	s_or_b32 exec_lo, exec_lo, s20
	s_and_saveexec_b32 s20, s15
	s_cbranch_execz .LBB76_126
.LBB76_160:                             ;   in Loop: Header=BB76_12 Depth=1
	s_waitcnt lgkmcnt(4)
	global_store_b16 v[0:1], v6, off offset:192
	s_or_b32 exec_lo, exec_lo, s20
	s_and_saveexec_b32 s20, s16
	s_cbranch_execz .LBB76_127
.LBB76_161:                             ;   in Loop: Header=BB76_12 Depth=1
	s_waitcnt lgkmcnt(3)
	global_store_b16 v[0:1], v5, off offset:256
	s_or_b32 exec_lo, exec_lo, s20
	s_and_saveexec_b32 s20, s17
	s_cbranch_execz .LBB76_128
.LBB76_162:                             ;   in Loop: Header=BB76_12 Depth=1
	s_waitcnt lgkmcnt(2)
	global_store_b16 v[0:1], v4, off offset:320
	s_or_b32 exec_lo, exec_lo, s20
	s_and_saveexec_b32 s20, s18
	s_cbranch_execz .LBB76_129
.LBB76_163:                             ;   in Loop: Header=BB76_12 Depth=1
	s_waitcnt lgkmcnt(1)
	global_store_b16 v[0:1], v3, off offset:384
	s_or_b32 exec_lo, exec_lo, s20
	s_and_saveexec_b32 s20, s19
	s_cbranch_execnz .LBB76_130
	s_branch .LBB76_131
.LBB76_164:                             ;   in Loop: Header=BB76_12 Depth=1
	ds_load_u16 v9, v20
	s_waitcnt lgkmcnt(0)
	global_store_b16 v[0:1], v9, off
	s_or_b32 exec_lo, exec_lo, s20
	s_and_saveexec_b32 s12, s13
	s_cbranch_execz .LBB76_149
.LBB76_165:                             ;   in Loop: Header=BB76_12 Depth=1
	s_waitcnt lgkmcnt(6)
	global_store_b16 v[0:1], v8, off offset:64
	s_or_b32 exec_lo, exec_lo, s12
	s_and_saveexec_b32 s12, s14
	s_cbranch_execz .LBB76_150
.LBB76_166:                             ;   in Loop: Header=BB76_12 Depth=1
	s_waitcnt lgkmcnt(5)
	global_store_b16 v[0:1], v7, off offset:128
	s_or_b32 exec_lo, exec_lo, s12
	s_and_saveexec_b32 s12, s15
	s_cbranch_execz .LBB76_151
.LBB76_167:                             ;   in Loop: Header=BB76_12 Depth=1
	s_waitcnt lgkmcnt(4)
	global_store_b16 v[0:1], v6, off offset:192
	s_or_b32 exec_lo, exec_lo, s12
	s_and_saveexec_b32 s12, s16
	s_cbranch_execz .LBB76_152
.LBB76_168:                             ;   in Loop: Header=BB76_12 Depth=1
	s_waitcnt lgkmcnt(3)
	global_store_b16 v[0:1], v5, off offset:256
	s_or_b32 exec_lo, exec_lo, s12
	s_and_saveexec_b32 s12, s17
	s_cbranch_execz .LBB76_153
.LBB76_169:                             ;   in Loop: Header=BB76_12 Depth=1
	s_waitcnt lgkmcnt(2)
	global_store_b16 v[0:1], v4, off offset:320
	s_or_b32 exec_lo, exec_lo, s12
	s_and_saveexec_b32 s12, s18
	s_cbranch_execz .LBB76_154
.LBB76_170:                             ;   in Loop: Header=BB76_12 Depth=1
	s_waitcnt lgkmcnt(1)
	global_store_b16 v[0:1], v3, off offset:384
	s_or_b32 exec_lo, exec_lo, s12
	s_and_saveexec_b32 s12, s19
	s_cbranch_execz .LBB76_11
.LBB76_171:                             ;   in Loop: Header=BB76_12 Depth=1
	s_waitcnt lgkmcnt(0)
	global_store_b16 v[0:1], v2, off offset:448
	s_branch .LBB76_11
.LBB76_172:
	s_nop 0
	s_sendmsg sendmsg(MSG_DEALLOC_VGPRS)
	s_endpgm
	.section	.rodata,"a",@progbits
	.p2align	6, 0x0
	.amdhsa_kernel _Z25selective_scan_fwd_kernelI32Selective_Scan_fwd_kernel_traitsILi64ELi8ELi1ELb0ELb1ELb1ELb1ELb1EN3c104HalfEfS2_EEv13SSMParamsBase
		.amdhsa_group_segment_fixed_size 0
		.amdhsa_private_segment_fixed_size 0
		.amdhsa_kernarg_size 248
		.amdhsa_user_sgpr_count 14
		.amdhsa_user_sgpr_dispatch_ptr 0
		.amdhsa_user_sgpr_queue_ptr 0
		.amdhsa_user_sgpr_kernarg_segment_ptr 1
		.amdhsa_user_sgpr_dispatch_id 0
		.amdhsa_user_sgpr_private_segment_size 0
		.amdhsa_wavefront_size32 1
		.amdhsa_uses_dynamic_stack 0
		.amdhsa_enable_private_segment 0
		.amdhsa_system_sgpr_workgroup_id_x 1
		.amdhsa_system_sgpr_workgroup_id_y 1
		.amdhsa_system_sgpr_workgroup_id_z 0
		.amdhsa_system_sgpr_workgroup_info 0
		.amdhsa_system_vgpr_workitem_id 0
		.amdhsa_next_free_vgpr 99
		.amdhsa_next_free_sgpr 76
		.amdhsa_reserve_vcc 1
		.amdhsa_float_round_mode_32 0
		.amdhsa_float_round_mode_16_64 0
		.amdhsa_float_denorm_mode_32 3
		.amdhsa_float_denorm_mode_16_64 3
		.amdhsa_dx10_clamp 1
		.amdhsa_ieee_mode 1
		.amdhsa_fp16_overflow 0
		.amdhsa_workgroup_processor_mode 1
		.amdhsa_memory_ordered 1
		.amdhsa_forward_progress 0
		.amdhsa_shared_vgpr_count 0
		.amdhsa_exception_fp_ieee_invalid_op 0
		.amdhsa_exception_fp_denorm_src 0
		.amdhsa_exception_fp_ieee_div_zero 0
		.amdhsa_exception_fp_ieee_overflow 0
		.amdhsa_exception_fp_ieee_underflow 0
		.amdhsa_exception_fp_ieee_inexact 0
		.amdhsa_exception_int_div_zero 0
	.end_amdhsa_kernel
	.section	.text._Z25selective_scan_fwd_kernelI32Selective_Scan_fwd_kernel_traitsILi64ELi8ELi1ELb0ELb1ELb1ELb1ELb1EN3c104HalfEfS2_EEv13SSMParamsBase,"axG",@progbits,_Z25selective_scan_fwd_kernelI32Selective_Scan_fwd_kernel_traitsILi64ELi8ELi1ELb0ELb1ELb1ELb1ELb1EN3c104HalfEfS2_EEv13SSMParamsBase,comdat
.Lfunc_end76:
	.size	_Z25selective_scan_fwd_kernelI32Selective_Scan_fwd_kernel_traitsILi64ELi8ELi1ELb0ELb1ELb1ELb1ELb1EN3c104HalfEfS2_EEv13SSMParamsBase, .Lfunc_end76-_Z25selective_scan_fwd_kernelI32Selective_Scan_fwd_kernel_traitsILi64ELi8ELi1ELb0ELb1ELb1ELb1ELb1EN3c104HalfEfS2_EEv13SSMParamsBase
                                        ; -- End function
	.section	.AMDGPU.csdata,"",@progbits
; Kernel info:
; codeLenInByte = 14136
; NumSgprs: 78
; NumVgprs: 99
; ScratchSize: 0
; MemoryBound: 0
; FloatMode: 240
; IeeeMode: 1
; LDSByteSize: 0 bytes/workgroup (compile time only)
; SGPRBlocks: 9
; VGPRBlocks: 12
; NumSGPRsForWavesPerEU: 78
; NumVGPRsForWavesPerEU: 99
; Occupancy: 12
; WaveLimiterHint : 1
; COMPUTE_PGM_RSRC2:SCRATCH_EN: 0
; COMPUTE_PGM_RSRC2:USER_SGPR: 14
; COMPUTE_PGM_RSRC2:TRAP_HANDLER: 0
; COMPUTE_PGM_RSRC2:TGID_X_EN: 1
; COMPUTE_PGM_RSRC2:TGID_Y_EN: 1
; COMPUTE_PGM_RSRC2:TGID_Z_EN: 0
; COMPUTE_PGM_RSRC2:TIDIG_COMP_CNT: 0
	.section	.text._Z25selective_scan_fwd_kernelI32Selective_Scan_fwd_kernel_traitsILi64ELi8ELi1ELb0ELb1ELb1ELb1ELb0EN3c104HalfEfS2_EEv13SSMParamsBase,"axG",@progbits,_Z25selective_scan_fwd_kernelI32Selective_Scan_fwd_kernel_traitsILi64ELi8ELi1ELb0ELb1ELb1ELb1ELb0EN3c104HalfEfS2_EEv13SSMParamsBase,comdat
	.protected	_Z25selective_scan_fwd_kernelI32Selective_Scan_fwd_kernel_traitsILi64ELi8ELi1ELb0ELb1ELb1ELb1ELb0EN3c104HalfEfS2_EEv13SSMParamsBase ; -- Begin function _Z25selective_scan_fwd_kernelI32Selective_Scan_fwd_kernel_traitsILi64ELi8ELi1ELb0ELb1ELb1ELb1ELb0EN3c104HalfEfS2_EEv13SSMParamsBase
	.globl	_Z25selective_scan_fwd_kernelI32Selective_Scan_fwd_kernel_traitsILi64ELi8ELi1ELb0ELb1ELb1ELb1ELb0EN3c104HalfEfS2_EEv13SSMParamsBase
	.p2align	8
	.type	_Z25selective_scan_fwd_kernelI32Selective_Scan_fwd_kernel_traitsILi64ELi8ELi1ELb0ELb1ELb1ELb1ELb0EN3c104HalfEfS2_EEv13SSMParamsBase,@function
_Z25selective_scan_fwd_kernelI32Selective_Scan_fwd_kernel_traitsILi64ELi8ELi1ELb0ELb1ELb1ELb1ELb0EN3c104HalfEfS2_EEv13SSMParamsBase: ; @_Z25selective_scan_fwd_kernelI32Selective_Scan_fwd_kernel_traitsILi64ELi8ELi1ELb0ELb1ELb1ELb1ELb0EN3c104HalfEfS2_EEv13SSMParamsBase
; %bb.0:
	s_clause 0x1
	s_load_b32 s9, s[0:1], 0x18
	s_load_b128 s[4:7], s[0:1], 0xe8
	s_mov_b32 s12, s15
	s_mov_b32 s33, 0
	s_waitcnt lgkmcnt(0)
	s_abs_i32 s8, s9
	s_cmp_eq_u64 s[6:7], 0
	v_cvt_f32_u32_e32 v1, s8
	s_delay_alu instid0(VALU_DEP_1) | instskip(SKIP_2) | instid1(VALU_DEP_1)
	v_rcp_iflag_f32_e32 v1, v1
	s_waitcnt_depctr 0xfff
	v_mul_f32_e32 v1, 0x4f7ffffe, v1
	v_cvt_u32_f32_e32 v1, v1
	s_delay_alu instid0(VALU_DEP_1)
	v_readfirstlane_b32 s10, v1
	s_cbranch_scc1 .LBB77_2
; %bb.1:
	v_mov_b32_e32 v1, 0
	s_ashr_i32 s3, s14, 31
	s_add_u32 s2, s6, s14
	s_addc_u32 s3, s7, s3
	global_load_u8 v1, v1, s[2:3]
	s_waitcnt vmcnt(0)
	v_and_b32_e32 v1, 1, v1
	s_delay_alu instid0(VALU_DEP_1)
	v_cmp_eq_u32_e64 s33, 1, v1
.LBB77_2:
	s_load_b64 s[6:7], s[0:1], 0x20
	s_cmp_eq_u64 s[4:5], 0
	s_cbranch_scc1 .LBB77_4
; %bb.3:
	s_ashr_i32 s15, s14, 31
	s_delay_alu instid0(SALU_CYCLE_1) | instskip(NEXT) | instid1(SALU_CYCLE_1)
	s_lshl_b64 s[2:3], s[14:15], 2
	s_add_u32 s2, s4, s2
	s_addc_u32 s3, s5, s3
	s_load_b32 s2, s[2:3], 0x0
	s_waitcnt lgkmcnt(0)
	s_ashr_i32 s3, s2, 31
	s_delay_alu instid0(SALU_CYCLE_1)
	s_cmp_eq_u64 s[6:7], s[2:3]
	s_cbranch_scc0 .LBB77_5
	s_branch .LBB77_172
.LBB77_4:
	s_mov_b32 s2, s14
	s_delay_alu instid0(SALU_CYCLE_1)
	s_ashr_i32 s3, s2, 31
	s_waitcnt lgkmcnt(0)
	s_cmp_eq_u64 s[6:7], s[2:3]
	s_cbranch_scc1 .LBB77_172
.LBB77_5:
	s_clause 0x1
	s_load_b512 s[16:31], s[0:1], 0x88
	s_load_b64 s[34:35], s[0:1], 0x8
	s_mov_b32 s54, 0
	s_mov_b32 s55, 0
	s_waitcnt lgkmcnt(0)
	s_cmp_eq_u64 s[22:23], 0
	s_cbranch_scc1 .LBB77_7
; %bb.6:
	s_ashr_i32 s13, s12, 31
	s_delay_alu instid0(SALU_CYCLE_1) | instskip(NEXT) | instid1(SALU_CYCLE_1)
	s_lshl_b64 s[4:5], s[12:13], 2
	s_add_u32 s4, s22, s4
	s_addc_u32 s5, s23, s5
	s_load_b32 s55, s[4:5], 0x0
.LBB77_7:
	s_cmp_eq_u64 s[28:29], 0
	s_cbranch_scc1 .LBB77_9
; %bb.8:
	s_ashr_i32 s13, s12, 31
	s_delay_alu instid0(SALU_CYCLE_1) | instskip(NEXT) | instid1(SALU_CYCLE_1)
	s_lshl_b64 s[4:5], s[12:13], 2
	s_add_u32 s4, s28, s4
	s_addc_u32 s5, s29, s5
	s_load_b32 s54, s[4:5], 0x0
.LBB77_9:
	s_cmp_lt_i32 s34, 1
	s_cbranch_scc1 .LBB77_172
; %bb.10:
	s_sub_i32 s3, 0, s8
	s_load_b256 s[36:43], s[0:1], 0x4c
	s_mul_i32 s3, s3, s10
	s_abs_i32 s4, s12
	s_mul_hi_u32 s3, s10, s3
	s_ashr_i32 s6, s9, 31
	s_add_i32 s10, s10, s3
	s_ashr_i32 s3, s12, 31
	s_mul_hi_u32 s5, s4, s10
	s_xor_b32 s3, s3, s6
	s_mul_i32 s7, s5, s8
	s_add_i32 s6, s5, 1
	s_sub_i32 s4, s4, s7
	s_load_b256 s[44:51], s[0:1], 0x2c
	s_sub_i32 s7, s4, s8
	s_cmp_ge_u32 s4, s8
	s_mov_b32 s53, 0
	s_cselect_b32 s5, s6, s5
	s_cselect_b32 s4, s7, s4
	s_add_i32 s6, s5, 1
	s_cmp_ge_u32 s4, s8
	s_waitcnt lgkmcnt(0)
	s_mul_i32 s52, s38, s14
	s_cselect_b32 s6, s6, s5
	s_lshl_b64 s[4:5], s[52:53], 1
	s_xor_b32 s6, s6, s3
	s_mul_i32 s52, s39, s12
	s_sub_i32 s3, s6, s3
	s_add_u32 s6, s24, s4
	s_addc_u32 s7, s25, s5
	s_lshl_b64 s[4:5], s[52:53], 1
	s_mul_i32 s52, s40, s14
	s_add_u32 s29, s6, s4
	s_addc_u32 s47, s7, s5
	s_lshl_b64 s[4:5], s[52:53], 1
	s_mul_i32 s52, s41, s12
	s_add_u32 s6, s26, s4
	s_addc_u32 s7, s27, s5
	s_lshl_b64 s[4:5], s[52:53], 1
	s_mul_i32 s52, s44, s12
	s_add_u32 s51, s6, s4
	s_addc_u32 s44, s7, s5
	s_lshl_b64 s[4:5], s[52:53], 2
	v_dual_mov_b32 v13, 0 :: v_dual_lshlrev_b32 v10, 3, v0
	s_add_u32 s56, s16, s4
	s_addc_u32 s57, s17, s5
	s_load_b64 s[4:5], s[0:1], 0x7c
	s_mul_i32 s52, s46, s14
	s_load_b128 s[24:27], s[0:1], 0xc8
	s_lshl_b64 s[6:7], s[52:53], 1
	s_mul_i32 s52, s3, s49
	s_add_u32 s8, s18, s6
	v_mbcnt_lo_u32_b32 v1, -1, 0
	v_and_b32_e32 v2, 0x100, v10
	s_addc_u32 s9, s19, s7
	s_lshl_b64 s[6:7], s[52:53], 1
	s_mul_i32 s52, s50, s14
	s_add_u32 s46, s8, s6
	s_load_b128 s[16:19], s[0:1], 0x6c
	s_addc_u32 s49, s9, s7
	s_lshl_b64 s[6:7], s[52:53], 1
	s_load_b64 s[22:23], s[0:1], 0xd8
	s_mul_i32 s52, s3, s37
	s_clause 0x1
	s_load_b32 s37, s[0:1], 0x84
	s_load_b32 s0, s[0:1], 0x28
	v_or_b32_e32 v11, v1, v2
	s_add_u32 s8, s20, s6
	s_addc_u32 s3, s21, s7
	s_lshl_b64 s[6:7], s[52:53], 1
	s_waitcnt lgkmcnt(0)
	s_mul_i32 s52, s2, s4
	v_or_b32_e32 v12, 0x60, v11
	s_add_u32 s50, s8, s6
	s_addc_u32 s58, s3, s7
	s_lshl_b64 s[2:3], s[52:53], 1
	v_or_b32_e32 v17, 0xa0, v11
	v_lshrrev_b32_e32 v3, 5, v12
	v_or_b32_e32 v19, 0xe0, v11
	s_mul_i32 s52, s5, s12
	s_add_u32 s4, s24, s2
	s_addc_u32 s5, s25, s3
	s_lshl_b64 s[2:3], s[52:53], 1
	v_or_b32_e32 v15, 64, v11
	s_add_u32 s59, s4, s2
	v_or_b32_e32 v16, 0x80, v11
	v_and_b32_e32 v3, 10, v3
	v_or_b32_e32 v18, 0xc0, v11
	v_and_b32_e32 v6, 32, v0
	v_lshrrev_b32_e32 v7, 5, v17
	v_lshrrev_b32_e32 v24, 5, v19
	s_addc_u32 s60, s5, s3
	s_add_i32 s1, s34, 0x7ff
	v_lshrrev_b32_e32 v4, 5, v2
	s_lshr_b32 s61, s1, 11
	s_bitcmp1_b32 s0, 0
	v_lshrrev_b32_e32 v5, 5, v15
	v_add_lshl_u32 v3, v3, v11, 1
	v_lshrrev_b32_e32 v8, 5, v16
	v_or_b32_e32 v9, v1, v6
	v_and_b32_e32 v7, 12, v7
	v_lshrrev_b32_e32 v23, 5, v18
	v_and_b32_e32 v26, 14, v24
	s_cselect_b32 s62, -1, 0
	s_cmp_gt_i32 s35, 0
	v_add_lshl_u32 v4, v4, v11, 1
	s_cselect_b32 s63, -1, 0
	s_add_i32 s0, 0, 0x420
	v_add_lshl_u32 v5, v5, v11, 1
	v_add_nc_u32_e32 v22, 0, v3
	v_add_lshl_u32 v8, v8, v11, 1
	v_lshrrev_b32_e32 v25, 2, v9
	v_add_lshl_u32 v7, v7, v11, 1
	v_add_lshl_u32 v33, v23, v11, 1
	;; [unrolled: 1-line block ×3, first 2 shown]
	v_add_nc_u32_e32 v30, s0, v3
	v_and_b32_e32 v3, 15, v1
	s_and_b32 s1, s34, 0x1ff
	v_and_b32_e32 v27, 14, v25
	v_add_nc_u32_e32 v25, 0, v33
	v_add_nc_u32_e32 v26, 0, v34
	;; [unrolled: 1-line block ×7, first 2 shown]
	s_cmp_eq_u32 s1, 0
	v_add_nc_u32_e32 v34, s0, v34
	v_cmp_ne_u32_e64 s0, 0, v3
	v_cmp_lt_u32_e64 s1, 1, v3
	v_cmp_lt_u32_e64 s2, 3, v3
	;; [unrolled: 1-line block ×3, first 2 shown]
	v_add_nc_u32_e32 v3, -1, v1
	v_add_nc_u32_e32 v20, 0, v4
	v_lshrrev_b32_e32 v4, 2, v0
	s_mul_i32 s52, s16, s14
	s_cselect_b32 s64, -1, 0
	v_or_b32_e32 v6, 31, v6
	v_cmp_gt_i32_e32 vcc_lo, 0, v3
	s_lshl_b64 s[20:21], s[52:53], 1
	s_add_i32 s65, s61, -1
	s_mul_i32 s52, s17, s12
	v_dual_cndmask_b32 v3, v3, v1 :: v_dual_and_b32 v4, 8, v4
	s_add_u32 s13, s30, s20
	s_addc_u32 s15, s31, s21
	s_lshl_b64 s[16:17], s[52:53], 1
	s_mul_i32 s52, s42, s14
	v_cmp_eq_u32_e64 s5, v6, v0
	v_cmp_gt_u32_e64 s6, 2, v0
	v_cmp_gt_u32_e64 s8, 32, v0
	v_cmp_lt_u32_e64 s9, 31, v0
	v_cmp_eq_u32_e64 s10, 0, v0
	s_add_u32 s13, s13, s16
	v_lshlrev_b32_e32 v0, 1, v1
	s_addc_u32 s15, s15, s17
	s_lshl_b64 s[16:17], s[52:53], 1
	v_add_nc_u32_e32 v21, 0, v5
	v_and_b32_e32 v5, 16, v1
	v_add_nc_u32_e32 v35, 0, v4
	v_and_b32_e32 v4, 1, v1
	s_mul_i32 s52, s43, s12
	s_add_u32 s20, s26, s16
	s_addc_u32 s21, s27, s17
	s_lshl_b64 s[16:17], s[52:53], 1
	v_lshlrev_b32_e32 v37, 2, v3
	v_add_co_u32 v3, s13, s13, v0
	s_mul_i32 s52, s18, s14
	s_add_u32 s16, s20, s16
	v_cmp_ne_u32_e64 s4, 0, v5
	v_cmp_eq_u32_e64 s7, 0, v4
	v_add_co_ci_u32_e64 v4, null, s15, 0, s13
	s_addc_u32 s17, s21, s17
	s_lshl_b64 s[14:15], s[52:53], 1
	v_lshlrev_b32_e32 v5, 1, v2
	s_mul_i32 s52, s19, s12
	s_add_u32 s14, s22, s14
	s_addc_u32 s15, s23, s15
	s_lshl_b64 s[12:13], s[52:53], 1
	v_add_co_u32 v38, vcc_lo, v3, v5
	s_add_u32 s12, s14, s12
	v_add_co_u32 v3, s14, s16, v0
	v_add_co_ci_u32_e32 v39, vcc_lo, 0, v4, vcc_lo
	v_add_co_ci_u32_e64 v4, null, s17, 0, s14
	s_addc_u32 s13, s15, s13
	v_add_co_u32 v0, s12, s12, v0
	v_lshl_add_u32 v9, v9, 3, v27
	v_add_co_ci_u32_e64 v6, null, s13, 0, s12
	v_add_co_u32 v40, vcc_lo, v3, v5
	v_add_co_ci_u32_e32 v41, vcc_lo, 0, v4, vcc_lo
	v_add_co_u32 v42, vcc_lo, v0, v5
	v_or_b32_e32 v14, 32, v11
	v_add_nc_u32_e32 v23, 0, v8
	v_add_nc_u32_e32 v24, 0, v7
	v_lshl_add_u32 v27, v9, 1, 0
	v_add_nc_u32_e32 v36, 0, v10
	v_cmp_eq_u32_e64 s11, 0, v1
	v_add_co_ci_u32_e32 v43, vcc_lo, 0, v6, vcc_lo
	v_or_b32_e32 v44, 1, v10
	v_or_b32_e32 v45, 2, v10
	;; [unrolled: 1-line block ×7, first 2 shown]
	v_lshlrev_b32_e32 v51, 1, v1
	v_lshlrev_b32_e32 v52, 1, v2
	s_mov_b32 s66, 0x3e9b6dac
	s_add_i32 s67, 0, 0x850
	s_mov_b32 s68, 0xbfb8aa3b
	s_mov_b32 s69, 0xb2a5705f
	;; [unrolled: 1-line block ×3, first 2 shown]
	s_branch .LBB77_12
.LBB77_11:                              ;   in Loop: Header=BB77_12 Depth=1
	s_or_b32 exec_lo, exec_lo, s12
	s_add_u32 s51, s51, 0x400
	s_addc_u32 s44, s44, 0
	s_add_u32 s29, s29, 0x400
	s_addc_u32 s47, s47, 0
	;; [unrolled: 2-line block ×4, first 2 shown]
	s_add_i32 s70, s70, 1
	s_delay_alu instid0(SALU_CYCLE_1)
	s_cmp_lg_u32 s70, s61
	s_cbranch_scc0 .LBB77_172
.LBB77_12:                              ; =>This Loop Header: Depth=1
                                        ;     Child Loop BB77_61 Depth 2
	v_add_co_u32 v0, s12, s29, v51
	s_delay_alu instid0(VALU_DEP_1) | instskip(SKIP_1) | instid1(VALU_DEP_2)
	v_add_co_ci_u32_e64 v1, null, s47, 0, s12
	s_lshl_b32 s30, s70, 9
	v_add_co_u32 v0, vcc_lo, v0, v52
	s_sub_i32 s23, s34, s30
	s_delay_alu instid0(VALU_DEP_2)
	v_add_co_ci_u32_e32 v1, vcc_lo, 0, v1, vcc_lo
	v_cmp_gt_u32_e64 s12, s23, v11
	s_waitcnt lgkmcnt(0)
	v_mov_b32_e32 v2, 0
	s_waitcnt_vscnt null, 0x0
	s_barrier
	buffer_gl0_inv
	s_and_saveexec_b32 s13, s12
	s_cbranch_execz .LBB77_14
; %bb.13:                               ;   in Loop: Header=BB77_12 Depth=1
	global_load_u16 v2, v[0:1], off
.LBB77_14:                              ;   in Loop: Header=BB77_12 Depth=1
	s_or_b32 exec_lo, exec_lo, s13
	v_cmp_gt_u32_e64 s13, s23, v14
	v_dual_mov_b32 v3, 0 :: v_dual_mov_b32 v4, 0
	s_delay_alu instid0(VALU_DEP_2)
	s_and_saveexec_b32 s14, s13
	s_cbranch_execz .LBB77_16
; %bb.15:                               ;   in Loop: Header=BB77_12 Depth=1
	global_load_u16 v4, v[0:1], off offset:64
.LBB77_16:                              ;   in Loop: Header=BB77_12 Depth=1
	s_or_b32 exec_lo, exec_lo, s14
	v_cmp_gt_u32_e64 s14, s23, v15
	s_delay_alu instid0(VALU_DEP_1)
	s_and_saveexec_b32 s15, s14
	s_cbranch_execz .LBB77_18
; %bb.17:                               ;   in Loop: Header=BB77_12 Depth=1
	global_load_u16 v3, v[0:1], off offset:128
.LBB77_18:                              ;   in Loop: Header=BB77_12 Depth=1
	s_or_b32 exec_lo, exec_lo, s15
	v_cmp_gt_u32_e64 s15, s23, v12
	v_mov_b32_e32 v5, 0
	v_mov_b32_e32 v7, 0
	s_delay_alu instid0(VALU_DEP_3)
	s_and_saveexec_b32 s16, s15
	s_cbranch_execz .LBB77_20
; %bb.19:                               ;   in Loop: Header=BB77_12 Depth=1
	global_load_u16 v7, v[0:1], off offset:192
.LBB77_20:                              ;   in Loop: Header=BB77_12 Depth=1
	s_or_b32 exec_lo, exec_lo, s16
	v_cmp_gt_u32_e64 s16, s23, v16
	s_delay_alu instid0(VALU_DEP_1)
	s_and_saveexec_b32 s17, s16
	s_cbranch_execz .LBB77_22
; %bb.21:                               ;   in Loop: Header=BB77_12 Depth=1
	global_load_u16 v5, v[0:1], off offset:256
.LBB77_22:                              ;   in Loop: Header=BB77_12 Depth=1
	s_or_b32 exec_lo, exec_lo, s17
	v_cmp_gt_u32_e64 s17, s23, v17
	v_dual_mov_b32 v8, 0 :: v_dual_mov_b32 v9, 0
	s_delay_alu instid0(VALU_DEP_2)
	s_and_saveexec_b32 s18, s17
	s_cbranch_execz .LBB77_24
; %bb.23:                               ;   in Loop: Header=BB77_12 Depth=1
	global_load_u16 v9, v[0:1], off offset:320
.LBB77_24:                              ;   in Loop: Header=BB77_12 Depth=1
	s_or_b32 exec_lo, exec_lo, s18
	v_cmp_gt_u32_e64 s18, s23, v18
	s_delay_alu instid0(VALU_DEP_1)
	s_and_saveexec_b32 s19, s18
	s_cbranch_execz .LBB77_26
; %bb.25:                               ;   in Loop: Header=BB77_12 Depth=1
	global_load_u16 v8, v[0:1], off offset:384
.LBB77_26:                              ;   in Loop: Header=BB77_12 Depth=1
	s_or_b32 exec_lo, exec_lo, s19
	v_cmp_gt_u32_e64 s19, s23, v19
	v_dual_mov_b32 v6, 0 :: v_dual_mov_b32 v53, 0
	s_delay_alu instid0(VALU_DEP_2)
	s_and_saveexec_b32 s20, s19
	s_cbranch_execz .LBB77_28
; %bb.27:                               ;   in Loop: Header=BB77_12 Depth=1
	global_load_u16 v53, v[0:1], off offset:448
.LBB77_28:                              ;   in Loop: Header=BB77_12 Depth=1
	s_or_b32 exec_lo, exec_lo, s20
	s_waitcnt vmcnt(0)
	ds_store_b16 v20, v2
	ds_store_b16 v20, v4 offset:64
	ds_store_b16 v21, v3 offset:128
	;; [unrolled: 1-line block ×7, first 2 shown]
	; wave barrier
	ds_load_b128 v[0:3], v27
	v_add_co_u32 v4, s20, s51, v51
	s_delay_alu instid0(VALU_DEP_1) | instskip(SKIP_1) | instid1(VALU_DEP_2)
	v_add_co_ci_u32_e64 v5, null, s44, 0, s20
	s_waitcnt lgkmcnt(0)
	v_add_co_u32 v4, vcc_lo, v4, v52
	s_delay_alu instid0(VALU_DEP_2)
	v_add_co_ci_u32_e32 v5, vcc_lo, 0, v5, vcc_lo
	s_barrier
	buffer_gl0_inv
	s_and_saveexec_b32 s20, s12
	s_cbranch_execz .LBB77_30
; %bb.29:                               ;   in Loop: Header=BB77_12 Depth=1
	global_load_u16 v6, v[4:5], off
.LBB77_30:                              ;   in Loop: Header=BB77_12 Depth=1
	s_or_b32 exec_lo, exec_lo, s20
	v_dual_mov_b32 v7, 0 :: v_dual_mov_b32 v8, 0
	s_and_saveexec_b32 s20, s13
	s_cbranch_execz .LBB77_32
; %bb.31:                               ;   in Loop: Header=BB77_12 Depth=1
	global_load_u16 v8, v[4:5], off offset:64
.LBB77_32:                              ;   in Loop: Header=BB77_12 Depth=1
	s_or_b32 exec_lo, exec_lo, s20
	s_and_saveexec_b32 s20, s14
	s_cbranch_execz .LBB77_34
; %bb.33:                               ;   in Loop: Header=BB77_12 Depth=1
	global_load_u16 v7, v[4:5], off offset:128
.LBB77_34:                              ;   in Loop: Header=BB77_12 Depth=1
	s_or_b32 exec_lo, exec_lo, s20
	v_mov_b32_e32 v9, 0
	v_mov_b32_e32 v53, 0
	s_and_saveexec_b32 s20, s15
	s_cbranch_execz .LBB77_36
; %bb.35:                               ;   in Loop: Header=BB77_12 Depth=1
	global_load_u16 v53, v[4:5], off offset:192
.LBB77_36:                              ;   in Loop: Header=BB77_12 Depth=1
	s_or_b32 exec_lo, exec_lo, s20
	s_and_saveexec_b32 s20, s16
	s_cbranch_execz .LBB77_38
; %bb.37:                               ;   in Loop: Header=BB77_12 Depth=1
	global_load_u16 v9, v[4:5], off offset:256
.LBB77_38:                              ;   in Loop: Header=BB77_12 Depth=1
	s_or_b32 exec_lo, exec_lo, s20
	v_dual_mov_b32 v54, 0 :: v_dual_mov_b32 v55, 0
	s_and_saveexec_b32 s20, s17
	s_cbranch_execnz .LBB77_155
; %bb.39:                               ;   in Loop: Header=BB77_12 Depth=1
	s_or_b32 exec_lo, exec_lo, s20
	s_and_saveexec_b32 s20, s18
	s_cbranch_execnz .LBB77_156
.LBB77_40:                              ;   in Loop: Header=BB77_12 Depth=1
	s_or_b32 exec_lo, exec_lo, s20
	v_mov_b32_e32 v56, 0
	s_and_saveexec_b32 s20, s19
	s_cbranch_execz .LBB77_42
.LBB77_41:                              ;   in Loop: Header=BB77_12 Depth=1
	global_load_u16 v56, v[4:5], off offset:448
.LBB77_42:                              ;   in Loop: Header=BB77_12 Depth=1
	s_or_b32 exec_lo, exec_lo, s20
	s_waitcnt vmcnt(0)
	ds_store_b16 v20, v6
	ds_store_b16 v20, v8 offset:64
	ds_store_b16 v21, v7 offset:128
	;; [unrolled: 1-line block ×7, first 2 shown]
	; wave barrier
	ds_load_b128 v[4:7], v27
	s_waitcnt lgkmcnt(0)
	v_cvt_f32_f16_e32 v8, v4
	s_delay_alu instid0(VALU_DEP_1) | instskip(NEXT) | instid1(VALU_DEP_1)
	v_add_f32_e32 v53, s54, v8
	v_cmp_ge_f32_e32 vcc_lo, 0x41a00000, v53
	s_and_b32 s20, s62, vcc_lo
	s_delay_alu instid0(SALU_CYCLE_1)
	s_and_saveexec_b32 s21, s20
	s_cbranch_execz .LBB77_44
; %bb.43:                               ;   in Loop: Header=BB77_12 Depth=1
	v_mul_f32_e32 v8, 0x3fb8aa3b, v53
	v_cmp_ngt_f32_e32 vcc_lo, 0xc2ce8ed0, v53
	s_delay_alu instid0(VALU_DEP_2) | instskip(SKIP_1) | instid1(VALU_DEP_2)
	v_rndne_f32_e32 v9, v8
	v_fma_f32 v54, 0x3fb8aa3b, v53, -v8
	v_sub_f32_e32 v8, v8, v9
	s_delay_alu instid0(VALU_DEP_2) | instskip(SKIP_1) | instid1(VALU_DEP_2)
	v_fmac_f32_e32 v54, 0x32a5705f, v53
	v_cvt_i32_f32_e32 v9, v9
	v_add_f32_e32 v8, v8, v54
	s_delay_alu instid0(VALU_DEP_1) | instskip(SKIP_2) | instid1(VALU_DEP_1)
	v_exp_f32_e32 v8, v8
	s_waitcnt_depctr 0xfff
	v_ldexp_f32 v8, v8, v9
	v_cndmask_b32_e32 v8, 0, v8, vcc_lo
	v_cmp_nlt_f32_e32 vcc_lo, 0x42b17218, v53
	s_delay_alu instid0(VALU_DEP_2) | instskip(NEXT) | instid1(VALU_DEP_1)
	v_cndmask_b32_e32 v53, 0x7f800000, v8, vcc_lo
	v_add_f32_e32 v54, 1.0, v53
	s_delay_alu instid0(VALU_DEP_1) | instskip(NEXT) | instid1(VALU_DEP_1)
	v_cvt_f64_f32_e32 v[8:9], v54
	v_frexp_exp_i32_f64_e32 v8, v[8:9]
	v_frexp_mant_f32_e32 v9, v54
	s_delay_alu instid0(VALU_DEP_1) | instskip(SKIP_1) | instid1(VALU_DEP_1)
	v_cmp_gt_f32_e32 vcc_lo, 0x3f2aaaab, v9
	v_add_f32_e32 v9, -1.0, v54
	v_sub_f32_e32 v56, v9, v54
	v_sub_f32_e32 v9, v53, v9
	v_cmp_gt_f32_e64 s20, 0x33800000, v53
	s_delay_alu instid0(VALU_DEP_3) | instskip(NEXT) | instid1(VALU_DEP_1)
	v_add_f32_e32 v56, 1.0, v56
	v_add_f32_e32 v9, v9, v56
	v_subrev_co_ci_u32_e32 v8, vcc_lo, 0, v8, vcc_lo
	v_cmp_eq_f32_e32 vcc_lo, 0x7f800000, v53
	s_delay_alu instid0(VALU_DEP_2) | instskip(SKIP_2) | instid1(VALU_DEP_2)
	v_sub_nc_u32_e32 v55, 0, v8
	v_cvt_f32_i32_e32 v8, v8
	s_or_b32 vcc_lo, s20, vcc_lo
	v_ldexp_f32 v54, v54, v55
	v_ldexp_f32 v9, v9, v55
	s_delay_alu instid0(VALU_DEP_2) | instskip(NEXT) | instid1(VALU_DEP_1)
	v_add_f32_e32 v57, 1.0, v54
	v_dual_add_f32 v55, -1.0, v54 :: v_dual_add_f32 v56, -1.0, v57
	s_delay_alu instid0(VALU_DEP_1) | instskip(NEXT) | instid1(VALU_DEP_2)
	v_add_f32_e32 v58, 1.0, v55
	v_sub_f32_e32 v56, v54, v56
	s_delay_alu instid0(VALU_DEP_2) | instskip(NEXT) | instid1(VALU_DEP_2)
	v_sub_f32_e32 v54, v54, v58
	v_add_f32_e32 v56, v9, v56
	s_delay_alu instid0(VALU_DEP_2) | instskip(NEXT) | instid1(VALU_DEP_1)
	v_add_f32_e32 v9, v9, v54
	v_dual_add_f32 v59, v55, v9 :: v_dual_add_f32 v58, v57, v56
	s_delay_alu instid0(VALU_DEP_1) | instskip(NEXT) | instid1(VALU_DEP_2)
	v_sub_f32_e32 v55, v55, v59
	v_rcp_f32_e32 v54, v58
	v_sub_f32_e32 v57, v57, v58
	s_delay_alu instid0(VALU_DEP_1) | instskip(SKIP_2) | instid1(VALU_DEP_1)
	v_dual_add_f32 v9, v9, v55 :: v_dual_add_f32 v56, v56, v57
	s_waitcnt_depctr 0xfff
	v_mul_f32_e32 v60, v59, v54
	v_mul_f32_e32 v61, v58, v60
	s_delay_alu instid0(VALU_DEP_1) | instskip(NEXT) | instid1(VALU_DEP_1)
	v_fma_f32 v57, v60, v58, -v61
	v_fmac_f32_e32 v57, v60, v56
	s_delay_alu instid0(VALU_DEP_1) | instskip(NEXT) | instid1(VALU_DEP_1)
	v_add_f32_e32 v62, v61, v57
	v_sub_f32_e32 v63, v59, v62
	s_delay_alu instid0(VALU_DEP_1) | instskip(NEXT) | instid1(VALU_DEP_1)
	v_sub_f32_e32 v59, v59, v63
	v_sub_f32_e32 v59, v59, v62
	;; [unrolled: 1-line block ×3, first 2 shown]
	s_delay_alu instid0(VALU_DEP_2) | instskip(NEXT) | instid1(VALU_DEP_2)
	v_add_f32_e32 v9, v9, v59
	v_sub_f32_e32 v55, v55, v57
	s_delay_alu instid0(VALU_DEP_1) | instskip(NEXT) | instid1(VALU_DEP_1)
	v_add_f32_e32 v9, v55, v9
	v_add_f32_e32 v55, v63, v9
	s_delay_alu instid0(VALU_DEP_1) | instskip(NEXT) | instid1(VALU_DEP_1)
	v_mul_f32_e32 v57, v54, v55
	v_dual_sub_f32 v62, v63, v55 :: v_dual_mul_f32 v59, v58, v57
	s_delay_alu instid0(VALU_DEP_1) | instskip(NEXT) | instid1(VALU_DEP_2)
	v_add_f32_e32 v9, v9, v62
	v_fma_f32 v58, v57, v58, -v59
	s_delay_alu instid0(VALU_DEP_1) | instskip(NEXT) | instid1(VALU_DEP_1)
	v_fmac_f32_e32 v58, v57, v56
	v_add_f32_e32 v56, v59, v58
	s_delay_alu instid0(VALU_DEP_1) | instskip(NEXT) | instid1(VALU_DEP_1)
	v_sub_f32_e32 v61, v55, v56
	v_sub_f32_e32 v55, v55, v61
	s_delay_alu instid0(VALU_DEP_1) | instskip(NEXT) | instid1(VALU_DEP_1)
	v_sub_f32_e32 v55, v55, v56
	v_add_f32_e32 v9, v9, v55
	v_add_f32_e32 v55, v60, v57
	v_sub_f32_e32 v59, v56, v59
	s_delay_alu instid0(VALU_DEP_1) | instskip(NEXT) | instid1(VALU_DEP_1)
	v_sub_f32_e32 v56, v59, v58
	v_dual_add_f32 v9, v56, v9 :: v_dual_sub_f32 v56, v55, v60
	s_delay_alu instid0(VALU_DEP_1) | instskip(NEXT) | instid1(VALU_DEP_1)
	v_add_f32_e32 v9, v61, v9
	v_dual_sub_f32 v56, v57, v56 :: v_dual_mul_f32 v9, v54, v9
	s_delay_alu instid0(VALU_DEP_1) | instskip(NEXT) | instid1(VALU_DEP_1)
	v_add_f32_e32 v9, v56, v9
	v_add_f32_e32 v54, v55, v9
	s_delay_alu instid0(VALU_DEP_1) | instskip(NEXT) | instid1(VALU_DEP_1)
	v_mul_f32_e32 v56, v54, v54
	v_fmaak_f32 v57, s66, v56, 0x3ecc95a3
	v_mul_f32_e32 v58, v54, v56
	s_delay_alu instid0(VALU_DEP_2) | instskip(SKIP_2) | instid1(VALU_DEP_3)
	v_fmaak_f32 v56, v56, v57, 0x3f2aaada
	v_ldexp_f32 v57, v54, 1
	v_sub_f32_e32 v54, v54, v55
	v_mul_f32_e32 v56, v58, v56
	v_mul_f32_e32 v58, 0x3f317218, v8
	s_delay_alu instid0(VALU_DEP_2) | instskip(NEXT) | instid1(VALU_DEP_1)
	v_add_f32_e32 v55, v57, v56
	v_dual_sub_f32 v9, v9, v54 :: v_dual_sub_f32 v54, v55, v57
	s_delay_alu instid0(VALU_DEP_3) | instskip(NEXT) | instid1(VALU_DEP_2)
	v_fma_f32 v57, 0x3f317218, v8, -v58
	v_ldexp_f32 v9, v9, 1
	s_delay_alu instid0(VALU_DEP_2) | instskip(NEXT) | instid1(VALU_DEP_1)
	v_dual_sub_f32 v54, v56, v54 :: v_dual_fmac_f32 v57, 0xb102e308, v8
	v_dual_add_f32 v8, v9, v54 :: v_dual_add_f32 v9, v58, v57
	s_delay_alu instid0(VALU_DEP_1) | instskip(NEXT) | instid1(VALU_DEP_1)
	v_add_f32_e32 v54, v55, v8
	v_add_f32_e32 v56, v9, v54
	s_delay_alu instid0(VALU_DEP_1) | instskip(NEXT) | instid1(VALU_DEP_1)
	v_sub_f32_e32 v59, v56, v9
	v_sub_f32_e32 v60, v56, v59
	;; [unrolled: 1-line block ×4, first 2 shown]
	s_delay_alu instid0(VALU_DEP_2) | instskip(SKIP_1) | instid1(VALU_DEP_1)
	v_sub_f32_e32 v8, v8, v55
	v_sub_f32_e32 v58, v9, v58
	;; [unrolled: 1-line block ×3, first 2 shown]
	s_delay_alu instid0(VALU_DEP_1) | instskip(SKIP_1) | instid1(VALU_DEP_1)
	v_add_f32_e32 v55, v57, v8
	v_sub_f32_e32 v9, v9, v60
	v_add_f32_e32 v9, v54, v9
	s_delay_alu instid0(VALU_DEP_3) | instskip(NEXT) | instid1(VALU_DEP_1)
	v_sub_f32_e32 v54, v55, v57
	v_dual_sub_f32 v8, v8, v54 :: v_dual_add_f32 v9, v55, v9
	s_delay_alu instid0(VALU_DEP_1) | instskip(NEXT) | instid1(VALU_DEP_1)
	v_dual_sub_f32 v55, v55, v54 :: v_dual_add_f32 v58, v56, v9
	v_dual_sub_f32 v55, v57, v55 :: v_dual_sub_f32 v54, v58, v56
	s_delay_alu instid0(VALU_DEP_1) | instskip(NEXT) | instid1(VALU_DEP_1)
	v_dual_add_f32 v8, v8, v55 :: v_dual_sub_f32 v9, v9, v54
	v_add_f32_e32 v8, v8, v9
	s_delay_alu instid0(VALU_DEP_1) | instskip(NEXT) | instid1(VALU_DEP_1)
	v_add_f32_e32 v8, v58, v8
	v_cndmask_b32_e32 v53, v8, v53, vcc_lo
.LBB77_44:                              ;   in Loop: Header=BB77_12 Depth=1
	s_or_b32 exec_lo, exec_lo, s21
	v_lshrrev_b32_e32 v4, 16, v4
	s_delay_alu instid0(VALU_DEP_1) | instskip(NEXT) | instid1(VALU_DEP_1)
	v_cvt_f32_f16_e32 v4, v4
	v_add_f32_e32 v54, s54, v4
	s_delay_alu instid0(VALU_DEP_1) | instskip(SKIP_1) | instid1(SALU_CYCLE_1)
	v_cmp_ge_f32_e32 vcc_lo, 0x41a00000, v54
	s_and_b32 s20, s62, vcc_lo
	s_and_saveexec_b32 s21, s20
	s_cbranch_execz .LBB77_46
; %bb.45:                               ;   in Loop: Header=BB77_12 Depth=1
	v_mul_f32_e32 v4, 0x3fb8aa3b, v54
	v_cmp_ngt_f32_e32 vcc_lo, 0xc2ce8ed0, v54
	s_delay_alu instid0(VALU_DEP_2) | instskip(SKIP_1) | instid1(VALU_DEP_1)
	v_rndne_f32_e32 v8, v4
	v_fma_f32 v9, 0x3fb8aa3b, v54, -v4
	v_dual_sub_f32 v4, v4, v8 :: v_dual_fmac_f32 v9, 0x32a5705f, v54
	v_cvt_i32_f32_e32 v8, v8
	s_delay_alu instid0(VALU_DEP_2) | instskip(NEXT) | instid1(VALU_DEP_1)
	v_add_f32_e32 v4, v4, v9
	v_exp_f32_e32 v4, v4
	s_waitcnt_depctr 0xfff
	v_ldexp_f32 v4, v4, v8
	s_delay_alu instid0(VALU_DEP_1) | instskip(SKIP_1) | instid1(VALU_DEP_2)
	v_cndmask_b32_e32 v4, 0, v4, vcc_lo
	v_cmp_nlt_f32_e32 vcc_lo, 0x42b17218, v54
	v_cndmask_b32_e32 v4, 0x7f800000, v4, vcc_lo
	s_delay_alu instid0(VALU_DEP_1) | instskip(NEXT) | instid1(VALU_DEP_1)
	v_add_f32_e32 v54, 1.0, v4
	v_cvt_f64_f32_e32 v[8:9], v54
	s_delay_alu instid0(VALU_DEP_1) | instskip(SKIP_1) | instid1(VALU_DEP_1)
	v_frexp_exp_i32_f64_e32 v8, v[8:9]
	v_frexp_mant_f32_e32 v9, v54
	v_cmp_gt_f32_e32 vcc_lo, 0x3f2aaaab, v9
	v_add_f32_e32 v9, -1.0, v54
	s_delay_alu instid0(VALU_DEP_1) | instskip(NEXT) | instid1(VALU_DEP_1)
	v_dual_sub_f32 v56, v9, v54 :: v_dual_sub_f32 v9, v4, v9
	v_add_f32_e32 v56, 1.0, v56
	s_delay_alu instid0(VALU_DEP_1) | instskip(SKIP_1) | instid1(VALU_DEP_1)
	v_add_f32_e32 v9, v9, v56
	v_subrev_co_ci_u32_e32 v8, vcc_lo, 0, v8, vcc_lo
	v_sub_nc_u32_e32 v55, 0, v8
	v_cvt_f32_i32_e32 v8, v8
	s_delay_alu instid0(VALU_DEP_2) | instskip(SKIP_1) | instid1(VALU_DEP_2)
	v_ldexp_f32 v54, v54, v55
	v_ldexp_f32 v9, v9, v55
	v_add_f32_e32 v57, 1.0, v54
	v_add_f32_e32 v55, -1.0, v54
	v_cmp_eq_f32_e32 vcc_lo, 0x7f800000, v4
	v_cmp_gt_f32_e64 s20, 0x33800000, v4
	s_delay_alu instid0(VALU_DEP_4) | instskip(NEXT) | instid1(VALU_DEP_4)
	v_add_f32_e32 v56, -1.0, v57
	v_add_f32_e32 v58, 1.0, v55
	s_delay_alu instid0(VALU_DEP_3) | instskip(NEXT) | instid1(VALU_DEP_2)
	s_or_b32 vcc_lo, s20, vcc_lo
	v_sub_f32_e32 v56, v54, v56
	s_delay_alu instid0(VALU_DEP_2) | instskip(NEXT) | instid1(VALU_DEP_2)
	v_sub_f32_e32 v54, v54, v58
	v_add_f32_e32 v56, v9, v56
	s_delay_alu instid0(VALU_DEP_2) | instskip(NEXT) | instid1(VALU_DEP_1)
	v_add_f32_e32 v9, v9, v54
	v_add_f32_e32 v59, v55, v9
	s_delay_alu instid0(VALU_DEP_1) | instskip(NEXT) | instid1(VALU_DEP_1)
	v_dual_sub_f32 v55, v55, v59 :: v_dual_add_f32 v58, v57, v56
	v_add_f32_e32 v9, v9, v55
	s_delay_alu instid0(VALU_DEP_2) | instskip(SKIP_1) | instid1(VALU_DEP_1)
	v_rcp_f32_e32 v54, v58
	v_sub_f32_e32 v57, v57, v58
	v_add_f32_e32 v56, v56, v57
	s_waitcnt_depctr 0xfff
	v_mul_f32_e32 v60, v59, v54
	s_delay_alu instid0(VALU_DEP_1) | instskip(NEXT) | instid1(VALU_DEP_1)
	v_mul_f32_e32 v61, v58, v60
	v_fma_f32 v57, v60, v58, -v61
	s_delay_alu instid0(VALU_DEP_1) | instskip(NEXT) | instid1(VALU_DEP_1)
	v_fmac_f32_e32 v57, v60, v56
	v_add_f32_e32 v62, v61, v57
	s_delay_alu instid0(VALU_DEP_1) | instskip(SKIP_1) | instid1(VALU_DEP_2)
	v_sub_f32_e32 v63, v59, v62
	v_sub_f32_e32 v55, v62, v61
	;; [unrolled: 1-line block ×3, first 2 shown]
	s_delay_alu instid0(VALU_DEP_2) | instskip(NEXT) | instid1(VALU_DEP_2)
	v_sub_f32_e32 v55, v55, v57
	v_sub_f32_e32 v59, v59, v62
	s_delay_alu instid0(VALU_DEP_1) | instskip(NEXT) | instid1(VALU_DEP_1)
	v_add_f32_e32 v9, v9, v59
	v_add_f32_e32 v9, v55, v9
	s_delay_alu instid0(VALU_DEP_1) | instskip(NEXT) | instid1(VALU_DEP_1)
	v_add_f32_e32 v55, v63, v9
	v_mul_f32_e32 v57, v54, v55
	s_delay_alu instid0(VALU_DEP_1) | instskip(NEXT) | instid1(VALU_DEP_1)
	v_dual_sub_f32 v62, v63, v55 :: v_dual_mul_f32 v59, v58, v57
	v_add_f32_e32 v9, v9, v62
	s_delay_alu instid0(VALU_DEP_2) | instskip(NEXT) | instid1(VALU_DEP_1)
	v_fma_f32 v58, v57, v58, -v59
	v_fmac_f32_e32 v58, v57, v56
	s_delay_alu instid0(VALU_DEP_1) | instskip(NEXT) | instid1(VALU_DEP_1)
	v_add_f32_e32 v56, v59, v58
	v_sub_f32_e32 v61, v55, v56
	s_delay_alu instid0(VALU_DEP_1) | instskip(NEXT) | instid1(VALU_DEP_1)
	v_sub_f32_e32 v55, v55, v61
	v_sub_f32_e32 v55, v55, v56
	s_delay_alu instid0(VALU_DEP_1) | instskip(SKIP_2) | instid1(VALU_DEP_1)
	v_add_f32_e32 v9, v9, v55
	v_add_f32_e32 v55, v60, v57
	v_sub_f32_e32 v59, v56, v59
	v_sub_f32_e32 v56, v59, v58
	s_delay_alu instid0(VALU_DEP_1) | instskip(NEXT) | instid1(VALU_DEP_1)
	v_dual_add_f32 v9, v56, v9 :: v_dual_sub_f32 v56, v55, v60
	v_add_f32_e32 v9, v61, v9
	s_delay_alu instid0(VALU_DEP_1) | instskip(NEXT) | instid1(VALU_DEP_1)
	v_dual_sub_f32 v56, v57, v56 :: v_dual_mul_f32 v9, v54, v9
	v_add_f32_e32 v9, v56, v9
	s_delay_alu instid0(VALU_DEP_1) | instskip(NEXT) | instid1(VALU_DEP_1)
	v_add_f32_e32 v54, v55, v9
	v_mul_f32_e32 v56, v54, v54
	s_delay_alu instid0(VALU_DEP_1) | instskip(SKIP_1) | instid1(VALU_DEP_2)
	v_fmaak_f32 v57, s66, v56, 0x3ecc95a3
	v_mul_f32_e32 v58, v54, v56
	v_fmaak_f32 v56, v56, v57, 0x3f2aaada
	v_ldexp_f32 v57, v54, 1
	v_sub_f32_e32 v54, v54, v55
	s_delay_alu instid0(VALU_DEP_3) | instskip(SKIP_1) | instid1(VALU_DEP_2)
	v_mul_f32_e32 v56, v58, v56
	v_mul_f32_e32 v58, 0x3f317218, v8
	v_add_f32_e32 v55, v57, v56
	s_delay_alu instid0(VALU_DEP_1) | instskip(NEXT) | instid1(VALU_DEP_3)
	v_dual_sub_f32 v9, v9, v54 :: v_dual_sub_f32 v54, v55, v57
	v_fma_f32 v57, 0x3f317218, v8, -v58
	s_delay_alu instid0(VALU_DEP_2) | instskip(NEXT) | instid1(VALU_DEP_2)
	v_ldexp_f32 v9, v9, 1
	v_dual_sub_f32 v54, v56, v54 :: v_dual_fmac_f32 v57, 0xb102e308, v8
	s_delay_alu instid0(VALU_DEP_1) | instskip(NEXT) | instid1(VALU_DEP_1)
	v_dual_add_f32 v8, v9, v54 :: v_dual_add_f32 v9, v58, v57
	v_add_f32_e32 v54, v55, v8
	s_delay_alu instid0(VALU_DEP_1) | instskip(NEXT) | instid1(VALU_DEP_1)
	v_add_f32_e32 v56, v9, v54
	v_sub_f32_e32 v59, v56, v9
	s_delay_alu instid0(VALU_DEP_1) | instskip(SKIP_2) | instid1(VALU_DEP_2)
	v_sub_f32_e32 v60, v56, v59
	v_sub_f32_e32 v55, v54, v55
	;; [unrolled: 1-line block ×5, first 2 shown]
	s_delay_alu instid0(VALU_DEP_1) | instskip(NEXT) | instid1(VALU_DEP_1)
	v_sub_f32_e32 v57, v57, v58
	v_add_f32_e32 v55, v57, v8
	v_sub_f32_e32 v9, v9, v60
	s_delay_alu instid0(VALU_DEP_1) | instskip(NEXT) | instid1(VALU_DEP_3)
	v_add_f32_e32 v9, v54, v9
	v_sub_f32_e32 v54, v55, v57
	s_delay_alu instid0(VALU_DEP_1) | instskip(NEXT) | instid1(VALU_DEP_1)
	v_dual_sub_f32 v8, v8, v54 :: v_dual_add_f32 v9, v55, v9
	v_dual_sub_f32 v55, v55, v54 :: v_dual_add_f32 v58, v56, v9
	s_delay_alu instid0(VALU_DEP_1) | instskip(NEXT) | instid1(VALU_DEP_1)
	v_dual_sub_f32 v55, v57, v55 :: v_dual_sub_f32 v54, v58, v56
	v_dual_add_f32 v8, v8, v55 :: v_dual_sub_f32 v9, v9, v54
	s_delay_alu instid0(VALU_DEP_1) | instskip(NEXT) | instid1(VALU_DEP_1)
	v_add_f32_e32 v8, v8, v9
	v_add_f32_e32 v8, v58, v8
	s_delay_alu instid0(VALU_DEP_1)
	v_cndmask_b32_e32 v54, v8, v4, vcc_lo
.LBB77_46:                              ;   in Loop: Header=BB77_12 Depth=1
	s_or_b32 exec_lo, exec_lo, s21
	v_cvt_f32_f16_e32 v4, v5
	s_delay_alu instid0(VALU_DEP_1) | instskip(NEXT) | instid1(VALU_DEP_1)
	v_add_f32_e32 v55, s54, v4
	v_cmp_ge_f32_e32 vcc_lo, 0x41a00000, v55
	s_and_b32 s20, s62, vcc_lo
	s_delay_alu instid0(SALU_CYCLE_1)
	s_and_saveexec_b32 s21, s20
	s_cbranch_execz .LBB77_48
; %bb.47:                               ;   in Loop: Header=BB77_12 Depth=1
	v_mul_f32_e32 v4, 0x3fb8aa3b, v55
	v_cmp_ngt_f32_e32 vcc_lo, 0xc2ce8ed0, v55
	s_delay_alu instid0(VALU_DEP_2) | instskip(SKIP_1) | instid1(VALU_DEP_1)
	v_rndne_f32_e32 v8, v4
	v_fma_f32 v9, 0x3fb8aa3b, v55, -v4
	v_dual_sub_f32 v4, v4, v8 :: v_dual_fmac_f32 v9, 0x32a5705f, v55
	v_cvt_i32_f32_e32 v8, v8
	s_delay_alu instid0(VALU_DEP_2) | instskip(NEXT) | instid1(VALU_DEP_1)
	v_add_f32_e32 v4, v4, v9
	v_exp_f32_e32 v4, v4
	s_waitcnt_depctr 0xfff
	v_ldexp_f32 v4, v4, v8
	s_delay_alu instid0(VALU_DEP_1) | instskip(SKIP_1) | instid1(VALU_DEP_2)
	v_cndmask_b32_e32 v4, 0, v4, vcc_lo
	v_cmp_nlt_f32_e32 vcc_lo, 0x42b17218, v55
	v_cndmask_b32_e32 v4, 0x7f800000, v4, vcc_lo
	s_delay_alu instid0(VALU_DEP_1) | instskip(NEXT) | instid1(VALU_DEP_1)
	v_add_f32_e32 v55, 1.0, v4
	v_cvt_f64_f32_e32 v[8:9], v55
	s_delay_alu instid0(VALU_DEP_1) | instskip(SKIP_1) | instid1(VALU_DEP_1)
	v_frexp_exp_i32_f64_e32 v8, v[8:9]
	v_frexp_mant_f32_e32 v9, v55
	v_cmp_gt_f32_e32 vcc_lo, 0x3f2aaaab, v9
	v_add_f32_e32 v9, -1.0, v55
	s_delay_alu instid0(VALU_DEP_1) | instskip(NEXT) | instid1(VALU_DEP_1)
	v_sub_f32_e32 v57, v9, v55
	v_add_f32_e32 v57, 1.0, v57
	v_subrev_co_ci_u32_e32 v8, vcc_lo, 0, v8, vcc_lo
	s_delay_alu instid0(VALU_DEP_1) | instskip(SKIP_1) | instid1(VALU_DEP_2)
	v_sub_nc_u32_e32 v56, 0, v8
	v_cvt_f32_i32_e32 v8, v8
	v_ldexp_f32 v55, v55, v56
	s_delay_alu instid0(VALU_DEP_1) | instskip(NEXT) | instid1(VALU_DEP_1)
	v_dual_sub_f32 v9, v4, v9 :: v_dual_add_f32 v58, 1.0, v55
	v_add_f32_e32 v9, v9, v57
	v_cmp_eq_f32_e32 vcc_lo, 0x7f800000, v4
	v_cmp_gt_f32_e64 s20, 0x33800000, v4
	s_delay_alu instid0(VALU_DEP_4) | instskip(NEXT) | instid1(VALU_DEP_4)
	v_add_f32_e32 v57, -1.0, v58
	v_ldexp_f32 v9, v9, v56
	v_add_f32_e32 v56, -1.0, v55
	s_delay_alu instid0(VALU_DEP_4) | instskip(NEXT) | instid1(VALU_DEP_3)
	s_or_b32 vcc_lo, s20, vcc_lo
	v_sub_f32_e32 v57, v55, v57
	s_delay_alu instid0(VALU_DEP_2) | instskip(NEXT) | instid1(VALU_DEP_2)
	v_add_f32_e32 v59, 1.0, v56
	v_add_f32_e32 v57, v9, v57
	s_delay_alu instid0(VALU_DEP_2) | instskip(NEXT) | instid1(VALU_DEP_1)
	v_sub_f32_e32 v55, v55, v59
	v_add_f32_e32 v9, v9, v55
	s_delay_alu instid0(VALU_DEP_1) | instskip(NEXT) | instid1(VALU_DEP_1)
	v_add_f32_e32 v60, v56, v9
	v_dual_add_f32 v59, v58, v57 :: v_dual_sub_f32 v56, v56, v60
	s_delay_alu instid0(VALU_DEP_1) | instskip(SKIP_1) | instid1(VALU_DEP_1)
	v_rcp_f32_e32 v55, v59
	v_sub_f32_e32 v58, v58, v59
	v_add_f32_e32 v57, v57, v58
	s_waitcnt_depctr 0xfff
	v_mul_f32_e32 v61, v60, v55
	s_delay_alu instid0(VALU_DEP_1) | instskip(NEXT) | instid1(VALU_DEP_1)
	v_mul_f32_e32 v62, v59, v61
	v_fma_f32 v58, v61, v59, -v62
	s_delay_alu instid0(VALU_DEP_1) | instskip(SKIP_1) | instid1(VALU_DEP_2)
	v_fmac_f32_e32 v58, v61, v57
	v_add_f32_e32 v9, v9, v56
	v_add_f32_e32 v63, v62, v58
	s_delay_alu instid0(VALU_DEP_1) | instskip(SKIP_1) | instid1(VALU_DEP_2)
	v_sub_f32_e32 v64, v60, v63
	v_sub_f32_e32 v56, v63, v62
	;; [unrolled: 1-line block ×3, first 2 shown]
	s_delay_alu instid0(VALU_DEP_2) | instskip(NEXT) | instid1(VALU_DEP_2)
	v_sub_f32_e32 v56, v56, v58
	v_sub_f32_e32 v60, v60, v63
	s_delay_alu instid0(VALU_DEP_1) | instskip(NEXT) | instid1(VALU_DEP_1)
	v_add_f32_e32 v9, v9, v60
	v_add_f32_e32 v9, v56, v9
	s_delay_alu instid0(VALU_DEP_1) | instskip(NEXT) | instid1(VALU_DEP_1)
	v_add_f32_e32 v56, v64, v9
	v_mul_f32_e32 v58, v55, v56
	s_delay_alu instid0(VALU_DEP_1) | instskip(NEXT) | instid1(VALU_DEP_1)
	v_dual_sub_f32 v63, v64, v56 :: v_dual_mul_f32 v60, v59, v58
	v_add_f32_e32 v9, v9, v63
	s_delay_alu instid0(VALU_DEP_2) | instskip(NEXT) | instid1(VALU_DEP_1)
	v_fma_f32 v59, v58, v59, -v60
	v_fmac_f32_e32 v59, v58, v57
	s_delay_alu instid0(VALU_DEP_1) | instskip(NEXT) | instid1(VALU_DEP_1)
	v_add_f32_e32 v57, v60, v59
	v_sub_f32_e32 v62, v56, v57
	s_delay_alu instid0(VALU_DEP_1) | instskip(NEXT) | instid1(VALU_DEP_1)
	v_sub_f32_e32 v56, v56, v62
	v_sub_f32_e32 v56, v56, v57
	s_delay_alu instid0(VALU_DEP_1) | instskip(SKIP_2) | instid1(VALU_DEP_1)
	v_add_f32_e32 v9, v9, v56
	v_add_f32_e32 v56, v61, v58
	v_sub_f32_e32 v60, v57, v60
	v_sub_f32_e32 v57, v60, v59
	s_delay_alu instid0(VALU_DEP_1) | instskip(NEXT) | instid1(VALU_DEP_4)
	v_add_f32_e32 v9, v57, v9
	v_sub_f32_e32 v57, v56, v61
	s_delay_alu instid0(VALU_DEP_2) | instskip(NEXT) | instid1(VALU_DEP_2)
	v_add_f32_e32 v9, v62, v9
	v_sub_f32_e32 v57, v58, v57
	s_delay_alu instid0(VALU_DEP_2) | instskip(NEXT) | instid1(VALU_DEP_1)
	v_mul_f32_e32 v9, v55, v9
	v_add_f32_e32 v9, v57, v9
	s_delay_alu instid0(VALU_DEP_1) | instskip(NEXT) | instid1(VALU_DEP_1)
	v_add_f32_e32 v55, v56, v9
	v_mul_f32_e32 v57, v55, v55
	s_delay_alu instid0(VALU_DEP_1) | instskip(SKIP_1) | instid1(VALU_DEP_2)
	v_fmaak_f32 v58, s66, v57, 0x3ecc95a3
	v_mul_f32_e32 v59, v55, v57
	v_fmaak_f32 v57, v57, v58, 0x3f2aaada
	v_ldexp_f32 v58, v55, 1
	v_sub_f32_e32 v55, v55, v56
	s_delay_alu instid0(VALU_DEP_3) | instskip(SKIP_1) | instid1(VALU_DEP_2)
	v_mul_f32_e32 v57, v59, v57
	v_mul_f32_e32 v59, 0x3f317218, v8
	v_dual_sub_f32 v9, v9, v55 :: v_dual_add_f32 v56, v58, v57
	s_delay_alu instid0(VALU_DEP_1) | instskip(NEXT) | instid1(VALU_DEP_2)
	v_ldexp_f32 v9, v9, 1
	v_sub_f32_e32 v55, v56, v58
	s_delay_alu instid0(VALU_DEP_4) | instskip(NEXT) | instid1(VALU_DEP_1)
	v_fma_f32 v58, 0x3f317218, v8, -v59
	v_dual_sub_f32 v55, v57, v55 :: v_dual_fmac_f32 v58, 0xb102e308, v8
	s_delay_alu instid0(VALU_DEP_1) | instskip(NEXT) | instid1(VALU_DEP_1)
	v_dual_add_f32 v8, v9, v55 :: v_dual_add_f32 v9, v59, v58
	v_add_f32_e32 v55, v56, v8
	s_delay_alu instid0(VALU_DEP_2) | instskip(NEXT) | instid1(VALU_DEP_2)
	v_sub_f32_e32 v59, v9, v59
	v_dual_add_f32 v57, v9, v55 :: v_dual_sub_f32 v56, v55, v56
	s_delay_alu instid0(VALU_DEP_2) | instskip(NEXT) | instid1(VALU_DEP_2)
	v_sub_f32_e32 v58, v58, v59
	v_sub_f32_e32 v60, v57, v9
	s_delay_alu instid0(VALU_DEP_3) | instskip(NEXT) | instid1(VALU_DEP_2)
	v_sub_f32_e32 v8, v8, v56
	v_sub_f32_e32 v61, v57, v60
	;; [unrolled: 1-line block ×3, first 2 shown]
	s_delay_alu instid0(VALU_DEP_2) | instskip(NEXT) | instid1(VALU_DEP_1)
	v_dual_add_f32 v56, v58, v8 :: v_dual_sub_f32 v9, v9, v61
	v_add_f32_e32 v9, v55, v9
	s_delay_alu instid0(VALU_DEP_2) | instskip(NEXT) | instid1(VALU_DEP_2)
	v_sub_f32_e32 v55, v56, v58
	v_add_f32_e32 v9, v56, v9
	s_delay_alu instid0(VALU_DEP_2) | instskip(NEXT) | instid1(VALU_DEP_2)
	v_sub_f32_e32 v56, v56, v55
	v_dual_sub_f32 v8, v8, v55 :: v_dual_add_f32 v59, v57, v9
	s_delay_alu instid0(VALU_DEP_1) | instskip(NEXT) | instid1(VALU_DEP_1)
	v_dual_sub_f32 v56, v58, v56 :: v_dual_sub_f32 v55, v59, v57
	v_dual_add_f32 v8, v8, v56 :: v_dual_sub_f32 v9, v9, v55
	s_delay_alu instid0(VALU_DEP_1) | instskip(NEXT) | instid1(VALU_DEP_1)
	v_add_f32_e32 v8, v8, v9
	v_add_f32_e32 v8, v59, v8
	s_delay_alu instid0(VALU_DEP_1)
	v_cndmask_b32_e32 v55, v8, v4, vcc_lo
.LBB77_48:                              ;   in Loop: Header=BB77_12 Depth=1
	s_or_b32 exec_lo, exec_lo, s21
	v_lshrrev_b32_e32 v4, 16, v5
	s_delay_alu instid0(VALU_DEP_1) | instskip(NEXT) | instid1(VALU_DEP_1)
	v_cvt_f32_f16_e32 v4, v4
	v_add_f32_e32 v56, s54, v4
	s_delay_alu instid0(VALU_DEP_1) | instskip(SKIP_1) | instid1(SALU_CYCLE_1)
	v_cmp_ge_f32_e32 vcc_lo, 0x41a00000, v56
	s_and_b32 s20, s62, vcc_lo
	s_and_saveexec_b32 s21, s20
	s_cbranch_execz .LBB77_50
; %bb.49:                               ;   in Loop: Header=BB77_12 Depth=1
	v_mul_f32_e32 v4, 0x3fb8aa3b, v56
	v_cmp_ngt_f32_e32 vcc_lo, 0xc2ce8ed0, v56
	s_delay_alu instid0(VALU_DEP_2) | instskip(SKIP_1) | instid1(VALU_DEP_2)
	v_rndne_f32_e32 v5, v4
	v_fma_f32 v8, 0x3fb8aa3b, v56, -v4
	v_sub_f32_e32 v4, v4, v5
	s_delay_alu instid0(VALU_DEP_2) | instskip(SKIP_1) | instid1(VALU_DEP_2)
	v_fmac_f32_e32 v8, 0x32a5705f, v56
	v_cvt_i32_f32_e32 v5, v5
	v_add_f32_e32 v4, v4, v8
	s_delay_alu instid0(VALU_DEP_1) | instskip(SKIP_2) | instid1(VALU_DEP_1)
	v_exp_f32_e32 v4, v4
	s_waitcnt_depctr 0xfff
	v_ldexp_f32 v4, v4, v5
	v_cndmask_b32_e32 v4, 0, v4, vcc_lo
	v_cmp_nlt_f32_e32 vcc_lo, 0x42b17218, v56
	s_delay_alu instid0(VALU_DEP_2) | instskip(NEXT) | instid1(VALU_DEP_1)
	v_cndmask_b32_e32 v8, 0x7f800000, v4, vcc_lo
	v_add_f32_e32 v9, 1.0, v8
	s_delay_alu instid0(VALU_DEP_1) | instskip(NEXT) | instid1(VALU_DEP_1)
	v_cvt_f64_f32_e32 v[4:5], v9
	v_frexp_exp_i32_f64_e32 v4, v[4:5]
	v_frexp_mant_f32_e32 v5, v9
	s_delay_alu instid0(VALU_DEP_1) | instskip(SKIP_1) | instid1(VALU_DEP_1)
	v_cmp_gt_f32_e32 vcc_lo, 0x3f2aaaab, v5
	v_add_f32_e32 v5, -1.0, v9
	v_sub_f32_e32 v57, v5, v9
	v_sub_f32_e32 v5, v8, v5
	s_delay_alu instid0(VALU_DEP_2) | instskip(NEXT) | instid1(VALU_DEP_1)
	v_add_f32_e32 v57, 1.0, v57
	v_add_f32_e32 v5, v5, v57
	v_cmp_gt_f32_e64 s20, 0x33800000, v8
	v_subrev_co_ci_u32_e32 v4, vcc_lo, 0, v4, vcc_lo
	v_cmp_eq_f32_e32 vcc_lo, 0x7f800000, v8
	s_delay_alu instid0(VALU_DEP_2) | instskip(SKIP_2) | instid1(VALU_DEP_2)
	v_sub_nc_u32_e32 v56, 0, v4
	v_cvt_f32_i32_e32 v4, v4
	s_or_b32 vcc_lo, s20, vcc_lo
	v_ldexp_f32 v9, v9, v56
	v_ldexp_f32 v5, v5, v56
	s_delay_alu instid0(VALU_DEP_2) | instskip(NEXT) | instid1(VALU_DEP_1)
	v_add_f32_e32 v56, -1.0, v9
	v_dual_add_f32 v58, 1.0, v9 :: v_dual_add_f32 v59, 1.0, v56
	s_delay_alu instid0(VALU_DEP_1) | instskip(NEXT) | instid1(VALU_DEP_1)
	v_add_f32_e32 v57, -1.0, v58
	v_sub_f32_e32 v57, v9, v57
	s_delay_alu instid0(VALU_DEP_3) | instskip(NEXT) | instid1(VALU_DEP_2)
	v_sub_f32_e32 v9, v9, v59
	v_add_f32_e32 v57, v5, v57
	s_delay_alu instid0(VALU_DEP_2) | instskip(NEXT) | instid1(VALU_DEP_1)
	v_add_f32_e32 v5, v5, v9
	v_add_f32_e32 v60, v56, v5
	s_delay_alu instid0(VALU_DEP_1) | instskip(NEXT) | instid1(VALU_DEP_1)
	v_dual_add_f32 v59, v58, v57 :: v_dual_sub_f32 v56, v56, v60
	v_rcp_f32_e32 v9, v59
	v_sub_f32_e32 v58, v58, v59
	s_delay_alu instid0(VALU_DEP_1) | instskip(SKIP_2) | instid1(VALU_DEP_1)
	v_add_f32_e32 v57, v57, v58
	s_waitcnt_depctr 0xfff
	v_mul_f32_e32 v61, v60, v9
	v_mul_f32_e32 v62, v59, v61
	s_delay_alu instid0(VALU_DEP_1) | instskip(NEXT) | instid1(VALU_DEP_1)
	v_fma_f32 v58, v61, v59, -v62
	v_fmac_f32_e32 v58, v61, v57
	s_delay_alu instid0(VALU_DEP_1) | instskip(NEXT) | instid1(VALU_DEP_1)
	v_add_f32_e32 v63, v62, v58
	v_sub_f32_e32 v64, v60, v63
	s_delay_alu instid0(VALU_DEP_1) | instskip(SKIP_1) | instid1(VALU_DEP_2)
	v_sub_f32_e32 v60, v60, v64
	v_dual_add_f32 v5, v5, v56 :: v_dual_sub_f32 v56, v63, v62
	v_sub_f32_e32 v60, v60, v63
	s_delay_alu instid0(VALU_DEP_1) | instskip(NEXT) | instid1(VALU_DEP_1)
	v_dual_sub_f32 v56, v56, v58 :: v_dual_add_f32 v5, v5, v60
	v_add_f32_e32 v5, v56, v5
	s_delay_alu instid0(VALU_DEP_1) | instskip(NEXT) | instid1(VALU_DEP_1)
	v_add_f32_e32 v56, v64, v5
	v_mul_f32_e32 v58, v9, v56
	s_delay_alu instid0(VALU_DEP_1) | instskip(NEXT) | instid1(VALU_DEP_1)
	v_dual_sub_f32 v63, v64, v56 :: v_dual_mul_f32 v60, v59, v58
	v_add_f32_e32 v5, v5, v63
	s_delay_alu instid0(VALU_DEP_2) | instskip(NEXT) | instid1(VALU_DEP_1)
	v_fma_f32 v59, v58, v59, -v60
	v_fmac_f32_e32 v59, v58, v57
	s_delay_alu instid0(VALU_DEP_1) | instskip(NEXT) | instid1(VALU_DEP_1)
	v_add_f32_e32 v57, v60, v59
	v_sub_f32_e32 v62, v56, v57
	s_delay_alu instid0(VALU_DEP_1) | instskip(NEXT) | instid1(VALU_DEP_1)
	v_sub_f32_e32 v56, v56, v62
	v_sub_f32_e32 v56, v56, v57
	s_delay_alu instid0(VALU_DEP_1) | instskip(SKIP_2) | instid1(VALU_DEP_1)
	v_add_f32_e32 v5, v5, v56
	v_add_f32_e32 v56, v61, v58
	v_sub_f32_e32 v60, v57, v60
	v_sub_f32_e32 v57, v60, v59
	s_delay_alu instid0(VALU_DEP_1) | instskip(NEXT) | instid1(VALU_DEP_4)
	v_add_f32_e32 v5, v57, v5
	v_sub_f32_e32 v57, v56, v61
	s_delay_alu instid0(VALU_DEP_2) | instskip(NEXT) | instid1(VALU_DEP_2)
	v_add_f32_e32 v5, v62, v5
	v_sub_f32_e32 v57, v58, v57
	s_delay_alu instid0(VALU_DEP_2) | instskip(NEXT) | instid1(VALU_DEP_1)
	v_mul_f32_e32 v5, v9, v5
	v_add_f32_e32 v5, v57, v5
	s_delay_alu instid0(VALU_DEP_1) | instskip(NEXT) | instid1(VALU_DEP_1)
	v_add_f32_e32 v9, v56, v5
	v_mul_f32_e32 v57, v9, v9
	s_delay_alu instid0(VALU_DEP_1) | instskip(SKIP_1) | instid1(VALU_DEP_2)
	v_fmaak_f32 v58, s66, v57, 0x3ecc95a3
	v_mul_f32_e32 v59, v9, v57
	v_fmaak_f32 v57, v57, v58, 0x3f2aaada
	v_ldexp_f32 v58, v9, 1
	s_delay_alu instid0(VALU_DEP_2) | instskip(NEXT) | instid1(VALU_DEP_1)
	v_mul_f32_e32 v57, v59, v57
	v_dual_sub_f32 v9, v9, v56 :: v_dual_add_f32 v56, v58, v57
	s_delay_alu instid0(VALU_DEP_1) | instskip(NEXT) | instid1(VALU_DEP_2)
	v_sub_f32_e32 v5, v5, v9
	v_sub_f32_e32 v9, v56, v58
	s_delay_alu instid0(VALU_DEP_2) | instskip(NEXT) | instid1(VALU_DEP_2)
	v_ldexp_f32 v5, v5, 1
	v_sub_f32_e32 v9, v57, v9
	v_mul_f32_e32 v59, 0x3f317218, v4
	s_delay_alu instid0(VALU_DEP_1) | instskip(NEXT) | instid1(VALU_DEP_1)
	v_fma_f32 v58, 0x3f317218, v4, -v59
	v_fmac_f32_e32 v58, 0xb102e308, v4
	s_delay_alu instid0(VALU_DEP_1) | instskip(NEXT) | instid1(VALU_DEP_1)
	v_dual_add_f32 v4, v5, v9 :: v_dual_add_f32 v5, v59, v58
	v_add_f32_e32 v9, v56, v4
	s_delay_alu instid0(VALU_DEP_1) | instskip(SKIP_1) | instid1(VALU_DEP_2)
	v_add_f32_e32 v57, v5, v9
	v_sub_f32_e32 v56, v9, v56
	v_sub_f32_e32 v60, v57, v5
	s_delay_alu instid0(VALU_DEP_2) | instskip(NEXT) | instid1(VALU_DEP_2)
	v_dual_sub_f32 v4, v4, v56 :: v_dual_sub_f32 v59, v5, v59
	v_sub_f32_e32 v61, v57, v60
	s_delay_alu instid0(VALU_DEP_2) | instskip(NEXT) | instid1(VALU_DEP_1)
	v_dual_sub_f32 v9, v9, v60 :: v_dual_sub_f32 v58, v58, v59
	v_dual_sub_f32 v5, v5, v61 :: v_dual_add_f32 v56, v58, v4
	s_delay_alu instid0(VALU_DEP_1) | instskip(NEXT) | instid1(VALU_DEP_2)
	v_add_f32_e32 v5, v9, v5
	v_sub_f32_e32 v9, v56, v58
	s_delay_alu instid0(VALU_DEP_2) | instskip(NEXT) | instid1(VALU_DEP_2)
	v_add_f32_e32 v5, v56, v5
	v_sub_f32_e32 v56, v56, v9
	v_sub_f32_e32 v4, v4, v9
	s_delay_alu instid0(VALU_DEP_2) | instskip(NEXT) | instid1(VALU_DEP_1)
	v_dual_add_f32 v59, v57, v5 :: v_dual_sub_f32 v56, v58, v56
	v_dual_sub_f32 v9, v59, v57 :: v_dual_add_f32 v4, v4, v56
	s_delay_alu instid0(VALU_DEP_1) | instskip(NEXT) | instid1(VALU_DEP_1)
	v_sub_f32_e32 v5, v5, v9
	v_add_f32_e32 v4, v4, v5
	s_delay_alu instid0(VALU_DEP_1) | instskip(NEXT) | instid1(VALU_DEP_1)
	v_add_f32_e32 v4, v59, v4
	v_cndmask_b32_e32 v56, v4, v8, vcc_lo
.LBB77_50:                              ;   in Loop: Header=BB77_12 Depth=1
	s_or_b32 exec_lo, exec_lo, s21
	v_cvt_f32_f16_e32 v4, v6
	s_delay_alu instid0(VALU_DEP_1) | instskip(NEXT) | instid1(VALU_DEP_1)
	v_add_f32_e32 v65, s54, v4
	v_cmp_ge_f32_e32 vcc_lo, 0x41a00000, v65
	s_and_b32 s20, s62, vcc_lo
	s_delay_alu instid0(SALU_CYCLE_1)
	s_and_saveexec_b32 s21, s20
	s_cbranch_execz .LBB77_52
; %bb.51:                               ;   in Loop: Header=BB77_12 Depth=1
	v_mul_f32_e32 v4, 0x3fb8aa3b, v65
	v_cmp_ngt_f32_e32 vcc_lo, 0xc2ce8ed0, v65
	s_delay_alu instid0(VALU_DEP_2) | instskip(SKIP_1) | instid1(VALU_DEP_2)
	v_rndne_f32_e32 v5, v4
	v_fma_f32 v8, 0x3fb8aa3b, v65, -v4
	v_sub_f32_e32 v4, v4, v5
	s_delay_alu instid0(VALU_DEP_2) | instskip(SKIP_1) | instid1(VALU_DEP_2)
	v_fmac_f32_e32 v8, 0x32a5705f, v65
	v_cvt_i32_f32_e32 v5, v5
	v_add_f32_e32 v4, v4, v8
	s_delay_alu instid0(VALU_DEP_1) | instskip(SKIP_2) | instid1(VALU_DEP_1)
	v_exp_f32_e32 v4, v4
	s_waitcnt_depctr 0xfff
	v_ldexp_f32 v4, v4, v5
	v_cndmask_b32_e32 v4, 0, v4, vcc_lo
	v_cmp_nlt_f32_e32 vcc_lo, 0x42b17218, v65
	s_delay_alu instid0(VALU_DEP_2) | instskip(NEXT) | instid1(VALU_DEP_1)
	v_cndmask_b32_e32 v8, 0x7f800000, v4, vcc_lo
	v_add_f32_e32 v9, 1.0, v8
	s_delay_alu instid0(VALU_DEP_1) | instskip(NEXT) | instid1(VALU_DEP_1)
	v_cvt_f64_f32_e32 v[4:5], v9
	v_frexp_exp_i32_f64_e32 v4, v[4:5]
	v_frexp_mant_f32_e32 v5, v9
	s_delay_alu instid0(VALU_DEP_1) | instskip(SKIP_1) | instid1(VALU_DEP_1)
	v_cmp_gt_f32_e32 vcc_lo, 0x3f2aaaab, v5
	v_add_f32_e32 v5, -1.0, v9
	v_sub_f32_e32 v58, v5, v9
	v_subrev_co_ci_u32_e32 v4, vcc_lo, 0, v4, vcc_lo
	s_delay_alu instid0(VALU_DEP_1) | instskip(SKIP_1) | instid1(VALU_DEP_2)
	v_sub_nc_u32_e32 v57, 0, v4
	v_cvt_f32_i32_e32 v4, v4
	v_ldexp_f32 v9, v9, v57
	s_delay_alu instid0(VALU_DEP_1) | instskip(SKIP_3) | instid1(VALU_DEP_3)
	v_dual_add_f32 v58, 1.0, v58 :: v_dual_add_f32 v59, 1.0, v9
	v_sub_f32_e32 v5, v8, v5
	v_cmp_eq_f32_e32 vcc_lo, 0x7f800000, v8
	v_cmp_gt_f32_e64 s20, 0x33800000, v8
	v_add_f32_e32 v5, v5, v58
	s_delay_alu instid0(VALU_DEP_2) | instskip(NEXT) | instid1(VALU_DEP_1)
	s_or_b32 vcc_lo, s20, vcc_lo
	v_ldexp_f32 v5, v5, v57
	v_dual_add_f32 v57, -1.0, v9 :: v_dual_add_f32 v58, -1.0, v59
	s_delay_alu instid0(VALU_DEP_1) | instskip(NEXT) | instid1(VALU_DEP_2)
	v_add_f32_e32 v60, 1.0, v57
	v_sub_f32_e32 v58, v9, v58
	s_delay_alu instid0(VALU_DEP_2) | instskip(NEXT) | instid1(VALU_DEP_2)
	v_sub_f32_e32 v9, v9, v60
	v_add_f32_e32 v58, v5, v58
	s_delay_alu instid0(VALU_DEP_1) | instskip(NEXT) | instid1(VALU_DEP_1)
	v_dual_add_f32 v5, v5, v9 :: v_dual_add_f32 v60, v59, v58
	v_add_f32_e32 v61, v57, v5
	s_delay_alu instid0(VALU_DEP_2) | instskip(SKIP_1) | instid1(VALU_DEP_1)
	v_rcp_f32_e32 v9, v60
	v_sub_f32_e32 v59, v59, v60
	v_dual_sub_f32 v57, v57, v61 :: v_dual_add_f32 v58, v58, v59
	s_delay_alu instid0(VALU_DEP_1) | instskip(SKIP_2) | instid1(VALU_DEP_1)
	v_add_f32_e32 v5, v5, v57
	s_waitcnt_depctr 0xfff
	v_mul_f32_e32 v62, v61, v9
	v_mul_f32_e32 v63, v60, v62
	s_delay_alu instid0(VALU_DEP_1) | instskip(NEXT) | instid1(VALU_DEP_1)
	v_fma_f32 v59, v62, v60, -v63
	v_fmac_f32_e32 v59, v62, v58
	s_delay_alu instid0(VALU_DEP_1) | instskip(NEXT) | instid1(VALU_DEP_1)
	v_add_f32_e32 v64, v63, v59
	v_sub_f32_e32 v65, v61, v64
	v_sub_f32_e32 v57, v64, v63
	s_delay_alu instid0(VALU_DEP_2) | instskip(NEXT) | instid1(VALU_DEP_2)
	v_sub_f32_e32 v61, v61, v65
	v_sub_f32_e32 v57, v57, v59
	s_delay_alu instid0(VALU_DEP_2) | instskip(NEXT) | instid1(VALU_DEP_1)
	v_sub_f32_e32 v61, v61, v64
	v_add_f32_e32 v5, v5, v61
	s_delay_alu instid0(VALU_DEP_1) | instskip(NEXT) | instid1(VALU_DEP_1)
	v_add_f32_e32 v5, v57, v5
	v_add_f32_e32 v57, v65, v5
	s_delay_alu instid0(VALU_DEP_1) | instskip(NEXT) | instid1(VALU_DEP_1)
	v_mul_f32_e32 v59, v9, v57
	v_mul_f32_e32 v61, v60, v59
	s_delay_alu instid0(VALU_DEP_1) | instskip(NEXT) | instid1(VALU_DEP_1)
	v_fma_f32 v60, v59, v60, -v61
	v_fmac_f32_e32 v60, v59, v58
	v_sub_f32_e32 v64, v65, v57
	s_delay_alu instid0(VALU_DEP_2) | instskip(NEXT) | instid1(VALU_DEP_2)
	v_add_f32_e32 v58, v61, v60
	v_add_f32_e32 v5, v5, v64
	s_delay_alu instid0(VALU_DEP_2) | instskip(NEXT) | instid1(VALU_DEP_1)
	v_sub_f32_e32 v63, v57, v58
	v_sub_f32_e32 v57, v57, v63
	s_delay_alu instid0(VALU_DEP_1) | instskip(NEXT) | instid1(VALU_DEP_1)
	v_sub_f32_e32 v57, v57, v58
	v_add_f32_e32 v5, v5, v57
	v_add_f32_e32 v57, v62, v59
	v_sub_f32_e32 v61, v58, v61
	s_delay_alu instid0(VALU_DEP_1) | instskip(NEXT) | instid1(VALU_DEP_1)
	v_sub_f32_e32 v58, v61, v60
	v_dual_add_f32 v5, v58, v5 :: v_dual_sub_f32 v58, v57, v62
	s_delay_alu instid0(VALU_DEP_1) | instskip(NEXT) | instid1(VALU_DEP_1)
	v_add_f32_e32 v5, v63, v5
	v_dual_sub_f32 v58, v59, v58 :: v_dual_mul_f32 v5, v9, v5
	s_delay_alu instid0(VALU_DEP_1) | instskip(NEXT) | instid1(VALU_DEP_1)
	v_add_f32_e32 v5, v58, v5
	v_add_f32_e32 v9, v57, v5
	s_delay_alu instid0(VALU_DEP_1) | instskip(NEXT) | instid1(VALU_DEP_1)
	v_mul_f32_e32 v58, v9, v9
	v_fmaak_f32 v59, s66, v58, 0x3ecc95a3
	v_mul_f32_e32 v60, v9, v58
	s_delay_alu instid0(VALU_DEP_2) | instskip(SKIP_1) | instid1(VALU_DEP_2)
	v_fmaak_f32 v58, v58, v59, 0x3f2aaada
	v_ldexp_f32 v59, v9, 1
	v_dual_sub_f32 v9, v9, v57 :: v_dual_mul_f32 v58, v60, v58
	s_delay_alu instid0(VALU_DEP_1) | instskip(NEXT) | instid1(VALU_DEP_2)
	v_dual_mul_f32 v60, 0x3f317218, v4 :: v_dual_sub_f32 v5, v5, v9
	v_add_f32_e32 v57, v59, v58
	s_delay_alu instid0(VALU_DEP_2) | instskip(NEXT) | instid1(VALU_DEP_2)
	v_ldexp_f32 v5, v5, 1
	v_sub_f32_e32 v9, v57, v59
	s_delay_alu instid0(VALU_DEP_4) | instskip(NEXT) | instid1(VALU_DEP_2)
	v_fma_f32 v59, 0x3f317218, v4, -v60
	v_sub_f32_e32 v9, v58, v9
	s_delay_alu instid0(VALU_DEP_1) | instskip(NEXT) | instid1(VALU_DEP_1)
	v_dual_fmac_f32 v59, 0xb102e308, v4 :: v_dual_add_f32 v4, v5, v9
	v_add_f32_e32 v5, v60, v59
	s_delay_alu instid0(VALU_DEP_2) | instskip(NEXT) | instid1(VALU_DEP_2)
	v_add_f32_e32 v9, v57, v4
	v_sub_f32_e32 v60, v5, v60
	s_delay_alu instid0(VALU_DEP_1) | instskip(SKIP_1) | instid1(VALU_DEP_2)
	v_dual_add_f32 v58, v5, v9 :: v_dual_sub_f32 v59, v59, v60
	v_sub_f32_e32 v57, v9, v57
	v_sub_f32_e32 v61, v58, v5
	s_delay_alu instid0(VALU_DEP_2) | instskip(NEXT) | instid1(VALU_DEP_2)
	v_sub_f32_e32 v4, v4, v57
	v_sub_f32_e32 v62, v58, v61
	;; [unrolled: 1-line block ×3, first 2 shown]
	s_delay_alu instid0(VALU_DEP_3) | instskip(NEXT) | instid1(VALU_DEP_3)
	v_add_f32_e32 v57, v59, v4
	v_sub_f32_e32 v5, v5, v62
	s_delay_alu instid0(VALU_DEP_1) | instskip(NEXT) | instid1(VALU_DEP_3)
	v_add_f32_e32 v5, v9, v5
	v_sub_f32_e32 v9, v57, v59
	s_delay_alu instid0(VALU_DEP_2) | instskip(NEXT) | instid1(VALU_DEP_2)
	v_add_f32_e32 v5, v57, v5
	v_sub_f32_e32 v57, v57, v9
	v_sub_f32_e32 v4, v4, v9
	s_delay_alu instid0(VALU_DEP_3) | instskip(NEXT) | instid1(VALU_DEP_3)
	v_add_f32_e32 v60, v58, v5
	v_sub_f32_e32 v57, v59, v57
	s_delay_alu instid0(VALU_DEP_2) | instskip(NEXT) | instid1(VALU_DEP_2)
	v_sub_f32_e32 v9, v60, v58
	v_add_f32_e32 v4, v4, v57
	s_delay_alu instid0(VALU_DEP_2) | instskip(NEXT) | instid1(VALU_DEP_1)
	v_sub_f32_e32 v5, v5, v9
	v_add_f32_e32 v4, v4, v5
	s_delay_alu instid0(VALU_DEP_1) | instskip(NEXT) | instid1(VALU_DEP_1)
	v_add_f32_e32 v4, v60, v4
	v_cndmask_b32_e32 v65, v4, v8, vcc_lo
.LBB77_52:                              ;   in Loop: Header=BB77_12 Depth=1
	s_or_b32 exec_lo, exec_lo, s21
	v_lshrrev_b32_e32 v4, 16, v6
	s_delay_alu instid0(VALU_DEP_1) | instskip(NEXT) | instid1(VALU_DEP_1)
	v_cvt_f32_f16_e32 v4, v4
	v_add_f32_e32 v66, s54, v4
	s_delay_alu instid0(VALU_DEP_1) | instskip(SKIP_1) | instid1(SALU_CYCLE_1)
	v_cmp_ge_f32_e32 vcc_lo, 0x41a00000, v66
	s_and_b32 s20, s62, vcc_lo
	s_and_saveexec_b32 s21, s20
	s_cbranch_execz .LBB77_54
; %bb.53:                               ;   in Loop: Header=BB77_12 Depth=1
	v_mul_f32_e32 v4, 0x3fb8aa3b, v66
	v_cmp_ngt_f32_e32 vcc_lo, 0xc2ce8ed0, v66
	s_delay_alu instid0(VALU_DEP_2) | instskip(SKIP_1) | instid1(VALU_DEP_2)
	v_rndne_f32_e32 v5, v4
	v_fma_f32 v6, 0x3fb8aa3b, v66, -v4
	v_sub_f32_e32 v4, v4, v5
	s_delay_alu instid0(VALU_DEP_2) | instskip(SKIP_1) | instid1(VALU_DEP_2)
	v_fmac_f32_e32 v6, 0x32a5705f, v66
	v_cvt_i32_f32_e32 v5, v5
	v_add_f32_e32 v4, v4, v6
	s_delay_alu instid0(VALU_DEP_1) | instskip(SKIP_2) | instid1(VALU_DEP_1)
	v_exp_f32_e32 v4, v4
	s_waitcnt_depctr 0xfff
	v_ldexp_f32 v4, v4, v5
	v_cndmask_b32_e32 v4, 0, v4, vcc_lo
	v_cmp_nlt_f32_e32 vcc_lo, 0x42b17218, v66
	s_delay_alu instid0(VALU_DEP_2) | instskip(NEXT) | instid1(VALU_DEP_1)
	v_cndmask_b32_e32 v6, 0x7f800000, v4, vcc_lo
	v_add_f32_e32 v8, 1.0, v6
	s_delay_alu instid0(VALU_DEP_1) | instskip(NEXT) | instid1(VALU_DEP_1)
	v_cvt_f64_f32_e32 v[4:5], v8
	v_frexp_exp_i32_f64_e32 v4, v[4:5]
	v_frexp_mant_f32_e32 v5, v8
	s_delay_alu instid0(VALU_DEP_1) | instskip(SKIP_1) | instid1(VALU_DEP_1)
	v_cmp_gt_f32_e32 vcc_lo, 0x3f2aaaab, v5
	v_add_f32_e32 v5, -1.0, v8
	v_sub_f32_e32 v57, v5, v8
	v_sub_f32_e32 v5, v6, v5
	s_delay_alu instid0(VALU_DEP_2) | instskip(NEXT) | instid1(VALU_DEP_1)
	v_add_f32_e32 v57, 1.0, v57
	v_add_f32_e32 v5, v5, v57
	v_subrev_co_ci_u32_e32 v4, vcc_lo, 0, v4, vcc_lo
	s_delay_alu instid0(VALU_DEP_1) | instskip(SKIP_1) | instid1(VALU_DEP_2)
	v_sub_nc_u32_e32 v9, 0, v4
	v_cvt_f32_i32_e32 v4, v4
	v_ldexp_f32 v8, v8, v9
	v_ldexp_f32 v5, v5, v9
	s_delay_alu instid0(VALU_DEP_2) | instskip(SKIP_1) | instid1(VALU_DEP_2)
	v_add_f32_e32 v58, 1.0, v8
	v_add_f32_e32 v9, -1.0, v8
	v_add_f32_e32 v57, -1.0, v58
	s_delay_alu instid0(VALU_DEP_2) | instskip(SKIP_2) | instid1(VALU_DEP_4)
	v_add_f32_e32 v59, 1.0, v9
	v_cmp_eq_f32_e32 vcc_lo, 0x7f800000, v6
	v_cmp_gt_f32_e64 s20, 0x33800000, v6
	v_sub_f32_e32 v57, v8, v57
	s_delay_alu instid0(VALU_DEP_4) | instskip(NEXT) | instid1(VALU_DEP_3)
	v_sub_f32_e32 v8, v8, v59
	s_or_b32 vcc_lo, s20, vcc_lo
	s_delay_alu instid0(VALU_DEP_2) | instskip(NEXT) | instid1(VALU_DEP_2)
	v_add_f32_e32 v57, v5, v57
	v_add_f32_e32 v5, v5, v8
	s_delay_alu instid0(VALU_DEP_1) | instskip(NEXT) | instid1(VALU_DEP_3)
	v_add_f32_e32 v60, v9, v5
	v_add_f32_e32 v59, v58, v57
	s_delay_alu instid0(VALU_DEP_1) | instskip(SKIP_1) | instid1(VALU_DEP_1)
	v_rcp_f32_e32 v8, v59
	v_sub_f32_e32 v58, v58, v59
	v_add_f32_e32 v57, v57, v58
	s_waitcnt_depctr 0xfff
	v_mul_f32_e32 v61, v60, v8
	s_delay_alu instid0(VALU_DEP_1) | instskip(NEXT) | instid1(VALU_DEP_1)
	v_mul_f32_e32 v62, v59, v61
	v_fma_f32 v58, v61, v59, -v62
	s_delay_alu instid0(VALU_DEP_1) | instskip(NEXT) | instid1(VALU_DEP_1)
	v_fmac_f32_e32 v58, v61, v57
	v_add_f32_e32 v63, v62, v58
	s_delay_alu instid0(VALU_DEP_1) | instskip(NEXT) | instid1(VALU_DEP_1)
	v_dual_sub_f32 v9, v9, v60 :: v_dual_sub_f32 v64, v60, v63
	v_sub_f32_e32 v60, v60, v64
	s_delay_alu instid0(VALU_DEP_1) | instskip(SKIP_1) | instid1(VALU_DEP_2)
	v_dual_sub_f32 v60, v60, v63 :: v_dual_add_f32 v5, v5, v9
	v_sub_f32_e32 v9, v63, v62
	v_add_f32_e32 v5, v5, v60
	s_delay_alu instid0(VALU_DEP_2) | instskip(NEXT) | instid1(VALU_DEP_1)
	v_sub_f32_e32 v9, v9, v58
	v_add_f32_e32 v5, v9, v5
	s_delay_alu instid0(VALU_DEP_1) | instskip(NEXT) | instid1(VALU_DEP_1)
	v_add_f32_e32 v9, v64, v5
	v_mul_f32_e32 v58, v8, v9
	s_delay_alu instid0(VALU_DEP_1) | instskip(NEXT) | instid1(VALU_DEP_1)
	v_mul_f32_e32 v60, v59, v58
	v_fma_f32 v59, v58, v59, -v60
	s_delay_alu instid0(VALU_DEP_1) | instskip(NEXT) | instid1(VALU_DEP_1)
	v_fmac_f32_e32 v59, v58, v57
	v_add_f32_e32 v57, v60, v59
	s_delay_alu instid0(VALU_DEP_1) | instskip(SKIP_2) | instid1(VALU_DEP_2)
	v_sub_f32_e32 v60, v57, v60
	v_sub_f32_e32 v62, v9, v57
	;; [unrolled: 1-line block ×4, first 2 shown]
	s_delay_alu instid0(VALU_DEP_2) | instskip(NEXT) | instid1(VALU_DEP_2)
	v_add_f32_e32 v5, v5, v63
	v_sub_f32_e32 v9, v9, v57
	v_sub_f32_e32 v57, v60, v59
	s_delay_alu instid0(VALU_DEP_2) | instskip(SKIP_1) | instid1(VALU_DEP_2)
	v_add_f32_e32 v5, v5, v9
	v_add_f32_e32 v9, v61, v58
	v_add_f32_e32 v5, v57, v5
	s_delay_alu instid0(VALU_DEP_2) | instskip(NEXT) | instid1(VALU_DEP_2)
	v_sub_f32_e32 v57, v9, v61
	v_add_f32_e32 v5, v62, v5
	s_delay_alu instid0(VALU_DEP_2) | instskip(NEXT) | instid1(VALU_DEP_2)
	v_sub_f32_e32 v57, v58, v57
	v_mul_f32_e32 v5, v8, v5
	s_delay_alu instid0(VALU_DEP_1) | instskip(NEXT) | instid1(VALU_DEP_1)
	v_add_f32_e32 v5, v57, v5
	v_add_f32_e32 v8, v9, v5
	s_delay_alu instid0(VALU_DEP_1) | instskip(NEXT) | instid1(VALU_DEP_1)
	v_mul_f32_e32 v57, v8, v8
	v_fmaak_f32 v58, s66, v57, 0x3ecc95a3
	v_mul_f32_e32 v59, v8, v57
	s_delay_alu instid0(VALU_DEP_2) | instskip(SKIP_2) | instid1(VALU_DEP_3)
	v_fmaak_f32 v57, v57, v58, 0x3f2aaada
	v_ldexp_f32 v58, v8, 1
	v_sub_f32_e32 v8, v8, v9
	v_mul_f32_e32 v57, v59, v57
	v_mul_f32_e32 v59, 0x3f317218, v4
	s_delay_alu instid0(VALU_DEP_3) | instskip(NEXT) | instid1(VALU_DEP_3)
	v_sub_f32_e32 v5, v5, v8
	v_add_f32_e32 v9, v58, v57
	s_delay_alu instid0(VALU_DEP_2) | instskip(NEXT) | instid1(VALU_DEP_2)
	v_ldexp_f32 v5, v5, 1
	v_sub_f32_e32 v8, v9, v58
	v_fma_f32 v58, 0x3f317218, v4, -v59
	s_delay_alu instid0(VALU_DEP_2) | instskip(NEXT) | instid1(VALU_DEP_2)
	v_sub_f32_e32 v8, v57, v8
	v_fmac_f32_e32 v58, 0xb102e308, v4
	s_delay_alu instid0(VALU_DEP_1) | instskip(NEXT) | instid1(VALU_DEP_1)
	v_dual_add_f32 v4, v5, v8 :: v_dual_add_f32 v5, v59, v58
	v_add_f32_e32 v8, v9, v4
	s_delay_alu instid0(VALU_DEP_1) | instskip(SKIP_1) | instid1(VALU_DEP_2)
	v_add_f32_e32 v57, v5, v8
	v_sub_f32_e32 v9, v8, v9
	v_sub_f32_e32 v60, v57, v5
	s_delay_alu instid0(VALU_DEP_2) | instskip(NEXT) | instid1(VALU_DEP_1)
	v_dual_sub_f32 v59, v5, v59 :: v_dual_sub_f32 v4, v4, v9
	v_dual_sub_f32 v61, v57, v60 :: v_dual_sub_f32 v58, v58, v59
	s_delay_alu instid0(VALU_DEP_1) | instskip(NEXT) | instid1(VALU_DEP_2)
	v_dual_sub_f32 v8, v8, v60 :: v_dual_sub_f32 v5, v5, v61
	v_add_f32_e32 v9, v58, v4
	s_delay_alu instid0(VALU_DEP_1) | instskip(NEXT) | instid1(VALU_DEP_1)
	v_dual_add_f32 v5, v8, v5 :: v_dual_sub_f32 v8, v9, v58
	v_add_f32_e32 v5, v9, v5
	s_delay_alu instid0(VALU_DEP_2) | instskip(NEXT) | instid1(VALU_DEP_2)
	v_sub_f32_e32 v9, v9, v8
	v_dual_sub_f32 v4, v4, v8 :: v_dual_add_f32 v59, v57, v5
	s_delay_alu instid0(VALU_DEP_2) | instskip(NEXT) | instid1(VALU_DEP_2)
	v_sub_f32_e32 v9, v58, v9
	v_sub_f32_e32 v8, v59, v57
	s_delay_alu instid0(VALU_DEP_1) | instskip(NEXT) | instid1(VALU_DEP_1)
	v_dual_add_f32 v4, v4, v9 :: v_dual_sub_f32 v5, v5, v8
	v_add_f32_e32 v4, v4, v5
	s_delay_alu instid0(VALU_DEP_1) | instskip(NEXT) | instid1(VALU_DEP_1)
	v_add_f32_e32 v4, v59, v4
	v_cndmask_b32_e32 v66, v4, v6, vcc_lo
.LBB77_54:                              ;   in Loop: Header=BB77_12 Depth=1
	s_or_b32 exec_lo, exec_lo, s21
	v_cvt_f32_f16_e32 v4, v7
	s_delay_alu instid0(VALU_DEP_1) | instskip(NEXT) | instid1(VALU_DEP_1)
	v_add_f32_e32 v67, s54, v4
	v_cmp_ge_f32_e32 vcc_lo, 0x41a00000, v67
	s_and_b32 s20, s62, vcc_lo
	s_delay_alu instid0(SALU_CYCLE_1)
	s_and_saveexec_b32 s21, s20
	s_cbranch_execz .LBB77_56
; %bb.55:                               ;   in Loop: Header=BB77_12 Depth=1
	v_mul_f32_e32 v4, 0x3fb8aa3b, v67
	v_cmp_ngt_f32_e32 vcc_lo, 0xc2ce8ed0, v67
	s_delay_alu instid0(VALU_DEP_2) | instskip(SKIP_1) | instid1(VALU_DEP_2)
	v_rndne_f32_e32 v5, v4
	v_fma_f32 v6, 0x3fb8aa3b, v67, -v4
	v_sub_f32_e32 v4, v4, v5
	s_delay_alu instid0(VALU_DEP_2) | instskip(SKIP_1) | instid1(VALU_DEP_2)
	v_fmac_f32_e32 v6, 0x32a5705f, v67
	v_cvt_i32_f32_e32 v5, v5
	v_add_f32_e32 v4, v4, v6
	s_delay_alu instid0(VALU_DEP_1) | instskip(SKIP_2) | instid1(VALU_DEP_1)
	v_exp_f32_e32 v4, v4
	s_waitcnt_depctr 0xfff
	v_ldexp_f32 v4, v4, v5
	v_cndmask_b32_e32 v4, 0, v4, vcc_lo
	v_cmp_nlt_f32_e32 vcc_lo, 0x42b17218, v67
	s_delay_alu instid0(VALU_DEP_2) | instskip(NEXT) | instid1(VALU_DEP_1)
	v_cndmask_b32_e32 v6, 0x7f800000, v4, vcc_lo
	v_add_f32_e32 v8, 1.0, v6
	s_delay_alu instid0(VALU_DEP_1) | instskip(NEXT) | instid1(VALU_DEP_1)
	v_cvt_f64_f32_e32 v[4:5], v8
	v_frexp_exp_i32_f64_e32 v4, v[4:5]
	v_frexp_mant_f32_e32 v5, v8
	s_delay_alu instid0(VALU_DEP_1) | instskip(SKIP_1) | instid1(VALU_DEP_1)
	v_cmp_gt_f32_e32 vcc_lo, 0x3f2aaaab, v5
	v_add_f32_e32 v5, -1.0, v8
	v_sub_f32_e32 v57, v5, v8
	v_sub_f32_e32 v5, v6, v5
	s_delay_alu instid0(VALU_DEP_2) | instskip(NEXT) | instid1(VALU_DEP_1)
	v_add_f32_e32 v57, 1.0, v57
	v_add_f32_e32 v5, v5, v57
	v_subrev_co_ci_u32_e32 v4, vcc_lo, 0, v4, vcc_lo
	s_delay_alu instid0(VALU_DEP_1) | instskip(SKIP_1) | instid1(VALU_DEP_2)
	v_sub_nc_u32_e32 v9, 0, v4
	v_cvt_f32_i32_e32 v4, v4
	v_ldexp_f32 v8, v8, v9
	v_ldexp_f32 v5, v5, v9
	s_delay_alu instid0(VALU_DEP_2) | instskip(SKIP_1) | instid1(VALU_DEP_2)
	v_add_f32_e32 v58, 1.0, v8
	v_add_f32_e32 v9, -1.0, v8
	v_add_f32_e32 v57, -1.0, v58
	s_delay_alu instid0(VALU_DEP_2) | instskip(SKIP_2) | instid1(VALU_DEP_4)
	v_add_f32_e32 v59, 1.0, v9
	v_cmp_eq_f32_e32 vcc_lo, 0x7f800000, v6
	v_cmp_gt_f32_e64 s20, 0x33800000, v6
	v_sub_f32_e32 v57, v8, v57
	s_delay_alu instid0(VALU_DEP_4) | instskip(NEXT) | instid1(VALU_DEP_3)
	v_sub_f32_e32 v8, v8, v59
	s_or_b32 vcc_lo, s20, vcc_lo
	s_delay_alu instid0(VALU_DEP_2) | instskip(NEXT) | instid1(VALU_DEP_2)
	v_add_f32_e32 v57, v5, v57
	v_add_f32_e32 v5, v5, v8
	s_delay_alu instid0(VALU_DEP_1) | instskip(NEXT) | instid1(VALU_DEP_3)
	v_add_f32_e32 v60, v9, v5
	v_add_f32_e32 v59, v58, v57
	s_delay_alu instid0(VALU_DEP_1) | instskip(SKIP_1) | instid1(VALU_DEP_1)
	v_rcp_f32_e32 v8, v59
	v_sub_f32_e32 v58, v58, v59
	v_add_f32_e32 v57, v57, v58
	s_waitcnt_depctr 0xfff
	v_mul_f32_e32 v61, v60, v8
	s_delay_alu instid0(VALU_DEP_1) | instskip(NEXT) | instid1(VALU_DEP_1)
	v_mul_f32_e32 v62, v59, v61
	v_fma_f32 v58, v61, v59, -v62
	s_delay_alu instid0(VALU_DEP_1) | instskip(NEXT) | instid1(VALU_DEP_1)
	v_fmac_f32_e32 v58, v61, v57
	v_add_f32_e32 v63, v62, v58
	s_delay_alu instid0(VALU_DEP_1) | instskip(NEXT) | instid1(VALU_DEP_1)
	v_dual_sub_f32 v9, v9, v60 :: v_dual_sub_f32 v64, v60, v63
	v_sub_f32_e32 v60, v60, v64
	s_delay_alu instid0(VALU_DEP_1) | instskip(SKIP_1) | instid1(VALU_DEP_2)
	v_dual_sub_f32 v60, v60, v63 :: v_dual_add_f32 v5, v5, v9
	v_sub_f32_e32 v9, v63, v62
	v_add_f32_e32 v5, v5, v60
	s_delay_alu instid0(VALU_DEP_2) | instskip(NEXT) | instid1(VALU_DEP_1)
	v_sub_f32_e32 v9, v9, v58
	v_add_f32_e32 v5, v9, v5
	s_delay_alu instid0(VALU_DEP_1) | instskip(NEXT) | instid1(VALU_DEP_1)
	v_add_f32_e32 v9, v64, v5
	v_mul_f32_e32 v58, v8, v9
	s_delay_alu instid0(VALU_DEP_1) | instskip(NEXT) | instid1(VALU_DEP_1)
	v_mul_f32_e32 v60, v59, v58
	v_fma_f32 v59, v58, v59, -v60
	s_delay_alu instid0(VALU_DEP_1) | instskip(NEXT) | instid1(VALU_DEP_1)
	v_fmac_f32_e32 v59, v58, v57
	v_add_f32_e32 v57, v60, v59
	s_delay_alu instid0(VALU_DEP_1) | instskip(SKIP_2) | instid1(VALU_DEP_2)
	v_sub_f32_e32 v60, v57, v60
	v_sub_f32_e32 v62, v9, v57
	;; [unrolled: 1-line block ×4, first 2 shown]
	s_delay_alu instid0(VALU_DEP_2) | instskip(NEXT) | instid1(VALU_DEP_2)
	v_add_f32_e32 v5, v5, v63
	v_sub_f32_e32 v9, v9, v57
	v_sub_f32_e32 v57, v60, v59
	s_delay_alu instid0(VALU_DEP_2) | instskip(SKIP_1) | instid1(VALU_DEP_2)
	v_add_f32_e32 v5, v5, v9
	v_add_f32_e32 v9, v61, v58
	;; [unrolled: 1-line block ×3, first 2 shown]
	s_delay_alu instid0(VALU_DEP_2) | instskip(NEXT) | instid1(VALU_DEP_2)
	v_sub_f32_e32 v57, v9, v61
	v_add_f32_e32 v5, v62, v5
	s_delay_alu instid0(VALU_DEP_2) | instskip(NEXT) | instid1(VALU_DEP_2)
	v_sub_f32_e32 v57, v58, v57
	v_mul_f32_e32 v5, v8, v5
	s_delay_alu instid0(VALU_DEP_1) | instskip(NEXT) | instid1(VALU_DEP_1)
	v_add_f32_e32 v5, v57, v5
	v_add_f32_e32 v8, v9, v5
	s_delay_alu instid0(VALU_DEP_1) | instskip(NEXT) | instid1(VALU_DEP_1)
	v_mul_f32_e32 v57, v8, v8
	v_fmaak_f32 v58, s66, v57, 0x3ecc95a3
	v_mul_f32_e32 v59, v8, v57
	s_delay_alu instid0(VALU_DEP_2) | instskip(SKIP_2) | instid1(VALU_DEP_3)
	v_fmaak_f32 v57, v57, v58, 0x3f2aaada
	v_ldexp_f32 v58, v8, 1
	v_sub_f32_e32 v8, v8, v9
	v_mul_f32_e32 v57, v59, v57
	v_mul_f32_e32 v59, 0x3f317218, v4
	s_delay_alu instid0(VALU_DEP_3) | instskip(NEXT) | instid1(VALU_DEP_3)
	v_sub_f32_e32 v5, v5, v8
	v_add_f32_e32 v9, v58, v57
	s_delay_alu instid0(VALU_DEP_2) | instskip(NEXT) | instid1(VALU_DEP_2)
	v_ldexp_f32 v5, v5, 1
	v_sub_f32_e32 v8, v9, v58
	v_fma_f32 v58, 0x3f317218, v4, -v59
	s_delay_alu instid0(VALU_DEP_2) | instskip(NEXT) | instid1(VALU_DEP_2)
	v_sub_f32_e32 v8, v57, v8
	v_fmac_f32_e32 v58, 0xb102e308, v4
	s_delay_alu instid0(VALU_DEP_1) | instskip(NEXT) | instid1(VALU_DEP_1)
	v_dual_add_f32 v4, v5, v8 :: v_dual_add_f32 v5, v59, v58
	v_add_f32_e32 v8, v9, v4
	s_delay_alu instid0(VALU_DEP_1) | instskip(SKIP_1) | instid1(VALU_DEP_2)
	v_add_f32_e32 v57, v5, v8
	v_sub_f32_e32 v9, v8, v9
	v_sub_f32_e32 v60, v57, v5
	s_delay_alu instid0(VALU_DEP_2) | instskip(NEXT) | instid1(VALU_DEP_1)
	v_dual_sub_f32 v59, v5, v59 :: v_dual_sub_f32 v4, v4, v9
	v_dual_sub_f32 v61, v57, v60 :: v_dual_sub_f32 v58, v58, v59
	s_delay_alu instid0(VALU_DEP_1) | instskip(NEXT) | instid1(VALU_DEP_2)
	v_dual_sub_f32 v8, v8, v60 :: v_dual_sub_f32 v5, v5, v61
	v_add_f32_e32 v9, v58, v4
	s_delay_alu instid0(VALU_DEP_1) | instskip(NEXT) | instid1(VALU_DEP_1)
	v_dual_add_f32 v5, v8, v5 :: v_dual_sub_f32 v8, v9, v58
	v_add_f32_e32 v5, v9, v5
	s_delay_alu instid0(VALU_DEP_2) | instskip(NEXT) | instid1(VALU_DEP_2)
	v_sub_f32_e32 v9, v9, v8
	v_dual_sub_f32 v4, v4, v8 :: v_dual_add_f32 v59, v57, v5
	s_delay_alu instid0(VALU_DEP_2) | instskip(NEXT) | instid1(VALU_DEP_2)
	v_sub_f32_e32 v9, v58, v9
	v_sub_f32_e32 v8, v59, v57
	s_delay_alu instid0(VALU_DEP_1) | instskip(NEXT) | instid1(VALU_DEP_1)
	v_dual_add_f32 v4, v4, v9 :: v_dual_sub_f32 v5, v5, v8
	v_add_f32_e32 v4, v4, v5
	s_delay_alu instid0(VALU_DEP_1) | instskip(NEXT) | instid1(VALU_DEP_1)
	v_add_f32_e32 v4, v59, v4
	v_cndmask_b32_e32 v67, v4, v6, vcc_lo
.LBB77_56:                              ;   in Loop: Header=BB77_12 Depth=1
	s_or_b32 exec_lo, exec_lo, s21
	v_lshrrev_b32_e32 v4, 16, v7
	s_delay_alu instid0(VALU_DEP_1) | instskip(NEXT) | instid1(VALU_DEP_1)
	v_cvt_f32_f16_e32 v4, v4
	v_add_f32_e32 v68, s54, v4
	s_delay_alu instid0(VALU_DEP_1) | instskip(SKIP_1) | instid1(SALU_CYCLE_1)
	v_cmp_ge_f32_e32 vcc_lo, 0x41a00000, v68
	s_and_b32 s20, s62, vcc_lo
	s_and_saveexec_b32 s21, s20
	s_cbranch_execz .LBB77_58
; %bb.57:                               ;   in Loop: Header=BB77_12 Depth=1
	v_mul_f32_e32 v4, 0x3fb8aa3b, v68
	v_cmp_ngt_f32_e32 vcc_lo, 0xc2ce8ed0, v68
	s_delay_alu instid0(VALU_DEP_2) | instskip(SKIP_1) | instid1(VALU_DEP_2)
	v_rndne_f32_e32 v5, v4
	v_fma_f32 v6, 0x3fb8aa3b, v68, -v4
	v_sub_f32_e32 v4, v4, v5
	s_delay_alu instid0(VALU_DEP_2) | instskip(SKIP_1) | instid1(VALU_DEP_2)
	v_fmac_f32_e32 v6, 0x32a5705f, v68
	v_cvt_i32_f32_e32 v5, v5
	v_add_f32_e32 v4, v4, v6
	s_delay_alu instid0(VALU_DEP_1) | instskip(SKIP_2) | instid1(VALU_DEP_1)
	v_exp_f32_e32 v4, v4
	s_waitcnt_depctr 0xfff
	v_ldexp_f32 v4, v4, v5
	v_cndmask_b32_e32 v4, 0, v4, vcc_lo
	v_cmp_nlt_f32_e32 vcc_lo, 0x42b17218, v68
	s_delay_alu instid0(VALU_DEP_2) | instskip(NEXT) | instid1(VALU_DEP_1)
	v_cndmask_b32_e32 v6, 0x7f800000, v4, vcc_lo
	v_add_f32_e32 v7, 1.0, v6
	s_delay_alu instid0(VALU_DEP_1) | instskip(NEXT) | instid1(VALU_DEP_1)
	v_cvt_f64_f32_e32 v[4:5], v7
	v_frexp_exp_i32_f64_e32 v4, v[4:5]
	v_frexp_mant_f32_e32 v5, v7
	s_delay_alu instid0(VALU_DEP_1) | instskip(SKIP_1) | instid1(VALU_DEP_1)
	v_cmp_gt_f32_e32 vcc_lo, 0x3f2aaaab, v5
	v_add_f32_e32 v5, -1.0, v7
	v_sub_f32_e32 v9, v5, v7
	s_delay_alu instid0(VALU_DEP_1) | instskip(SKIP_1) | instid1(VALU_DEP_1)
	v_add_f32_e32 v9, 1.0, v9
	v_subrev_co_ci_u32_e32 v4, vcc_lo, 0, v4, vcc_lo
	v_sub_nc_u32_e32 v8, 0, v4
	v_cvt_f32_i32_e32 v4, v4
	s_delay_alu instid0(VALU_DEP_2) | instskip(NEXT) | instid1(VALU_DEP_1)
	v_ldexp_f32 v7, v7, v8
	v_add_f32_e32 v57, 1.0, v7
	v_sub_f32_e32 v5, v6, v5
	v_cmp_eq_f32_e32 vcc_lo, 0x7f800000, v6
	v_cmp_gt_f32_e64 s20, 0x33800000, v6
	s_delay_alu instid0(VALU_DEP_3) | instskip(NEXT) | instid1(VALU_DEP_2)
	v_add_f32_e32 v5, v5, v9
	s_or_b32 vcc_lo, s20, vcc_lo
	s_delay_alu instid0(VALU_DEP_1) | instskip(SKIP_1) | instid1(VALU_DEP_1)
	v_ldexp_f32 v5, v5, v8
	v_dual_add_f32 v8, -1.0, v7 :: v_dual_add_f32 v9, -1.0, v57
	v_dual_add_f32 v58, 1.0, v8 :: v_dual_sub_f32 v9, v7, v9
	s_delay_alu instid0(VALU_DEP_1) | instskip(NEXT) | instid1(VALU_DEP_1)
	v_add_f32_e32 v9, v5, v9
	v_dual_sub_f32 v7, v7, v58 :: v_dual_add_f32 v58, v57, v9
	s_delay_alu instid0(VALU_DEP_1) | instskip(NEXT) | instid1(VALU_DEP_2)
	v_add_f32_e32 v5, v5, v7
	v_rcp_f32_e32 v7, v58
	s_delay_alu instid0(VALU_DEP_1) | instskip(NEXT) | instid1(VALU_DEP_1)
	v_add_f32_e32 v59, v8, v5
	v_dual_sub_f32 v57, v57, v58 :: v_dual_sub_f32 v8, v8, v59
	s_waitcnt_depctr 0xfff
	v_dual_mul_f32 v60, v59, v7 :: v_dual_add_f32 v9, v9, v57
	v_add_f32_e32 v5, v5, v8
	s_delay_alu instid0(VALU_DEP_2) | instskip(NEXT) | instid1(VALU_DEP_1)
	v_mul_f32_e32 v61, v58, v60
	v_fma_f32 v57, v60, v58, -v61
	s_delay_alu instid0(VALU_DEP_1) | instskip(NEXT) | instid1(VALU_DEP_1)
	v_fmac_f32_e32 v57, v60, v9
	v_add_f32_e32 v62, v61, v57
	s_delay_alu instid0(VALU_DEP_1) | instskip(NEXT) | instid1(VALU_DEP_1)
	v_sub_f32_e32 v63, v59, v62
	v_dual_sub_f32 v59, v59, v63 :: v_dual_sub_f32 v8, v62, v61
	s_delay_alu instid0(VALU_DEP_1) | instskip(NEXT) | instid1(VALU_DEP_1)
	v_dual_sub_f32 v59, v59, v62 :: v_dual_sub_f32 v8, v8, v57
	v_add_f32_e32 v5, v5, v59
	s_delay_alu instid0(VALU_DEP_1) | instskip(NEXT) | instid1(VALU_DEP_1)
	v_add_f32_e32 v5, v8, v5
	v_add_f32_e32 v8, v63, v5
	s_delay_alu instid0(VALU_DEP_1) | instskip(NEXT) | instid1(VALU_DEP_1)
	v_mul_f32_e32 v57, v7, v8
	v_mul_f32_e32 v59, v58, v57
	s_delay_alu instid0(VALU_DEP_1) | instskip(NEXT) | instid1(VALU_DEP_1)
	v_fma_f32 v58, v57, v58, -v59
	v_fmac_f32_e32 v58, v57, v9
	v_sub_f32_e32 v62, v63, v8
	s_delay_alu instid0(VALU_DEP_2) | instskip(NEXT) | instid1(VALU_DEP_2)
	v_add_f32_e32 v9, v59, v58
	v_add_f32_e32 v5, v5, v62
	s_delay_alu instid0(VALU_DEP_2) | instskip(NEXT) | instid1(VALU_DEP_1)
	v_sub_f32_e32 v61, v8, v9
	v_dual_sub_f32 v59, v9, v59 :: v_dual_sub_f32 v8, v8, v61
	s_delay_alu instid0(VALU_DEP_1) | instskip(NEXT) | instid1(VALU_DEP_1)
	v_dual_sub_f32 v8, v8, v9 :: v_dual_sub_f32 v9, v59, v58
	v_dual_add_f32 v5, v5, v8 :: v_dual_add_f32 v8, v60, v57
	s_delay_alu instid0(VALU_DEP_1) | instskip(NEXT) | instid1(VALU_DEP_2)
	v_add_f32_e32 v5, v9, v5
	v_sub_f32_e32 v9, v8, v60
	s_delay_alu instid0(VALU_DEP_2) | instskip(NEXT) | instid1(VALU_DEP_2)
	v_add_f32_e32 v5, v61, v5
	v_sub_f32_e32 v9, v57, v9
	s_delay_alu instid0(VALU_DEP_2) | instskip(NEXT) | instid1(VALU_DEP_1)
	v_mul_f32_e32 v5, v7, v5
	v_add_f32_e32 v5, v9, v5
	s_delay_alu instid0(VALU_DEP_1) | instskip(NEXT) | instid1(VALU_DEP_1)
	v_add_f32_e32 v7, v8, v5
	v_mul_f32_e32 v9, v7, v7
	s_delay_alu instid0(VALU_DEP_1) | instskip(SKIP_1) | instid1(VALU_DEP_2)
	v_fmaak_f32 v57, s66, v9, 0x3ecc95a3
	v_mul_f32_e32 v58, v7, v9
	v_fmaak_f32 v9, v9, v57, 0x3f2aaada
	v_ldexp_f32 v57, v7, 1
	s_delay_alu instid0(VALU_DEP_2) | instskip(SKIP_2) | instid1(VALU_DEP_3)
	v_mul_f32_e32 v9, v58, v9
	v_sub_f32_e32 v7, v7, v8
	v_mul_f32_e32 v58, 0x3f317218, v4
	v_add_f32_e32 v8, v57, v9
	s_delay_alu instid0(VALU_DEP_3) | instskip(NEXT) | instid1(VALU_DEP_2)
	v_sub_f32_e32 v5, v5, v7
	v_sub_f32_e32 v7, v8, v57
	s_delay_alu instid0(VALU_DEP_4) | instskip(NEXT) | instid1(VALU_DEP_3)
	v_fma_f32 v57, 0x3f317218, v4, -v58
	v_ldexp_f32 v5, v5, 1
	s_delay_alu instid0(VALU_DEP_3) | instskip(NEXT) | instid1(VALU_DEP_1)
	v_sub_f32_e32 v7, v9, v7
	v_dual_fmac_f32 v57, 0xb102e308, v4 :: v_dual_add_f32 v4, v5, v7
	s_delay_alu instid0(VALU_DEP_1) | instskip(NEXT) | instid1(VALU_DEP_1)
	v_add_f32_e32 v5, v58, v57
	v_dual_add_f32 v7, v8, v4 :: v_dual_sub_f32 v58, v5, v58
	s_delay_alu instid0(VALU_DEP_1) | instskip(NEXT) | instid1(VALU_DEP_2)
	v_dual_add_f32 v9, v5, v7 :: v_dual_sub_f32 v8, v7, v8
	v_sub_f32_e32 v57, v57, v58
	s_delay_alu instid0(VALU_DEP_2) | instskip(NEXT) | instid1(VALU_DEP_1)
	v_dual_sub_f32 v59, v9, v5 :: v_dual_sub_f32 v4, v4, v8
	v_sub_f32_e32 v60, v9, v59
	s_delay_alu instid0(VALU_DEP_2) | instskip(NEXT) | instid1(VALU_DEP_2)
	v_dual_sub_f32 v7, v7, v59 :: v_dual_add_f32 v8, v57, v4
	v_sub_f32_e32 v5, v5, v60
	s_delay_alu instid0(VALU_DEP_1) | instskip(NEXT) | instid1(VALU_DEP_3)
	v_add_f32_e32 v5, v7, v5
	v_sub_f32_e32 v7, v8, v57
	s_delay_alu instid0(VALU_DEP_2) | instskip(NEXT) | instid1(VALU_DEP_2)
	v_add_f32_e32 v5, v8, v5
	v_sub_f32_e32 v8, v8, v7
	v_sub_f32_e32 v4, v4, v7
	s_delay_alu instid0(VALU_DEP_3) | instskip(NEXT) | instid1(VALU_DEP_1)
	v_add_f32_e32 v58, v9, v5
	v_dual_sub_f32 v8, v57, v8 :: v_dual_sub_f32 v7, v58, v9
	s_delay_alu instid0(VALU_DEP_1) | instskip(NEXT) | instid1(VALU_DEP_1)
	v_dual_add_f32 v4, v4, v8 :: v_dual_sub_f32 v5, v5, v7
	v_add_f32_e32 v4, v4, v5
	s_delay_alu instid0(VALU_DEP_1) | instskip(NEXT) | instid1(VALU_DEP_1)
	v_add_f32_e32 v4, v58, v4
	v_cndmask_b32_e32 v68, v4, v6, vcc_lo
.LBB77_58:                              ;   in Loop: Header=BB77_12 Depth=1
	s_or_b32 exec_lo, exec_lo, s21
	v_lshrrev_b32_e32 v5, 16, v2
	v_lshrrev_b32_e32 v6, 16, v3
	;; [unrolled: 1-line block ×4, first 2 shown]
	v_cvt_f32_f16_e32 v4, v3
	v_cvt_f32_f16_e32 v2, v2
	;; [unrolled: 1-line block ×8, first 2 shown]
	v_dual_mul_f32 v60, s55, v4 :: v_dual_mul_f32 v57, s55, v3
	v_dual_mul_f32 v62, s55, v2 :: v_dual_mul_f32 v59, s55, v5
	s_delay_alu instid0(VALU_DEP_4) | instskip(NEXT) | instid1(VALU_DEP_4)
	v_dual_mul_f32 v63, s55, v1 :: v_dual_mul_f32 v58, s55, v6
	v_dual_mul_f32 v64, s55, v0 :: v_dual_mul_f32 v61, s55, v7
	s_and_b32 vcc_lo, exec_lo, s63
	s_barrier
	buffer_gl0_inv
	s_cbranch_vccz .LBB77_122
; %bb.59:                               ;   in Loop: Header=BB77_12 Depth=1
	v_dual_mul_f32 v69, v68, v7 :: v_dual_mul_f32 v74, v67, v4
	v_add_co_u32 v7, s20, s46, v51
	s_delay_alu instid0(VALU_DEP_1) | instskip(SKIP_1) | instid1(VALU_DEP_1)
	v_add_co_ci_u32_e64 v8, null, s49, 0, s20
	v_add_co_u32 v9, s20, s50, v51
	v_add_co_ci_u32_e64 v73, null, s58, 0, s20
	s_delay_alu instid0(VALU_DEP_4) | instskip(NEXT) | instid1(VALU_DEP_4)
	v_add_co_u32 v70, vcc_lo, v7, v52
	v_add_co_ci_u32_e32 v71, vcc_lo, 0, v8, vcc_lo
	s_delay_alu instid0(VALU_DEP_4) | instskip(NEXT) | instid1(VALU_DEP_4)
	v_add_co_u32 v72, vcc_lo, v9, v52
	v_add_co_ci_u32_e32 v73, vcc_lo, 0, v73, vcc_lo
	v_cmp_gt_u32_e32 vcc_lo, s23, v10
	s_cmp_lg_u32 s70, 0
	v_cmp_gt_u32_e64 s21, s23, v44
	s_cselect_b32 s31, -1, 0
	s_cmp_eq_u32 s70, s65
	v_cmp_gt_u32_e64 s22, s23, v45
	s_cselect_b32 s71, -1, 0
	s_or_b32 s20, s64, vcc_lo
	v_cmp_gt_u32_e32 vcc_lo, s23, v46
	v_cmp_gt_u32_e64 s24, s23, v47
	v_cmp_gt_u32_e64 s25, s23, v48
	;; [unrolled: 1-line block ×4, first 2 shown]
	v_dual_mul_f32 v75, v66, v3 :: v_dual_mul_f32 v76, v65, v2
	v_dual_mul_f32 v77, v56, v5 :: v_dual_mul_f32 v80, v53, v0
	;; [unrolled: 1-line block ×3, first 2 shown]
	s_mov_b32 s52, 0
	s_or_b32 s21, s64, s21
	s_or_b32 s22, s64, s22
	s_or_b32 s23, s64, vcc_lo
	s_or_b32 s24, s64, s24
	s_or_b32 s25, s64, s25
	;; [unrolled: 1-line block ×4, first 2 shown]
	s_mov_b32 s38, s52
	s_mov_b32 s40, s52
	;; [unrolled: 1-line block ×5, first 2 shown]
	s_branch .LBB77_61
.LBB77_60:                              ;   in Loop: Header=BB77_61 Depth=2
	s_or_b32 exec_lo, exec_lo, s28
	v_cndmask_b32_e64 v5, v98, v7, s11
	v_cndmask_b32_e64 v6, v97, v6, s11
	s_add_i32 s72, s72, -1
	s_add_i32 s73, s73, 8
	s_add_i32 s42, s42, s37
	v_fma_f32 v5, v5, v84, v82
	v_mul_f32_e32 v6, v6, v84
	s_add_i32 s40, s40, s36
	s_add_i32 s38, s38, s48
	;; [unrolled: 1-line block ×3, first 2 shown]
	v_cndmask_b32_e64 v5, v5, v82, s10
	v_cndmask_b32_e64 v6, v6, v84, s10
	s_cmp_eq_u32 s72, 0
	s_waitcnt lgkmcnt(0)
	s_delay_alu instid0(VALU_DEP_1) | instskip(NEXT) | instid1(VALU_DEP_1)
	v_fmac_f32_e32 v5, v4, v6
	v_fmac_f32_e32 v81, v5, v86
	v_fma_mix_f32 v64, v5, v0, v64 op_sel_hi:[0,1,0]
	s_delay_alu instid0(VALU_DEP_2) | instskip(SKIP_1) | instid1(VALU_DEP_2)
	v_fmac_f32_e32 v83, v81, v88
	v_fma_mix_f32 v58, v81, v0, v58 op_sel:[0,1,0] op_sel_hi:[0,1,0]
	v_fmac_f32_e32 v85, v83, v90
	v_fma_mix_f32 v63, v83, v1, v63 op_sel_hi:[0,1,0]
	s_delay_alu instid0(VALU_DEP_2) | instskip(SKIP_1) | instid1(VALU_DEP_2)
	v_fmac_f32_e32 v87, v85, v91
	v_fma_mix_f32 v59, v85, v1, v59 op_sel:[0,1,0] op_sel_hi:[0,1,0]
	v_fmac_f32_e32 v89, v87, v96
	v_fma_mix_f32 v62, v87, v2, v62 op_sel_hi:[0,1,0]
	s_delay_alu instid0(VALU_DEP_2) | instskip(SKIP_1) | instid1(VALU_DEP_2)
	v_fmac_f32_e32 v92, v89, v94
	v_fma_mix_f32 v57, v89, v2, v57 op_sel:[0,1,0] op_sel_hi:[0,1,0]
	v_fmac_f32_e32 v93, v92, v95
	v_fma_mix_f32 v60, v92, v3, v60 op_sel_hi:[0,1,0]
	s_delay_alu instid0(VALU_DEP_2)
	v_fma_mix_f32 v61, v93, v3, v61 op_sel:[0,1,0] op_sel_hi:[0,1,0]
	s_cbranch_scc1 .LBB77_122
.LBB77_61:                              ;   Parent Loop BB77_12 Depth=1
                                        ; =>  This Inner Loop Header: Depth=2
	s_lshl_b64 s[74:75], s[52:53], 2
	s_mov_b32 s39, s53
	s_add_u32 s74, s56, s74
	s_addc_u32 s75, s57, s75
	v_dual_mov_b32 v2, 0 :: v_dual_mov_b32 v3, 0
	global_load_b32 v81, v13, s[74:75]
	s_lshl_b64 s[74:75], s[38:39], 1
	s_delay_alu instid0(SALU_CYCLE_1)
	v_add_co_u32 v0, vcc_lo, v70, s74
	v_add_co_ci_u32_e32 v1, vcc_lo, s75, v71, vcc_lo
	s_and_saveexec_b32 s28, s12
	s_cbranch_execnz .LBB77_81
; %bb.62:                               ;   in Loop: Header=BB77_61 Depth=2
	s_or_b32 exec_lo, exec_lo, s28
	s_and_saveexec_b32 s28, s13
	s_cbranch_execnz .LBB77_82
.LBB77_63:                              ;   in Loop: Header=BB77_61 Depth=2
	s_or_b32 exec_lo, exec_lo, s28
	v_mov_b32_e32 v4, 0
	s_and_saveexec_b32 s28, s14
	s_cbranch_execnz .LBB77_83
.LBB77_64:                              ;   in Loop: Header=BB77_61 Depth=2
	s_or_b32 exec_lo, exec_lo, s28
	s_and_saveexec_b32 s28, s15
	s_cbranch_execnz .LBB77_84
.LBB77_65:                              ;   in Loop: Header=BB77_61 Depth=2
	s_or_b32 exec_lo, exec_lo, s28
	v_mov_b32_e32 v5, 0
	s_and_saveexec_b32 s28, s16
	s_cbranch_execnz .LBB77_85
.LBB77_66:                              ;   in Loop: Header=BB77_61 Depth=2
	s_or_b32 exec_lo, exec_lo, s28
	s_and_saveexec_b32 s28, s17
	s_cbranch_execnz .LBB77_86
.LBB77_67:                              ;   in Loop: Header=BB77_61 Depth=2
	s_or_b32 exec_lo, exec_lo, s28
	v_mov_b32_e32 v6, 0
	s_and_saveexec_b32 s28, s18
	s_cbranch_execnz .LBB77_87
.LBB77_68:                              ;   in Loop: Header=BB77_61 Depth=2
	s_or_b32 exec_lo, exec_lo, s28
	s_and_saveexec_b32 s28, s19
	s_cbranch_execz .LBB77_70
.LBB77_69:                              ;   in Loop: Header=BB77_61 Depth=2
	global_load_u16 v0, v[0:1], off offset:448
	s_waitcnt vmcnt(0)
	v_lshl_or_b32 v6, v0, 16, v6
.LBB77_70:                              ;   in Loop: Header=BB77_61 Depth=2
	s_or_b32 exec_lo, exec_lo, s28
	s_waitcnt vmcnt(0)
	ds_store_b16 v20, v3
	ds_store_b16 v20, v2 offset:64
	ds_store_b16 v21, v4 offset:128
	ds_store_b16_d16_hi v22, v4 offset:192
	ds_store_b16 v23, v5 offset:256
	ds_store_b16_d16_hi v24, v5 offset:320
	;; [unrolled: 2-line block ×3, first 2 shown]
	; wave barrier
	ds_load_b128 v[4:7], v27
	s_mov_b32 s41, s53
	v_dual_mov_b32 v2, 0 :: v_dual_mov_b32 v3, 0
	s_lshl_b64 s[74:75], s[40:41], 1
	s_delay_alu instid0(SALU_CYCLE_1)
	v_add_co_u32 v0, vcc_lo, v72, s74
	v_add_co_ci_u32_e32 v1, vcc_lo, s75, v73, vcc_lo
	s_and_saveexec_b32 s28, s12
	s_cbranch_execnz .LBB77_88
; %bb.71:                               ;   in Loop: Header=BB77_61 Depth=2
	s_or_b32 exec_lo, exec_lo, s28
	s_and_saveexec_b32 s28, s13
	s_cbranch_execnz .LBB77_89
.LBB77_72:                              ;   in Loop: Header=BB77_61 Depth=2
	s_or_b32 exec_lo, exec_lo, s28
	v_mov_b32_e32 v8, 0
	s_and_saveexec_b32 s28, s14
	s_cbranch_execnz .LBB77_90
.LBB77_73:                              ;   in Loop: Header=BB77_61 Depth=2
	s_or_b32 exec_lo, exec_lo, s28
	s_and_saveexec_b32 s28, s15
	s_cbranch_execnz .LBB77_91
.LBB77_74:                              ;   in Loop: Header=BB77_61 Depth=2
	s_or_b32 exec_lo, exec_lo, s28
	v_mov_b32_e32 v9, 0
	s_and_saveexec_b32 s28, s16
	s_cbranch_execnz .LBB77_92
.LBB77_75:                              ;   in Loop: Header=BB77_61 Depth=2
	s_or_b32 exec_lo, exec_lo, s28
	s_and_saveexec_b32 s28, s17
	s_cbranch_execnz .LBB77_93
.LBB77_76:                              ;   in Loop: Header=BB77_61 Depth=2
	s_or_b32 exec_lo, exec_lo, s28
	v_mov_b32_e32 v82, 0
	s_and_saveexec_b32 s28, s18
	s_cbranch_execnz .LBB77_94
.LBB77_77:                              ;   in Loop: Header=BB77_61 Depth=2
	s_or_b32 exec_lo, exec_lo, s28
	s_and_saveexec_b32 s28, s19
	s_cbranch_execz .LBB77_79
.LBB77_78:                              ;   in Loop: Header=BB77_61 Depth=2
	global_load_u16 v0, v[0:1], off offset:448
	s_waitcnt vmcnt(0)
	v_lshl_or_b32 v82, v0, 16, v82
.LBB77_79:                              ;   in Loop: Header=BB77_61 Depth=2
	s_or_b32 exec_lo, exec_lo, s28
	s_waitcnt vmcnt(0)
	ds_store_b16 v20, v3 offset:1056
	ds_store_b16 v28, v2 offset:64
	;; [unrolled: 1-line block ×3, first 2 shown]
	ds_store_b16_d16_hi v30, v8 offset:192
	ds_store_b16 v31, v9 offset:256
	ds_store_b16_d16_hi v32, v9 offset:320
	ds_store_b16 v33, v82 offset:384
	ds_store_b16_d16_hi v34, v82 offset:448
	; wave barrier
	ds_load_b128 v[0:3], v27 offset:1056
	s_and_not1_b32 vcc_lo, exec_lo, s31
	s_cbranch_vccnz .LBB77_95
; %bb.80:                               ;   in Loop: Header=BB77_61 Depth=2
	v_mov_b32_e32 v8, s73
	ds_load_b64 v[8:9], v8
	s_cbranch_execz .LBB77_96
	s_branch .LBB77_99
.LBB77_81:                              ;   in Loop: Header=BB77_61 Depth=2
	global_load_u16 v3, v[0:1], off
	s_or_b32 exec_lo, exec_lo, s28
	s_and_saveexec_b32 s28, s13
	s_cbranch_execz .LBB77_63
.LBB77_82:                              ;   in Loop: Header=BB77_61 Depth=2
	global_load_u16 v2, v[0:1], off offset:64
	s_or_b32 exec_lo, exec_lo, s28
	v_mov_b32_e32 v4, 0
	s_and_saveexec_b32 s28, s14
	s_cbranch_execz .LBB77_64
.LBB77_83:                              ;   in Loop: Header=BB77_61 Depth=2
	global_load_u16 v4, v[0:1], off offset:128
	s_or_b32 exec_lo, exec_lo, s28
	s_and_saveexec_b32 s28, s15
	s_cbranch_execz .LBB77_65
.LBB77_84:                              ;   in Loop: Header=BB77_61 Depth=2
	global_load_u16 v5, v[0:1], off offset:192
	s_waitcnt vmcnt(0)
	v_lshl_or_b32 v4, v5, 16, v4
	s_or_b32 exec_lo, exec_lo, s28
	v_mov_b32_e32 v5, 0
	s_and_saveexec_b32 s28, s16
	s_cbranch_execz .LBB77_66
.LBB77_85:                              ;   in Loop: Header=BB77_61 Depth=2
	global_load_u16 v5, v[0:1], off offset:256
	s_or_b32 exec_lo, exec_lo, s28
	s_and_saveexec_b32 s28, s17
	s_cbranch_execz .LBB77_67
.LBB77_86:                              ;   in Loop: Header=BB77_61 Depth=2
	global_load_u16 v6, v[0:1], off offset:320
	s_waitcnt vmcnt(0)
	v_lshl_or_b32 v5, v6, 16, v5
	s_or_b32 exec_lo, exec_lo, s28
	v_mov_b32_e32 v6, 0
	s_and_saveexec_b32 s28, s18
	s_cbranch_execz .LBB77_68
.LBB77_87:                              ;   in Loop: Header=BB77_61 Depth=2
	global_load_u16 v6, v[0:1], off offset:384
	s_or_b32 exec_lo, exec_lo, s28
	s_and_saveexec_b32 s28, s19
	s_cbranch_execnz .LBB77_69
	s_branch .LBB77_70
.LBB77_88:                              ;   in Loop: Header=BB77_61 Depth=2
	global_load_u16 v3, v[0:1], off
	s_or_b32 exec_lo, exec_lo, s28
	s_and_saveexec_b32 s28, s13
	s_cbranch_execz .LBB77_72
.LBB77_89:                              ;   in Loop: Header=BB77_61 Depth=2
	global_load_u16 v2, v[0:1], off offset:64
	s_or_b32 exec_lo, exec_lo, s28
	v_mov_b32_e32 v8, 0
	s_and_saveexec_b32 s28, s14
	s_cbranch_execz .LBB77_73
.LBB77_90:                              ;   in Loop: Header=BB77_61 Depth=2
	global_load_u16 v8, v[0:1], off offset:128
	s_or_b32 exec_lo, exec_lo, s28
	s_and_saveexec_b32 s28, s15
	s_cbranch_execz .LBB77_74
.LBB77_91:                              ;   in Loop: Header=BB77_61 Depth=2
	global_load_u16 v9, v[0:1], off offset:192
	s_waitcnt vmcnt(0)
	v_lshl_or_b32 v8, v9, 16, v8
	s_or_b32 exec_lo, exec_lo, s28
	v_mov_b32_e32 v9, 0
	s_and_saveexec_b32 s28, s16
	s_cbranch_execz .LBB77_75
.LBB77_92:                              ;   in Loop: Header=BB77_61 Depth=2
	global_load_u16 v9, v[0:1], off offset:256
	s_or_b32 exec_lo, exec_lo, s28
	s_and_saveexec_b32 s28, s17
	s_cbranch_execz .LBB77_76
.LBB77_93:                              ;   in Loop: Header=BB77_61 Depth=2
	global_load_u16 v82, v[0:1], off offset:320
	s_waitcnt vmcnt(0)
	v_lshl_or_b32 v9, v82, 16, v9
	s_or_b32 exec_lo, exec_lo, s28
	v_mov_b32_e32 v82, 0
	s_and_saveexec_b32 s28, s18
	s_cbranch_execz .LBB77_77
.LBB77_94:                              ;   in Loop: Header=BB77_61 Depth=2
	global_load_u16 v82, v[0:1], off offset:384
	s_or_b32 exec_lo, exec_lo, s28
	s_and_saveexec_b32 s28, s19
	s_cbranch_execnz .LBB77_78
	s_branch .LBB77_79
.LBB77_95:                              ;   in Loop: Header=BB77_61 Depth=2
                                        ; implicit-def: $vgpr8
.LBB77_96:                              ;   in Loop: Header=BB77_61 Depth=2
	s_waitcnt lgkmcnt(0)
	v_mov_b32_e32 v9, 0
	s_and_not1_b32 vcc_lo, exec_lo, s33
	s_cbranch_vccnz .LBB77_98
; %bb.97:                               ;   in Loop: Header=BB77_61 Depth=2
	s_mov_b32 s43, s53
	s_delay_alu instid0(SALU_CYCLE_1) | instskip(NEXT) | instid1(SALU_CYCLE_1)
	s_lshl_b64 s[74:75], s[42:43], 1
	s_add_u32 s74, s59, s74
	s_addc_u32 s75, s60, s75
	global_load_u16 v8, v13, s[74:75]
	s_waitcnt vmcnt(0)
	v_cvt_f32_f16_e32 v9, v8
.LBB77_98:                              ;   in Loop: Header=BB77_61 Depth=2
	v_mov_b32_e32 v8, 1.0
.LBB77_99:                              ;   in Loop: Header=BB77_61 Depth=2
	s_waitcnt lgkmcnt(9)
	v_lshrrev_b32_e32 v82, 16, v5
	v_lshrrev_b32_e32 v85, 16, v7
	v_cvt_f32_f16_e32 v7, v7
	v_lshrrev_b32_e32 v83, 16, v6
	v_cvt_f32_f16_e32 v5, v5
	v_cvt_f32_f16_e32 v87, v82
	v_mul_f32_e32 v92, 0x3fb8aa3b, v81
	v_cvt_f32_f16_e32 v93, v85
	v_lshrrev_b32_e32 v81, 16, v4
	v_cvt_f32_f16_e32 v4, v4
	s_delay_alu instid0(VALU_DEP_4)
	v_dual_mul_f32 v87, v77, v87 :: v_dual_mul_f32 v84, v92, v53
	v_mul_f32_e32 v7, v74, v7
	v_cvt_f32_f16_e32 v89, v83
	v_cvt_f32_f16_e32 v81, v81
	v_mul_f32_e32 v83, v92, v55
	v_cmp_gt_f32_e32 vcc_lo, 0xc2fc0000, v84
	v_mul_f32_e32 v4, v80, v4
	v_cvt_f32_f16_e32 v6, v6
	v_mul_f32_e32 v95, v92, v68
	v_mul_f32_e32 v5, v78, v5
	v_cndmask_b32_e64 v84, 0, 0x42800000, vcc_lo
	v_cndmask_b32_e64 v85, 1.0, 0x1f800000, vcc_lo
	v_dual_mul_f32 v6, v76, v6 :: v_dual_mul_f32 v89, v75, v89
	v_mul_f32_e32 v93, v69, v93
	s_delay_alu instid0(VALU_DEP_4) | instskip(NEXT) | instid1(VALU_DEP_3)
	v_fmac_f32_e32 v84, v92, v53
	v_cndmask_b32_e64 v89, 0, v89, s25
	s_delay_alu instid0(VALU_DEP_3) | instskip(NEXT) | instid1(VALU_DEP_3)
	v_cndmask_b32_e64 v93, 0, v93, s27
	v_exp_f32_e32 v82, v84
	s_waitcnt_depctr 0xfff
	v_dual_mul_f32 v86, v92, v54 :: v_dual_mul_f32 v85, v82, v85
	s_delay_alu instid0(VALU_DEP_1) | instskip(SKIP_3) | instid1(VALU_DEP_4)
	v_cmp_gt_f32_e64 s28, 0xc2fc0000, v86
	v_cndmask_b32_e64 v82, 0, v4, s20
	v_mul_f32_e32 v4, v79, v81
	v_cmp_gt_f32_e32 vcc_lo, 0xc2fc0000, v83
	v_cndmask_b32_e64 v86, 0, 0x42800000, s28
	v_cndmask_b32_e64 v88, 1.0, 0x1f800000, s28
	s_delay_alu instid0(VALU_DEP_4) | instskip(SKIP_1) | instid1(VALU_DEP_4)
	v_cndmask_b32_e64 v81, 0, v4, s21
	v_cndmask_b32_e64 v83, 0, 0x42800000, vcc_lo
	v_fmac_f32_e32 v86, v92, v54
	s_delay_alu instid0(VALU_DEP_1) | instskip(SKIP_1) | instid1(VALU_DEP_1)
	v_exp_f32_e32 v84, v86
	v_mul_f32_e32 v86, v92, v56
	v_cmp_gt_f32_e64 s28, 0xc2fc0000, v86
	s_waitcnt_depctr 0xfff
	v_mul_f32_e32 v88, v84, v88
	v_cndmask_b32_e64 v84, 1.0, v85, s20
	v_cndmask_b32_e64 v85, 0, 0x42800000, s28
	s_delay_alu instid0(VALU_DEP_3) | instskip(SKIP_1) | instid1(VALU_DEP_3)
	v_cndmask_b32_e64 v86, 1.0, v88, s21
	v_cndmask_b32_e64 v88, 1.0, 0x1f800000, vcc_lo
	v_fmac_f32_e32 v85, v92, v56
	s_delay_alu instid0(VALU_DEP_1) | instskip(SKIP_1) | instid1(VALU_DEP_1)
	v_exp_f32_e32 v85, v85
	v_fmac_f32_e32 v83, v92, v55
	v_exp_f32_e32 v4, v83
	v_mul_f32_e32 v83, v92, v65
	s_delay_alu instid0(VALU_DEP_1)
	v_cmp_gt_f32_e32 vcc_lo, 0xc2fc0000, v83
	v_cndmask_b32_e64 v83, 0, v5, s22
	v_cndmask_b32_e64 v5, 1.0, 0x1f800000, s28
	s_waitcnt_depctr 0xfff
	v_mul_f32_e32 v4, v4, v88
	v_cndmask_b32_e64 v90, 0, 0x42800000, vcc_lo
	s_delay_alu instid0(VALU_DEP_2) | instskip(SKIP_1) | instid1(VALU_DEP_3)
	v_cndmask_b32_e64 v88, 1.0, v4, s22
	v_mul_f32_e32 v91, v92, v66
	v_fmac_f32_e32 v90, v92, v65
	v_mul_f32_e32 v4, v85, v5
	v_cndmask_b32_e64 v5, 1.0, 0x1f800000, vcc_lo
	v_cndmask_b32_e64 v85, 0, v87, s23
	v_cmp_gt_f32_e64 s28, 0xc2fc0000, v91
	v_exp_f32_e32 v94, v90
	v_cndmask_b32_e64 v90, 1.0, v4, s23
	v_cndmask_b32_e64 v87, 0, v6, s24
	s_delay_alu instid0(VALU_DEP_3) | instskip(SKIP_3) | instid1(VALU_DEP_4)
	v_cndmask_b32_e64 v91, 0, 0x42800000, s28
	v_cndmask_b32_e64 v6, 1.0, 0x1f800000, s28
	v_cmp_gt_f32_e64 s28, 0xc2fc0000, v95
	v_fma_f32 v95, v86, v82, v81
	v_fmac_f32_e32 v91, v92, v66
	s_delay_alu instid0(TRANS32_DEP_1) | instskip(NEXT) | instid1(VALU_DEP_2)
	v_mul_f32_e32 v5, v94, v5
	v_exp_f32_e32 v4, v91
	v_mul_f32_e32 v91, v92, v67
	s_delay_alu instid0(VALU_DEP_1) | instskip(NEXT) | instid1(VALU_DEP_3)
	v_cmp_gt_f32_e32 vcc_lo, 0xc2fc0000, v91
	v_cndmask_b32_e64 v91, 1.0, v5, s24
	v_cndmask_b32_e64 v5, 0, 0x42800000, s28
	s_waitcnt_depctr 0xfff
	v_mul_f32_e32 v4, v4, v6
	v_cndmask_b32_e64 v94, 0, 0x42800000, vcc_lo
	v_mul_f32_e32 v6, v86, v84
	v_fmac_f32_e32 v5, v92, v68
	s_delay_alu instid0(VALU_DEP_4) | instskip(NEXT) | instid1(VALU_DEP_4)
	v_cndmask_b32_e64 v96, 1.0, v4, s25
	v_fmac_f32_e32 v94, v92, v67
	s_delay_alu instid0(VALU_DEP_4)
	v_mul_f32_e32 v4, v6, v88
	v_fma_f32 v6, v95, v88, v83
	v_cndmask_b32_e64 v92, 1.0, 0x1f800000, vcc_lo
	v_exp_f32_e32 v5, v5
	v_exp_f32_e32 v94, v94
	v_mul_f32_e32 v4, v4, v90
	v_fma_f32 v6, v6, v90, v85
	s_delay_alu instid0(VALU_DEP_2) | instskip(NEXT) | instid1(VALU_DEP_2)
	v_mul_f32_e32 v4, v4, v91
	v_fma_f32 v6, v6, v91, v87
	s_waitcnt_depctr 0xfff
	v_mul_f32_e32 v94, v94, v92
	v_cndmask_b32_e64 v92, 0, v7, s26
	v_cndmask_b32_e64 v7, 1.0, 0x1f800000, s28
	v_mul_f32_e32 v4, v4, v96
	v_fma_f32 v6, v6, v96, v89
	v_cndmask_b32_e64 v94, 1.0, v94, s26
	s_delay_alu instid0(VALU_DEP_1) | instskip(NEXT) | instid1(VALU_DEP_1)
	v_dual_mul_f32 v5, v5, v7 :: v_dual_mul_f32 v4, v4, v94
	v_cndmask_b32_e64 v95, 1.0, v5, s27
	s_delay_alu instid0(VALU_DEP_4) | instskip(NEXT) | instid1(VALU_DEP_2)
	v_fma_f32 v5, v6, v94, v92
	v_mul_f32_e32 v4, v4, v95
	s_delay_alu instid0(VALU_DEP_2) | instskip(NEXT) | instid1(VALU_DEP_2)
	v_fma_f32 v5, v5, v95, v93
	v_mov_b32_dpp v7, v4 row_shr:1 row_mask:0xf bank_mask:0xf
	s_delay_alu instid0(VALU_DEP_2)
	v_mov_b32_dpp v6, v5 row_shr:1 row_mask:0xf bank_mask:0xf
	s_and_saveexec_b32 s28, s0
; %bb.100:                              ;   in Loop: Header=BB77_61 Depth=2
	s_delay_alu instid0(VALU_DEP_2) | instskip(NEXT) | instid1(VALU_DEP_1)
	v_mul_f32_e32 v7, v4, v7
	v_dual_fmac_f32 v5, v4, v6 :: v_dual_mov_b32 v4, v7
; %bb.101:                              ;   in Loop: Header=BB77_61 Depth=2
	s_or_b32 exec_lo, exec_lo, s28
	s_delay_alu instid0(VALU_DEP_1) | instskip(NEXT) | instid1(VALU_DEP_2)
	v_mov_b32_dpp v6, v4 row_shr:2 row_mask:0xf bank_mask:0xf
	v_mov_b32_dpp v7, v5 row_shr:2 row_mask:0xf bank_mask:0xf
	s_and_saveexec_b32 s28, s1
; %bb.102:                              ;   in Loop: Header=BB77_61 Depth=2
	s_delay_alu instid0(VALU_DEP_1) | instskip(NEXT) | instid1(VALU_DEP_3)
	v_fmac_f32_e32 v5, v4, v7
	v_mul_f32_e32 v4, v4, v6
; %bb.103:                              ;   in Loop: Header=BB77_61 Depth=2
	s_or_b32 exec_lo, exec_lo, s28
	s_delay_alu instid0(VALU_DEP_1) | instskip(NEXT) | instid1(VALU_DEP_3)
	v_mov_b32_dpp v6, v4 row_shr:4 row_mask:0xf bank_mask:0xf
	v_mov_b32_dpp v7, v5 row_shr:4 row_mask:0xf bank_mask:0xf
	s_and_saveexec_b32 s28, s2
; %bb.104:                              ;   in Loop: Header=BB77_61 Depth=2
	s_delay_alu instid0(VALU_DEP_1) | instskip(NEXT) | instid1(VALU_DEP_3)
	v_fmac_f32_e32 v5, v4, v7
	v_mul_f32_e32 v4, v4, v6
; %bb.105:                              ;   in Loop: Header=BB77_61 Depth=2
	s_or_b32 exec_lo, exec_lo, s28
	s_delay_alu instid0(VALU_DEP_1) | instskip(NEXT) | instid1(VALU_DEP_3)
	v_mov_b32_dpp v6, v4 row_shr:8 row_mask:0xf bank_mask:0xf
	v_mov_b32_dpp v7, v5 row_shr:8 row_mask:0xf bank_mask:0xf
	s_and_saveexec_b32 s28, s3
; %bb.106:                              ;   in Loop: Header=BB77_61 Depth=2
	s_delay_alu instid0(VALU_DEP_1) | instskip(NEXT) | instid1(VALU_DEP_3)
	v_fmac_f32_e32 v5, v4, v7
	v_mul_f32_e32 v4, v4, v6
; %bb.107:                              ;   in Loop: Header=BB77_61 Depth=2
	s_or_b32 exec_lo, exec_lo, s28
	ds_swizzle_b32 v7, v4 offset:swizzle(BROADCAST,32,15)
	ds_swizzle_b32 v6, v5 offset:swizzle(BROADCAST,32,15)
	s_and_saveexec_b32 s28, s4
	s_cbranch_execz .LBB77_109
; %bb.108:                              ;   in Loop: Header=BB77_61 Depth=2
	s_waitcnt lgkmcnt(1)
	v_mul_f32_e32 v7, v4, v7
	s_waitcnt lgkmcnt(0)
	s_delay_alu instid0(VALU_DEP_1)
	v_dual_fmac_f32 v5, v4, v6 :: v_dual_mov_b32 v4, v7
.LBB77_109:                             ;   in Loop: Header=BB77_61 Depth=2
	s_or_b32 exec_lo, exec_lo, s28
	s_and_saveexec_b32 s28, s5
	s_cbranch_execz .LBB77_111
; %bb.110:                              ;   in Loop: Header=BB77_61 Depth=2
	ds_store_b64 v35, v[4:5] offset:2112
.LBB77_111:                             ;   in Loop: Header=BB77_61 Depth=2
	s_or_b32 exec_lo, exec_lo, s28
	s_waitcnt lgkmcnt(0)
	s_waitcnt_vscnt null, 0x0
	s_barrier
	buffer_gl0_inv
	s_and_saveexec_b32 s28, s6
	s_cbranch_execz .LBB77_113
; %bb.112:                              ;   in Loop: Header=BB77_61 Depth=2
	ds_load_b64 v[6:7], v36 offset:2112
	s_waitcnt lgkmcnt(0)
	v_mov_b32_dpp v97, v6 row_shr:1 row_mask:0xf bank_mask:0xf
	v_mov_b32_dpp v98, v7 row_shr:1 row_mask:0xf bank_mask:0xf
	s_delay_alu instid0(VALU_DEP_2) | instskip(NEXT) | instid1(VALU_DEP_2)
	v_mul_f32_e32 v97, v6, v97
	v_fma_f32 v98, v6, v98, v7
	s_delay_alu instid0(VALU_DEP_2) | instskip(NEXT) | instid1(VALU_DEP_2)
	v_cndmask_b32_e64 v6, v97, v6, s7
	v_cndmask_b32_e64 v7, v98, v7, s7
	ds_store_b64 v36, v[6:7] offset:2112
.LBB77_113:                             ;   in Loop: Header=BB77_61 Depth=2
	s_or_b32 exec_lo, exec_lo, s28
	s_waitcnt lgkmcnt(0)
	s_barrier
	buffer_gl0_inv
                                        ; implicit-def: $vgpr7
	s_and_saveexec_b32 s28, s9
	s_cbranch_execz .LBB77_115
; %bb.114:                              ;   in Loop: Header=BB77_61 Depth=2
	ds_load_b64 v[6:7], v35 offset:2104
	s_waitcnt lgkmcnt(0)
	v_mul_f32_e32 v97, v4, v6
	s_delay_alu instid0(VALU_DEP_1)
	v_dual_fmac_f32 v5, v4, v7 :: v_dual_mov_b32 v4, v97
.LBB77_115:                             ;   in Loop: Header=BB77_61 Depth=2
	s_or_b32 exec_lo, exec_lo, s28
	ds_bpermute_b32 v97, v37, v4
	ds_bpermute_b32 v98, v37, v5
	s_and_saveexec_b32 s28, s8
	s_cbranch_execz .LBB77_119
; %bb.116:                              ;   in Loop: Header=BB77_61 Depth=2
	ds_load_b64 v[4:5], v13 offset:2120
	s_and_saveexec_b32 s39, s10
	s_cbranch_execz .LBB77_118
; %bb.117:                              ;   in Loop: Header=BB77_61 Depth=2
	ds_store_b64 v13, v[8:9] offset:2120
.LBB77_118:                             ;   in Loop: Header=BB77_61 Depth=2
	s_or_b32 exec_lo, exec_lo, s39
	s_waitcnt lgkmcnt(0)
	v_fmac_f32_e32 v5, v9, v4
	s_delay_alu instid0(VALU_DEP_1)
	v_dual_mul_f32 v8, v8, v4 :: v_dual_mov_b32 v9, v5
.LBB77_119:                             ;   in Loop: Header=BB77_61 Depth=2
	s_or_b32 exec_lo, exec_lo, s28
	s_waitcnt lgkmcnt(0)
	s_barrier
	buffer_gl0_inv
	ds_load_b32 v4, v13 offset:2124
	s_and_saveexec_b32 s28, s10
	s_cbranch_execz .LBB77_60
; %bb.120:                              ;   in Loop: Header=BB77_61 Depth=2
	v_mov_b32_e32 v5, s73
	s_and_not1_b32 vcc_lo, exec_lo, s71
	ds_store_b64 v5, v[8:9]
	s_cbranch_vccnz .LBB77_60
; %bb.121:                              ;   in Loop: Header=BB77_61 Depth=2
	s_mov_b32 s43, s53
	v_cvt_f16_f32_e32 v5, v9
	s_lshl_b64 s[74:75], s[42:43], 1
	s_delay_alu instid0(SALU_CYCLE_1)
	s_add_u32 s74, s59, s74
	s_addc_u32 s75, s60, s75
	global_store_b16 v13, v5, s[74:75]
	s_branch .LBB77_60
.LBB77_122:                             ;   in Loop: Header=BB77_12 Depth=1
	v_cvt_f16_f32_e32 v0, v64
	v_cvt_f16_f32_e32 v1, v63
	;; [unrolled: 1-line block ×8, first 2 shown]
	s_waitcnt_vscnt null, 0x0
	v_pack_b32_f16 v3, v3, v4
	v_pack_b32_f16 v2, v2, v5
	v_pack_b32_f16 v1, v1, v6
	v_pack_b32_f16 v0, v0, v7
	s_barrier
	buffer_gl0_inv
	s_mov_b32 s31, s53
	ds_store_b128 v27, v[0:3]
	; wave barrier
	ds_load_u16 v8, v20 offset:64
	ds_load_u16 v7, v21 offset:128
	;; [unrolled: 1-line block ×7, first 2 shown]
	s_lshl_b64 s[24:25], s[30:31], 1
	s_delay_alu instid0(SALU_CYCLE_1)
	v_add_co_u32 v0, vcc_lo, v38, s24
	v_add_co_ci_u32_e32 v1, vcc_lo, s25, v39, vcc_lo
	s_and_saveexec_b32 s20, s12
	s_cbranch_execnz .LBB77_157
; %bb.123:                              ;   in Loop: Header=BB77_12 Depth=1
	s_or_b32 exec_lo, exec_lo, s20
	s_and_saveexec_b32 s20, s13
	s_cbranch_execnz .LBB77_158
.LBB77_124:                             ;   in Loop: Header=BB77_12 Depth=1
	s_or_b32 exec_lo, exec_lo, s20
	s_and_saveexec_b32 s20, s14
	s_cbranch_execnz .LBB77_159
.LBB77_125:                             ;   in Loop: Header=BB77_12 Depth=1
	s_or_b32 exec_lo, exec_lo, s20
	s_and_saveexec_b32 s20, s15
	s_cbranch_execnz .LBB77_160
.LBB77_126:                             ;   in Loop: Header=BB77_12 Depth=1
	s_or_b32 exec_lo, exec_lo, s20
	s_and_saveexec_b32 s20, s16
	s_cbranch_execnz .LBB77_161
.LBB77_127:                             ;   in Loop: Header=BB77_12 Depth=1
	s_or_b32 exec_lo, exec_lo, s20
	s_and_saveexec_b32 s20, s17
	s_cbranch_execnz .LBB77_162
.LBB77_128:                             ;   in Loop: Header=BB77_12 Depth=1
	s_or_b32 exec_lo, exec_lo, s20
	s_and_saveexec_b32 s20, s18
	s_cbranch_execnz .LBB77_163
.LBB77_129:                             ;   in Loop: Header=BB77_12 Depth=1
	s_or_b32 exec_lo, exec_lo, s20
	s_and_saveexec_b32 s20, s19
	s_cbranch_execz .LBB77_131
.LBB77_130:                             ;   in Loop: Header=BB77_12 Depth=1
	s_waitcnt lgkmcnt(0)
	global_store_b16 v[0:1], v2, off offset:448
.LBB77_131:                             ;   in Loop: Header=BB77_12 Depth=1
	s_or_b32 exec_lo, exec_lo, s20
	v_add_co_u32 v0, vcc_lo, v40, s24
	v_add_co_ci_u32_e32 v1, vcc_lo, s25, v41, vcc_lo
	s_waitcnt lgkmcnt(0)
	v_dual_mov_b32 v2, 0 :: v_dual_mov_b32 v3, 0
	s_waitcnt_vscnt null, 0x0
	s_barrier
	buffer_gl0_inv
	s_and_saveexec_b32 s20, s12
	s_cbranch_execz .LBB77_133
; %bb.132:                              ;   in Loop: Header=BB77_12 Depth=1
	global_load_u16 v3, v[0:1], off
.LBB77_133:                             ;   in Loop: Header=BB77_12 Depth=1
	s_or_b32 exec_lo, exec_lo, s20
	s_and_saveexec_b32 s20, s13
	s_cbranch_execz .LBB77_135
; %bb.134:                              ;   in Loop: Header=BB77_12 Depth=1
	global_load_u16 v2, v[0:1], off offset:64
.LBB77_135:                             ;   in Loop: Header=BB77_12 Depth=1
	s_or_b32 exec_lo, exec_lo, s20
	v_dual_mov_b32 v4, 0 :: v_dual_mov_b32 v5, 0
	s_and_saveexec_b32 s20, s14
	s_cbranch_execz .LBB77_137
; %bb.136:                              ;   in Loop: Header=BB77_12 Depth=1
	global_load_u16 v5, v[0:1], off offset:128
.LBB77_137:                             ;   in Loop: Header=BB77_12 Depth=1
	s_or_b32 exec_lo, exec_lo, s20
	s_and_saveexec_b32 s20, s15
	s_cbranch_execz .LBB77_139
; %bb.138:                              ;   in Loop: Header=BB77_12 Depth=1
	global_load_u16 v4, v[0:1], off offset:192
.LBB77_139:                             ;   in Loop: Header=BB77_12 Depth=1
	s_or_b32 exec_lo, exec_lo, s20
	v_dual_mov_b32 v6, 0 :: v_dual_mov_b32 v7, 0
	s_and_saveexec_b32 s20, s16
	s_cbranch_execz .LBB77_141
; %bb.140:                              ;   in Loop: Header=BB77_12 Depth=1
	global_load_u16 v7, v[0:1], off offset:256
.LBB77_141:                             ;   in Loop: Header=BB77_12 Depth=1
	;; [unrolled: 13-line block ×3, first 2 shown]
	s_or_b32 exec_lo, exec_lo, s20
	s_and_saveexec_b32 s20, s19
	s_cbranch_execz .LBB77_147
; %bb.146:                              ;   in Loop: Header=BB77_12 Depth=1
	global_load_u16 v8, v[0:1], off offset:448
.LBB77_147:                             ;   in Loop: Header=BB77_12 Depth=1
	s_or_b32 exec_lo, exec_lo, s20
	s_waitcnt vmcnt(0)
	ds_store_b16 v20, v3
	ds_store_b16 v20, v2 offset:64
	ds_store_b16 v21, v5 offset:128
	;; [unrolled: 1-line block ×7, first 2 shown]
	; wave barrier
	ds_load_b128 v[0:3], v27
	s_waitcnt lgkmcnt(0)
	s_barrier
	buffer_gl0_inv
	v_cvt_f32_f16_e32 v6, v1
	v_lshrrev_b32_e32 v4, 16, v0
	v_cvt_f32_f16_e32 v7, v0
	v_lshrrev_b32_e32 v5, 16, v1
	s_delay_alu instid0(VALU_DEP_4) | instskip(NEXT) | instid1(VALU_DEP_4)
	v_mul_f32_e32 v8, 0xbfb8aa3b, v6
	v_cvt_f32_f16_e32 v4, v4
	s_delay_alu instid0(VALU_DEP_4) | instskip(NEXT) | instid1(VALU_DEP_4)
	v_mul_f32_e32 v9, 0xbfb8aa3b, v7
	v_cvt_f32_f16_e32 v5, v5
	v_cmp_nlt_f32_e32 vcc_lo, 0x42ce8ed0, v6
	v_rndne_f32_e32 v55, v8
	v_fma_mix_f32 v56, v1, s68, -v8 op_sel_hi:[1,0,0]
	s_delay_alu instid0(VALU_DEP_4)
	v_dual_mul_f32 v53, 0xbfb8aa3b, v4 :: v_dual_mul_f32 v54, 0xbfb8aa3b, v5
	v_rndne_f32_e32 v65, v9
	v_fma_mix_f32 v66, v0, s68, -v9 op_sel_hi:[1,0,0]
	v_sub_f32_e32 v8, v8, v55
	v_fma_mix_f32 v56, v1, s69, v56 op_sel_hi:[1,0,0]
	v_rndne_f32_e32 v67, v53
	v_sub_f32_e32 v9, v9, v65
	v_fma_mix_f32 v68, v0, s68, -v53 op_sel:[1,0,0] op_sel_hi:[1,0,0]
	v_fma_mix_f32 v66, v0, s69, v66 op_sel_hi:[1,0,0]
	v_add_f32_e32 v8, v8, v56
	v_rndne_f32_e32 v69, v54
	v_fma_mix_f32 v70, v1, s68, -v54 op_sel:[1,0,0] op_sel_hi:[1,0,0]
	v_sub_f32_e32 v53, v53, v67
	v_fma_mix_f32 v0, v0, s69, v68 op_sel:[1,0,0] op_sel_hi:[1,0,0]
	s_delay_alu instid0(VALU_DEP_4) | instskip(SKIP_2) | instid1(VALU_DEP_3)
	v_dual_add_f32 v9, v9, v66 :: v_dual_sub_f32 v54, v54, v69
	v_exp_f32_e32 v8, v8
	v_fma_mix_f32 v1, v1, s69, v70 op_sel:[1,0,0] op_sel_hi:[1,0,0]
	v_add_f32_e32 v0, v53, v0
	s_delay_alu instid0(VALU_DEP_3)
	v_exp_f32_e32 v9, v9
	v_cvt_i32_f32_e32 v55, v55
	v_cvt_i32_f32_e32 v56, v65
	v_add_f32_e32 v1, v54, v1
	v_exp_f32_e32 v0, v0
	v_cvt_i32_f32_e32 v65, v67
	v_cvt_i32_f32_e32 v66, v69
	v_ldexp_f32 v8, v8, v55
	v_exp_f32_e32 v1, v1
	v_lshrrev_b32_e32 v54, 16, v2
	v_ldexp_f32 v9, v9, v56
	v_cvt_f32_f16_e32 v67, v3
	v_cndmask_b32_e32 v8, 0, v8, vcc_lo
	v_cmp_nlt_f32_e32 vcc_lo, 0x42ce8ed0, v7
	v_ldexp_f32 v0, v0, v65
	v_cvt_f32_f16_e32 v54, v54
	v_lshrrev_b32_e32 v53, 16, v3
	v_cndmask_b32_e32 v9, 0, v9, vcc_lo
	v_cmp_nlt_f32_e32 vcc_lo, 0x42ce8ed0, v4
	v_ldexp_f32 v1, v1, v66
	s_delay_alu instid0(VALU_DEP_4) | instskip(SKIP_2) | instid1(VALU_DEP_4)
	v_cvt_f32_f16_e32 v53, v53
	v_cndmask_b32_e32 v0, 0, v0, vcc_lo
	v_cmp_nlt_f32_e32 vcc_lo, 0x42ce8ed0, v5
	v_cndmask_b32_e32 v1, 0, v1, vcc_lo
	v_cmp_ngt_f32_e32 vcc_lo, 0xc2b17218, v6
	v_cndmask_b32_e32 v8, 0x7f800000, v8, vcc_lo
	v_cmp_ngt_f32_e32 vcc_lo, 0xc2b17218, v4
	;; [unrolled: 2-line block ×4, first 2 shown]
	s_delay_alu instid0(VALU_DEP_2) | instskip(SKIP_1) | instid1(VALU_DEP_2)
	v_dual_add_f32 v1, 1.0, v1 :: v_dual_add_f32 v8, 1.0, v8
	v_cndmask_b32_e32 v9, 0x7f800000, v9, vcc_lo
	v_div_scale_f32 v65, null, v1, v1, v5
	s_delay_alu instid0(VALU_DEP_3) | instskip(NEXT) | instid1(VALU_DEP_3)
	v_div_scale_f32 v55, null, v8, v8, v6
	v_dual_add_f32 v9, 1.0, v9 :: v_dual_add_f32 v0, 1.0, v0
	s_delay_alu instid0(VALU_DEP_3) | instskip(NEXT) | instid1(VALU_DEP_2)
	v_rcp_f32_e32 v69, v65
	v_rcp_f32_e32 v66, v55
	v_div_scale_f32 v70, s20, v6, v8, v6
	s_delay_alu instid0(VALU_DEP_2) | instskip(SKIP_2) | instid1(VALU_DEP_3)
	v_div_scale_f32 v56, null, v0, v0, v4
	v_div_scale_f32 v76, s21, v5, v1, v5
	v_div_scale_f32 v72, vcc_lo, v4, v0, v4
	v_rcp_f32_e32 v68, v56
	s_waitcnt_depctr 0xfff
	v_fma_f32 v73, -v55, v66, 1.0
	v_fma_f32 v75, -v65, v69, 1.0
	v_div_scale_f32 v71, null, v9, v9, v7
	s_delay_alu instid0(VALU_DEP_2) | instskip(SKIP_2) | instid1(VALU_DEP_3)
	v_dual_fmac_f32 v66, v73, v66 :: v_dual_fmac_f32 v69, v75, v69
	v_mul_f32_e32 v73, 0xbfb8aa3b, v54
	v_fma_f32 v74, -v56, v68, 1.0
	v_dual_mul_f32 v75, v70, v66 :: v_dual_mul_f32 v78, v76, v69
	s_delay_alu instid0(VALU_DEP_3) | instskip(SKIP_1) | instid1(VALU_DEP_4)
	v_rndne_f32_e32 v80, v73
	v_fma_mix_f32 v84, v2, s68, -v73 op_sel:[1,0,0] op_sel_hi:[1,0,0]
	v_fmac_f32_e32 v68, v74, v68
	s_delay_alu instid0(VALU_DEP_4) | instskip(SKIP_2) | instid1(VALU_DEP_3)
	v_fma_f32 v81, -v55, v75, v70
	v_fma_f32 v83, -v65, v78, v76
	v_rcp_f32_e32 v74, v71
	v_mul_f32_e32 v77, v72, v68
	s_delay_alu instid0(VALU_DEP_2) | instskip(NEXT) | instid1(VALU_DEP_2)
	v_dual_fmac_f32 v75, v81, v66 :: v_dual_fmac_f32 v78, v83, v69
	v_fma_f32 v82, -v56, v77, v72
	s_delay_alu instid0(VALU_DEP_2)
	v_fma_f32 v65, -v65, v78, v76
	v_mul_f32_e32 v76, 0xbfb8aa3b, v67
	s_waitcnt_depctr 0xfff
	v_fma_f32 v85, -v71, v74, 1.0
	v_fmac_f32_e32 v77, v82, v68
	v_mul_f32_e32 v79, 0xbfb8aa3b, v53
	v_fma_f32 v55, -v55, v75, v70
	v_fma_mix_f32 v70, v2, s69, v84 op_sel:[1,0,0] op_sel_hi:[1,0,0]
	v_fmac_f32_e32 v74, v85, v74
	v_fma_f32 v56, -v56, v77, v72
	v_rndne_f32_e32 v72, v79
	s_delay_alu instid0(VALU_DEP_2)
	v_div_fmas_f32 v56, v56, v68, v77
	s_mov_b32 vcc_lo, s21
	v_fma_mix_f32 v68, v3, s68, -v79 op_sel:[1,0,0] op_sel_hi:[1,0,0]
	v_div_fmas_f32 v65, v65, v69, v78
	s_mov_b32 vcc_lo, s20
	v_div_fixup_f32 v4, v56, v0, v4
	v_div_fmas_f32 v55, v55, v66, v75
	v_cvt_f32_f16_e32 v66, v2
	v_fma_mix_f32 v68, v3, s69, v68 op_sel:[1,0,0] op_sel_hi:[1,0,0]
	v_fma_mix_f32 v75, v3, s68, -v76 op_sel_hi:[1,0,0]
	v_cmp_nlt_f32_e32 vcc_lo, 0x42ce8ed0, v54
	v_div_fixup_f32 v5, v65, v1, v5
	v_mul_f32_e32 v77, 0xbfb8aa3b, v66
	v_div_fixup_f32 v0, v55, v8, v6
	v_fma_mix_f32 v3, v3, s69, v75 op_sel_hi:[1,0,0]
	s_delay_alu instid0(VALU_DEP_3) | instskip(NEXT) | instid1(VALU_DEP_1)
	v_fma_mix_f32 v78, v2, s68, -v77 op_sel_hi:[1,0,0]
	v_fma_mix_f32 v2, v2, s69, v78 op_sel_hi:[1,0,0]
	v_sub_f32_e32 v73, v73, v80
	s_delay_alu instid0(VALU_DEP_1) | instskip(SKIP_2) | instid1(VALU_DEP_3)
	v_dual_add_f32 v69, v73, v70 :: v_dual_sub_f32 v70, v79, v72
	v_rndne_f32_e32 v73, v76
	v_cvt_i32_f32_e32 v72, v72
	v_exp_f32_e32 v69, v69
	s_delay_alu instid0(VALU_DEP_3) | instskip(SKIP_3) | instid1(VALU_DEP_4)
	v_add_f32_e32 v68, v70, v68
	v_cvt_i32_f32_e32 v70, v80
	v_rndne_f32_e32 v75, v77
	v_sub_f32_e32 v76, v76, v73
	v_exp_f32_e32 v68, v68
	s_waitcnt_depctr 0xfff
	v_ldexp_f32 v69, v69, v70
	s_delay_alu instid0(VALU_DEP_1) | instskip(SKIP_2) | instid1(VALU_DEP_3)
	v_dual_sub_f32 v70, v77, v75 :: v_dual_cndmask_b32 v69, 0, v69
	v_cmp_ngt_f32_e32 vcc_lo, 0xc2b17218, v54
	v_ldexp_f32 v68, v68, v72
	v_add_f32_e32 v2, v70, v2
	v_cvt_i32_f32_e32 v70, v73
	v_cndmask_b32_e32 v69, 0x7f800000, v69, vcc_lo
	v_cmp_nlt_f32_e32 vcc_lo, 0x42ce8ed0, v53
	v_add_f32_e32 v3, v76, v3
	v_exp_f32_e32 v2, v2
	v_cndmask_b32_e32 v68, 0, v68, vcc_lo
	s_delay_alu instid0(VALU_DEP_2) | instskip(SKIP_4) | instid1(VALU_DEP_1)
	v_exp_f32_e32 v3, v3
	v_cmp_nlt_f32_e32 vcc_lo, 0x42ce8ed0, v67
	s_waitcnt_depctr 0xfff
	v_ldexp_f32 v3, v3, v70
	v_cvt_i32_f32_e32 v70, v75
	v_ldexp_f32 v2, v2, v70
	s_delay_alu instid0(VALU_DEP_3) | instskip(SKIP_3) | instid1(VALU_DEP_2)
	v_cndmask_b32_e32 v3, 0, v3, vcc_lo
	v_cmp_ngt_f32_e32 vcc_lo, 0xc2b17218, v53
	v_cndmask_b32_e32 v68, 0x7f800000, v68, vcc_lo
	v_cmp_ngt_f32_e32 vcc_lo, 0xc2b17218, v67
	v_dual_add_f32 v68, 1.0, v68 :: v_dual_add_f32 v69, 1.0, v69
	v_cndmask_b32_e32 v3, 0x7f800000, v3, vcc_lo
	v_cmp_nlt_f32_e32 vcc_lo, 0x42ce8ed0, v66
	s_delay_alu instid0(VALU_DEP_3) | instskip(NEXT) | instid1(VALU_DEP_4)
	v_div_scale_f32 v73, null, v68, v68, v53
	v_div_scale_f32 v70, null, v69, v69, v54
	v_cndmask_b32_e32 v2, 0, v2, vcc_lo
	s_delay_alu instid0(VALU_DEP_3) | instskip(SKIP_1) | instid1(VALU_DEP_3)
	v_rcp_f32_e32 v77, v73
	v_cmp_ngt_f32_e32 vcc_lo, 0xc2b17218, v66
	v_rcp_f32_e32 v72, v70
	s_waitcnt_depctr 0xfff
	v_fma_f32 v82, -v73, v77, 1.0
	v_cndmask_b32_e32 v2, 0x7f800000, v2, vcc_lo
	v_div_scale_f32 v76, vcc_lo, v7, v9, v7
	v_fma_f32 v78, -v70, v72, 1.0
	s_delay_alu instid0(VALU_DEP_3) | instskip(NEXT) | instid1(VALU_DEP_3)
	v_dual_fmac_f32 v77, v82, v77 :: v_dual_add_f32 v2, 1.0, v2
	v_dual_add_f32 v3, 1.0, v3 :: v_dual_mul_f32 v80, v76, v74
	v_div_scale_f32 v82, s21, v53, v68, v53
	s_delay_alu instid0(VALU_DEP_3) | instskip(NEXT) | instid1(VALU_DEP_3)
	v_div_scale_f32 v81, null, v2, v2, v66
	v_div_scale_f32 v75, null, v3, v3, v67
	s_delay_alu instid0(VALU_DEP_4) | instskip(NEXT) | instid1(VALU_DEP_3)
	v_fma_f32 v84, -v71, v80, v76
	v_rcp_f32_e32 v83, v81
	s_delay_alu instid0(VALU_DEP_2)
	v_rcp_f32_e32 v79, v75
	s_waitcnt_depctr 0xfff
	v_fma_f32 v87, -v81, v83, 1.0
	v_fmac_f32_e32 v80, v84, v74
	v_fma_f32 v85, -v75, v79, 1.0
	v_fmac_f32_e32 v72, v78, v72
	v_div_scale_f32 v78, s20, v54, v69, v54
	v_fmac_f32_e32 v83, v87, v83
	s_delay_alu instid0(VALU_DEP_4) | instskip(SKIP_1) | instid1(VALU_DEP_4)
	v_fmac_f32_e32 v79, v85, v79
	v_div_scale_f32 v85, s22, v67, v3, v67
	v_mul_f32_e32 v86, v78, v72
	v_div_scale_f32 v87, s23, v66, v2, v66
	s_delay_alu instid0(VALU_DEP_3) | instskip(SKIP_1) | instid1(VALU_DEP_4)
	v_mul_f32_e32 v89, v85, v79
	v_fma_f32 v71, -v71, v80, v76
	v_fma_f32 v84, -v70, v86, v78
	s_delay_alu instid0(VALU_DEP_4) | instskip(NEXT) | instid1(VALU_DEP_3)
	v_mul_f32_e32 v90, v87, v83
	v_div_fmas_f32 v71, v71, v74, v80
	s_delay_alu instid0(VALU_DEP_3)
	v_fmac_f32_e32 v86, v84, v72
	v_fma_f32 v84, -v75, v89, v85
	v_mul_f32_e32 v88, v82, v77
	v_fma_f32 v74, -v81, v90, v87
	s_mov_b32 vcc_lo, s20
	v_fma_f32 v70, -v70, v86, v78
	v_fmac_f32_e32 v89, v84, v79
	v_fma_f32 v76, -v73, v88, v82
	v_fmac_f32_e32 v90, v74, v83
	v_div_fixup_f32 v6, v71, v9, v7
	v_div_fmas_f32 v70, v70, v72, v86
	s_mov_b32 vcc_lo, s21
	v_fmac_f32_e32 v88, v76, v77
	v_fma_f32 v74, -v81, v90, v87
	s_delay_alu instid0(VALU_DEP_3) | instskip(NEXT) | instid1(VALU_DEP_3)
	v_div_fixup_f32 v7, v70, v69, v54
	v_fma_f32 v72, -v73, v88, v82
	v_fma_f32 v73, -v75, v89, v85
	s_delay_alu instid0(VALU_DEP_2) | instskip(SKIP_1) | instid1(VALU_DEP_2)
	v_div_fmas_f32 v72, v72, v77, v88
	s_mov_b32 vcc_lo, s22
	v_div_fmas_f32 v73, v73, v79, v89
	s_mov_b32 vcc_lo, s23
	s_delay_alu instid0(VALU_DEP_2) | instskip(SKIP_1) | instid1(VALU_DEP_3)
	v_div_fixup_f32 v8, v72, v68, v53
	v_div_fmas_f32 v74, v74, v83, v90
	v_div_fixup_f32 v1, v73, v3, v67
	s_delay_alu instid0(VALU_DEP_2) | instskip(NEXT) | instid1(VALU_DEP_2)
	v_div_fixup_f32 v2, v74, v2, v66
	v_fma_mixlo_f16 v3, v60, v1, 0
	v_fma_mixlo_f16 v1, v63, v0, 0
	;; [unrolled: 1-line block ×3, first 2 shown]
	s_delay_alu instid0(VALU_DEP_4) | instskip(NEXT) | instid1(VALU_DEP_4)
	v_fma_mixlo_f16 v2, v62, v2, 0
	v_fma_mixhi_f16 v3, v61, v8, 0
	s_delay_alu instid0(VALU_DEP_4) | instskip(NEXT) | instid1(VALU_DEP_4)
	v_fma_mixhi_f16 v1, v59, v5, 0
	v_fma_mixhi_f16 v0, v58, v4, 0
	s_delay_alu instid0(VALU_DEP_4)
	v_fma_mixhi_f16 v2, v57, v7, 0
	ds_store_b128 v27, v[0:3]
	; wave barrier
	ds_load_u16 v8, v20 offset:64
	ds_load_u16 v7, v21 offset:128
	ds_load_u16 v6, v22 offset:192
	ds_load_u16 v5, v23 offset:256
	ds_load_u16 v4, v24 offset:320
	ds_load_u16 v3, v25 offset:384
	ds_load_u16 v2, v26 offset:448
	v_add_co_u32 v0, vcc_lo, v42, s24
	v_add_co_ci_u32_e32 v1, vcc_lo, s25, v43, vcc_lo
	s_and_saveexec_b32 s20, s12
	s_cbranch_execnz .LBB77_164
; %bb.148:                              ;   in Loop: Header=BB77_12 Depth=1
	s_or_b32 exec_lo, exec_lo, s20
	s_and_saveexec_b32 s12, s13
	s_cbranch_execnz .LBB77_165
.LBB77_149:                             ;   in Loop: Header=BB77_12 Depth=1
	s_or_b32 exec_lo, exec_lo, s12
	s_and_saveexec_b32 s12, s14
	s_cbranch_execnz .LBB77_166
.LBB77_150:                             ;   in Loop: Header=BB77_12 Depth=1
	s_or_b32 exec_lo, exec_lo, s12
	s_and_saveexec_b32 s12, s15
	s_cbranch_execnz .LBB77_167
.LBB77_151:                             ;   in Loop: Header=BB77_12 Depth=1
	s_or_b32 exec_lo, exec_lo, s12
	s_and_saveexec_b32 s12, s16
	s_cbranch_execnz .LBB77_168
.LBB77_152:                             ;   in Loop: Header=BB77_12 Depth=1
	s_or_b32 exec_lo, exec_lo, s12
	s_and_saveexec_b32 s12, s17
	s_cbranch_execnz .LBB77_169
.LBB77_153:                             ;   in Loop: Header=BB77_12 Depth=1
	s_or_b32 exec_lo, exec_lo, s12
	s_and_saveexec_b32 s12, s18
	s_cbranch_execnz .LBB77_170
.LBB77_154:                             ;   in Loop: Header=BB77_12 Depth=1
	s_or_b32 exec_lo, exec_lo, s12
	s_and_saveexec_b32 s12, s19
	s_cbranch_execz .LBB77_11
	s_branch .LBB77_171
.LBB77_155:                             ;   in Loop: Header=BB77_12 Depth=1
	global_load_u16 v55, v[4:5], off offset:320
	s_or_b32 exec_lo, exec_lo, s20
	s_and_saveexec_b32 s20, s18
	s_cbranch_execz .LBB77_40
.LBB77_156:                             ;   in Loop: Header=BB77_12 Depth=1
	global_load_u16 v54, v[4:5], off offset:384
	s_or_b32 exec_lo, exec_lo, s20
	v_mov_b32_e32 v56, 0
	s_and_saveexec_b32 s20, s19
	s_cbranch_execnz .LBB77_41
	s_branch .LBB77_42
.LBB77_157:                             ;   in Loop: Header=BB77_12 Depth=1
	ds_load_u16 v9, v20
	s_waitcnt lgkmcnt(0)
	global_store_b16 v[0:1], v9, off
	s_or_b32 exec_lo, exec_lo, s20
	s_and_saveexec_b32 s20, s13
	s_cbranch_execz .LBB77_124
.LBB77_158:                             ;   in Loop: Header=BB77_12 Depth=1
	s_waitcnt lgkmcnt(6)
	global_store_b16 v[0:1], v8, off offset:64
	s_or_b32 exec_lo, exec_lo, s20
	s_and_saveexec_b32 s20, s14
	s_cbranch_execz .LBB77_125
.LBB77_159:                             ;   in Loop: Header=BB77_12 Depth=1
	s_waitcnt lgkmcnt(5)
	global_store_b16 v[0:1], v7, off offset:128
	s_or_b32 exec_lo, exec_lo, s20
	s_and_saveexec_b32 s20, s15
	s_cbranch_execz .LBB77_126
.LBB77_160:                             ;   in Loop: Header=BB77_12 Depth=1
	s_waitcnt lgkmcnt(4)
	global_store_b16 v[0:1], v6, off offset:192
	s_or_b32 exec_lo, exec_lo, s20
	s_and_saveexec_b32 s20, s16
	s_cbranch_execz .LBB77_127
.LBB77_161:                             ;   in Loop: Header=BB77_12 Depth=1
	s_waitcnt lgkmcnt(3)
	global_store_b16 v[0:1], v5, off offset:256
	s_or_b32 exec_lo, exec_lo, s20
	s_and_saveexec_b32 s20, s17
	s_cbranch_execz .LBB77_128
.LBB77_162:                             ;   in Loop: Header=BB77_12 Depth=1
	s_waitcnt lgkmcnt(2)
	global_store_b16 v[0:1], v4, off offset:320
	s_or_b32 exec_lo, exec_lo, s20
	s_and_saveexec_b32 s20, s18
	s_cbranch_execz .LBB77_129
.LBB77_163:                             ;   in Loop: Header=BB77_12 Depth=1
	s_waitcnt lgkmcnt(1)
	global_store_b16 v[0:1], v3, off offset:384
	s_or_b32 exec_lo, exec_lo, s20
	s_and_saveexec_b32 s20, s19
	s_cbranch_execnz .LBB77_130
	s_branch .LBB77_131
.LBB77_164:                             ;   in Loop: Header=BB77_12 Depth=1
	ds_load_u16 v9, v20
	s_waitcnt lgkmcnt(0)
	global_store_b16 v[0:1], v9, off
	s_or_b32 exec_lo, exec_lo, s20
	s_and_saveexec_b32 s12, s13
	s_cbranch_execz .LBB77_149
.LBB77_165:                             ;   in Loop: Header=BB77_12 Depth=1
	s_waitcnt lgkmcnt(6)
	global_store_b16 v[0:1], v8, off offset:64
	s_or_b32 exec_lo, exec_lo, s12
	s_and_saveexec_b32 s12, s14
	s_cbranch_execz .LBB77_150
.LBB77_166:                             ;   in Loop: Header=BB77_12 Depth=1
	s_waitcnt lgkmcnt(5)
	global_store_b16 v[0:1], v7, off offset:128
	s_or_b32 exec_lo, exec_lo, s12
	s_and_saveexec_b32 s12, s15
	s_cbranch_execz .LBB77_151
.LBB77_167:                             ;   in Loop: Header=BB77_12 Depth=1
	s_waitcnt lgkmcnt(4)
	global_store_b16 v[0:1], v6, off offset:192
	s_or_b32 exec_lo, exec_lo, s12
	s_and_saveexec_b32 s12, s16
	s_cbranch_execz .LBB77_152
.LBB77_168:                             ;   in Loop: Header=BB77_12 Depth=1
	s_waitcnt lgkmcnt(3)
	global_store_b16 v[0:1], v5, off offset:256
	s_or_b32 exec_lo, exec_lo, s12
	s_and_saveexec_b32 s12, s17
	s_cbranch_execz .LBB77_153
.LBB77_169:                             ;   in Loop: Header=BB77_12 Depth=1
	s_waitcnt lgkmcnt(2)
	global_store_b16 v[0:1], v4, off offset:320
	s_or_b32 exec_lo, exec_lo, s12
	s_and_saveexec_b32 s12, s18
	s_cbranch_execz .LBB77_154
.LBB77_170:                             ;   in Loop: Header=BB77_12 Depth=1
	s_waitcnt lgkmcnt(1)
	global_store_b16 v[0:1], v3, off offset:384
	s_or_b32 exec_lo, exec_lo, s12
	s_and_saveexec_b32 s12, s19
	s_cbranch_execz .LBB77_11
.LBB77_171:                             ;   in Loop: Header=BB77_12 Depth=1
	s_waitcnt lgkmcnt(0)
	global_store_b16 v[0:1], v2, off offset:448
	s_branch .LBB77_11
.LBB77_172:
	s_nop 0
	s_sendmsg sendmsg(MSG_DEALLOC_VGPRS)
	s_endpgm
	.section	.rodata,"a",@progbits
	.p2align	6, 0x0
	.amdhsa_kernel _Z25selective_scan_fwd_kernelI32Selective_Scan_fwd_kernel_traitsILi64ELi8ELi1ELb0ELb1ELb1ELb1ELb0EN3c104HalfEfS2_EEv13SSMParamsBase
		.amdhsa_group_segment_fixed_size 0
		.amdhsa_private_segment_fixed_size 0
		.amdhsa_kernarg_size 248
		.amdhsa_user_sgpr_count 14
		.amdhsa_user_sgpr_dispatch_ptr 0
		.amdhsa_user_sgpr_queue_ptr 0
		.amdhsa_user_sgpr_kernarg_segment_ptr 1
		.amdhsa_user_sgpr_dispatch_id 0
		.amdhsa_user_sgpr_private_segment_size 0
		.amdhsa_wavefront_size32 1
		.amdhsa_uses_dynamic_stack 0
		.amdhsa_enable_private_segment 0
		.amdhsa_system_sgpr_workgroup_id_x 1
		.amdhsa_system_sgpr_workgroup_id_y 1
		.amdhsa_system_sgpr_workgroup_id_z 0
		.amdhsa_system_sgpr_workgroup_info 0
		.amdhsa_system_vgpr_workitem_id 0
		.amdhsa_next_free_vgpr 99
		.amdhsa_next_free_sgpr 76
		.amdhsa_reserve_vcc 1
		.amdhsa_float_round_mode_32 0
		.amdhsa_float_round_mode_16_64 0
		.amdhsa_float_denorm_mode_32 3
		.amdhsa_float_denorm_mode_16_64 3
		.amdhsa_dx10_clamp 1
		.amdhsa_ieee_mode 1
		.amdhsa_fp16_overflow 0
		.amdhsa_workgroup_processor_mode 1
		.amdhsa_memory_ordered 1
		.amdhsa_forward_progress 0
		.amdhsa_shared_vgpr_count 0
		.amdhsa_exception_fp_ieee_invalid_op 0
		.amdhsa_exception_fp_denorm_src 0
		.amdhsa_exception_fp_ieee_div_zero 0
		.amdhsa_exception_fp_ieee_overflow 0
		.amdhsa_exception_fp_ieee_underflow 0
		.amdhsa_exception_fp_ieee_inexact 0
		.amdhsa_exception_int_div_zero 0
	.end_amdhsa_kernel
	.section	.text._Z25selective_scan_fwd_kernelI32Selective_Scan_fwd_kernel_traitsILi64ELi8ELi1ELb0ELb1ELb1ELb1ELb0EN3c104HalfEfS2_EEv13SSMParamsBase,"axG",@progbits,_Z25selective_scan_fwd_kernelI32Selective_Scan_fwd_kernel_traitsILi64ELi8ELi1ELb0ELb1ELb1ELb1ELb0EN3c104HalfEfS2_EEv13SSMParamsBase,comdat
.Lfunc_end77:
	.size	_Z25selective_scan_fwd_kernelI32Selective_Scan_fwd_kernel_traitsILi64ELi8ELi1ELb0ELb1ELb1ELb1ELb0EN3c104HalfEfS2_EEv13SSMParamsBase, .Lfunc_end77-_Z25selective_scan_fwd_kernelI32Selective_Scan_fwd_kernel_traitsILi64ELi8ELi1ELb0ELb1ELb1ELb1ELb0EN3c104HalfEfS2_EEv13SSMParamsBase
                                        ; -- End function
	.section	.AMDGPU.csdata,"",@progbits
; Kernel info:
; codeLenInByte = 14156
; NumSgprs: 78
; NumVgprs: 99
; ScratchSize: 0
; MemoryBound: 0
; FloatMode: 240
; IeeeMode: 1
; LDSByteSize: 0 bytes/workgroup (compile time only)
; SGPRBlocks: 9
; VGPRBlocks: 12
; NumSGPRsForWavesPerEU: 78
; NumVGPRsForWavesPerEU: 99
; Occupancy: 12
; WaveLimiterHint : 0
; COMPUTE_PGM_RSRC2:SCRATCH_EN: 0
; COMPUTE_PGM_RSRC2:USER_SGPR: 14
; COMPUTE_PGM_RSRC2:TRAP_HANDLER: 0
; COMPUTE_PGM_RSRC2:TGID_X_EN: 1
; COMPUTE_PGM_RSRC2:TGID_Y_EN: 1
; COMPUTE_PGM_RSRC2:TGID_Z_EN: 0
; COMPUTE_PGM_RSRC2:TIDIG_COMP_CNT: 0
	.section	.text._Z25selective_scan_fwd_kernelI32Selective_Scan_fwd_kernel_traitsILi64ELi8ELi1ELb0ELb1ELb1ELb0ELb1EN3c104HalfEfS2_EEv13SSMParamsBase,"axG",@progbits,_Z25selective_scan_fwd_kernelI32Selective_Scan_fwd_kernel_traitsILi64ELi8ELi1ELb0ELb1ELb1ELb0ELb1EN3c104HalfEfS2_EEv13SSMParamsBase,comdat
	.protected	_Z25selective_scan_fwd_kernelI32Selective_Scan_fwd_kernel_traitsILi64ELi8ELi1ELb0ELb1ELb1ELb0ELb1EN3c104HalfEfS2_EEv13SSMParamsBase ; -- Begin function _Z25selective_scan_fwd_kernelI32Selective_Scan_fwd_kernel_traitsILi64ELi8ELi1ELb0ELb1ELb1ELb0ELb1EN3c104HalfEfS2_EEv13SSMParamsBase
	.globl	_Z25selective_scan_fwd_kernelI32Selective_Scan_fwd_kernel_traitsILi64ELi8ELi1ELb0ELb1ELb1ELb0ELb1EN3c104HalfEfS2_EEv13SSMParamsBase
	.p2align	8
	.type	_Z25selective_scan_fwd_kernelI32Selective_Scan_fwd_kernel_traitsILi64ELi8ELi1ELb0ELb1ELb1ELb0ELb1EN3c104HalfEfS2_EEv13SSMParamsBase,@function
_Z25selective_scan_fwd_kernelI32Selective_Scan_fwd_kernel_traitsILi64ELi8ELi1ELb0ELb1ELb1ELb0ELb1EN3c104HalfEfS2_EEv13SSMParamsBase: ; @_Z25selective_scan_fwd_kernelI32Selective_Scan_fwd_kernel_traitsILi64ELi8ELi1ELb0ELb1ELb1ELb0ELb1EN3c104HalfEfS2_EEv13SSMParamsBase
; %bb.0:
	s_clause 0x2
	s_load_b32 s35, s[0:1], 0x18
	s_load_b128 s[4:7], s[0:1], 0xe0
	s_load_b64 s[10:11], s[0:1], 0xf0
	s_mov_b32 s12, s15
	s_ashr_i32 s15, s14, 31
	s_mov_b32 s33, 0
	s_lshl_b64 s[8:9], s[14:15], 2
	s_waitcnt lgkmcnt(0)
	s_abs_i32 s34, s35
	s_add_u32 s2, s4, s8
	v_cvt_f32_u32_e32 v1, s34
	s_addc_u32 s3, s5, s9
	s_cmp_eq_u64 s[10:11], 0
	s_delay_alu instid0(VALU_DEP_1) | instskip(SKIP_2) | instid1(VALU_DEP_1)
	v_rcp_iflag_f32_e32 v1, v1
	s_waitcnt_depctr 0xfff
	v_mul_f32_e32 v1, 0x4f7ffffe, v1
	v_cvt_u32_f32_e32 v1, v1
	s_delay_alu instid0(VALU_DEP_1)
	v_readfirstlane_b32 s36, v1
	s_cbranch_scc1 .LBB78_2
; %bb.1:
	v_mov_b32_e32 v1, 0
	s_add_u32 s4, s10, s14
	s_addc_u32 s5, s11, s15
	global_load_u8 v1, v1, s[4:5]
	s_waitcnt vmcnt(0)
	v_and_b32_e32 v1, 1, v1
	s_delay_alu instid0(VALU_DEP_1)
	v_cmp_eq_u32_e64 s33, 1, v1
.LBB78_2:
	s_load_b64 s[4:5], s[0:1], 0x20
	s_cmp_eq_u64 s[6:7], 0
	s_cbranch_scc1 .LBB78_4
; %bb.3:
	s_add_u32 s6, s6, s8
	s_addc_u32 s7, s7, s9
	s_load_b32 s14, s[6:7], 0x0
	s_waitcnt lgkmcnt(0)
	s_ashr_i32 s15, s14, 31
.LBB78_4:
	s_waitcnt lgkmcnt(0)
	s_cmp_eq_u64 s[4:5], s[14:15]
	s_cbranch_scc1 .LBB78_140
; %bb.5:
	s_load_b512 s[16:31], s[0:1], 0x88
	s_load_b64 s[10:11], s[2:3], 0x0
	s_mov_b32 s52, 0
	s_mov_b32 s53, 0
	s_waitcnt lgkmcnt(0)
	s_cmp_eq_u64 s[22:23], 0
	s_cbranch_scc1 .LBB78_7
; %bb.6:
	s_ashr_i32 s13, s12, 31
	s_delay_alu instid0(SALU_CYCLE_1) | instskip(NEXT) | instid1(SALU_CYCLE_1)
	s_lshl_b64 s[2:3], s[12:13], 2
	s_add_u32 s2, s22, s2
	s_addc_u32 s3, s23, s3
	s_load_b32 s53, s[2:3], 0x0
.LBB78_7:
	s_cmp_eq_u64 s[28:29], 0
	s_cbranch_scc1 .LBB78_9
; %bb.8:
	s_ashr_i32 s13, s12, 31
	s_delay_alu instid0(SALU_CYCLE_1) | instskip(NEXT) | instid1(SALU_CYCLE_1)
	s_lshl_b64 s[2:3], s[12:13], 2
	s_add_u32 s2, s28, s2
	s_addc_u32 s3, s29, s3
	s_load_b32 s52, s[2:3], 0x0
.LBB78_9:
	s_sub_i32 s29, s11, s10
	s_delay_alu instid0(SALU_CYCLE_1)
	s_cmp_lt_i32 s29, 1
	s_cbranch_scc1 .LBB78_140
; %bb.10:
	s_sub_i32 s2, 0, s34
	s_abs_i32 s5, s12
	s_mul_i32 s4, s2, s36
	s_clause 0x1
	s_load_b64 s[2:3], s[0:1], 0x5c
	s_load_b128 s[44:47], s[0:1], 0x4c
	s_mul_hi_u32 s4, s36, s4
	s_ashr_i32 s7, s35, 31
	s_add_i32 s36, s36, s4
	s_ashr_i32 s4, s12, 31
	s_mul_hi_u32 s6, s5, s36
	s_xor_b32 s7, s4, s7
	s_mul_i32 s8, s6, s34
	s_load_b256 s[36:43], s[0:1], 0x2c
	s_sub_i32 s4, s5, s8
	s_add_i32 s5, s6, 1
	s_sub_i32 s8, s4, s34
	s_cmp_ge_u32 s4, s34
	s_mov_b32 s35, 0
	s_cselect_b32 s5, s5, s6
	s_cselect_b32 s4, s8, s4
	s_add_i32 s6, s5, 1
	s_cmp_ge_u32 s4, s34
	s_load_b128 s[48:51], s[0:1], 0x7c
	s_cselect_b32 s4, s6, s5
	s_waitcnt lgkmcnt(0)
	s_mul_i32 s34, s10, s46
	s_xor_b32 s6, s4, s7
	s_lshl_b64 s[4:5], s[34:35], 1
	s_sub_i32 s6, s6, s7
	s_mul_i32 s34, s47, s12
	s_add_u32 s7, s24, s4
	s_addc_u32 s8, s25, s5
	s_lshl_b64 s[4:5], s[34:35], 1
	s_mul_i32 s34, s10, s2
	s_add_u32 s54, s7, s4
	s_addc_u32 s55, s8, s5
	s_lshl_b64 s[4:5], s[34:35], 1
	s_mul_i32 s34, s3, s12
	s_add_u32 s4, s26, s4
	s_addc_u32 s5, s27, s5
	s_lshl_b64 s[2:3], s[34:35], 1
	s_mul_i32 s34, s36, s12
	s_add_u32 s56, s4, s2
	s_addc_u32 s36, s5, s3
	s_lshl_b64 s[2:3], s[34:35], 2
	s_mul_i32 s34, s10, s38
	s_add_u32 s57, s16, s2
	s_addc_u32 s58, s17, s3
	s_load_b64 s[16:17], s[0:1], 0x6c
	s_lshl_b64 s[2:3], s[34:35], 1
	s_mul_i32 s34, s6, s41
	s_add_u32 s7, s18, s2
	s_addc_u32 s8, s19, s3
	s_lshl_b64 s[2:3], s[34:35], 1
	v_dual_mov_b32 v13, 0 :: v_dual_lshlrev_b32 v10, 3, v0
	s_mul_i32 s34, s10, s42
	s_load_b64 s[4:5], s[0:1], 0xc8
	s_add_u32 s41, s7, s2
	s_addc_u32 s51, s8, s3
	s_lshl_b64 s[2:3], s[34:35], 1
	s_mul_i32 s34, s6, s45
	s_add_u32 s7, s20, s2
	v_mbcnt_lo_u32_b32 v1, -1, 0
	v_and_b32_e32 v2, 0x100, v10
	s_addc_u32 s6, s21, s3
	s_lshl_b64 s[2:3], s[34:35], 1
	s_mul_i32 s34, s14, s48
	s_add_u32 s45, s7, s2
	s_addc_u32 s48, s6, s3
	s_lshl_b64 s[2:3], s[34:35], 1
	s_mul_i32 s34, s49, s12
	s_clause 0x1
	s_load_b32 s49, s[0:1], 0xc
	s_load_b32 s0, s[0:1], 0x28
	v_or_b32_e32 v11, v1, v2
	v_and_b32_e32 v6, 32, v0
	v_lshrrev_b32_e32 v4, 5, v2
	v_cmp_gt_u32_e64 s6, 2, v0
	s_waitcnt lgkmcnt(0)
	s_add_u32 s4, s4, s2
	v_or_b32_e32 v12, 0x60, v11
	v_or_b32_e32 v17, 0xa0, v11
	;; [unrolled: 1-line block ×3, first 2 shown]
	s_addc_u32 s5, s5, s3
	s_lshl_b64 s[2:3], s[34:35], 1
	v_lshrrev_b32_e32 v3, 5, v12
	s_add_u32 s59, s4, s2
	v_or_b32_e32 v15, 64, v11
	v_or_b32_e32 v16, 0x80, v11
	;; [unrolled: 1-line block ×3, first 2 shown]
	v_and_b32_e32 v3, 10, v3
	v_lshrrev_b32_e32 v7, 5, v17
	v_lshrrev_b32_e32 v24, 5, v19
	s_addc_u32 s60, s5, s3
	s_add_i32 s1, s29, 0x7ff
	v_lshrrev_b32_e32 v5, 5, v15
	s_lshr_b32 s61, s1, 11
	s_bitcmp1_b32 s0, 0
	v_add_lshl_u32 v3, v3, v11, 1
	v_lshrrev_b32_e32 v8, 5, v16
	v_or_b32_e32 v9, v1, v6
	v_and_b32_e32 v7, 12, v7
	v_lshrrev_b32_e32 v23, 5, v18
	v_and_b32_e32 v26, 14, v24
	s_cselect_b32 s62, -1, 0
	s_cmp_gt_i32 s49, 0
	v_add_lshl_u32 v4, v4, v11, 1
	s_cselect_b32 s63, -1, 0
	s_add_i32 s0, 0, 0x420
	v_add_lshl_u32 v5, v5, v11, 1
	v_add_nc_u32_e32 v22, 0, v3
	v_add_lshl_u32 v8, v8, v11, 1
	v_lshrrev_b32_e32 v25, 2, v9
	v_add_lshl_u32 v7, v7, v11, 1
	v_add_lshl_u32 v33, v23, v11, 1
	;; [unrolled: 1-line block ×3, first 2 shown]
	v_add_nc_u32_e32 v30, s0, v3
	v_and_b32_e32 v3, 15, v1
	s_and_b32 s1, s29, 0x1ff
	v_and_b32_e32 v27, 14, v25
	v_add_nc_u32_e32 v25, 0, v33
	v_add_nc_u32_e32 v26, 0, v34
	;; [unrolled: 1-line block ×7, first 2 shown]
	s_cmp_eq_u32 s1, 0
	v_add_nc_u32_e32 v34, s0, v34
	v_cmp_ne_u32_e64 s0, 0, v3
	v_cmp_lt_u32_e64 s1, 1, v3
	v_cmp_lt_u32_e64 s2, 3, v3
	;; [unrolled: 1-line block ×3, first 2 shown]
	v_add_nc_u32_e32 v3, -1, v1
	v_add_nc_u32_e32 v20, 0, v4
	v_lshrrev_b32_e32 v4, 2, v0
	v_or_b32_e32 v6, 31, v6
	s_mul_i32 s34, s10, s16
	v_cmp_gt_i32_e32 vcc_lo, 0, v3
	s_cselect_b32 s64, -1, 0
	v_and_b32_e32 v4, 8, v4
	s_lshl_b64 s[14:15], s[34:35], 1
	s_add_i32 s65, s61, -1
	v_cndmask_b32_e32 v3, v3, v1, vcc_lo
	s_mul_i32 s34, s17, s12
	v_cmp_eq_u32_e64 s5, v6, v0
	v_cmp_gt_u32_e64 s8, 32, v0
	v_cmp_lt_u32_e64 s9, 31, v0
	v_cmp_eq_u32_e64 s10, 0, v0
	s_add_u32 s11, s30, s14
	v_lshlrev_b32_e32 v0, 1, v1
	s_addc_u32 s14, s31, s15
	s_lshl_b64 s[12:13], s[34:35], 1
	v_add_nc_u32_e32 v35, 0, v4
	v_and_b32_e32 v4, 1, v1
	s_add_u32 s11, s11, s12
	v_lshlrev_b32_e32 v37, 2, v3
	s_addc_u32 s12, s14, s13
	v_lshlrev_b32_e32 v3, 1, v2
	v_add_co_u32 v0, s11, s11, v0
	v_add_nc_u32_e32 v21, 0, v5
	v_lshl_add_u32 v9, v9, 3, v27
	v_and_b32_e32 v5, 16, v1
	v_cmp_eq_u32_e64 s7, 0, v4
	v_add_co_ci_u32_e64 v4, null, s12, 0, s11
	v_add_co_u32 v38, vcc_lo, v0, v3
	v_or_b32_e32 v14, 32, v11
	v_add_nc_u32_e32 v23, 0, v8
	v_add_nc_u32_e32 v24, 0, v7
	v_lshl_add_u32 v27, v9, 1, 0
	v_cmp_ne_u32_e64 s4, 0, v5
	v_add_nc_u32_e32 v36, 0, v10
	v_cmp_eq_u32_e64 s11, 0, v1
	v_add_co_ci_u32_e32 v39, vcc_lo, 0, v4, vcc_lo
	v_or_b32_e32 v40, 1, v10
	v_or_b32_e32 v41, 2, v10
	;; [unrolled: 1-line block ×7, first 2 shown]
	v_lshlrev_b32_e32 v47, 1, v1
	v_lshlrev_b32_e32 v48, 1, v2
	s_mov_b32 s66, 0x3e9b6dac
	s_add_i32 s67, 0, 0x850
	s_mov_b32 s68, 0
	s_branch .LBB78_12
.LBB78_11:                              ;   in Loop: Header=BB78_12 Depth=1
	s_or_b32 exec_lo, exec_lo, s12
	s_add_u32 s56, s56, 0x400
	s_addc_u32 s36, s36, 0
	s_add_u32 s54, s54, 0x400
	s_addc_u32 s55, s55, 0
	;; [unrolled: 2-line block ×4, first 2 shown]
	s_add_i32 s68, s68, 1
	s_delay_alu instid0(SALU_CYCLE_1)
	s_cmp_eq_u32 s68, s61
	s_cbranch_scc1 .LBB78_140
.LBB78_12:                              ; =>This Loop Header: Depth=1
                                        ;     Child Loop BB78_61 Depth 2
	v_add_co_u32 v0, s12, s54, v47
	s_delay_alu instid0(VALU_DEP_1) | instskip(SKIP_1) | instid1(VALU_DEP_2)
	v_add_co_ci_u32_e64 v1, null, s55, 0, s12
	s_lshl_b32 s30, s68, 9
	v_add_co_u32 v0, vcc_lo, v0, v48
	s_sub_i32 s23, s29, s30
	s_delay_alu instid0(VALU_DEP_2)
	v_add_co_ci_u32_e32 v1, vcc_lo, 0, v1, vcc_lo
	v_cmp_gt_u32_e64 s12, s23, v11
	s_waitcnt lgkmcnt(0)
	v_mov_b32_e32 v2, 0
	s_waitcnt_vscnt null, 0x0
	s_barrier
	buffer_gl0_inv
	s_and_saveexec_b32 s13, s12
	s_cbranch_execz .LBB78_14
; %bb.13:                               ;   in Loop: Header=BB78_12 Depth=1
	global_load_u16 v2, v[0:1], off
.LBB78_14:                              ;   in Loop: Header=BB78_12 Depth=1
	s_or_b32 exec_lo, exec_lo, s13
	v_cmp_gt_u32_e64 s13, s23, v14
	v_dual_mov_b32 v3, 0 :: v_dual_mov_b32 v4, 0
	s_delay_alu instid0(VALU_DEP_2)
	s_and_saveexec_b32 s14, s13
	s_cbranch_execz .LBB78_16
; %bb.15:                               ;   in Loop: Header=BB78_12 Depth=1
	global_load_u16 v4, v[0:1], off offset:64
.LBB78_16:                              ;   in Loop: Header=BB78_12 Depth=1
	s_or_b32 exec_lo, exec_lo, s14
	v_cmp_gt_u32_e64 s14, s23, v15
	s_delay_alu instid0(VALU_DEP_1)
	s_and_saveexec_b32 s15, s14
	s_cbranch_execz .LBB78_18
; %bb.17:                               ;   in Loop: Header=BB78_12 Depth=1
	global_load_u16 v3, v[0:1], off offset:128
.LBB78_18:                              ;   in Loop: Header=BB78_12 Depth=1
	s_or_b32 exec_lo, exec_lo, s15
	v_cmp_gt_u32_e64 s15, s23, v12
	v_mov_b32_e32 v5, 0
	v_mov_b32_e32 v7, 0
	s_delay_alu instid0(VALU_DEP_3)
	s_and_saveexec_b32 s16, s15
	s_cbranch_execz .LBB78_20
; %bb.19:                               ;   in Loop: Header=BB78_12 Depth=1
	global_load_u16 v7, v[0:1], off offset:192
.LBB78_20:                              ;   in Loop: Header=BB78_12 Depth=1
	s_or_b32 exec_lo, exec_lo, s16
	v_cmp_gt_u32_e64 s16, s23, v16
	s_delay_alu instid0(VALU_DEP_1)
	s_and_saveexec_b32 s17, s16
	s_cbranch_execz .LBB78_22
; %bb.21:                               ;   in Loop: Header=BB78_12 Depth=1
	global_load_u16 v5, v[0:1], off offset:256
.LBB78_22:                              ;   in Loop: Header=BB78_12 Depth=1
	s_or_b32 exec_lo, exec_lo, s17
	v_cmp_gt_u32_e64 s17, s23, v17
	v_dual_mov_b32 v8, 0 :: v_dual_mov_b32 v9, 0
	s_delay_alu instid0(VALU_DEP_2)
	s_and_saveexec_b32 s18, s17
	s_cbranch_execz .LBB78_24
; %bb.23:                               ;   in Loop: Header=BB78_12 Depth=1
	global_load_u16 v9, v[0:1], off offset:320
.LBB78_24:                              ;   in Loop: Header=BB78_12 Depth=1
	s_or_b32 exec_lo, exec_lo, s18
	v_cmp_gt_u32_e64 s18, s23, v18
	s_delay_alu instid0(VALU_DEP_1)
	s_and_saveexec_b32 s19, s18
	s_cbranch_execz .LBB78_26
; %bb.25:                               ;   in Loop: Header=BB78_12 Depth=1
	global_load_u16 v8, v[0:1], off offset:384
.LBB78_26:                              ;   in Loop: Header=BB78_12 Depth=1
	s_or_b32 exec_lo, exec_lo, s19
	v_cmp_gt_u32_e64 s19, s23, v19
	v_dual_mov_b32 v6, 0 :: v_dual_mov_b32 v49, 0
	s_delay_alu instid0(VALU_DEP_2)
	s_and_saveexec_b32 s20, s19
	s_cbranch_execz .LBB78_28
; %bb.27:                               ;   in Loop: Header=BB78_12 Depth=1
	global_load_u16 v49, v[0:1], off offset:448
.LBB78_28:                              ;   in Loop: Header=BB78_12 Depth=1
	s_or_b32 exec_lo, exec_lo, s20
	s_waitcnt vmcnt(0)
	ds_store_b16 v20, v2
	ds_store_b16 v20, v4 offset:64
	ds_store_b16 v21, v3 offset:128
	;; [unrolled: 1-line block ×7, first 2 shown]
	; wave barrier
	ds_load_b128 v[0:3], v27
	v_add_co_u32 v4, s20, s56, v47
	s_delay_alu instid0(VALU_DEP_1) | instskip(SKIP_1) | instid1(VALU_DEP_2)
	v_add_co_ci_u32_e64 v5, null, s36, 0, s20
	s_waitcnt lgkmcnt(0)
	v_add_co_u32 v4, vcc_lo, v4, v48
	s_delay_alu instid0(VALU_DEP_2)
	v_add_co_ci_u32_e32 v5, vcc_lo, 0, v5, vcc_lo
	s_barrier
	buffer_gl0_inv
	s_and_saveexec_b32 s20, s12
	s_cbranch_execz .LBB78_30
; %bb.29:                               ;   in Loop: Header=BB78_12 Depth=1
	global_load_u16 v6, v[4:5], off
.LBB78_30:                              ;   in Loop: Header=BB78_12 Depth=1
	s_or_b32 exec_lo, exec_lo, s20
	v_dual_mov_b32 v7, 0 :: v_dual_mov_b32 v8, 0
	s_and_saveexec_b32 s20, s13
	s_cbranch_execz .LBB78_32
; %bb.31:                               ;   in Loop: Header=BB78_12 Depth=1
	global_load_u16 v8, v[4:5], off offset:64
.LBB78_32:                              ;   in Loop: Header=BB78_12 Depth=1
	s_or_b32 exec_lo, exec_lo, s20
	s_and_saveexec_b32 s20, s14
	s_cbranch_execz .LBB78_34
; %bb.33:                               ;   in Loop: Header=BB78_12 Depth=1
	global_load_u16 v7, v[4:5], off offset:128
.LBB78_34:                              ;   in Loop: Header=BB78_12 Depth=1
	s_or_b32 exec_lo, exec_lo, s20
	v_mov_b32_e32 v9, 0
	v_mov_b32_e32 v49, 0
	s_and_saveexec_b32 s20, s15
	s_cbranch_execz .LBB78_36
; %bb.35:                               ;   in Loop: Header=BB78_12 Depth=1
	global_load_u16 v49, v[4:5], off offset:192
.LBB78_36:                              ;   in Loop: Header=BB78_12 Depth=1
	s_or_b32 exec_lo, exec_lo, s20
	s_and_saveexec_b32 s20, s16
	s_cbranch_execz .LBB78_38
; %bb.37:                               ;   in Loop: Header=BB78_12 Depth=1
	global_load_u16 v9, v[4:5], off offset:256
.LBB78_38:                              ;   in Loop: Header=BB78_12 Depth=1
	s_or_b32 exec_lo, exec_lo, s20
	v_dual_mov_b32 v50, 0 :: v_dual_mov_b32 v51, 0
	s_and_saveexec_b32 s20, s17
	s_cbranch_execnz .LBB78_130
; %bb.39:                               ;   in Loop: Header=BB78_12 Depth=1
	s_or_b32 exec_lo, exec_lo, s20
	s_and_saveexec_b32 s20, s18
	s_cbranch_execnz .LBB78_131
.LBB78_40:                              ;   in Loop: Header=BB78_12 Depth=1
	s_or_b32 exec_lo, exec_lo, s20
	v_mov_b32_e32 v52, 0
	s_and_saveexec_b32 s20, s19
	s_cbranch_execz .LBB78_42
.LBB78_41:                              ;   in Loop: Header=BB78_12 Depth=1
	global_load_u16 v52, v[4:5], off offset:448
.LBB78_42:                              ;   in Loop: Header=BB78_12 Depth=1
	s_or_b32 exec_lo, exec_lo, s20
	s_waitcnt vmcnt(0)
	ds_store_b16 v20, v6
	ds_store_b16 v20, v8 offset:64
	ds_store_b16 v21, v7 offset:128
	;; [unrolled: 1-line block ×7, first 2 shown]
	; wave barrier
	ds_load_b128 v[4:7], v27
	s_waitcnt lgkmcnt(0)
	v_cvt_f32_f16_e32 v8, v4
	s_delay_alu instid0(VALU_DEP_1) | instskip(NEXT) | instid1(VALU_DEP_1)
	v_add_f32_e32 v49, s52, v8
	v_cmp_ge_f32_e32 vcc_lo, 0x41a00000, v49
	s_and_b32 s20, s62, vcc_lo
	s_delay_alu instid0(SALU_CYCLE_1)
	s_and_saveexec_b32 s21, s20
	s_cbranch_execz .LBB78_44
; %bb.43:                               ;   in Loop: Header=BB78_12 Depth=1
	v_mul_f32_e32 v8, 0x3fb8aa3b, v49
	v_cmp_ngt_f32_e32 vcc_lo, 0xc2ce8ed0, v49
	s_delay_alu instid0(VALU_DEP_2) | instskip(SKIP_1) | instid1(VALU_DEP_2)
	v_rndne_f32_e32 v9, v8
	v_fma_f32 v50, 0x3fb8aa3b, v49, -v8
	v_sub_f32_e32 v8, v8, v9
	s_delay_alu instid0(VALU_DEP_2) | instskip(SKIP_1) | instid1(VALU_DEP_2)
	v_fmac_f32_e32 v50, 0x32a5705f, v49
	v_cvt_i32_f32_e32 v9, v9
	v_add_f32_e32 v8, v8, v50
	s_delay_alu instid0(VALU_DEP_1) | instskip(SKIP_2) | instid1(VALU_DEP_1)
	v_exp_f32_e32 v8, v8
	s_waitcnt_depctr 0xfff
	v_ldexp_f32 v8, v8, v9
	v_cndmask_b32_e32 v8, 0, v8, vcc_lo
	v_cmp_nlt_f32_e32 vcc_lo, 0x42b17218, v49
	s_delay_alu instid0(VALU_DEP_2) | instskip(NEXT) | instid1(VALU_DEP_1)
	v_cndmask_b32_e32 v49, 0x7f800000, v8, vcc_lo
	v_add_f32_e32 v50, 1.0, v49
	s_delay_alu instid0(VALU_DEP_1) | instskip(NEXT) | instid1(VALU_DEP_1)
	v_cvt_f64_f32_e32 v[8:9], v50
	v_frexp_exp_i32_f64_e32 v8, v[8:9]
	v_frexp_mant_f32_e32 v9, v50
	s_delay_alu instid0(VALU_DEP_1) | instskip(SKIP_1) | instid1(VALU_DEP_1)
	v_cmp_gt_f32_e32 vcc_lo, 0x3f2aaaab, v9
	v_add_f32_e32 v9, -1.0, v50
	v_sub_f32_e32 v52, v9, v50
	v_sub_f32_e32 v9, v49, v9
	v_cmp_gt_f32_e64 s20, 0x33800000, v49
	s_delay_alu instid0(VALU_DEP_3) | instskip(NEXT) | instid1(VALU_DEP_1)
	v_add_f32_e32 v52, 1.0, v52
	v_add_f32_e32 v9, v9, v52
	v_subrev_co_ci_u32_e32 v8, vcc_lo, 0, v8, vcc_lo
	v_cmp_eq_f32_e32 vcc_lo, 0x7f800000, v49
	s_delay_alu instid0(VALU_DEP_2) | instskip(SKIP_2) | instid1(VALU_DEP_2)
	v_sub_nc_u32_e32 v51, 0, v8
	v_cvt_f32_i32_e32 v8, v8
	s_or_b32 vcc_lo, s20, vcc_lo
	v_ldexp_f32 v50, v50, v51
	v_ldexp_f32 v9, v9, v51
	s_delay_alu instid0(VALU_DEP_2) | instskip(NEXT) | instid1(VALU_DEP_1)
	v_add_f32_e32 v53, 1.0, v50
	v_dual_add_f32 v51, -1.0, v50 :: v_dual_add_f32 v52, -1.0, v53
	s_delay_alu instid0(VALU_DEP_1) | instskip(NEXT) | instid1(VALU_DEP_2)
	v_add_f32_e32 v54, 1.0, v51
	v_sub_f32_e32 v52, v50, v52
	s_delay_alu instid0(VALU_DEP_2) | instskip(NEXT) | instid1(VALU_DEP_2)
	v_sub_f32_e32 v50, v50, v54
	v_add_f32_e32 v52, v9, v52
	s_delay_alu instid0(VALU_DEP_2) | instskip(NEXT) | instid1(VALU_DEP_1)
	v_add_f32_e32 v9, v9, v50
	v_dual_add_f32 v55, v51, v9 :: v_dual_add_f32 v54, v53, v52
	s_delay_alu instid0(VALU_DEP_1) | instskip(NEXT) | instid1(VALU_DEP_2)
	v_sub_f32_e32 v51, v51, v55
	v_rcp_f32_e32 v50, v54
	v_sub_f32_e32 v53, v53, v54
	s_delay_alu instid0(VALU_DEP_1) | instskip(SKIP_2) | instid1(VALU_DEP_1)
	v_dual_add_f32 v9, v9, v51 :: v_dual_add_f32 v52, v52, v53
	s_waitcnt_depctr 0xfff
	v_mul_f32_e32 v56, v55, v50
	v_mul_f32_e32 v57, v54, v56
	s_delay_alu instid0(VALU_DEP_1) | instskip(NEXT) | instid1(VALU_DEP_1)
	v_fma_f32 v53, v56, v54, -v57
	v_fmac_f32_e32 v53, v56, v52
	s_delay_alu instid0(VALU_DEP_1) | instskip(NEXT) | instid1(VALU_DEP_1)
	v_add_f32_e32 v58, v57, v53
	v_sub_f32_e32 v59, v55, v58
	s_delay_alu instid0(VALU_DEP_1) | instskip(NEXT) | instid1(VALU_DEP_1)
	v_sub_f32_e32 v55, v55, v59
	v_sub_f32_e32 v55, v55, v58
	;; [unrolled: 1-line block ×3, first 2 shown]
	s_delay_alu instid0(VALU_DEP_2) | instskip(NEXT) | instid1(VALU_DEP_2)
	v_add_f32_e32 v9, v9, v55
	v_sub_f32_e32 v51, v51, v53
	s_delay_alu instid0(VALU_DEP_1) | instskip(NEXT) | instid1(VALU_DEP_1)
	v_add_f32_e32 v9, v51, v9
	v_add_f32_e32 v51, v59, v9
	s_delay_alu instid0(VALU_DEP_1) | instskip(NEXT) | instid1(VALU_DEP_1)
	v_mul_f32_e32 v53, v50, v51
	v_dual_sub_f32 v58, v59, v51 :: v_dual_mul_f32 v55, v54, v53
	s_delay_alu instid0(VALU_DEP_1) | instskip(NEXT) | instid1(VALU_DEP_2)
	v_add_f32_e32 v9, v9, v58
	v_fma_f32 v54, v53, v54, -v55
	s_delay_alu instid0(VALU_DEP_1) | instskip(NEXT) | instid1(VALU_DEP_1)
	v_fmac_f32_e32 v54, v53, v52
	v_add_f32_e32 v52, v55, v54
	s_delay_alu instid0(VALU_DEP_1) | instskip(NEXT) | instid1(VALU_DEP_1)
	v_sub_f32_e32 v57, v51, v52
	v_sub_f32_e32 v51, v51, v57
	s_delay_alu instid0(VALU_DEP_1) | instskip(NEXT) | instid1(VALU_DEP_1)
	v_sub_f32_e32 v51, v51, v52
	v_add_f32_e32 v9, v9, v51
	v_add_f32_e32 v51, v56, v53
	v_sub_f32_e32 v55, v52, v55
	s_delay_alu instid0(VALU_DEP_1) | instskip(NEXT) | instid1(VALU_DEP_1)
	v_sub_f32_e32 v52, v55, v54
	v_dual_add_f32 v9, v52, v9 :: v_dual_sub_f32 v52, v51, v56
	s_delay_alu instid0(VALU_DEP_1) | instskip(NEXT) | instid1(VALU_DEP_1)
	v_add_f32_e32 v9, v57, v9
	v_dual_sub_f32 v52, v53, v52 :: v_dual_mul_f32 v9, v50, v9
	s_delay_alu instid0(VALU_DEP_1) | instskip(NEXT) | instid1(VALU_DEP_1)
	v_add_f32_e32 v9, v52, v9
	v_add_f32_e32 v50, v51, v9
	s_delay_alu instid0(VALU_DEP_1) | instskip(NEXT) | instid1(VALU_DEP_1)
	v_mul_f32_e32 v52, v50, v50
	v_fmaak_f32 v53, s66, v52, 0x3ecc95a3
	v_mul_f32_e32 v54, v50, v52
	s_delay_alu instid0(VALU_DEP_2) | instskip(SKIP_2) | instid1(VALU_DEP_3)
	v_fmaak_f32 v52, v52, v53, 0x3f2aaada
	v_ldexp_f32 v53, v50, 1
	v_sub_f32_e32 v50, v50, v51
	v_mul_f32_e32 v52, v54, v52
	v_mul_f32_e32 v54, 0x3f317218, v8
	s_delay_alu instid0(VALU_DEP_2) | instskip(NEXT) | instid1(VALU_DEP_1)
	v_add_f32_e32 v51, v53, v52
	v_dual_sub_f32 v9, v9, v50 :: v_dual_sub_f32 v50, v51, v53
	s_delay_alu instid0(VALU_DEP_3) | instskip(NEXT) | instid1(VALU_DEP_2)
	v_fma_f32 v53, 0x3f317218, v8, -v54
	v_ldexp_f32 v9, v9, 1
	s_delay_alu instid0(VALU_DEP_2) | instskip(NEXT) | instid1(VALU_DEP_1)
	v_dual_sub_f32 v50, v52, v50 :: v_dual_fmac_f32 v53, 0xb102e308, v8
	v_dual_add_f32 v8, v9, v50 :: v_dual_add_f32 v9, v54, v53
	s_delay_alu instid0(VALU_DEP_1) | instskip(NEXT) | instid1(VALU_DEP_1)
	v_add_f32_e32 v50, v51, v8
	v_add_f32_e32 v52, v9, v50
	s_delay_alu instid0(VALU_DEP_1) | instskip(NEXT) | instid1(VALU_DEP_1)
	v_sub_f32_e32 v55, v52, v9
	v_sub_f32_e32 v56, v52, v55
	v_sub_f32_e32 v51, v50, v51
	v_sub_f32_e32 v50, v50, v55
	s_delay_alu instid0(VALU_DEP_2) | instskip(SKIP_1) | instid1(VALU_DEP_1)
	v_sub_f32_e32 v8, v8, v51
	v_sub_f32_e32 v54, v9, v54
	;; [unrolled: 1-line block ×3, first 2 shown]
	s_delay_alu instid0(VALU_DEP_1) | instskip(SKIP_1) | instid1(VALU_DEP_1)
	v_add_f32_e32 v51, v53, v8
	v_sub_f32_e32 v9, v9, v56
	v_add_f32_e32 v9, v50, v9
	s_delay_alu instid0(VALU_DEP_3) | instskip(NEXT) | instid1(VALU_DEP_1)
	v_sub_f32_e32 v50, v51, v53
	v_dual_sub_f32 v8, v8, v50 :: v_dual_add_f32 v9, v51, v9
	s_delay_alu instid0(VALU_DEP_1) | instskip(NEXT) | instid1(VALU_DEP_1)
	v_dual_sub_f32 v51, v51, v50 :: v_dual_add_f32 v54, v52, v9
	v_dual_sub_f32 v51, v53, v51 :: v_dual_sub_f32 v50, v54, v52
	s_delay_alu instid0(VALU_DEP_1) | instskip(NEXT) | instid1(VALU_DEP_1)
	v_dual_add_f32 v8, v8, v51 :: v_dual_sub_f32 v9, v9, v50
	v_add_f32_e32 v8, v8, v9
	s_delay_alu instid0(VALU_DEP_1) | instskip(NEXT) | instid1(VALU_DEP_1)
	v_add_f32_e32 v8, v54, v8
	v_cndmask_b32_e32 v49, v8, v49, vcc_lo
.LBB78_44:                              ;   in Loop: Header=BB78_12 Depth=1
	s_or_b32 exec_lo, exec_lo, s21
	v_lshrrev_b32_e32 v4, 16, v4
	s_delay_alu instid0(VALU_DEP_1) | instskip(NEXT) | instid1(VALU_DEP_1)
	v_cvt_f32_f16_e32 v4, v4
	v_add_f32_e32 v50, s52, v4
	s_delay_alu instid0(VALU_DEP_1) | instskip(SKIP_1) | instid1(SALU_CYCLE_1)
	v_cmp_ge_f32_e32 vcc_lo, 0x41a00000, v50
	s_and_b32 s20, s62, vcc_lo
	s_and_saveexec_b32 s21, s20
	s_cbranch_execz .LBB78_46
; %bb.45:                               ;   in Loop: Header=BB78_12 Depth=1
	v_mul_f32_e32 v4, 0x3fb8aa3b, v50
	v_cmp_ngt_f32_e32 vcc_lo, 0xc2ce8ed0, v50
	s_delay_alu instid0(VALU_DEP_2) | instskip(SKIP_1) | instid1(VALU_DEP_1)
	v_rndne_f32_e32 v8, v4
	v_fma_f32 v9, 0x3fb8aa3b, v50, -v4
	v_dual_sub_f32 v4, v4, v8 :: v_dual_fmac_f32 v9, 0x32a5705f, v50
	v_cvt_i32_f32_e32 v8, v8
	s_delay_alu instid0(VALU_DEP_2) | instskip(NEXT) | instid1(VALU_DEP_1)
	v_add_f32_e32 v4, v4, v9
	v_exp_f32_e32 v4, v4
	s_waitcnt_depctr 0xfff
	v_ldexp_f32 v4, v4, v8
	s_delay_alu instid0(VALU_DEP_1) | instskip(SKIP_1) | instid1(VALU_DEP_2)
	v_cndmask_b32_e32 v4, 0, v4, vcc_lo
	v_cmp_nlt_f32_e32 vcc_lo, 0x42b17218, v50
	v_cndmask_b32_e32 v4, 0x7f800000, v4, vcc_lo
	s_delay_alu instid0(VALU_DEP_1) | instskip(NEXT) | instid1(VALU_DEP_1)
	v_add_f32_e32 v50, 1.0, v4
	v_cvt_f64_f32_e32 v[8:9], v50
	s_delay_alu instid0(VALU_DEP_1) | instskip(SKIP_1) | instid1(VALU_DEP_1)
	v_frexp_exp_i32_f64_e32 v8, v[8:9]
	v_frexp_mant_f32_e32 v9, v50
	v_cmp_gt_f32_e32 vcc_lo, 0x3f2aaaab, v9
	v_add_f32_e32 v9, -1.0, v50
	s_delay_alu instid0(VALU_DEP_1) | instskip(NEXT) | instid1(VALU_DEP_1)
	v_dual_sub_f32 v52, v9, v50 :: v_dual_sub_f32 v9, v4, v9
	v_add_f32_e32 v52, 1.0, v52
	s_delay_alu instid0(VALU_DEP_1) | instskip(SKIP_1) | instid1(VALU_DEP_1)
	v_add_f32_e32 v9, v9, v52
	v_subrev_co_ci_u32_e32 v8, vcc_lo, 0, v8, vcc_lo
	v_sub_nc_u32_e32 v51, 0, v8
	v_cvt_f32_i32_e32 v8, v8
	s_delay_alu instid0(VALU_DEP_2) | instskip(SKIP_1) | instid1(VALU_DEP_2)
	v_ldexp_f32 v50, v50, v51
	v_ldexp_f32 v9, v9, v51
	v_add_f32_e32 v53, 1.0, v50
	v_add_f32_e32 v51, -1.0, v50
	v_cmp_eq_f32_e32 vcc_lo, 0x7f800000, v4
	v_cmp_gt_f32_e64 s20, 0x33800000, v4
	s_delay_alu instid0(VALU_DEP_4) | instskip(NEXT) | instid1(VALU_DEP_4)
	v_add_f32_e32 v52, -1.0, v53
	v_add_f32_e32 v54, 1.0, v51
	s_delay_alu instid0(VALU_DEP_3) | instskip(NEXT) | instid1(VALU_DEP_2)
	s_or_b32 vcc_lo, s20, vcc_lo
	v_sub_f32_e32 v52, v50, v52
	s_delay_alu instid0(VALU_DEP_2) | instskip(NEXT) | instid1(VALU_DEP_2)
	v_sub_f32_e32 v50, v50, v54
	v_add_f32_e32 v52, v9, v52
	s_delay_alu instid0(VALU_DEP_2) | instskip(NEXT) | instid1(VALU_DEP_1)
	v_add_f32_e32 v9, v9, v50
	v_add_f32_e32 v55, v51, v9
	s_delay_alu instid0(VALU_DEP_1) | instskip(NEXT) | instid1(VALU_DEP_1)
	v_dual_sub_f32 v51, v51, v55 :: v_dual_add_f32 v54, v53, v52
	v_add_f32_e32 v9, v9, v51
	s_delay_alu instid0(VALU_DEP_2) | instskip(SKIP_1) | instid1(VALU_DEP_1)
	v_rcp_f32_e32 v50, v54
	v_sub_f32_e32 v53, v53, v54
	v_add_f32_e32 v52, v52, v53
	s_waitcnt_depctr 0xfff
	v_mul_f32_e32 v56, v55, v50
	s_delay_alu instid0(VALU_DEP_1) | instskip(NEXT) | instid1(VALU_DEP_1)
	v_mul_f32_e32 v57, v54, v56
	v_fma_f32 v53, v56, v54, -v57
	s_delay_alu instid0(VALU_DEP_1) | instskip(NEXT) | instid1(VALU_DEP_1)
	v_fmac_f32_e32 v53, v56, v52
	v_add_f32_e32 v58, v57, v53
	s_delay_alu instid0(VALU_DEP_1) | instskip(SKIP_1) | instid1(VALU_DEP_2)
	v_sub_f32_e32 v59, v55, v58
	v_sub_f32_e32 v51, v58, v57
	;; [unrolled: 1-line block ×3, first 2 shown]
	s_delay_alu instid0(VALU_DEP_2) | instskip(NEXT) | instid1(VALU_DEP_2)
	v_sub_f32_e32 v51, v51, v53
	v_sub_f32_e32 v55, v55, v58
	s_delay_alu instid0(VALU_DEP_1) | instskip(NEXT) | instid1(VALU_DEP_1)
	v_add_f32_e32 v9, v9, v55
	v_add_f32_e32 v9, v51, v9
	s_delay_alu instid0(VALU_DEP_1) | instskip(NEXT) | instid1(VALU_DEP_1)
	v_add_f32_e32 v51, v59, v9
	v_mul_f32_e32 v53, v50, v51
	s_delay_alu instid0(VALU_DEP_1) | instskip(NEXT) | instid1(VALU_DEP_1)
	v_dual_sub_f32 v58, v59, v51 :: v_dual_mul_f32 v55, v54, v53
	v_add_f32_e32 v9, v9, v58
	s_delay_alu instid0(VALU_DEP_2) | instskip(NEXT) | instid1(VALU_DEP_1)
	v_fma_f32 v54, v53, v54, -v55
	v_fmac_f32_e32 v54, v53, v52
	s_delay_alu instid0(VALU_DEP_1) | instskip(NEXT) | instid1(VALU_DEP_1)
	v_add_f32_e32 v52, v55, v54
	v_sub_f32_e32 v57, v51, v52
	s_delay_alu instid0(VALU_DEP_1) | instskip(NEXT) | instid1(VALU_DEP_1)
	v_sub_f32_e32 v51, v51, v57
	v_sub_f32_e32 v51, v51, v52
	s_delay_alu instid0(VALU_DEP_1) | instskip(SKIP_2) | instid1(VALU_DEP_1)
	v_add_f32_e32 v9, v9, v51
	v_add_f32_e32 v51, v56, v53
	v_sub_f32_e32 v55, v52, v55
	v_sub_f32_e32 v52, v55, v54
	s_delay_alu instid0(VALU_DEP_1) | instskip(NEXT) | instid1(VALU_DEP_1)
	v_dual_add_f32 v9, v52, v9 :: v_dual_sub_f32 v52, v51, v56
	v_add_f32_e32 v9, v57, v9
	s_delay_alu instid0(VALU_DEP_1) | instskip(NEXT) | instid1(VALU_DEP_1)
	v_dual_sub_f32 v52, v53, v52 :: v_dual_mul_f32 v9, v50, v9
	v_add_f32_e32 v9, v52, v9
	s_delay_alu instid0(VALU_DEP_1) | instskip(NEXT) | instid1(VALU_DEP_1)
	v_add_f32_e32 v50, v51, v9
	v_mul_f32_e32 v52, v50, v50
	s_delay_alu instid0(VALU_DEP_1) | instskip(SKIP_1) | instid1(VALU_DEP_2)
	v_fmaak_f32 v53, s66, v52, 0x3ecc95a3
	v_mul_f32_e32 v54, v50, v52
	v_fmaak_f32 v52, v52, v53, 0x3f2aaada
	v_ldexp_f32 v53, v50, 1
	v_sub_f32_e32 v50, v50, v51
	s_delay_alu instid0(VALU_DEP_3) | instskip(SKIP_1) | instid1(VALU_DEP_2)
	v_mul_f32_e32 v52, v54, v52
	v_mul_f32_e32 v54, 0x3f317218, v8
	v_add_f32_e32 v51, v53, v52
	s_delay_alu instid0(VALU_DEP_1) | instskip(NEXT) | instid1(VALU_DEP_3)
	v_dual_sub_f32 v9, v9, v50 :: v_dual_sub_f32 v50, v51, v53
	v_fma_f32 v53, 0x3f317218, v8, -v54
	s_delay_alu instid0(VALU_DEP_2) | instskip(NEXT) | instid1(VALU_DEP_2)
	v_ldexp_f32 v9, v9, 1
	v_dual_sub_f32 v50, v52, v50 :: v_dual_fmac_f32 v53, 0xb102e308, v8
	s_delay_alu instid0(VALU_DEP_1) | instskip(NEXT) | instid1(VALU_DEP_1)
	v_dual_add_f32 v8, v9, v50 :: v_dual_add_f32 v9, v54, v53
	v_add_f32_e32 v50, v51, v8
	s_delay_alu instid0(VALU_DEP_1) | instskip(NEXT) | instid1(VALU_DEP_1)
	v_add_f32_e32 v52, v9, v50
	v_sub_f32_e32 v55, v52, v9
	s_delay_alu instid0(VALU_DEP_1) | instskip(SKIP_2) | instid1(VALU_DEP_2)
	v_sub_f32_e32 v56, v52, v55
	v_sub_f32_e32 v51, v50, v51
	;; [unrolled: 1-line block ×5, first 2 shown]
	s_delay_alu instid0(VALU_DEP_1) | instskip(NEXT) | instid1(VALU_DEP_1)
	v_sub_f32_e32 v53, v53, v54
	v_add_f32_e32 v51, v53, v8
	v_sub_f32_e32 v9, v9, v56
	s_delay_alu instid0(VALU_DEP_1) | instskip(NEXT) | instid1(VALU_DEP_3)
	v_add_f32_e32 v9, v50, v9
	v_sub_f32_e32 v50, v51, v53
	s_delay_alu instid0(VALU_DEP_1) | instskip(NEXT) | instid1(VALU_DEP_1)
	v_dual_sub_f32 v8, v8, v50 :: v_dual_add_f32 v9, v51, v9
	v_dual_sub_f32 v51, v51, v50 :: v_dual_add_f32 v54, v52, v9
	s_delay_alu instid0(VALU_DEP_1) | instskip(NEXT) | instid1(VALU_DEP_1)
	v_dual_sub_f32 v51, v53, v51 :: v_dual_sub_f32 v50, v54, v52
	v_dual_add_f32 v8, v8, v51 :: v_dual_sub_f32 v9, v9, v50
	s_delay_alu instid0(VALU_DEP_1) | instskip(NEXT) | instid1(VALU_DEP_1)
	v_add_f32_e32 v8, v8, v9
	v_add_f32_e32 v8, v54, v8
	s_delay_alu instid0(VALU_DEP_1)
	v_cndmask_b32_e32 v50, v8, v4, vcc_lo
.LBB78_46:                              ;   in Loop: Header=BB78_12 Depth=1
	s_or_b32 exec_lo, exec_lo, s21
	v_cvt_f32_f16_e32 v4, v5
	s_delay_alu instid0(VALU_DEP_1) | instskip(NEXT) | instid1(VALU_DEP_1)
	v_add_f32_e32 v51, s52, v4
	v_cmp_ge_f32_e32 vcc_lo, 0x41a00000, v51
	s_and_b32 s20, s62, vcc_lo
	s_delay_alu instid0(SALU_CYCLE_1)
	s_and_saveexec_b32 s21, s20
	s_cbranch_execz .LBB78_48
; %bb.47:                               ;   in Loop: Header=BB78_12 Depth=1
	v_mul_f32_e32 v4, 0x3fb8aa3b, v51
	v_cmp_ngt_f32_e32 vcc_lo, 0xc2ce8ed0, v51
	s_delay_alu instid0(VALU_DEP_2) | instskip(SKIP_1) | instid1(VALU_DEP_1)
	v_rndne_f32_e32 v8, v4
	v_fma_f32 v9, 0x3fb8aa3b, v51, -v4
	v_dual_sub_f32 v4, v4, v8 :: v_dual_fmac_f32 v9, 0x32a5705f, v51
	v_cvt_i32_f32_e32 v8, v8
	s_delay_alu instid0(VALU_DEP_2) | instskip(NEXT) | instid1(VALU_DEP_1)
	v_add_f32_e32 v4, v4, v9
	v_exp_f32_e32 v4, v4
	s_waitcnt_depctr 0xfff
	v_ldexp_f32 v4, v4, v8
	s_delay_alu instid0(VALU_DEP_1) | instskip(SKIP_1) | instid1(VALU_DEP_2)
	v_cndmask_b32_e32 v4, 0, v4, vcc_lo
	v_cmp_nlt_f32_e32 vcc_lo, 0x42b17218, v51
	v_cndmask_b32_e32 v4, 0x7f800000, v4, vcc_lo
	s_delay_alu instid0(VALU_DEP_1) | instskip(NEXT) | instid1(VALU_DEP_1)
	v_add_f32_e32 v51, 1.0, v4
	v_cvt_f64_f32_e32 v[8:9], v51
	s_delay_alu instid0(VALU_DEP_1) | instskip(SKIP_1) | instid1(VALU_DEP_1)
	v_frexp_exp_i32_f64_e32 v8, v[8:9]
	v_frexp_mant_f32_e32 v9, v51
	v_cmp_gt_f32_e32 vcc_lo, 0x3f2aaaab, v9
	v_add_f32_e32 v9, -1.0, v51
	s_delay_alu instid0(VALU_DEP_1) | instskip(NEXT) | instid1(VALU_DEP_1)
	v_sub_f32_e32 v53, v9, v51
	v_add_f32_e32 v53, 1.0, v53
	v_subrev_co_ci_u32_e32 v8, vcc_lo, 0, v8, vcc_lo
	s_delay_alu instid0(VALU_DEP_1) | instskip(SKIP_1) | instid1(VALU_DEP_2)
	v_sub_nc_u32_e32 v52, 0, v8
	v_cvt_f32_i32_e32 v8, v8
	v_ldexp_f32 v51, v51, v52
	s_delay_alu instid0(VALU_DEP_1) | instskip(NEXT) | instid1(VALU_DEP_1)
	v_dual_sub_f32 v9, v4, v9 :: v_dual_add_f32 v54, 1.0, v51
	v_add_f32_e32 v9, v9, v53
	v_cmp_eq_f32_e32 vcc_lo, 0x7f800000, v4
	v_cmp_gt_f32_e64 s20, 0x33800000, v4
	s_delay_alu instid0(VALU_DEP_4) | instskip(NEXT) | instid1(VALU_DEP_4)
	v_add_f32_e32 v53, -1.0, v54
	v_ldexp_f32 v9, v9, v52
	v_add_f32_e32 v52, -1.0, v51
	s_delay_alu instid0(VALU_DEP_4) | instskip(NEXT) | instid1(VALU_DEP_3)
	s_or_b32 vcc_lo, s20, vcc_lo
	v_sub_f32_e32 v53, v51, v53
	s_delay_alu instid0(VALU_DEP_2) | instskip(NEXT) | instid1(VALU_DEP_2)
	v_add_f32_e32 v55, 1.0, v52
	v_add_f32_e32 v53, v9, v53
	s_delay_alu instid0(VALU_DEP_2) | instskip(NEXT) | instid1(VALU_DEP_1)
	v_sub_f32_e32 v51, v51, v55
	v_add_f32_e32 v9, v9, v51
	s_delay_alu instid0(VALU_DEP_1) | instskip(NEXT) | instid1(VALU_DEP_1)
	v_add_f32_e32 v56, v52, v9
	v_dual_add_f32 v55, v54, v53 :: v_dual_sub_f32 v52, v52, v56
	s_delay_alu instid0(VALU_DEP_1) | instskip(SKIP_1) | instid1(VALU_DEP_1)
	v_rcp_f32_e32 v51, v55
	v_sub_f32_e32 v54, v54, v55
	v_add_f32_e32 v53, v53, v54
	s_waitcnt_depctr 0xfff
	v_mul_f32_e32 v57, v56, v51
	s_delay_alu instid0(VALU_DEP_1) | instskip(NEXT) | instid1(VALU_DEP_1)
	v_mul_f32_e32 v58, v55, v57
	v_fma_f32 v54, v57, v55, -v58
	s_delay_alu instid0(VALU_DEP_1) | instskip(SKIP_1) | instid1(VALU_DEP_2)
	v_fmac_f32_e32 v54, v57, v53
	v_add_f32_e32 v9, v9, v52
	v_add_f32_e32 v59, v58, v54
	s_delay_alu instid0(VALU_DEP_1) | instskip(SKIP_1) | instid1(VALU_DEP_2)
	v_sub_f32_e32 v60, v56, v59
	v_sub_f32_e32 v52, v59, v58
	;; [unrolled: 1-line block ×3, first 2 shown]
	s_delay_alu instid0(VALU_DEP_2) | instskip(NEXT) | instid1(VALU_DEP_2)
	v_sub_f32_e32 v52, v52, v54
	v_sub_f32_e32 v56, v56, v59
	s_delay_alu instid0(VALU_DEP_1) | instskip(NEXT) | instid1(VALU_DEP_1)
	v_add_f32_e32 v9, v9, v56
	v_add_f32_e32 v9, v52, v9
	s_delay_alu instid0(VALU_DEP_1) | instskip(NEXT) | instid1(VALU_DEP_1)
	v_add_f32_e32 v52, v60, v9
	v_mul_f32_e32 v54, v51, v52
	s_delay_alu instid0(VALU_DEP_1) | instskip(NEXT) | instid1(VALU_DEP_1)
	v_dual_sub_f32 v59, v60, v52 :: v_dual_mul_f32 v56, v55, v54
	v_add_f32_e32 v9, v9, v59
	s_delay_alu instid0(VALU_DEP_2) | instskip(NEXT) | instid1(VALU_DEP_1)
	v_fma_f32 v55, v54, v55, -v56
	v_fmac_f32_e32 v55, v54, v53
	s_delay_alu instid0(VALU_DEP_1) | instskip(NEXT) | instid1(VALU_DEP_1)
	v_add_f32_e32 v53, v56, v55
	v_sub_f32_e32 v58, v52, v53
	s_delay_alu instid0(VALU_DEP_1) | instskip(NEXT) | instid1(VALU_DEP_1)
	v_sub_f32_e32 v52, v52, v58
	v_sub_f32_e32 v52, v52, v53
	s_delay_alu instid0(VALU_DEP_1) | instskip(SKIP_2) | instid1(VALU_DEP_1)
	v_add_f32_e32 v9, v9, v52
	v_add_f32_e32 v52, v57, v54
	v_sub_f32_e32 v56, v53, v56
	v_sub_f32_e32 v53, v56, v55
	s_delay_alu instid0(VALU_DEP_1) | instskip(NEXT) | instid1(VALU_DEP_4)
	v_add_f32_e32 v9, v53, v9
	v_sub_f32_e32 v53, v52, v57
	s_delay_alu instid0(VALU_DEP_2) | instskip(NEXT) | instid1(VALU_DEP_2)
	v_add_f32_e32 v9, v58, v9
	v_sub_f32_e32 v53, v54, v53
	s_delay_alu instid0(VALU_DEP_2) | instskip(NEXT) | instid1(VALU_DEP_1)
	v_mul_f32_e32 v9, v51, v9
	v_add_f32_e32 v9, v53, v9
	s_delay_alu instid0(VALU_DEP_1) | instskip(NEXT) | instid1(VALU_DEP_1)
	v_add_f32_e32 v51, v52, v9
	v_mul_f32_e32 v53, v51, v51
	s_delay_alu instid0(VALU_DEP_1) | instskip(SKIP_1) | instid1(VALU_DEP_2)
	v_fmaak_f32 v54, s66, v53, 0x3ecc95a3
	v_mul_f32_e32 v55, v51, v53
	v_fmaak_f32 v53, v53, v54, 0x3f2aaada
	v_ldexp_f32 v54, v51, 1
	v_sub_f32_e32 v51, v51, v52
	s_delay_alu instid0(VALU_DEP_3) | instskip(SKIP_1) | instid1(VALU_DEP_2)
	v_mul_f32_e32 v53, v55, v53
	v_mul_f32_e32 v55, 0x3f317218, v8
	v_dual_sub_f32 v9, v9, v51 :: v_dual_add_f32 v52, v54, v53
	s_delay_alu instid0(VALU_DEP_1) | instskip(NEXT) | instid1(VALU_DEP_2)
	v_ldexp_f32 v9, v9, 1
	v_sub_f32_e32 v51, v52, v54
	s_delay_alu instid0(VALU_DEP_4) | instskip(NEXT) | instid1(VALU_DEP_1)
	v_fma_f32 v54, 0x3f317218, v8, -v55
	v_dual_sub_f32 v51, v53, v51 :: v_dual_fmac_f32 v54, 0xb102e308, v8
	s_delay_alu instid0(VALU_DEP_1) | instskip(NEXT) | instid1(VALU_DEP_1)
	v_dual_add_f32 v8, v9, v51 :: v_dual_add_f32 v9, v55, v54
	v_add_f32_e32 v51, v52, v8
	s_delay_alu instid0(VALU_DEP_2) | instskip(NEXT) | instid1(VALU_DEP_2)
	v_sub_f32_e32 v55, v9, v55
	v_dual_add_f32 v53, v9, v51 :: v_dual_sub_f32 v52, v51, v52
	s_delay_alu instid0(VALU_DEP_2) | instskip(NEXT) | instid1(VALU_DEP_2)
	v_sub_f32_e32 v54, v54, v55
	v_sub_f32_e32 v56, v53, v9
	s_delay_alu instid0(VALU_DEP_3) | instskip(NEXT) | instid1(VALU_DEP_2)
	v_sub_f32_e32 v8, v8, v52
	v_sub_f32_e32 v57, v53, v56
	;; [unrolled: 1-line block ×3, first 2 shown]
	s_delay_alu instid0(VALU_DEP_2) | instskip(NEXT) | instid1(VALU_DEP_1)
	v_dual_add_f32 v52, v54, v8 :: v_dual_sub_f32 v9, v9, v57
	v_add_f32_e32 v9, v51, v9
	s_delay_alu instid0(VALU_DEP_2) | instskip(NEXT) | instid1(VALU_DEP_2)
	v_sub_f32_e32 v51, v52, v54
	v_add_f32_e32 v9, v52, v9
	s_delay_alu instid0(VALU_DEP_2) | instskip(NEXT) | instid1(VALU_DEP_2)
	v_sub_f32_e32 v52, v52, v51
	v_dual_sub_f32 v8, v8, v51 :: v_dual_add_f32 v55, v53, v9
	s_delay_alu instid0(VALU_DEP_1) | instskip(NEXT) | instid1(VALU_DEP_1)
	v_dual_sub_f32 v52, v54, v52 :: v_dual_sub_f32 v51, v55, v53
	v_dual_add_f32 v8, v8, v52 :: v_dual_sub_f32 v9, v9, v51
	s_delay_alu instid0(VALU_DEP_1) | instskip(NEXT) | instid1(VALU_DEP_1)
	v_add_f32_e32 v8, v8, v9
	v_add_f32_e32 v8, v55, v8
	s_delay_alu instid0(VALU_DEP_1)
	v_cndmask_b32_e32 v51, v8, v4, vcc_lo
.LBB78_48:                              ;   in Loop: Header=BB78_12 Depth=1
	s_or_b32 exec_lo, exec_lo, s21
	v_lshrrev_b32_e32 v4, 16, v5
	s_delay_alu instid0(VALU_DEP_1) | instskip(NEXT) | instid1(VALU_DEP_1)
	v_cvt_f32_f16_e32 v4, v4
	v_add_f32_e32 v52, s52, v4
	s_delay_alu instid0(VALU_DEP_1) | instskip(SKIP_1) | instid1(SALU_CYCLE_1)
	v_cmp_ge_f32_e32 vcc_lo, 0x41a00000, v52
	s_and_b32 s20, s62, vcc_lo
	s_and_saveexec_b32 s21, s20
	s_cbranch_execz .LBB78_50
; %bb.49:                               ;   in Loop: Header=BB78_12 Depth=1
	v_mul_f32_e32 v4, 0x3fb8aa3b, v52
	v_cmp_ngt_f32_e32 vcc_lo, 0xc2ce8ed0, v52
	s_delay_alu instid0(VALU_DEP_2) | instskip(SKIP_1) | instid1(VALU_DEP_2)
	v_rndne_f32_e32 v5, v4
	v_fma_f32 v8, 0x3fb8aa3b, v52, -v4
	v_sub_f32_e32 v4, v4, v5
	s_delay_alu instid0(VALU_DEP_2) | instskip(SKIP_1) | instid1(VALU_DEP_2)
	v_fmac_f32_e32 v8, 0x32a5705f, v52
	v_cvt_i32_f32_e32 v5, v5
	v_add_f32_e32 v4, v4, v8
	s_delay_alu instid0(VALU_DEP_1) | instskip(SKIP_2) | instid1(VALU_DEP_1)
	v_exp_f32_e32 v4, v4
	s_waitcnt_depctr 0xfff
	v_ldexp_f32 v4, v4, v5
	v_cndmask_b32_e32 v4, 0, v4, vcc_lo
	v_cmp_nlt_f32_e32 vcc_lo, 0x42b17218, v52
	s_delay_alu instid0(VALU_DEP_2) | instskip(NEXT) | instid1(VALU_DEP_1)
	v_cndmask_b32_e32 v8, 0x7f800000, v4, vcc_lo
	v_add_f32_e32 v9, 1.0, v8
	s_delay_alu instid0(VALU_DEP_1) | instskip(NEXT) | instid1(VALU_DEP_1)
	v_cvt_f64_f32_e32 v[4:5], v9
	v_frexp_exp_i32_f64_e32 v4, v[4:5]
	v_frexp_mant_f32_e32 v5, v9
	s_delay_alu instid0(VALU_DEP_1) | instskip(SKIP_1) | instid1(VALU_DEP_1)
	v_cmp_gt_f32_e32 vcc_lo, 0x3f2aaaab, v5
	v_add_f32_e32 v5, -1.0, v9
	v_sub_f32_e32 v53, v5, v9
	v_sub_f32_e32 v5, v8, v5
	s_delay_alu instid0(VALU_DEP_2) | instskip(NEXT) | instid1(VALU_DEP_1)
	v_add_f32_e32 v53, 1.0, v53
	v_add_f32_e32 v5, v5, v53
	v_cmp_gt_f32_e64 s20, 0x33800000, v8
	v_subrev_co_ci_u32_e32 v4, vcc_lo, 0, v4, vcc_lo
	v_cmp_eq_f32_e32 vcc_lo, 0x7f800000, v8
	s_delay_alu instid0(VALU_DEP_2) | instskip(SKIP_2) | instid1(VALU_DEP_2)
	v_sub_nc_u32_e32 v52, 0, v4
	v_cvt_f32_i32_e32 v4, v4
	s_or_b32 vcc_lo, s20, vcc_lo
	v_ldexp_f32 v9, v9, v52
	v_ldexp_f32 v5, v5, v52
	s_delay_alu instid0(VALU_DEP_2) | instskip(NEXT) | instid1(VALU_DEP_1)
	v_add_f32_e32 v52, -1.0, v9
	v_dual_add_f32 v54, 1.0, v9 :: v_dual_add_f32 v55, 1.0, v52
	s_delay_alu instid0(VALU_DEP_1) | instskip(NEXT) | instid1(VALU_DEP_1)
	v_add_f32_e32 v53, -1.0, v54
	v_sub_f32_e32 v53, v9, v53
	s_delay_alu instid0(VALU_DEP_3) | instskip(NEXT) | instid1(VALU_DEP_2)
	v_sub_f32_e32 v9, v9, v55
	v_add_f32_e32 v53, v5, v53
	s_delay_alu instid0(VALU_DEP_2) | instskip(NEXT) | instid1(VALU_DEP_1)
	v_add_f32_e32 v5, v5, v9
	v_add_f32_e32 v56, v52, v5
	s_delay_alu instid0(VALU_DEP_1) | instskip(NEXT) | instid1(VALU_DEP_1)
	v_dual_add_f32 v55, v54, v53 :: v_dual_sub_f32 v52, v52, v56
	v_rcp_f32_e32 v9, v55
	v_sub_f32_e32 v54, v54, v55
	s_delay_alu instid0(VALU_DEP_1) | instskip(SKIP_2) | instid1(VALU_DEP_1)
	v_add_f32_e32 v53, v53, v54
	s_waitcnt_depctr 0xfff
	v_mul_f32_e32 v57, v56, v9
	v_mul_f32_e32 v58, v55, v57
	s_delay_alu instid0(VALU_DEP_1) | instskip(NEXT) | instid1(VALU_DEP_1)
	v_fma_f32 v54, v57, v55, -v58
	v_fmac_f32_e32 v54, v57, v53
	s_delay_alu instid0(VALU_DEP_1) | instskip(NEXT) | instid1(VALU_DEP_1)
	v_add_f32_e32 v59, v58, v54
	v_sub_f32_e32 v60, v56, v59
	s_delay_alu instid0(VALU_DEP_1) | instskip(SKIP_1) | instid1(VALU_DEP_2)
	v_sub_f32_e32 v56, v56, v60
	v_dual_add_f32 v5, v5, v52 :: v_dual_sub_f32 v52, v59, v58
	v_sub_f32_e32 v56, v56, v59
	s_delay_alu instid0(VALU_DEP_1) | instskip(NEXT) | instid1(VALU_DEP_1)
	v_dual_sub_f32 v52, v52, v54 :: v_dual_add_f32 v5, v5, v56
	v_add_f32_e32 v5, v52, v5
	s_delay_alu instid0(VALU_DEP_1) | instskip(NEXT) | instid1(VALU_DEP_1)
	v_add_f32_e32 v52, v60, v5
	v_mul_f32_e32 v54, v9, v52
	s_delay_alu instid0(VALU_DEP_1) | instskip(NEXT) | instid1(VALU_DEP_1)
	v_dual_sub_f32 v59, v60, v52 :: v_dual_mul_f32 v56, v55, v54
	v_add_f32_e32 v5, v5, v59
	s_delay_alu instid0(VALU_DEP_2) | instskip(NEXT) | instid1(VALU_DEP_1)
	v_fma_f32 v55, v54, v55, -v56
	v_fmac_f32_e32 v55, v54, v53
	s_delay_alu instid0(VALU_DEP_1) | instskip(NEXT) | instid1(VALU_DEP_1)
	v_add_f32_e32 v53, v56, v55
	v_sub_f32_e32 v58, v52, v53
	s_delay_alu instid0(VALU_DEP_1) | instskip(NEXT) | instid1(VALU_DEP_1)
	v_sub_f32_e32 v52, v52, v58
	v_sub_f32_e32 v52, v52, v53
	s_delay_alu instid0(VALU_DEP_1) | instskip(SKIP_2) | instid1(VALU_DEP_1)
	v_add_f32_e32 v5, v5, v52
	v_add_f32_e32 v52, v57, v54
	v_sub_f32_e32 v56, v53, v56
	v_sub_f32_e32 v53, v56, v55
	s_delay_alu instid0(VALU_DEP_1) | instskip(NEXT) | instid1(VALU_DEP_4)
	v_add_f32_e32 v5, v53, v5
	v_sub_f32_e32 v53, v52, v57
	s_delay_alu instid0(VALU_DEP_2) | instskip(NEXT) | instid1(VALU_DEP_2)
	v_add_f32_e32 v5, v58, v5
	v_sub_f32_e32 v53, v54, v53
	s_delay_alu instid0(VALU_DEP_2) | instskip(NEXT) | instid1(VALU_DEP_1)
	v_mul_f32_e32 v5, v9, v5
	v_add_f32_e32 v5, v53, v5
	s_delay_alu instid0(VALU_DEP_1) | instskip(NEXT) | instid1(VALU_DEP_1)
	v_add_f32_e32 v9, v52, v5
	v_mul_f32_e32 v53, v9, v9
	s_delay_alu instid0(VALU_DEP_1) | instskip(SKIP_1) | instid1(VALU_DEP_2)
	v_fmaak_f32 v54, s66, v53, 0x3ecc95a3
	v_mul_f32_e32 v55, v9, v53
	v_fmaak_f32 v53, v53, v54, 0x3f2aaada
	v_ldexp_f32 v54, v9, 1
	s_delay_alu instid0(VALU_DEP_2) | instskip(NEXT) | instid1(VALU_DEP_1)
	v_mul_f32_e32 v53, v55, v53
	v_dual_sub_f32 v9, v9, v52 :: v_dual_add_f32 v52, v54, v53
	s_delay_alu instid0(VALU_DEP_1) | instskip(NEXT) | instid1(VALU_DEP_2)
	v_sub_f32_e32 v5, v5, v9
	v_sub_f32_e32 v9, v52, v54
	s_delay_alu instid0(VALU_DEP_2) | instskip(NEXT) | instid1(VALU_DEP_2)
	v_ldexp_f32 v5, v5, 1
	v_sub_f32_e32 v9, v53, v9
	v_mul_f32_e32 v55, 0x3f317218, v4
	s_delay_alu instid0(VALU_DEP_1) | instskip(NEXT) | instid1(VALU_DEP_1)
	v_fma_f32 v54, 0x3f317218, v4, -v55
	v_fmac_f32_e32 v54, 0xb102e308, v4
	s_delay_alu instid0(VALU_DEP_1) | instskip(NEXT) | instid1(VALU_DEP_1)
	v_dual_add_f32 v4, v5, v9 :: v_dual_add_f32 v5, v55, v54
	v_add_f32_e32 v9, v52, v4
	s_delay_alu instid0(VALU_DEP_1) | instskip(SKIP_1) | instid1(VALU_DEP_2)
	v_add_f32_e32 v53, v5, v9
	v_sub_f32_e32 v52, v9, v52
	v_sub_f32_e32 v56, v53, v5
	s_delay_alu instid0(VALU_DEP_2) | instskip(NEXT) | instid1(VALU_DEP_2)
	v_dual_sub_f32 v4, v4, v52 :: v_dual_sub_f32 v55, v5, v55
	v_sub_f32_e32 v57, v53, v56
	s_delay_alu instid0(VALU_DEP_2) | instskip(NEXT) | instid1(VALU_DEP_1)
	v_dual_sub_f32 v9, v9, v56 :: v_dual_sub_f32 v54, v54, v55
	v_dual_sub_f32 v5, v5, v57 :: v_dual_add_f32 v52, v54, v4
	s_delay_alu instid0(VALU_DEP_1) | instskip(NEXT) | instid1(VALU_DEP_2)
	v_add_f32_e32 v5, v9, v5
	v_sub_f32_e32 v9, v52, v54
	s_delay_alu instid0(VALU_DEP_2) | instskip(NEXT) | instid1(VALU_DEP_2)
	v_add_f32_e32 v5, v52, v5
	v_sub_f32_e32 v52, v52, v9
	v_sub_f32_e32 v4, v4, v9
	s_delay_alu instid0(VALU_DEP_2) | instskip(NEXT) | instid1(VALU_DEP_1)
	v_dual_add_f32 v55, v53, v5 :: v_dual_sub_f32 v52, v54, v52
	v_dual_sub_f32 v9, v55, v53 :: v_dual_add_f32 v4, v4, v52
	s_delay_alu instid0(VALU_DEP_1) | instskip(NEXT) | instid1(VALU_DEP_1)
	v_sub_f32_e32 v5, v5, v9
	v_add_f32_e32 v4, v4, v5
	s_delay_alu instid0(VALU_DEP_1) | instskip(NEXT) | instid1(VALU_DEP_1)
	v_add_f32_e32 v4, v55, v4
	v_cndmask_b32_e32 v52, v4, v8, vcc_lo
.LBB78_50:                              ;   in Loop: Header=BB78_12 Depth=1
	s_or_b32 exec_lo, exec_lo, s21
	v_cvt_f32_f16_e32 v4, v6
	s_delay_alu instid0(VALU_DEP_1) | instskip(NEXT) | instid1(VALU_DEP_1)
	v_add_f32_e32 v53, s52, v4
	v_cmp_ge_f32_e32 vcc_lo, 0x41a00000, v53
	s_and_b32 s20, s62, vcc_lo
	s_delay_alu instid0(SALU_CYCLE_1)
	s_and_saveexec_b32 s21, s20
	s_cbranch_execz .LBB78_52
; %bb.51:                               ;   in Loop: Header=BB78_12 Depth=1
	v_mul_f32_e32 v4, 0x3fb8aa3b, v53
	v_cmp_ngt_f32_e32 vcc_lo, 0xc2ce8ed0, v53
	s_delay_alu instid0(VALU_DEP_2) | instskip(SKIP_1) | instid1(VALU_DEP_2)
	v_rndne_f32_e32 v5, v4
	v_fma_f32 v8, 0x3fb8aa3b, v53, -v4
	v_sub_f32_e32 v4, v4, v5
	s_delay_alu instid0(VALU_DEP_2) | instskip(SKIP_1) | instid1(VALU_DEP_2)
	v_fmac_f32_e32 v8, 0x32a5705f, v53
	v_cvt_i32_f32_e32 v5, v5
	v_add_f32_e32 v4, v4, v8
	s_delay_alu instid0(VALU_DEP_1) | instskip(SKIP_2) | instid1(VALU_DEP_1)
	v_exp_f32_e32 v4, v4
	s_waitcnt_depctr 0xfff
	v_ldexp_f32 v4, v4, v5
	v_cndmask_b32_e32 v4, 0, v4, vcc_lo
	v_cmp_nlt_f32_e32 vcc_lo, 0x42b17218, v53
	s_delay_alu instid0(VALU_DEP_2) | instskip(NEXT) | instid1(VALU_DEP_1)
	v_cndmask_b32_e32 v8, 0x7f800000, v4, vcc_lo
	v_add_f32_e32 v9, 1.0, v8
	s_delay_alu instid0(VALU_DEP_1) | instskip(NEXT) | instid1(VALU_DEP_1)
	v_cvt_f64_f32_e32 v[4:5], v9
	v_frexp_exp_i32_f64_e32 v4, v[4:5]
	v_frexp_mant_f32_e32 v5, v9
	s_delay_alu instid0(VALU_DEP_1) | instskip(SKIP_1) | instid1(VALU_DEP_1)
	v_cmp_gt_f32_e32 vcc_lo, 0x3f2aaaab, v5
	v_add_f32_e32 v5, -1.0, v9
	v_sub_f32_e32 v54, v5, v9
	v_subrev_co_ci_u32_e32 v4, vcc_lo, 0, v4, vcc_lo
	s_delay_alu instid0(VALU_DEP_1) | instskip(SKIP_1) | instid1(VALU_DEP_2)
	v_sub_nc_u32_e32 v53, 0, v4
	v_cvt_f32_i32_e32 v4, v4
	v_ldexp_f32 v9, v9, v53
	s_delay_alu instid0(VALU_DEP_1) | instskip(SKIP_3) | instid1(VALU_DEP_3)
	v_dual_add_f32 v54, 1.0, v54 :: v_dual_add_f32 v55, 1.0, v9
	v_sub_f32_e32 v5, v8, v5
	v_cmp_eq_f32_e32 vcc_lo, 0x7f800000, v8
	v_cmp_gt_f32_e64 s20, 0x33800000, v8
	v_add_f32_e32 v5, v5, v54
	s_delay_alu instid0(VALU_DEP_2) | instskip(NEXT) | instid1(VALU_DEP_1)
	s_or_b32 vcc_lo, s20, vcc_lo
	v_ldexp_f32 v5, v5, v53
	v_dual_add_f32 v53, -1.0, v9 :: v_dual_add_f32 v54, -1.0, v55
	s_delay_alu instid0(VALU_DEP_1) | instskip(NEXT) | instid1(VALU_DEP_2)
	v_add_f32_e32 v56, 1.0, v53
	v_sub_f32_e32 v54, v9, v54
	s_delay_alu instid0(VALU_DEP_2) | instskip(NEXT) | instid1(VALU_DEP_2)
	v_sub_f32_e32 v9, v9, v56
	v_add_f32_e32 v54, v5, v54
	s_delay_alu instid0(VALU_DEP_1) | instskip(NEXT) | instid1(VALU_DEP_1)
	v_dual_add_f32 v5, v5, v9 :: v_dual_add_f32 v56, v55, v54
	v_add_f32_e32 v57, v53, v5
	s_delay_alu instid0(VALU_DEP_2) | instskip(SKIP_1) | instid1(VALU_DEP_1)
	v_rcp_f32_e32 v9, v56
	v_sub_f32_e32 v55, v55, v56
	v_dual_sub_f32 v53, v53, v57 :: v_dual_add_f32 v54, v54, v55
	s_delay_alu instid0(VALU_DEP_1) | instskip(SKIP_2) | instid1(VALU_DEP_1)
	v_add_f32_e32 v5, v5, v53
	s_waitcnt_depctr 0xfff
	v_mul_f32_e32 v58, v57, v9
	v_mul_f32_e32 v59, v56, v58
	s_delay_alu instid0(VALU_DEP_1) | instskip(NEXT) | instid1(VALU_DEP_1)
	v_fma_f32 v55, v58, v56, -v59
	v_fmac_f32_e32 v55, v58, v54
	s_delay_alu instid0(VALU_DEP_1) | instskip(NEXT) | instid1(VALU_DEP_1)
	v_add_f32_e32 v60, v59, v55
	v_sub_f32_e32 v61, v57, v60
	v_sub_f32_e32 v53, v60, v59
	s_delay_alu instid0(VALU_DEP_2) | instskip(NEXT) | instid1(VALU_DEP_2)
	v_sub_f32_e32 v57, v57, v61
	v_sub_f32_e32 v53, v53, v55
	s_delay_alu instid0(VALU_DEP_2) | instskip(NEXT) | instid1(VALU_DEP_1)
	v_sub_f32_e32 v57, v57, v60
	v_add_f32_e32 v5, v5, v57
	s_delay_alu instid0(VALU_DEP_1) | instskip(NEXT) | instid1(VALU_DEP_1)
	v_add_f32_e32 v5, v53, v5
	v_add_f32_e32 v53, v61, v5
	s_delay_alu instid0(VALU_DEP_1) | instskip(NEXT) | instid1(VALU_DEP_1)
	v_mul_f32_e32 v55, v9, v53
	v_mul_f32_e32 v57, v56, v55
	s_delay_alu instid0(VALU_DEP_1) | instskip(NEXT) | instid1(VALU_DEP_1)
	v_fma_f32 v56, v55, v56, -v57
	v_fmac_f32_e32 v56, v55, v54
	v_sub_f32_e32 v60, v61, v53
	s_delay_alu instid0(VALU_DEP_2) | instskip(NEXT) | instid1(VALU_DEP_2)
	v_add_f32_e32 v54, v57, v56
	v_add_f32_e32 v5, v5, v60
	s_delay_alu instid0(VALU_DEP_2) | instskip(NEXT) | instid1(VALU_DEP_1)
	v_sub_f32_e32 v59, v53, v54
	v_sub_f32_e32 v53, v53, v59
	s_delay_alu instid0(VALU_DEP_1) | instskip(NEXT) | instid1(VALU_DEP_1)
	v_sub_f32_e32 v53, v53, v54
	v_add_f32_e32 v5, v5, v53
	v_add_f32_e32 v53, v58, v55
	v_sub_f32_e32 v57, v54, v57
	s_delay_alu instid0(VALU_DEP_1) | instskip(NEXT) | instid1(VALU_DEP_1)
	v_sub_f32_e32 v54, v57, v56
	v_dual_add_f32 v5, v54, v5 :: v_dual_sub_f32 v54, v53, v58
	s_delay_alu instid0(VALU_DEP_1) | instskip(NEXT) | instid1(VALU_DEP_1)
	v_add_f32_e32 v5, v59, v5
	v_dual_sub_f32 v54, v55, v54 :: v_dual_mul_f32 v5, v9, v5
	s_delay_alu instid0(VALU_DEP_1) | instskip(NEXT) | instid1(VALU_DEP_1)
	v_add_f32_e32 v5, v54, v5
	v_add_f32_e32 v9, v53, v5
	s_delay_alu instid0(VALU_DEP_1) | instskip(NEXT) | instid1(VALU_DEP_1)
	v_mul_f32_e32 v54, v9, v9
	v_fmaak_f32 v55, s66, v54, 0x3ecc95a3
	v_mul_f32_e32 v56, v9, v54
	s_delay_alu instid0(VALU_DEP_2) | instskip(SKIP_1) | instid1(VALU_DEP_2)
	v_fmaak_f32 v54, v54, v55, 0x3f2aaada
	v_ldexp_f32 v55, v9, 1
	v_dual_sub_f32 v9, v9, v53 :: v_dual_mul_f32 v54, v56, v54
	s_delay_alu instid0(VALU_DEP_1) | instskip(NEXT) | instid1(VALU_DEP_2)
	v_dual_mul_f32 v56, 0x3f317218, v4 :: v_dual_sub_f32 v5, v5, v9
	v_add_f32_e32 v53, v55, v54
	s_delay_alu instid0(VALU_DEP_2) | instskip(NEXT) | instid1(VALU_DEP_2)
	v_ldexp_f32 v5, v5, 1
	v_sub_f32_e32 v9, v53, v55
	s_delay_alu instid0(VALU_DEP_4) | instskip(NEXT) | instid1(VALU_DEP_2)
	v_fma_f32 v55, 0x3f317218, v4, -v56
	v_sub_f32_e32 v9, v54, v9
	s_delay_alu instid0(VALU_DEP_1) | instskip(NEXT) | instid1(VALU_DEP_1)
	v_dual_fmac_f32 v55, 0xb102e308, v4 :: v_dual_add_f32 v4, v5, v9
	v_add_f32_e32 v5, v56, v55
	s_delay_alu instid0(VALU_DEP_2) | instskip(NEXT) | instid1(VALU_DEP_2)
	v_add_f32_e32 v9, v53, v4
	v_sub_f32_e32 v56, v5, v56
	s_delay_alu instid0(VALU_DEP_1) | instskip(SKIP_1) | instid1(VALU_DEP_2)
	v_dual_add_f32 v54, v5, v9 :: v_dual_sub_f32 v55, v55, v56
	v_sub_f32_e32 v53, v9, v53
	v_sub_f32_e32 v57, v54, v5
	s_delay_alu instid0(VALU_DEP_2) | instskip(NEXT) | instid1(VALU_DEP_2)
	v_sub_f32_e32 v4, v4, v53
	v_sub_f32_e32 v58, v54, v57
	;; [unrolled: 1-line block ×3, first 2 shown]
	s_delay_alu instid0(VALU_DEP_3) | instskip(NEXT) | instid1(VALU_DEP_3)
	v_add_f32_e32 v53, v55, v4
	v_sub_f32_e32 v5, v5, v58
	s_delay_alu instid0(VALU_DEP_1) | instskip(NEXT) | instid1(VALU_DEP_3)
	v_add_f32_e32 v5, v9, v5
	v_sub_f32_e32 v9, v53, v55
	s_delay_alu instid0(VALU_DEP_2) | instskip(NEXT) | instid1(VALU_DEP_2)
	v_add_f32_e32 v5, v53, v5
	v_sub_f32_e32 v53, v53, v9
	v_sub_f32_e32 v4, v4, v9
	s_delay_alu instid0(VALU_DEP_3) | instskip(NEXT) | instid1(VALU_DEP_3)
	v_add_f32_e32 v56, v54, v5
	v_sub_f32_e32 v53, v55, v53
	s_delay_alu instid0(VALU_DEP_2) | instskip(NEXT) | instid1(VALU_DEP_2)
	v_sub_f32_e32 v9, v56, v54
	v_add_f32_e32 v4, v4, v53
	s_delay_alu instid0(VALU_DEP_2) | instskip(NEXT) | instid1(VALU_DEP_1)
	v_sub_f32_e32 v5, v5, v9
	v_add_f32_e32 v4, v4, v5
	s_delay_alu instid0(VALU_DEP_1) | instskip(NEXT) | instid1(VALU_DEP_1)
	v_add_f32_e32 v4, v56, v4
	v_cndmask_b32_e32 v53, v4, v8, vcc_lo
.LBB78_52:                              ;   in Loop: Header=BB78_12 Depth=1
	s_or_b32 exec_lo, exec_lo, s21
	v_lshrrev_b32_e32 v4, 16, v6
	s_delay_alu instid0(VALU_DEP_1) | instskip(NEXT) | instid1(VALU_DEP_1)
	v_cvt_f32_f16_e32 v4, v4
	v_add_f32_e32 v54, s52, v4
	s_delay_alu instid0(VALU_DEP_1) | instskip(SKIP_1) | instid1(SALU_CYCLE_1)
	v_cmp_ge_f32_e32 vcc_lo, 0x41a00000, v54
	s_and_b32 s20, s62, vcc_lo
	s_and_saveexec_b32 s21, s20
	s_cbranch_execz .LBB78_54
; %bb.53:                               ;   in Loop: Header=BB78_12 Depth=1
	v_mul_f32_e32 v4, 0x3fb8aa3b, v54
	v_cmp_ngt_f32_e32 vcc_lo, 0xc2ce8ed0, v54
	s_delay_alu instid0(VALU_DEP_2) | instskip(SKIP_1) | instid1(VALU_DEP_2)
	v_rndne_f32_e32 v5, v4
	v_fma_f32 v6, 0x3fb8aa3b, v54, -v4
	v_sub_f32_e32 v4, v4, v5
	s_delay_alu instid0(VALU_DEP_2) | instskip(SKIP_1) | instid1(VALU_DEP_2)
	v_fmac_f32_e32 v6, 0x32a5705f, v54
	v_cvt_i32_f32_e32 v5, v5
	v_add_f32_e32 v4, v4, v6
	s_delay_alu instid0(VALU_DEP_1) | instskip(SKIP_2) | instid1(VALU_DEP_1)
	v_exp_f32_e32 v4, v4
	s_waitcnt_depctr 0xfff
	v_ldexp_f32 v4, v4, v5
	v_cndmask_b32_e32 v4, 0, v4, vcc_lo
	v_cmp_nlt_f32_e32 vcc_lo, 0x42b17218, v54
	s_delay_alu instid0(VALU_DEP_2) | instskip(NEXT) | instid1(VALU_DEP_1)
	v_cndmask_b32_e32 v6, 0x7f800000, v4, vcc_lo
	v_add_f32_e32 v8, 1.0, v6
	s_delay_alu instid0(VALU_DEP_1) | instskip(NEXT) | instid1(VALU_DEP_1)
	v_cvt_f64_f32_e32 v[4:5], v8
	v_frexp_exp_i32_f64_e32 v4, v[4:5]
	v_frexp_mant_f32_e32 v5, v8
	s_delay_alu instid0(VALU_DEP_1) | instskip(SKIP_1) | instid1(VALU_DEP_1)
	v_cmp_gt_f32_e32 vcc_lo, 0x3f2aaaab, v5
	v_add_f32_e32 v5, -1.0, v8
	v_dual_sub_f32 v54, v5, v8 :: v_dual_sub_f32 v5, v6, v5
	s_delay_alu instid0(VALU_DEP_1) | instskip(NEXT) | instid1(VALU_DEP_1)
	v_add_f32_e32 v54, 1.0, v54
	v_add_f32_e32 v5, v5, v54
	v_subrev_co_ci_u32_e32 v4, vcc_lo, 0, v4, vcc_lo
	s_delay_alu instid0(VALU_DEP_1) | instskip(SKIP_1) | instid1(VALU_DEP_2)
	v_sub_nc_u32_e32 v9, 0, v4
	v_cvt_f32_i32_e32 v4, v4
	v_ldexp_f32 v8, v8, v9
	v_ldexp_f32 v5, v5, v9
	s_delay_alu instid0(VALU_DEP_2) | instskip(NEXT) | instid1(VALU_DEP_1)
	v_add_f32_e32 v55, 1.0, v8
	v_dual_add_f32 v9, -1.0, v8 :: v_dual_add_f32 v54, -1.0, v55
	s_delay_alu instid0(VALU_DEP_1) | instskip(NEXT) | instid1(VALU_DEP_2)
	v_add_f32_e32 v56, 1.0, v9
	v_sub_f32_e32 v54, v8, v54
	s_delay_alu instid0(VALU_DEP_2) | instskip(NEXT) | instid1(VALU_DEP_2)
	v_sub_f32_e32 v8, v8, v56
	v_add_f32_e32 v54, v5, v54
	s_delay_alu instid0(VALU_DEP_2) | instskip(NEXT) | instid1(VALU_DEP_1)
	v_add_f32_e32 v5, v5, v8
	v_add_f32_e32 v57, v9, v5
	v_cmp_eq_f32_e32 vcc_lo, 0x7f800000, v6
	v_cmp_gt_f32_e64 s20, 0x33800000, v6
	s_delay_alu instid0(VALU_DEP_3) | instskip(NEXT) | instid1(VALU_DEP_2)
	v_dual_sub_f32 v9, v9, v57 :: v_dual_add_f32 v56, v55, v54
	s_or_b32 vcc_lo, s20, vcc_lo
	s_delay_alu instid0(VALU_DEP_1) | instskip(NEXT) | instid1(VALU_DEP_2)
	v_add_f32_e32 v5, v5, v9
	v_rcp_f32_e32 v8, v56
	v_sub_f32_e32 v55, v55, v56
	s_delay_alu instid0(VALU_DEP_1) | instskip(SKIP_2) | instid1(VALU_DEP_1)
	v_add_f32_e32 v54, v54, v55
	s_waitcnt_depctr 0xfff
	v_mul_f32_e32 v58, v57, v8
	v_mul_f32_e32 v59, v56, v58
	s_delay_alu instid0(VALU_DEP_1) | instskip(NEXT) | instid1(VALU_DEP_1)
	v_fma_f32 v55, v58, v56, -v59
	v_fmac_f32_e32 v55, v58, v54
	s_delay_alu instid0(VALU_DEP_1) | instskip(NEXT) | instid1(VALU_DEP_1)
	v_add_f32_e32 v60, v59, v55
	v_sub_f32_e32 v61, v57, v60
	s_delay_alu instid0(VALU_DEP_1) | instskip(NEXT) | instid1(VALU_DEP_1)
	v_sub_f32_e32 v57, v57, v61
	v_sub_f32_e32 v57, v57, v60
	s_delay_alu instid0(VALU_DEP_1) | instskip(SKIP_1) | instid1(VALU_DEP_1)
	v_add_f32_e32 v5, v5, v57
	v_sub_f32_e32 v9, v60, v59
	v_sub_f32_e32 v9, v9, v55
	s_delay_alu instid0(VALU_DEP_1) | instskip(NEXT) | instid1(VALU_DEP_1)
	v_add_f32_e32 v5, v9, v5
	v_add_f32_e32 v9, v61, v5
	s_delay_alu instid0(VALU_DEP_1) | instskip(NEXT) | instid1(VALU_DEP_1)
	v_mul_f32_e32 v55, v8, v9
	v_dual_sub_f32 v60, v61, v9 :: v_dual_mul_f32 v57, v56, v55
	s_delay_alu instid0(VALU_DEP_1) | instskip(NEXT) | instid1(VALU_DEP_2)
	v_add_f32_e32 v5, v5, v60
	v_fma_f32 v56, v55, v56, -v57
	s_delay_alu instid0(VALU_DEP_1) | instskip(NEXT) | instid1(VALU_DEP_1)
	v_fmac_f32_e32 v56, v55, v54
	v_add_f32_e32 v54, v57, v56
	s_delay_alu instid0(VALU_DEP_1) | instskip(NEXT) | instid1(VALU_DEP_1)
	v_sub_f32_e32 v59, v9, v54
	v_sub_f32_e32 v9, v9, v59
	s_delay_alu instid0(VALU_DEP_1) | instskip(NEXT) | instid1(VALU_DEP_1)
	v_sub_f32_e32 v9, v9, v54
	v_add_f32_e32 v5, v5, v9
	v_add_f32_e32 v9, v58, v55
	v_sub_f32_e32 v57, v54, v57
	s_delay_alu instid0(VALU_DEP_1) | instskip(NEXT) | instid1(VALU_DEP_1)
	v_sub_f32_e32 v54, v57, v56
	v_dual_add_f32 v5, v54, v5 :: v_dual_sub_f32 v54, v9, v58
	s_delay_alu instid0(VALU_DEP_1) | instskip(NEXT) | instid1(VALU_DEP_1)
	v_add_f32_e32 v5, v59, v5
	v_dual_sub_f32 v54, v55, v54 :: v_dual_mul_f32 v5, v8, v5
	s_delay_alu instid0(VALU_DEP_1) | instskip(NEXT) | instid1(VALU_DEP_1)
	v_add_f32_e32 v5, v54, v5
	v_add_f32_e32 v8, v9, v5
	s_delay_alu instid0(VALU_DEP_1) | instskip(NEXT) | instid1(VALU_DEP_1)
	v_mul_f32_e32 v54, v8, v8
	v_fmaak_f32 v55, s66, v54, 0x3ecc95a3
	v_mul_f32_e32 v56, v8, v54
	s_delay_alu instid0(VALU_DEP_2) | instskip(SKIP_1) | instid1(VALU_DEP_2)
	v_fmaak_f32 v54, v54, v55, 0x3f2aaada
	v_ldexp_f32 v55, v8, 1
	v_mul_f32_e32 v54, v56, v54
	v_sub_f32_e32 v8, v8, v9
	s_delay_alu instid0(VALU_DEP_2) | instskip(NEXT) | instid1(VALU_DEP_2)
	v_dual_mul_f32 v56, 0x3f317218, v4 :: v_dual_add_f32 v9, v55, v54
	v_sub_f32_e32 v5, v5, v8
	s_delay_alu instid0(VALU_DEP_2) | instskip(NEXT) | instid1(VALU_DEP_3)
	v_sub_f32_e32 v8, v9, v55
	v_fma_f32 v55, 0x3f317218, v4, -v56
	s_delay_alu instid0(VALU_DEP_3) | instskip(NEXT) | instid1(VALU_DEP_3)
	v_ldexp_f32 v5, v5, 1
	v_sub_f32_e32 v8, v54, v8
	s_delay_alu instid0(VALU_DEP_3) | instskip(NEXT) | instid1(VALU_DEP_2)
	v_fmac_f32_e32 v55, 0xb102e308, v4
	v_add_f32_e32 v4, v5, v8
	s_delay_alu instid0(VALU_DEP_1) | instskip(NEXT) | instid1(VALU_DEP_1)
	v_add_f32_e32 v8, v9, v4
	v_sub_f32_e32 v9, v8, v9
	s_delay_alu instid0(VALU_DEP_1) | instskip(SKIP_1) | instid1(VALU_DEP_1)
	v_sub_f32_e32 v4, v4, v9
	v_add_f32_e32 v5, v56, v55
	v_add_f32_e32 v54, v5, v8
	s_delay_alu instid0(VALU_DEP_1) | instskip(NEXT) | instid1(VALU_DEP_1)
	v_dual_sub_f32 v56, v5, v56 :: v_dual_sub_f32 v57, v54, v5
	v_dual_sub_f32 v55, v55, v56 :: v_dual_sub_f32 v8, v8, v57
	v_sub_f32_e32 v58, v54, v57
	s_delay_alu instid0(VALU_DEP_1) | instskip(NEXT) | instid1(VALU_DEP_1)
	v_sub_f32_e32 v5, v5, v58
	v_add_f32_e32 v5, v8, v5
	s_delay_alu instid0(VALU_DEP_4) | instskip(NEXT) | instid1(VALU_DEP_1)
	v_add_f32_e32 v9, v55, v4
	v_add_f32_e32 v5, v9, v5
	s_delay_alu instid0(VALU_DEP_1) | instskip(SKIP_1) | instid1(VALU_DEP_1)
	v_add_f32_e32 v56, v54, v5
	v_sub_f32_e32 v8, v9, v55
	v_sub_f32_e32 v9, v9, v8
	v_sub_f32_e32 v4, v4, v8
	s_delay_alu instid0(VALU_DEP_2) | instskip(NEXT) | instid1(VALU_DEP_1)
	v_dual_sub_f32 v8, v56, v54 :: v_dual_sub_f32 v9, v55, v9
	v_dual_sub_f32 v5, v5, v8 :: v_dual_add_f32 v4, v4, v9
	s_delay_alu instid0(VALU_DEP_1) | instskip(NEXT) | instid1(VALU_DEP_1)
	v_add_f32_e32 v4, v4, v5
	v_add_f32_e32 v4, v56, v4
	s_delay_alu instid0(VALU_DEP_1)
	v_cndmask_b32_e32 v54, v4, v6, vcc_lo
.LBB78_54:                              ;   in Loop: Header=BB78_12 Depth=1
	s_or_b32 exec_lo, exec_lo, s21
	v_cvt_f32_f16_e32 v4, v7
	s_delay_alu instid0(VALU_DEP_1) | instskip(NEXT) | instid1(VALU_DEP_1)
	v_add_f32_e32 v55, s52, v4
	v_cmp_ge_f32_e32 vcc_lo, 0x41a00000, v55
	s_and_b32 s20, s62, vcc_lo
	s_delay_alu instid0(SALU_CYCLE_1)
	s_and_saveexec_b32 s21, s20
	s_cbranch_execz .LBB78_56
; %bb.55:                               ;   in Loop: Header=BB78_12 Depth=1
	v_mul_f32_e32 v4, 0x3fb8aa3b, v55
	v_cmp_ngt_f32_e32 vcc_lo, 0xc2ce8ed0, v55
	s_delay_alu instid0(VALU_DEP_2) | instskip(SKIP_1) | instid1(VALU_DEP_2)
	v_rndne_f32_e32 v5, v4
	v_fma_f32 v6, 0x3fb8aa3b, v55, -v4
	v_sub_f32_e32 v4, v4, v5
	s_delay_alu instid0(VALU_DEP_2) | instskip(SKIP_1) | instid1(VALU_DEP_2)
	v_fmac_f32_e32 v6, 0x32a5705f, v55
	v_cvt_i32_f32_e32 v5, v5
	v_add_f32_e32 v4, v4, v6
	s_delay_alu instid0(VALU_DEP_1) | instskip(SKIP_2) | instid1(VALU_DEP_1)
	v_exp_f32_e32 v4, v4
	s_waitcnt_depctr 0xfff
	v_ldexp_f32 v4, v4, v5
	v_cndmask_b32_e32 v4, 0, v4, vcc_lo
	v_cmp_nlt_f32_e32 vcc_lo, 0x42b17218, v55
	s_delay_alu instid0(VALU_DEP_2) | instskip(NEXT) | instid1(VALU_DEP_1)
	v_cndmask_b32_e32 v6, 0x7f800000, v4, vcc_lo
	v_add_f32_e32 v8, 1.0, v6
	s_delay_alu instid0(VALU_DEP_1) | instskip(NEXT) | instid1(VALU_DEP_1)
	v_cvt_f64_f32_e32 v[4:5], v8
	v_frexp_exp_i32_f64_e32 v4, v[4:5]
	v_frexp_mant_f32_e32 v5, v8
	s_delay_alu instid0(VALU_DEP_1) | instskip(SKIP_1) | instid1(VALU_DEP_1)
	v_cmp_gt_f32_e32 vcc_lo, 0x3f2aaaab, v5
	v_add_f32_e32 v5, -1.0, v8
	v_sub_f32_e32 v55, v5, v8
	v_sub_f32_e32 v5, v6, v5
	s_delay_alu instid0(VALU_DEP_2) | instskip(NEXT) | instid1(VALU_DEP_1)
	v_add_f32_e32 v55, 1.0, v55
	v_add_f32_e32 v5, v5, v55
	v_cmp_gt_f32_e64 s20, 0x33800000, v6
	v_subrev_co_ci_u32_e32 v4, vcc_lo, 0, v4, vcc_lo
	v_cmp_eq_f32_e32 vcc_lo, 0x7f800000, v6
	s_delay_alu instid0(VALU_DEP_2) | instskip(SKIP_2) | instid1(VALU_DEP_2)
	v_sub_nc_u32_e32 v9, 0, v4
	v_cvt_f32_i32_e32 v4, v4
	s_or_b32 vcc_lo, s20, vcc_lo
	v_ldexp_f32 v8, v8, v9
	v_ldexp_f32 v5, v5, v9
	s_delay_alu instid0(VALU_DEP_2) | instskip(SKIP_1) | instid1(VALU_DEP_2)
	v_add_f32_e32 v56, 1.0, v8
	v_add_f32_e32 v9, -1.0, v8
	v_add_f32_e32 v55, -1.0, v56
	s_delay_alu instid0(VALU_DEP_2) | instskip(NEXT) | instid1(VALU_DEP_2)
	v_add_f32_e32 v57, 1.0, v9
	v_sub_f32_e32 v55, v8, v55
	s_delay_alu instid0(VALU_DEP_1) | instskip(NEXT) | instid1(VALU_DEP_1)
	v_dual_sub_f32 v8, v8, v57 :: v_dual_add_f32 v55, v5, v55
	v_add_f32_e32 v5, v5, v8
	s_delay_alu instid0(VALU_DEP_1) | instskip(NEXT) | instid1(VALU_DEP_1)
	v_dual_add_f32 v57, v56, v55 :: v_dual_add_f32 v58, v9, v5
	v_rcp_f32_e32 v8, v57
	s_delay_alu instid0(VALU_DEP_1) | instskip(NEXT) | instid1(VALU_DEP_1)
	v_dual_sub_f32 v56, v56, v57 :: v_dual_sub_f32 v9, v9, v58
	v_add_f32_e32 v55, v55, v56
	s_waitcnt_depctr 0xfff
	v_mul_f32_e32 v59, v58, v8
	s_delay_alu instid0(VALU_DEP_1) | instskip(NEXT) | instid1(VALU_DEP_1)
	v_mul_f32_e32 v60, v57, v59
	v_fma_f32 v56, v59, v57, -v60
	s_delay_alu instid0(VALU_DEP_1) | instskip(NEXT) | instid1(VALU_DEP_1)
	v_dual_fmac_f32 v56, v59, v55 :: v_dual_add_f32 v5, v5, v9
	v_add_f32_e32 v61, v60, v56
	s_delay_alu instid0(VALU_DEP_1) | instskip(NEXT) | instid1(VALU_DEP_1)
	v_sub_f32_e32 v62, v58, v61
	v_dual_sub_f32 v58, v58, v62 :: v_dual_sub_f32 v9, v61, v60
	s_delay_alu instid0(VALU_DEP_1) | instskip(NEXT) | instid1(VALU_DEP_1)
	v_dual_sub_f32 v58, v58, v61 :: v_dual_sub_f32 v9, v9, v56
	v_add_f32_e32 v5, v5, v58
	s_delay_alu instid0(VALU_DEP_1) | instskip(NEXT) | instid1(VALU_DEP_1)
	v_add_f32_e32 v5, v9, v5
	v_add_f32_e32 v9, v62, v5
	s_delay_alu instid0(VALU_DEP_1) | instskip(NEXT) | instid1(VALU_DEP_1)
	v_mul_f32_e32 v56, v8, v9
	v_dual_mul_f32 v58, v57, v56 :: v_dual_sub_f32 v61, v62, v9
	s_delay_alu instid0(VALU_DEP_1) | instskip(NEXT) | instid1(VALU_DEP_2)
	v_fma_f32 v57, v56, v57, -v58
	v_add_f32_e32 v5, v5, v61
	s_delay_alu instid0(VALU_DEP_2) | instskip(NEXT) | instid1(VALU_DEP_1)
	v_fmac_f32_e32 v57, v56, v55
	v_add_f32_e32 v55, v58, v57
	s_delay_alu instid0(VALU_DEP_1) | instskip(NEXT) | instid1(VALU_DEP_1)
	v_sub_f32_e32 v60, v9, v55
	v_dual_sub_f32 v58, v55, v58 :: v_dual_sub_f32 v9, v9, v60
	s_delay_alu instid0(VALU_DEP_1) | instskip(NEXT) | instid1(VALU_DEP_2)
	v_sub_f32_e32 v9, v9, v55
	v_sub_f32_e32 v55, v58, v57
	s_delay_alu instid0(VALU_DEP_2) | instskip(SKIP_1) | instid1(VALU_DEP_2)
	v_add_f32_e32 v5, v5, v9
	v_add_f32_e32 v9, v59, v56
	;; [unrolled: 1-line block ×3, first 2 shown]
	s_delay_alu instid0(VALU_DEP_2) | instskip(NEXT) | instid1(VALU_DEP_2)
	v_sub_f32_e32 v55, v9, v59
	v_add_f32_e32 v5, v60, v5
	s_delay_alu instid0(VALU_DEP_2) | instskip(NEXT) | instid1(VALU_DEP_2)
	v_sub_f32_e32 v55, v56, v55
	v_mul_f32_e32 v5, v8, v5
	s_delay_alu instid0(VALU_DEP_1) | instskip(NEXT) | instid1(VALU_DEP_1)
	v_add_f32_e32 v5, v55, v5
	v_add_f32_e32 v8, v9, v5
	s_delay_alu instid0(VALU_DEP_1) | instskip(NEXT) | instid1(VALU_DEP_1)
	v_mul_f32_e32 v55, v8, v8
	v_fmaak_f32 v56, s66, v55, 0x3ecc95a3
	v_mul_f32_e32 v57, v8, v55
	s_delay_alu instid0(VALU_DEP_2) | instskip(SKIP_1) | instid1(VALU_DEP_2)
	v_fmaak_f32 v55, v55, v56, 0x3f2aaada
	v_ldexp_f32 v56, v8, 1
	v_dual_sub_f32 v8, v8, v9 :: v_dual_mul_f32 v55, v57, v55
	v_mul_f32_e32 v57, 0x3f317218, v4
	s_delay_alu instid0(VALU_DEP_2) | instskip(NEXT) | instid1(VALU_DEP_3)
	v_sub_f32_e32 v5, v5, v8
	v_add_f32_e32 v9, v56, v55
	s_delay_alu instid0(VALU_DEP_2) | instskip(NEXT) | instid1(VALU_DEP_2)
	v_ldexp_f32 v5, v5, 1
	v_sub_f32_e32 v8, v9, v56
	v_fma_f32 v56, 0x3f317218, v4, -v57
	s_delay_alu instid0(VALU_DEP_2) | instskip(NEXT) | instid1(VALU_DEP_2)
	v_sub_f32_e32 v8, v55, v8
	v_fmac_f32_e32 v56, 0xb102e308, v4
	s_delay_alu instid0(VALU_DEP_2) | instskip(NEXT) | instid1(VALU_DEP_2)
	v_add_f32_e32 v4, v5, v8
	v_add_f32_e32 v5, v57, v56
	s_delay_alu instid0(VALU_DEP_2) | instskip(NEXT) | instid1(VALU_DEP_2)
	v_add_f32_e32 v8, v9, v4
	v_sub_f32_e32 v57, v5, v57
	s_delay_alu instid0(VALU_DEP_2) | instskip(SKIP_1) | instid1(VALU_DEP_3)
	v_add_f32_e32 v55, v5, v8
	v_sub_f32_e32 v9, v8, v9
	v_sub_f32_e32 v56, v56, v57
	s_delay_alu instid0(VALU_DEP_3) | instskip(NEXT) | instid1(VALU_DEP_1)
	v_sub_f32_e32 v58, v55, v5
	v_dual_sub_f32 v4, v4, v9 :: v_dual_sub_f32 v59, v55, v58
	v_sub_f32_e32 v8, v8, v58
	s_delay_alu instid0(VALU_DEP_2) | instskip(NEXT) | instid1(VALU_DEP_3)
	v_add_f32_e32 v9, v56, v4
	v_sub_f32_e32 v5, v5, v59
	s_delay_alu instid0(VALU_DEP_1) | instskip(NEXT) | instid1(VALU_DEP_1)
	v_dual_add_f32 v5, v8, v5 :: v_dual_sub_f32 v8, v9, v56
	v_add_f32_e32 v5, v9, v5
	s_delay_alu instid0(VALU_DEP_2) | instskip(NEXT) | instid1(VALU_DEP_2)
	v_sub_f32_e32 v9, v9, v8
	v_dual_sub_f32 v4, v4, v8 :: v_dual_add_f32 v57, v55, v5
	s_delay_alu instid0(VALU_DEP_1) | instskip(NEXT) | instid1(VALU_DEP_1)
	v_dual_sub_f32 v9, v56, v9 :: v_dual_sub_f32 v8, v57, v55
	v_dual_add_f32 v4, v4, v9 :: v_dual_sub_f32 v5, v5, v8
	s_delay_alu instid0(VALU_DEP_1) | instskip(NEXT) | instid1(VALU_DEP_1)
	v_add_f32_e32 v4, v4, v5
	v_add_f32_e32 v4, v57, v4
	s_delay_alu instid0(VALU_DEP_1)
	v_cndmask_b32_e32 v55, v4, v6, vcc_lo
.LBB78_56:                              ;   in Loop: Header=BB78_12 Depth=1
	s_or_b32 exec_lo, exec_lo, s21
	v_lshrrev_b32_e32 v4, 16, v7
	s_delay_alu instid0(VALU_DEP_1) | instskip(NEXT) | instid1(VALU_DEP_1)
	v_cvt_f32_f16_e32 v4, v4
	v_add_f32_e32 v56, s52, v4
	s_delay_alu instid0(VALU_DEP_1) | instskip(SKIP_1) | instid1(SALU_CYCLE_1)
	v_cmp_ge_f32_e32 vcc_lo, 0x41a00000, v56
	s_and_b32 s20, s62, vcc_lo
	s_and_saveexec_b32 s21, s20
	s_cbranch_execz .LBB78_58
; %bb.57:                               ;   in Loop: Header=BB78_12 Depth=1
	v_mul_f32_e32 v4, 0x3fb8aa3b, v56
	v_cmp_ngt_f32_e32 vcc_lo, 0xc2ce8ed0, v56
	s_delay_alu instid0(VALU_DEP_2) | instskip(SKIP_1) | instid1(VALU_DEP_2)
	v_rndne_f32_e32 v5, v4
	v_fma_f32 v6, 0x3fb8aa3b, v56, -v4
	v_sub_f32_e32 v4, v4, v5
	s_delay_alu instid0(VALU_DEP_2) | instskip(SKIP_1) | instid1(VALU_DEP_2)
	v_fmac_f32_e32 v6, 0x32a5705f, v56
	v_cvt_i32_f32_e32 v5, v5
	v_add_f32_e32 v4, v4, v6
	s_delay_alu instid0(VALU_DEP_1) | instskip(SKIP_2) | instid1(VALU_DEP_1)
	v_exp_f32_e32 v4, v4
	s_waitcnt_depctr 0xfff
	v_ldexp_f32 v4, v4, v5
	v_cndmask_b32_e32 v4, 0, v4, vcc_lo
	v_cmp_nlt_f32_e32 vcc_lo, 0x42b17218, v56
	s_delay_alu instid0(VALU_DEP_2) | instskip(NEXT) | instid1(VALU_DEP_1)
	v_cndmask_b32_e32 v6, 0x7f800000, v4, vcc_lo
	v_add_f32_e32 v7, 1.0, v6
	s_delay_alu instid0(VALU_DEP_1) | instskip(NEXT) | instid1(VALU_DEP_1)
	v_cvt_f64_f32_e32 v[4:5], v7
	v_frexp_exp_i32_f64_e32 v4, v[4:5]
	v_frexp_mant_f32_e32 v5, v7
	s_delay_alu instid0(VALU_DEP_1) | instskip(SKIP_1) | instid1(VALU_DEP_1)
	v_cmp_gt_f32_e32 vcc_lo, 0x3f2aaaab, v5
	v_add_f32_e32 v5, -1.0, v7
	v_sub_f32_e32 v9, v5, v7
	v_sub_f32_e32 v5, v6, v5
	s_delay_alu instid0(VALU_DEP_2) | instskip(NEXT) | instid1(VALU_DEP_1)
	v_add_f32_e32 v9, 1.0, v9
	v_add_f32_e32 v5, v5, v9
	v_cmp_gt_f32_e64 s20, 0x33800000, v6
	v_subrev_co_ci_u32_e32 v4, vcc_lo, 0, v4, vcc_lo
	v_cmp_eq_f32_e32 vcc_lo, 0x7f800000, v6
	s_delay_alu instid0(VALU_DEP_2) | instskip(SKIP_2) | instid1(VALU_DEP_2)
	v_sub_nc_u32_e32 v8, 0, v4
	v_cvt_f32_i32_e32 v4, v4
	s_or_b32 vcc_lo, s20, vcc_lo
	v_ldexp_f32 v7, v7, v8
	v_ldexp_f32 v5, v5, v8
	s_delay_alu instid0(VALU_DEP_2) | instskip(NEXT) | instid1(VALU_DEP_1)
	v_add_f32_e32 v56, 1.0, v7
	v_dual_add_f32 v8, -1.0, v7 :: v_dual_add_f32 v9, -1.0, v56
	s_delay_alu instid0(VALU_DEP_1) | instskip(NEXT) | instid1(VALU_DEP_2)
	v_add_f32_e32 v57, 1.0, v8
	v_sub_f32_e32 v9, v7, v9
	s_delay_alu instid0(VALU_DEP_2) | instskip(NEXT) | instid1(VALU_DEP_2)
	v_sub_f32_e32 v7, v7, v57
	v_add_f32_e32 v9, v5, v9
	s_delay_alu instid0(VALU_DEP_2) | instskip(NEXT) | instid1(VALU_DEP_1)
	v_add_f32_e32 v5, v5, v7
	v_add_f32_e32 v58, v8, v5
	s_delay_alu instid0(VALU_DEP_1) | instskip(NEXT) | instid1(VALU_DEP_4)
	v_sub_f32_e32 v8, v8, v58
	v_add_f32_e32 v57, v56, v9
	s_delay_alu instid0(VALU_DEP_1) | instskip(NEXT) | instid1(VALU_DEP_2)
	v_rcp_f32_e32 v7, v57
	v_dual_sub_f32 v56, v56, v57 :: v_dual_add_f32 v5, v5, v8
	s_delay_alu instid0(VALU_DEP_1) | instskip(SKIP_2) | instid1(VALU_DEP_1)
	v_add_f32_e32 v9, v9, v56
	s_waitcnt_depctr 0xfff
	v_mul_f32_e32 v59, v58, v7
	v_mul_f32_e32 v60, v57, v59
	s_delay_alu instid0(VALU_DEP_1) | instskip(NEXT) | instid1(VALU_DEP_1)
	v_fma_f32 v56, v59, v57, -v60
	v_fmac_f32_e32 v56, v59, v9
	s_delay_alu instid0(VALU_DEP_1) | instskip(NEXT) | instid1(VALU_DEP_1)
	v_add_f32_e32 v61, v60, v56
	v_sub_f32_e32 v62, v58, v61
	v_sub_f32_e32 v8, v61, v60
	s_delay_alu instid0(VALU_DEP_2) | instskip(NEXT) | instid1(VALU_DEP_1)
	v_sub_f32_e32 v58, v58, v62
	v_sub_f32_e32 v58, v58, v61
	s_delay_alu instid0(VALU_DEP_1) | instskip(NEXT) | instid1(VALU_DEP_1)
	v_dual_sub_f32 v8, v8, v56 :: v_dual_add_f32 v5, v5, v58
	v_add_f32_e32 v5, v8, v5
	s_delay_alu instid0(VALU_DEP_1) | instskip(NEXT) | instid1(VALU_DEP_1)
	v_add_f32_e32 v8, v62, v5
	v_mul_f32_e32 v56, v7, v8
	v_sub_f32_e32 v61, v62, v8
	s_delay_alu instid0(VALU_DEP_2) | instskip(NEXT) | instid1(VALU_DEP_2)
	v_mul_f32_e32 v58, v57, v56
	v_add_f32_e32 v5, v5, v61
	s_delay_alu instid0(VALU_DEP_2) | instskip(NEXT) | instid1(VALU_DEP_1)
	v_fma_f32 v57, v56, v57, -v58
	v_fmac_f32_e32 v57, v56, v9
	s_delay_alu instid0(VALU_DEP_1) | instskip(NEXT) | instid1(VALU_DEP_1)
	v_add_f32_e32 v9, v58, v57
	v_sub_f32_e32 v60, v8, v9
	s_delay_alu instid0(VALU_DEP_1) | instskip(NEXT) | instid1(VALU_DEP_1)
	v_sub_f32_e32 v8, v8, v60
	v_sub_f32_e32 v8, v8, v9
	s_delay_alu instid0(VALU_DEP_1) | instskip(SKIP_2) | instid1(VALU_DEP_1)
	v_add_f32_e32 v5, v5, v8
	v_add_f32_e32 v8, v59, v56
	v_sub_f32_e32 v58, v9, v58
	v_sub_f32_e32 v9, v58, v57
	s_delay_alu instid0(VALU_DEP_1) | instskip(NEXT) | instid1(VALU_DEP_4)
	v_add_f32_e32 v5, v9, v5
	v_sub_f32_e32 v9, v8, v59
	s_delay_alu instid0(VALU_DEP_2) | instskip(NEXT) | instid1(VALU_DEP_2)
	v_add_f32_e32 v5, v60, v5
	v_sub_f32_e32 v9, v56, v9
	s_delay_alu instid0(VALU_DEP_2) | instskip(NEXT) | instid1(VALU_DEP_1)
	v_mul_f32_e32 v5, v7, v5
	v_add_f32_e32 v5, v9, v5
	s_delay_alu instid0(VALU_DEP_1) | instskip(NEXT) | instid1(VALU_DEP_1)
	v_add_f32_e32 v7, v8, v5
	v_mul_f32_e32 v9, v7, v7
	s_delay_alu instid0(VALU_DEP_1) | instskip(SKIP_1) | instid1(VALU_DEP_2)
	v_fmaak_f32 v56, s66, v9, 0x3ecc95a3
	v_mul_f32_e32 v57, v7, v9
	v_fmaak_f32 v9, v9, v56, 0x3f2aaada
	v_ldexp_f32 v56, v7, 1
	v_sub_f32_e32 v7, v7, v8
	s_delay_alu instid0(VALU_DEP_3) | instskip(SKIP_1) | instid1(VALU_DEP_2)
	v_mul_f32_e32 v9, v57, v9
	v_mul_f32_e32 v57, 0x3f317218, v4
	v_dual_sub_f32 v5, v5, v7 :: v_dual_add_f32 v8, v56, v9
	s_delay_alu instid0(VALU_DEP_1) | instskip(NEXT) | instid1(VALU_DEP_2)
	v_ldexp_f32 v5, v5, 1
	v_sub_f32_e32 v7, v8, v56
	s_delay_alu instid0(VALU_DEP_4) | instskip(NEXT) | instid1(VALU_DEP_1)
	v_fma_f32 v56, 0x3f317218, v4, -v57
	v_dual_sub_f32 v7, v9, v7 :: v_dual_fmac_f32 v56, 0xb102e308, v4
	s_delay_alu instid0(VALU_DEP_1) | instskip(NEXT) | instid1(VALU_DEP_1)
	v_add_f32_e32 v4, v5, v7
	v_add_f32_e32 v7, v8, v4
	s_delay_alu instid0(VALU_DEP_1) | instskip(NEXT) | instid1(VALU_DEP_1)
	v_sub_f32_e32 v8, v7, v8
	v_sub_f32_e32 v4, v4, v8
	v_add_f32_e32 v5, v57, v56
	s_delay_alu instid0(VALU_DEP_1) | instskip(SKIP_1) | instid1(VALU_DEP_2)
	v_add_f32_e32 v9, v5, v7
	v_sub_f32_e32 v57, v5, v57
	v_sub_f32_e32 v58, v9, v5
	s_delay_alu instid0(VALU_DEP_1) | instskip(NEXT) | instid1(VALU_DEP_1)
	v_dual_sub_f32 v56, v56, v57 :: v_dual_sub_f32 v59, v9, v58
	v_dual_sub_f32 v7, v7, v58 :: v_dual_add_f32 v8, v56, v4
	s_delay_alu instid0(VALU_DEP_2) | instskip(NEXT) | instid1(VALU_DEP_1)
	v_sub_f32_e32 v5, v5, v59
	v_add_f32_e32 v5, v7, v5
	s_delay_alu instid0(VALU_DEP_3) | instskip(NEXT) | instid1(VALU_DEP_2)
	v_sub_f32_e32 v7, v8, v56
	v_add_f32_e32 v5, v8, v5
	s_delay_alu instid0(VALU_DEP_2) | instskip(NEXT) | instid1(VALU_DEP_2)
	v_sub_f32_e32 v8, v8, v7
	v_dual_sub_f32 v4, v4, v7 :: v_dual_add_f32 v57, v9, v5
	s_delay_alu instid0(VALU_DEP_1) | instskip(NEXT) | instid1(VALU_DEP_1)
	v_dual_sub_f32 v8, v56, v8 :: v_dual_sub_f32 v7, v57, v9
	v_dual_add_f32 v4, v4, v8 :: v_dual_sub_f32 v5, v5, v7
	s_delay_alu instid0(VALU_DEP_1) | instskip(NEXT) | instid1(VALU_DEP_1)
	v_add_f32_e32 v4, v4, v5
	v_add_f32_e32 v4, v57, v4
	s_delay_alu instid0(VALU_DEP_1)
	v_cndmask_b32_e32 v56, v4, v6, vcc_lo
.LBB78_58:                              ;   in Loop: Header=BB78_12 Depth=1
	s_or_b32 exec_lo, exec_lo, s21
	v_lshrrev_b32_e32 v5, 16, v2
	v_lshrrev_b32_e32 v6, 16, v3
	;; [unrolled: 1-line block ×4, first 2 shown]
	v_cvt_f32_f16_e32 v4, v3
	v_cvt_f32_f16_e32 v2, v2
	;; [unrolled: 1-line block ×8, first 2 shown]
	v_dual_mul_f32 v57, s53, v4 :: v_dual_mul_f32 v58, s53, v3
	v_mul_f32_e32 v61, s53, v2
	s_delay_alu instid0(VALU_DEP_4)
	v_dual_mul_f32 v59, s53, v5 :: v_dual_mul_f32 v60, s53, v6
	v_dual_mul_f32 v63, s53, v1 :: v_dual_mul_f32 v62, s53, v7
	v_mul_f32_e32 v64, s53, v0
	s_and_b32 vcc_lo, exec_lo, s63
	s_barrier
	buffer_gl0_inv
	s_cbranch_vccz .LBB78_122
; %bb.59:                               ;   in Loop: Header=BB78_12 Depth=1
	v_dual_mul_f32 v65, v56, v7 :: v_dual_mul_f32 v70, v55, v4
	v_add_co_u32 v7, s20, s41, v47
	s_delay_alu instid0(VALU_DEP_1) | instskip(SKIP_1) | instid1(VALU_DEP_1)
	v_add_co_ci_u32_e64 v8, null, s51, 0, s20
	v_add_co_u32 v9, s20, s45, v47
	v_add_co_ci_u32_e64 v69, null, s48, 0, s20
	s_delay_alu instid0(VALU_DEP_4) | instskip(NEXT) | instid1(VALU_DEP_4)
	v_add_co_u32 v66, vcc_lo, v7, v48
	v_add_co_ci_u32_e32 v67, vcc_lo, 0, v8, vcc_lo
	s_delay_alu instid0(VALU_DEP_4) | instskip(NEXT) | instid1(VALU_DEP_4)
	v_add_co_u32 v68, vcc_lo, v9, v48
	v_add_co_ci_u32_e32 v69, vcc_lo, 0, v69, vcc_lo
	v_cmp_gt_u32_e32 vcc_lo, s23, v10
	s_cmp_lg_u32 s68, 0
	v_cmp_gt_u32_e64 s21, s23, v40
	s_cselect_b32 s31, -1, 0
	s_cmp_eq_u32 s68, s65
	v_cmp_gt_u32_e64 s22, s23, v41
	s_cselect_b32 s69, -1, 0
	s_or_b32 s20, s64, vcc_lo
	v_cmp_gt_u32_e32 vcc_lo, s23, v42
	v_cmp_gt_u32_e64 s24, s23, v43
	v_cmp_gt_u32_e64 s25, s23, v44
	v_cmp_gt_u32_e64 s26, s23, v45
	v_cmp_gt_u32_e64 s27, s23, v46
	v_dual_mul_f32 v71, v54, v3 :: v_dual_mul_f32 v72, v53, v2
	v_dual_mul_f32 v73, v52, v5 :: v_dual_mul_f32 v76, v49, v0
	;; [unrolled: 1-line block ×3, first 2 shown]
	s_mov_b32 s34, 0
	s_or_b32 s21, s64, s21
	s_or_b32 s22, s64, s22
	s_or_b32 s23, s64, vcc_lo
	s_or_b32 s24, s64, s24
	s_or_b32 s25, s64, s25
	;; [unrolled: 1-line block ×4, first 2 shown]
	s_mov_b32 s38, s34
	s_mov_b32 s42, s34
	;; [unrolled: 1-line block ×5, first 2 shown]
	s_branch .LBB78_61
.LBB78_60:                              ;   in Loop: Header=BB78_61 Depth=2
	s_or_b32 exec_lo, exec_lo, s28
	v_cndmask_b32_e64 v5, v94, v7, s11
	v_cndmask_b32_e64 v6, v93, v6, s11
	s_add_i32 s70, s70, -1
	s_add_i32 s71, s71, 8
	s_add_i32 s46, s46, s50
	v_fma_f32 v5, v5, v80, v78
	v_mul_f32_e32 v6, v6, v80
	s_add_i32 s42, s42, s44
	s_add_i32 s38, s38, s40
	;; [unrolled: 1-line block ×3, first 2 shown]
	v_cndmask_b32_e64 v5, v5, v78, s10
	v_cndmask_b32_e64 v6, v6, v80, s10
	s_cmp_eq_u32 s70, 0
	s_waitcnt lgkmcnt(0)
	s_delay_alu instid0(VALU_DEP_1) | instskip(NEXT) | instid1(VALU_DEP_1)
	v_fmac_f32_e32 v5, v4, v6
	v_fmac_f32_e32 v77, v5, v82
	v_fma_mix_f32 v64, v5, v0, v64 op_sel_hi:[0,1,0]
	s_delay_alu instid0(VALU_DEP_2) | instskip(SKIP_1) | instid1(VALU_DEP_2)
	v_fmac_f32_e32 v79, v77, v84
	v_fma_mix_f32 v60, v77, v0, v60 op_sel:[0,1,0] op_sel_hi:[0,1,0]
	v_fmac_f32_e32 v81, v79, v86
	v_fma_mix_f32 v63, v79, v1, v63 op_sel_hi:[0,1,0]
	s_delay_alu instid0(VALU_DEP_2) | instskip(SKIP_1) | instid1(VALU_DEP_2)
	v_fmac_f32_e32 v83, v81, v87
	v_fma_mix_f32 v59, v81, v1, v59 op_sel:[0,1,0] op_sel_hi:[0,1,0]
	;; [unrolled: 5-line block ×3, first 2 shown]
	v_fmac_f32_e32 v89, v88, v91
	v_fma_mix_f32 v57, v88, v3, v57 op_sel_hi:[0,1,0]
	s_delay_alu instid0(VALU_DEP_2)
	v_fma_mix_f32 v62, v89, v3, v62 op_sel:[0,1,0] op_sel_hi:[0,1,0]
	s_cbranch_scc1 .LBB78_122
.LBB78_61:                              ;   Parent Loop BB78_12 Depth=1
                                        ; =>  This Inner Loop Header: Depth=2
	s_lshl_b64 s[72:73], s[34:35], 2
	s_mov_b32 s39, s35
	s_add_u32 s72, s57, s72
	s_addc_u32 s73, s58, s73
	v_dual_mov_b32 v2, 0 :: v_dual_mov_b32 v3, 0
	global_load_b32 v77, v13, s[72:73]
	s_lshl_b64 s[72:73], s[38:39], 1
	s_delay_alu instid0(SALU_CYCLE_1)
	v_add_co_u32 v0, vcc_lo, v66, s72
	v_add_co_ci_u32_e32 v1, vcc_lo, s73, v67, vcc_lo
	s_and_saveexec_b32 s28, s12
	s_cbranch_execnz .LBB78_81
; %bb.62:                               ;   in Loop: Header=BB78_61 Depth=2
	s_or_b32 exec_lo, exec_lo, s28
	s_and_saveexec_b32 s28, s13
	s_cbranch_execnz .LBB78_82
.LBB78_63:                              ;   in Loop: Header=BB78_61 Depth=2
	s_or_b32 exec_lo, exec_lo, s28
	v_mov_b32_e32 v4, 0
	s_and_saveexec_b32 s28, s14
	s_cbranch_execnz .LBB78_83
.LBB78_64:                              ;   in Loop: Header=BB78_61 Depth=2
	s_or_b32 exec_lo, exec_lo, s28
	s_and_saveexec_b32 s28, s15
	s_cbranch_execnz .LBB78_84
.LBB78_65:                              ;   in Loop: Header=BB78_61 Depth=2
	s_or_b32 exec_lo, exec_lo, s28
	v_mov_b32_e32 v5, 0
	s_and_saveexec_b32 s28, s16
	s_cbranch_execnz .LBB78_85
.LBB78_66:                              ;   in Loop: Header=BB78_61 Depth=2
	s_or_b32 exec_lo, exec_lo, s28
	s_and_saveexec_b32 s28, s17
	s_cbranch_execnz .LBB78_86
.LBB78_67:                              ;   in Loop: Header=BB78_61 Depth=2
	s_or_b32 exec_lo, exec_lo, s28
	v_mov_b32_e32 v6, 0
	s_and_saveexec_b32 s28, s18
	s_cbranch_execnz .LBB78_87
.LBB78_68:                              ;   in Loop: Header=BB78_61 Depth=2
	s_or_b32 exec_lo, exec_lo, s28
	s_and_saveexec_b32 s28, s19
	s_cbranch_execz .LBB78_70
.LBB78_69:                              ;   in Loop: Header=BB78_61 Depth=2
	global_load_u16 v0, v[0:1], off offset:448
	s_waitcnt vmcnt(0)
	v_lshl_or_b32 v6, v0, 16, v6
.LBB78_70:                              ;   in Loop: Header=BB78_61 Depth=2
	s_or_b32 exec_lo, exec_lo, s28
	s_waitcnt vmcnt(0)
	ds_store_b16 v20, v3
	ds_store_b16 v20, v2 offset:64
	ds_store_b16 v21, v4 offset:128
	ds_store_b16_d16_hi v22, v4 offset:192
	ds_store_b16 v23, v5 offset:256
	ds_store_b16_d16_hi v24, v5 offset:320
	;; [unrolled: 2-line block ×3, first 2 shown]
	; wave barrier
	ds_load_b128 v[4:7], v27
	s_mov_b32 s43, s35
	v_dual_mov_b32 v2, 0 :: v_dual_mov_b32 v3, 0
	s_lshl_b64 s[72:73], s[42:43], 1
	s_delay_alu instid0(SALU_CYCLE_1)
	v_add_co_u32 v0, vcc_lo, v68, s72
	v_add_co_ci_u32_e32 v1, vcc_lo, s73, v69, vcc_lo
	s_and_saveexec_b32 s28, s12
	s_cbranch_execnz .LBB78_88
; %bb.71:                               ;   in Loop: Header=BB78_61 Depth=2
	s_or_b32 exec_lo, exec_lo, s28
	s_and_saveexec_b32 s28, s13
	s_cbranch_execnz .LBB78_89
.LBB78_72:                              ;   in Loop: Header=BB78_61 Depth=2
	s_or_b32 exec_lo, exec_lo, s28
	v_mov_b32_e32 v8, 0
	s_and_saveexec_b32 s28, s14
	s_cbranch_execnz .LBB78_90
.LBB78_73:                              ;   in Loop: Header=BB78_61 Depth=2
	s_or_b32 exec_lo, exec_lo, s28
	s_and_saveexec_b32 s28, s15
	s_cbranch_execnz .LBB78_91
.LBB78_74:                              ;   in Loop: Header=BB78_61 Depth=2
	s_or_b32 exec_lo, exec_lo, s28
	v_mov_b32_e32 v9, 0
	s_and_saveexec_b32 s28, s16
	s_cbranch_execnz .LBB78_92
.LBB78_75:                              ;   in Loop: Header=BB78_61 Depth=2
	s_or_b32 exec_lo, exec_lo, s28
	s_and_saveexec_b32 s28, s17
	s_cbranch_execnz .LBB78_93
.LBB78_76:                              ;   in Loop: Header=BB78_61 Depth=2
	s_or_b32 exec_lo, exec_lo, s28
	v_mov_b32_e32 v78, 0
	s_and_saveexec_b32 s28, s18
	s_cbranch_execnz .LBB78_94
.LBB78_77:                              ;   in Loop: Header=BB78_61 Depth=2
	s_or_b32 exec_lo, exec_lo, s28
	s_and_saveexec_b32 s28, s19
	s_cbranch_execz .LBB78_79
.LBB78_78:                              ;   in Loop: Header=BB78_61 Depth=2
	global_load_u16 v0, v[0:1], off offset:448
	s_waitcnt vmcnt(0)
	v_lshl_or_b32 v78, v0, 16, v78
.LBB78_79:                              ;   in Loop: Header=BB78_61 Depth=2
	s_or_b32 exec_lo, exec_lo, s28
	s_waitcnt vmcnt(0)
	ds_store_b16 v20, v3 offset:1056
	ds_store_b16 v28, v2 offset:64
	;; [unrolled: 1-line block ×3, first 2 shown]
	ds_store_b16_d16_hi v30, v8 offset:192
	ds_store_b16 v31, v9 offset:256
	ds_store_b16_d16_hi v32, v9 offset:320
	ds_store_b16 v33, v78 offset:384
	ds_store_b16_d16_hi v34, v78 offset:448
	; wave barrier
	ds_load_b128 v[0:3], v27 offset:1056
	s_and_not1_b32 vcc_lo, exec_lo, s31
	s_cbranch_vccnz .LBB78_95
; %bb.80:                               ;   in Loop: Header=BB78_61 Depth=2
	v_mov_b32_e32 v8, s71
	ds_load_b64 v[8:9], v8
	s_cbranch_execz .LBB78_96
	s_branch .LBB78_99
.LBB78_81:                              ;   in Loop: Header=BB78_61 Depth=2
	global_load_u16 v3, v[0:1], off
	s_or_b32 exec_lo, exec_lo, s28
	s_and_saveexec_b32 s28, s13
	s_cbranch_execz .LBB78_63
.LBB78_82:                              ;   in Loop: Header=BB78_61 Depth=2
	global_load_u16 v2, v[0:1], off offset:64
	s_or_b32 exec_lo, exec_lo, s28
	v_mov_b32_e32 v4, 0
	s_and_saveexec_b32 s28, s14
	s_cbranch_execz .LBB78_64
.LBB78_83:                              ;   in Loop: Header=BB78_61 Depth=2
	global_load_u16 v4, v[0:1], off offset:128
	s_or_b32 exec_lo, exec_lo, s28
	s_and_saveexec_b32 s28, s15
	s_cbranch_execz .LBB78_65
.LBB78_84:                              ;   in Loop: Header=BB78_61 Depth=2
	global_load_u16 v5, v[0:1], off offset:192
	s_waitcnt vmcnt(0)
	v_lshl_or_b32 v4, v5, 16, v4
	s_or_b32 exec_lo, exec_lo, s28
	v_mov_b32_e32 v5, 0
	s_and_saveexec_b32 s28, s16
	s_cbranch_execz .LBB78_66
.LBB78_85:                              ;   in Loop: Header=BB78_61 Depth=2
	global_load_u16 v5, v[0:1], off offset:256
	s_or_b32 exec_lo, exec_lo, s28
	s_and_saveexec_b32 s28, s17
	s_cbranch_execz .LBB78_67
.LBB78_86:                              ;   in Loop: Header=BB78_61 Depth=2
	global_load_u16 v6, v[0:1], off offset:320
	s_waitcnt vmcnt(0)
	v_lshl_or_b32 v5, v6, 16, v5
	s_or_b32 exec_lo, exec_lo, s28
	v_mov_b32_e32 v6, 0
	s_and_saveexec_b32 s28, s18
	s_cbranch_execz .LBB78_68
.LBB78_87:                              ;   in Loop: Header=BB78_61 Depth=2
	global_load_u16 v6, v[0:1], off offset:384
	s_or_b32 exec_lo, exec_lo, s28
	s_and_saveexec_b32 s28, s19
	s_cbranch_execnz .LBB78_69
	s_branch .LBB78_70
.LBB78_88:                              ;   in Loop: Header=BB78_61 Depth=2
	global_load_u16 v3, v[0:1], off
	s_or_b32 exec_lo, exec_lo, s28
	s_and_saveexec_b32 s28, s13
	s_cbranch_execz .LBB78_72
.LBB78_89:                              ;   in Loop: Header=BB78_61 Depth=2
	global_load_u16 v2, v[0:1], off offset:64
	s_or_b32 exec_lo, exec_lo, s28
	v_mov_b32_e32 v8, 0
	s_and_saveexec_b32 s28, s14
	s_cbranch_execz .LBB78_73
.LBB78_90:                              ;   in Loop: Header=BB78_61 Depth=2
	global_load_u16 v8, v[0:1], off offset:128
	s_or_b32 exec_lo, exec_lo, s28
	s_and_saveexec_b32 s28, s15
	s_cbranch_execz .LBB78_74
.LBB78_91:                              ;   in Loop: Header=BB78_61 Depth=2
	global_load_u16 v9, v[0:1], off offset:192
	s_waitcnt vmcnt(0)
	v_lshl_or_b32 v8, v9, 16, v8
	s_or_b32 exec_lo, exec_lo, s28
	v_mov_b32_e32 v9, 0
	s_and_saveexec_b32 s28, s16
	s_cbranch_execz .LBB78_75
.LBB78_92:                              ;   in Loop: Header=BB78_61 Depth=2
	global_load_u16 v9, v[0:1], off offset:256
	s_or_b32 exec_lo, exec_lo, s28
	s_and_saveexec_b32 s28, s17
	s_cbranch_execz .LBB78_76
.LBB78_93:                              ;   in Loop: Header=BB78_61 Depth=2
	global_load_u16 v78, v[0:1], off offset:320
	s_waitcnt vmcnt(0)
	v_lshl_or_b32 v9, v78, 16, v9
	s_or_b32 exec_lo, exec_lo, s28
	v_mov_b32_e32 v78, 0
	s_and_saveexec_b32 s28, s18
	s_cbranch_execz .LBB78_77
.LBB78_94:                              ;   in Loop: Header=BB78_61 Depth=2
	global_load_u16 v78, v[0:1], off offset:384
	s_or_b32 exec_lo, exec_lo, s28
	s_and_saveexec_b32 s28, s19
	s_cbranch_execnz .LBB78_78
	s_branch .LBB78_79
.LBB78_95:                              ;   in Loop: Header=BB78_61 Depth=2
                                        ; implicit-def: $vgpr8
.LBB78_96:                              ;   in Loop: Header=BB78_61 Depth=2
	s_waitcnt lgkmcnt(0)
	v_mov_b32_e32 v9, 0
	s_and_not1_b32 vcc_lo, exec_lo, s33
	s_cbranch_vccnz .LBB78_98
; %bb.97:                               ;   in Loop: Header=BB78_61 Depth=2
	s_mov_b32 s47, s35
	s_delay_alu instid0(SALU_CYCLE_1) | instskip(NEXT) | instid1(SALU_CYCLE_1)
	s_lshl_b64 s[72:73], s[46:47], 1
	s_add_u32 s72, s59, s72
	s_addc_u32 s73, s60, s73
	global_load_u16 v8, v13, s[72:73]
	s_waitcnt vmcnt(0)
	v_cvt_f32_f16_e32 v9, v8
.LBB78_98:                              ;   in Loop: Header=BB78_61 Depth=2
	v_mov_b32_e32 v8, 1.0
.LBB78_99:                              ;   in Loop: Header=BB78_61 Depth=2
	s_waitcnt lgkmcnt(9)
	v_lshrrev_b32_e32 v78, 16, v5
	v_lshrrev_b32_e32 v81, 16, v7
	v_cvt_f32_f16_e32 v7, v7
	v_lshrrev_b32_e32 v79, 16, v6
	v_cvt_f32_f16_e32 v5, v5
	v_cvt_f32_f16_e32 v83, v78
	v_mul_f32_e32 v88, 0x3fb8aa3b, v77
	v_cvt_f32_f16_e32 v89, v81
	v_lshrrev_b32_e32 v77, 16, v4
	v_cvt_f32_f16_e32 v4, v4
	s_delay_alu instid0(VALU_DEP_4)
	v_dual_mul_f32 v83, v73, v83 :: v_dual_mul_f32 v80, v88, v49
	v_mul_f32_e32 v7, v70, v7
	v_cvt_f32_f16_e32 v85, v79
	v_cvt_f32_f16_e32 v77, v77
	v_mul_f32_e32 v79, v88, v51
	v_cmp_gt_f32_e32 vcc_lo, 0xc2fc0000, v80
	v_mul_f32_e32 v4, v76, v4
	v_cvt_f32_f16_e32 v6, v6
	v_mul_f32_e32 v91, v88, v56
	v_mul_f32_e32 v5, v74, v5
	v_cndmask_b32_e64 v80, 0, 0x42800000, vcc_lo
	v_cndmask_b32_e64 v81, 1.0, 0x1f800000, vcc_lo
	v_dual_mul_f32 v6, v72, v6 :: v_dual_mul_f32 v85, v71, v85
	v_mul_f32_e32 v89, v65, v89
	s_delay_alu instid0(VALU_DEP_4) | instskip(NEXT) | instid1(VALU_DEP_3)
	v_fmac_f32_e32 v80, v88, v49
	v_cndmask_b32_e64 v85, 0, v85, s25
	s_delay_alu instid0(VALU_DEP_3) | instskip(NEXT) | instid1(VALU_DEP_3)
	v_cndmask_b32_e64 v89, 0, v89, s27
	v_exp_f32_e32 v78, v80
	s_waitcnt_depctr 0xfff
	v_dual_mul_f32 v82, v88, v50 :: v_dual_mul_f32 v81, v78, v81
	s_delay_alu instid0(VALU_DEP_1) | instskip(SKIP_3) | instid1(VALU_DEP_4)
	v_cmp_gt_f32_e64 s28, 0xc2fc0000, v82
	v_cndmask_b32_e64 v78, 0, v4, s20
	v_mul_f32_e32 v4, v75, v77
	v_cmp_gt_f32_e32 vcc_lo, 0xc2fc0000, v79
	v_cndmask_b32_e64 v82, 0, 0x42800000, s28
	v_cndmask_b32_e64 v84, 1.0, 0x1f800000, s28
	s_delay_alu instid0(VALU_DEP_4) | instskip(SKIP_1) | instid1(VALU_DEP_4)
	v_cndmask_b32_e64 v77, 0, v4, s21
	v_cndmask_b32_e64 v79, 0, 0x42800000, vcc_lo
	v_fmac_f32_e32 v82, v88, v50
	s_delay_alu instid0(VALU_DEP_1) | instskip(SKIP_1) | instid1(VALU_DEP_1)
	v_exp_f32_e32 v80, v82
	v_mul_f32_e32 v82, v88, v52
	v_cmp_gt_f32_e64 s28, 0xc2fc0000, v82
	s_waitcnt_depctr 0xfff
	v_mul_f32_e32 v84, v80, v84
	v_cndmask_b32_e64 v80, 1.0, v81, s20
	v_cndmask_b32_e64 v81, 0, 0x42800000, s28
	s_delay_alu instid0(VALU_DEP_3) | instskip(SKIP_1) | instid1(VALU_DEP_3)
	v_cndmask_b32_e64 v82, 1.0, v84, s21
	v_cndmask_b32_e64 v84, 1.0, 0x1f800000, vcc_lo
	v_fmac_f32_e32 v81, v88, v52
	s_delay_alu instid0(VALU_DEP_1) | instskip(SKIP_1) | instid1(VALU_DEP_1)
	v_exp_f32_e32 v81, v81
	v_fmac_f32_e32 v79, v88, v51
	v_exp_f32_e32 v4, v79
	v_mul_f32_e32 v79, v88, v53
	s_delay_alu instid0(VALU_DEP_1)
	v_cmp_gt_f32_e32 vcc_lo, 0xc2fc0000, v79
	v_cndmask_b32_e64 v79, 0, v5, s22
	v_cndmask_b32_e64 v5, 1.0, 0x1f800000, s28
	s_waitcnt_depctr 0xfff
	v_mul_f32_e32 v4, v4, v84
	v_cndmask_b32_e64 v86, 0, 0x42800000, vcc_lo
	s_delay_alu instid0(VALU_DEP_2) | instskip(SKIP_1) | instid1(VALU_DEP_3)
	v_cndmask_b32_e64 v84, 1.0, v4, s22
	v_mul_f32_e32 v87, v88, v54
	v_fmac_f32_e32 v86, v88, v53
	v_mul_f32_e32 v4, v81, v5
	v_cndmask_b32_e64 v5, 1.0, 0x1f800000, vcc_lo
	v_cndmask_b32_e64 v81, 0, v83, s23
	v_cmp_gt_f32_e64 s28, 0xc2fc0000, v87
	v_exp_f32_e32 v90, v86
	v_cndmask_b32_e64 v86, 1.0, v4, s23
	v_cndmask_b32_e64 v83, 0, v6, s24
	s_delay_alu instid0(VALU_DEP_3) | instskip(SKIP_3) | instid1(VALU_DEP_4)
	v_cndmask_b32_e64 v87, 0, 0x42800000, s28
	v_cndmask_b32_e64 v6, 1.0, 0x1f800000, s28
	v_cmp_gt_f32_e64 s28, 0xc2fc0000, v91
	v_fma_f32 v91, v82, v78, v77
	v_fmac_f32_e32 v87, v88, v54
	s_delay_alu instid0(TRANS32_DEP_1) | instskip(NEXT) | instid1(VALU_DEP_2)
	v_mul_f32_e32 v5, v90, v5
	v_exp_f32_e32 v4, v87
	v_mul_f32_e32 v87, v88, v55
	s_delay_alu instid0(VALU_DEP_1) | instskip(NEXT) | instid1(VALU_DEP_3)
	v_cmp_gt_f32_e32 vcc_lo, 0xc2fc0000, v87
	v_cndmask_b32_e64 v87, 1.0, v5, s24
	v_cndmask_b32_e64 v5, 0, 0x42800000, s28
	s_waitcnt_depctr 0xfff
	v_mul_f32_e32 v4, v4, v6
	v_cndmask_b32_e64 v90, 0, 0x42800000, vcc_lo
	v_mul_f32_e32 v6, v82, v80
	v_fmac_f32_e32 v5, v88, v56
	s_delay_alu instid0(VALU_DEP_4) | instskip(NEXT) | instid1(VALU_DEP_4)
	v_cndmask_b32_e64 v92, 1.0, v4, s25
	v_fmac_f32_e32 v90, v88, v55
	s_delay_alu instid0(VALU_DEP_4)
	v_mul_f32_e32 v4, v6, v84
	v_fma_f32 v6, v91, v84, v79
	v_cndmask_b32_e64 v88, 1.0, 0x1f800000, vcc_lo
	v_exp_f32_e32 v5, v5
	v_exp_f32_e32 v90, v90
	v_mul_f32_e32 v4, v4, v86
	v_fma_f32 v6, v6, v86, v81
	s_delay_alu instid0(VALU_DEP_2) | instskip(NEXT) | instid1(VALU_DEP_2)
	v_mul_f32_e32 v4, v4, v87
	v_fma_f32 v6, v6, v87, v83
	s_waitcnt_depctr 0xfff
	v_mul_f32_e32 v90, v90, v88
	v_cndmask_b32_e64 v88, 0, v7, s26
	v_cndmask_b32_e64 v7, 1.0, 0x1f800000, s28
	v_mul_f32_e32 v4, v4, v92
	v_fma_f32 v6, v6, v92, v85
	v_cndmask_b32_e64 v90, 1.0, v90, s26
	s_delay_alu instid0(VALU_DEP_1) | instskip(NEXT) | instid1(VALU_DEP_1)
	v_dual_mul_f32 v5, v5, v7 :: v_dual_mul_f32 v4, v4, v90
	v_cndmask_b32_e64 v91, 1.0, v5, s27
	s_delay_alu instid0(VALU_DEP_4) | instskip(NEXT) | instid1(VALU_DEP_2)
	v_fma_f32 v5, v6, v90, v88
	v_mul_f32_e32 v4, v4, v91
	s_delay_alu instid0(VALU_DEP_2) | instskip(NEXT) | instid1(VALU_DEP_2)
	v_fma_f32 v5, v5, v91, v89
	v_mov_b32_dpp v7, v4 row_shr:1 row_mask:0xf bank_mask:0xf
	s_delay_alu instid0(VALU_DEP_2)
	v_mov_b32_dpp v6, v5 row_shr:1 row_mask:0xf bank_mask:0xf
	s_and_saveexec_b32 s28, s0
; %bb.100:                              ;   in Loop: Header=BB78_61 Depth=2
	s_delay_alu instid0(VALU_DEP_2) | instskip(NEXT) | instid1(VALU_DEP_1)
	v_mul_f32_e32 v7, v4, v7
	v_dual_fmac_f32 v5, v4, v6 :: v_dual_mov_b32 v4, v7
; %bb.101:                              ;   in Loop: Header=BB78_61 Depth=2
	s_or_b32 exec_lo, exec_lo, s28
	s_delay_alu instid0(VALU_DEP_1) | instskip(NEXT) | instid1(VALU_DEP_2)
	v_mov_b32_dpp v6, v4 row_shr:2 row_mask:0xf bank_mask:0xf
	v_mov_b32_dpp v7, v5 row_shr:2 row_mask:0xf bank_mask:0xf
	s_and_saveexec_b32 s28, s1
; %bb.102:                              ;   in Loop: Header=BB78_61 Depth=2
	s_delay_alu instid0(VALU_DEP_1) | instskip(NEXT) | instid1(VALU_DEP_3)
	v_fmac_f32_e32 v5, v4, v7
	v_mul_f32_e32 v4, v4, v6
; %bb.103:                              ;   in Loop: Header=BB78_61 Depth=2
	s_or_b32 exec_lo, exec_lo, s28
	s_delay_alu instid0(VALU_DEP_1) | instskip(NEXT) | instid1(VALU_DEP_3)
	v_mov_b32_dpp v6, v4 row_shr:4 row_mask:0xf bank_mask:0xf
	v_mov_b32_dpp v7, v5 row_shr:4 row_mask:0xf bank_mask:0xf
	s_and_saveexec_b32 s28, s2
; %bb.104:                              ;   in Loop: Header=BB78_61 Depth=2
	s_delay_alu instid0(VALU_DEP_1) | instskip(NEXT) | instid1(VALU_DEP_3)
	v_fmac_f32_e32 v5, v4, v7
	v_mul_f32_e32 v4, v4, v6
; %bb.105:                              ;   in Loop: Header=BB78_61 Depth=2
	s_or_b32 exec_lo, exec_lo, s28
	s_delay_alu instid0(VALU_DEP_1) | instskip(NEXT) | instid1(VALU_DEP_3)
	v_mov_b32_dpp v6, v4 row_shr:8 row_mask:0xf bank_mask:0xf
	v_mov_b32_dpp v7, v5 row_shr:8 row_mask:0xf bank_mask:0xf
	s_and_saveexec_b32 s28, s3
; %bb.106:                              ;   in Loop: Header=BB78_61 Depth=2
	s_delay_alu instid0(VALU_DEP_1) | instskip(NEXT) | instid1(VALU_DEP_3)
	v_fmac_f32_e32 v5, v4, v7
	v_mul_f32_e32 v4, v4, v6
; %bb.107:                              ;   in Loop: Header=BB78_61 Depth=2
	s_or_b32 exec_lo, exec_lo, s28
	ds_swizzle_b32 v7, v4 offset:swizzle(BROADCAST,32,15)
	ds_swizzle_b32 v6, v5 offset:swizzle(BROADCAST,32,15)
	s_and_saveexec_b32 s28, s4
	s_cbranch_execz .LBB78_109
; %bb.108:                              ;   in Loop: Header=BB78_61 Depth=2
	s_waitcnt lgkmcnt(1)
	v_mul_f32_e32 v7, v4, v7
	s_waitcnt lgkmcnt(0)
	s_delay_alu instid0(VALU_DEP_1)
	v_dual_fmac_f32 v5, v4, v6 :: v_dual_mov_b32 v4, v7
.LBB78_109:                             ;   in Loop: Header=BB78_61 Depth=2
	s_or_b32 exec_lo, exec_lo, s28
	s_and_saveexec_b32 s28, s5
	s_cbranch_execz .LBB78_111
; %bb.110:                              ;   in Loop: Header=BB78_61 Depth=2
	ds_store_b64 v35, v[4:5] offset:2112
.LBB78_111:                             ;   in Loop: Header=BB78_61 Depth=2
	s_or_b32 exec_lo, exec_lo, s28
	s_waitcnt lgkmcnt(0)
	s_waitcnt_vscnt null, 0x0
	s_barrier
	buffer_gl0_inv
	s_and_saveexec_b32 s28, s6
	s_cbranch_execz .LBB78_113
; %bb.112:                              ;   in Loop: Header=BB78_61 Depth=2
	ds_load_b64 v[6:7], v36 offset:2112
	s_waitcnt lgkmcnt(0)
	v_mov_b32_dpp v93, v6 row_shr:1 row_mask:0xf bank_mask:0xf
	v_mov_b32_dpp v94, v7 row_shr:1 row_mask:0xf bank_mask:0xf
	s_delay_alu instid0(VALU_DEP_2) | instskip(NEXT) | instid1(VALU_DEP_2)
	v_mul_f32_e32 v93, v6, v93
	v_fma_f32 v94, v6, v94, v7
	s_delay_alu instid0(VALU_DEP_2) | instskip(NEXT) | instid1(VALU_DEP_2)
	v_cndmask_b32_e64 v6, v93, v6, s7
	v_cndmask_b32_e64 v7, v94, v7, s7
	ds_store_b64 v36, v[6:7] offset:2112
.LBB78_113:                             ;   in Loop: Header=BB78_61 Depth=2
	s_or_b32 exec_lo, exec_lo, s28
	s_waitcnt lgkmcnt(0)
	s_barrier
	buffer_gl0_inv
                                        ; implicit-def: $vgpr7
	s_and_saveexec_b32 s28, s9
	s_cbranch_execz .LBB78_115
; %bb.114:                              ;   in Loop: Header=BB78_61 Depth=2
	ds_load_b64 v[6:7], v35 offset:2104
	s_waitcnt lgkmcnt(0)
	v_mul_f32_e32 v93, v4, v6
	s_delay_alu instid0(VALU_DEP_1)
	v_dual_fmac_f32 v5, v4, v7 :: v_dual_mov_b32 v4, v93
.LBB78_115:                             ;   in Loop: Header=BB78_61 Depth=2
	s_or_b32 exec_lo, exec_lo, s28
	ds_bpermute_b32 v93, v37, v4
	ds_bpermute_b32 v94, v37, v5
	s_and_saveexec_b32 s28, s8
	s_cbranch_execz .LBB78_119
; %bb.116:                              ;   in Loop: Header=BB78_61 Depth=2
	ds_load_b64 v[4:5], v13 offset:2120
	s_and_saveexec_b32 s39, s10
	s_cbranch_execz .LBB78_118
; %bb.117:                              ;   in Loop: Header=BB78_61 Depth=2
	ds_store_b64 v13, v[8:9] offset:2120
.LBB78_118:                             ;   in Loop: Header=BB78_61 Depth=2
	s_or_b32 exec_lo, exec_lo, s39
	s_waitcnt lgkmcnt(0)
	v_fmac_f32_e32 v5, v9, v4
	s_delay_alu instid0(VALU_DEP_1)
	v_dual_mul_f32 v8, v8, v4 :: v_dual_mov_b32 v9, v5
.LBB78_119:                             ;   in Loop: Header=BB78_61 Depth=2
	s_or_b32 exec_lo, exec_lo, s28
	s_waitcnt lgkmcnt(0)
	s_barrier
	buffer_gl0_inv
	ds_load_b32 v4, v13 offset:2124
	s_and_saveexec_b32 s28, s10
	s_cbranch_execz .LBB78_60
; %bb.120:                              ;   in Loop: Header=BB78_61 Depth=2
	v_mov_b32_e32 v5, s71
	s_and_not1_b32 vcc_lo, exec_lo, s69
	ds_store_b64 v5, v[8:9]
	s_cbranch_vccnz .LBB78_60
; %bb.121:                              ;   in Loop: Header=BB78_61 Depth=2
	s_mov_b32 s47, s35
	v_cvt_f16_f32_e32 v5, v9
	s_lshl_b64 s[72:73], s[46:47], 1
	s_delay_alu instid0(SALU_CYCLE_1)
	s_add_u32 s72, s59, s72
	s_addc_u32 s73, s60, s73
	global_store_b16 v13, v5, s[72:73]
	s_branch .LBB78_60
.LBB78_122:                             ;   in Loop: Header=BB78_12 Depth=1
	v_cvt_f16_f32_e32 v0, v64
	v_cvt_f16_f32_e32 v1, v63
	;; [unrolled: 1-line block ×8, first 2 shown]
	s_waitcnt_vscnt null, 0x0
	v_pack_b32_f16 v3, v3, v4
	v_pack_b32_f16 v2, v2, v5
	v_pack_b32_f16 v1, v1, v6
	v_pack_b32_f16 v0, v0, v7
	s_barrier
	buffer_gl0_inv
	s_mov_b32 s31, s35
	ds_store_b128 v27, v[0:3]
	; wave barrier
	ds_load_u16 v8, v20 offset:64
	ds_load_u16 v7, v21 offset:128
	;; [unrolled: 1-line block ×7, first 2 shown]
	s_lshl_b64 s[20:21], s[30:31], 1
	s_delay_alu instid0(SALU_CYCLE_1)
	v_add_co_u32 v0, vcc_lo, v38, s20
	v_add_co_ci_u32_e32 v1, vcc_lo, s21, v39, vcc_lo
	s_and_saveexec_b32 s20, s12
	s_cbranch_execnz .LBB78_132
; %bb.123:                              ;   in Loop: Header=BB78_12 Depth=1
	s_or_b32 exec_lo, exec_lo, s20
	s_and_saveexec_b32 s12, s13
	s_cbranch_execnz .LBB78_133
.LBB78_124:                             ;   in Loop: Header=BB78_12 Depth=1
	s_or_b32 exec_lo, exec_lo, s12
	s_and_saveexec_b32 s12, s14
	s_cbranch_execnz .LBB78_134
.LBB78_125:                             ;   in Loop: Header=BB78_12 Depth=1
	s_or_b32 exec_lo, exec_lo, s12
	s_and_saveexec_b32 s12, s15
	s_cbranch_execnz .LBB78_135
.LBB78_126:                             ;   in Loop: Header=BB78_12 Depth=1
	s_or_b32 exec_lo, exec_lo, s12
	s_and_saveexec_b32 s12, s16
	s_cbranch_execnz .LBB78_136
.LBB78_127:                             ;   in Loop: Header=BB78_12 Depth=1
	s_or_b32 exec_lo, exec_lo, s12
	s_and_saveexec_b32 s12, s17
	s_cbranch_execnz .LBB78_137
.LBB78_128:                             ;   in Loop: Header=BB78_12 Depth=1
	s_or_b32 exec_lo, exec_lo, s12
	s_and_saveexec_b32 s12, s18
	s_cbranch_execnz .LBB78_138
.LBB78_129:                             ;   in Loop: Header=BB78_12 Depth=1
	s_or_b32 exec_lo, exec_lo, s12
	s_and_saveexec_b32 s12, s19
	s_cbranch_execz .LBB78_11
	s_branch .LBB78_139
.LBB78_130:                             ;   in Loop: Header=BB78_12 Depth=1
	global_load_u16 v51, v[4:5], off offset:320
	s_or_b32 exec_lo, exec_lo, s20
	s_and_saveexec_b32 s20, s18
	s_cbranch_execz .LBB78_40
.LBB78_131:                             ;   in Loop: Header=BB78_12 Depth=1
	global_load_u16 v50, v[4:5], off offset:384
	s_or_b32 exec_lo, exec_lo, s20
	v_mov_b32_e32 v52, 0
	s_and_saveexec_b32 s20, s19
	s_cbranch_execnz .LBB78_41
	s_branch .LBB78_42
.LBB78_132:                             ;   in Loop: Header=BB78_12 Depth=1
	ds_load_u16 v9, v20
	s_waitcnt lgkmcnt(0)
	global_store_b16 v[0:1], v9, off
	s_or_b32 exec_lo, exec_lo, s20
	s_and_saveexec_b32 s12, s13
	s_cbranch_execz .LBB78_124
.LBB78_133:                             ;   in Loop: Header=BB78_12 Depth=1
	s_waitcnt lgkmcnt(6)
	global_store_b16 v[0:1], v8, off offset:64
	s_or_b32 exec_lo, exec_lo, s12
	s_and_saveexec_b32 s12, s14
	s_cbranch_execz .LBB78_125
.LBB78_134:                             ;   in Loop: Header=BB78_12 Depth=1
	s_waitcnt lgkmcnt(5)
	global_store_b16 v[0:1], v7, off offset:128
	s_or_b32 exec_lo, exec_lo, s12
	s_and_saveexec_b32 s12, s15
	s_cbranch_execz .LBB78_126
.LBB78_135:                             ;   in Loop: Header=BB78_12 Depth=1
	s_waitcnt lgkmcnt(4)
	global_store_b16 v[0:1], v6, off offset:192
	s_or_b32 exec_lo, exec_lo, s12
	s_and_saveexec_b32 s12, s16
	s_cbranch_execz .LBB78_127
.LBB78_136:                             ;   in Loop: Header=BB78_12 Depth=1
	s_waitcnt lgkmcnt(3)
	global_store_b16 v[0:1], v5, off offset:256
	s_or_b32 exec_lo, exec_lo, s12
	s_and_saveexec_b32 s12, s17
	s_cbranch_execz .LBB78_128
.LBB78_137:                             ;   in Loop: Header=BB78_12 Depth=1
	s_waitcnt lgkmcnt(2)
	global_store_b16 v[0:1], v4, off offset:320
	s_or_b32 exec_lo, exec_lo, s12
	s_and_saveexec_b32 s12, s18
	s_cbranch_execz .LBB78_129
.LBB78_138:                             ;   in Loop: Header=BB78_12 Depth=1
	s_waitcnt lgkmcnt(1)
	global_store_b16 v[0:1], v3, off offset:384
	s_or_b32 exec_lo, exec_lo, s12
	s_and_saveexec_b32 s12, s19
	s_cbranch_execz .LBB78_11
.LBB78_139:                             ;   in Loop: Header=BB78_12 Depth=1
	s_waitcnt lgkmcnt(0)
	global_store_b16 v[0:1], v2, off offset:448
	s_branch .LBB78_11
.LBB78_140:
	s_nop 0
	s_sendmsg sendmsg(MSG_DEALLOC_VGPRS)
	s_endpgm
	.section	.rodata,"a",@progbits
	.p2align	6, 0x0
	.amdhsa_kernel _Z25selective_scan_fwd_kernelI32Selective_Scan_fwd_kernel_traitsILi64ELi8ELi1ELb0ELb1ELb1ELb0ELb1EN3c104HalfEfS2_EEv13SSMParamsBase
		.amdhsa_group_segment_fixed_size 0
		.amdhsa_private_segment_fixed_size 0
		.amdhsa_kernarg_size 248
		.amdhsa_user_sgpr_count 14
		.amdhsa_user_sgpr_dispatch_ptr 0
		.amdhsa_user_sgpr_queue_ptr 0
		.amdhsa_user_sgpr_kernarg_segment_ptr 1
		.amdhsa_user_sgpr_dispatch_id 0
		.amdhsa_user_sgpr_private_segment_size 0
		.amdhsa_wavefront_size32 1
		.amdhsa_uses_dynamic_stack 0
		.amdhsa_enable_private_segment 0
		.amdhsa_system_sgpr_workgroup_id_x 1
		.amdhsa_system_sgpr_workgroup_id_y 1
		.amdhsa_system_sgpr_workgroup_id_z 0
		.amdhsa_system_sgpr_workgroup_info 0
		.amdhsa_system_vgpr_workitem_id 0
		.amdhsa_next_free_vgpr 95
		.amdhsa_next_free_sgpr 74
		.amdhsa_reserve_vcc 1
		.amdhsa_float_round_mode_32 0
		.amdhsa_float_round_mode_16_64 0
		.amdhsa_float_denorm_mode_32 3
		.amdhsa_float_denorm_mode_16_64 3
		.amdhsa_dx10_clamp 1
		.amdhsa_ieee_mode 1
		.amdhsa_fp16_overflow 0
		.amdhsa_workgroup_processor_mode 1
		.amdhsa_memory_ordered 1
		.amdhsa_forward_progress 0
		.amdhsa_shared_vgpr_count 0
		.amdhsa_exception_fp_ieee_invalid_op 0
		.amdhsa_exception_fp_denorm_src 0
		.amdhsa_exception_fp_ieee_div_zero 0
		.amdhsa_exception_fp_ieee_overflow 0
		.amdhsa_exception_fp_ieee_underflow 0
		.amdhsa_exception_fp_ieee_inexact 0
		.amdhsa_exception_int_div_zero 0
	.end_amdhsa_kernel
	.section	.text._Z25selective_scan_fwd_kernelI32Selective_Scan_fwd_kernel_traitsILi64ELi8ELi1ELb0ELb1ELb1ELb0ELb1EN3c104HalfEfS2_EEv13SSMParamsBase,"axG",@progbits,_Z25selective_scan_fwd_kernelI32Selective_Scan_fwd_kernel_traitsILi64ELi8ELi1ELb0ELb1ELb1ELb0ELb1EN3c104HalfEfS2_EEv13SSMParamsBase,comdat
.Lfunc_end78:
	.size	_Z25selective_scan_fwd_kernelI32Selective_Scan_fwd_kernel_traitsILi64ELi8ELi1ELb0ELb1ELb1ELb0ELb1EN3c104HalfEfS2_EEv13SSMParamsBase, .Lfunc_end78-_Z25selective_scan_fwd_kernelI32Selective_Scan_fwd_kernel_traitsILi64ELi8ELi1ELb0ELb1ELb1ELb0ELb1EN3c104HalfEfS2_EEv13SSMParamsBase
                                        ; -- End function
	.section	.AMDGPU.csdata,"",@progbits
; Kernel info:
; codeLenInByte = 11780
; NumSgprs: 76
; NumVgprs: 95
; ScratchSize: 0
; MemoryBound: 0
; FloatMode: 240
; IeeeMode: 1
; LDSByteSize: 0 bytes/workgroup (compile time only)
; SGPRBlocks: 9
; VGPRBlocks: 11
; NumSGPRsForWavesPerEU: 76
; NumVGPRsForWavesPerEU: 95
; Occupancy: 16
; WaveLimiterHint : 1
; COMPUTE_PGM_RSRC2:SCRATCH_EN: 0
; COMPUTE_PGM_RSRC2:USER_SGPR: 14
; COMPUTE_PGM_RSRC2:TRAP_HANDLER: 0
; COMPUTE_PGM_RSRC2:TGID_X_EN: 1
; COMPUTE_PGM_RSRC2:TGID_Y_EN: 1
; COMPUTE_PGM_RSRC2:TGID_Z_EN: 0
; COMPUTE_PGM_RSRC2:TIDIG_COMP_CNT: 0
	.section	.text._Z25selective_scan_fwd_kernelI32Selective_Scan_fwd_kernel_traitsILi64ELi8ELi1ELb0ELb1ELb1ELb0ELb0EN3c104HalfEfS2_EEv13SSMParamsBase,"axG",@progbits,_Z25selective_scan_fwd_kernelI32Selective_Scan_fwd_kernel_traitsILi64ELi8ELi1ELb0ELb1ELb1ELb0ELb0EN3c104HalfEfS2_EEv13SSMParamsBase,comdat
	.protected	_Z25selective_scan_fwd_kernelI32Selective_Scan_fwd_kernel_traitsILi64ELi8ELi1ELb0ELb1ELb1ELb0ELb0EN3c104HalfEfS2_EEv13SSMParamsBase ; -- Begin function _Z25selective_scan_fwd_kernelI32Selective_Scan_fwd_kernel_traitsILi64ELi8ELi1ELb0ELb1ELb1ELb0ELb0EN3c104HalfEfS2_EEv13SSMParamsBase
	.globl	_Z25selective_scan_fwd_kernelI32Selective_Scan_fwd_kernel_traitsILi64ELi8ELi1ELb0ELb1ELb1ELb0ELb0EN3c104HalfEfS2_EEv13SSMParamsBase
	.p2align	8
	.type	_Z25selective_scan_fwd_kernelI32Selective_Scan_fwd_kernel_traitsILi64ELi8ELi1ELb0ELb1ELb1ELb0ELb0EN3c104HalfEfS2_EEv13SSMParamsBase,@function
_Z25selective_scan_fwd_kernelI32Selective_Scan_fwd_kernel_traitsILi64ELi8ELi1ELb0ELb1ELb1ELb0ELb0EN3c104HalfEfS2_EEv13SSMParamsBase: ; @_Z25selective_scan_fwd_kernelI32Selective_Scan_fwd_kernel_traitsILi64ELi8ELi1ELb0ELb1ELb1ELb0ELb0EN3c104HalfEfS2_EEv13SSMParamsBase
; %bb.0:
	s_clause 0x1
	s_load_b32 s9, s[0:1], 0x18
	s_load_b128 s[4:7], s[0:1], 0xe8
	s_mov_b32 s12, s15
	s_mov_b32 s33, 0
	s_waitcnt lgkmcnt(0)
	s_abs_i32 s8, s9
	s_cmp_eq_u64 s[6:7], 0
	v_cvt_f32_u32_e32 v1, s8
	s_delay_alu instid0(VALU_DEP_1) | instskip(SKIP_2) | instid1(VALU_DEP_1)
	v_rcp_iflag_f32_e32 v1, v1
	s_waitcnt_depctr 0xfff
	v_mul_f32_e32 v1, 0x4f7ffffe, v1
	v_cvt_u32_f32_e32 v1, v1
	s_delay_alu instid0(VALU_DEP_1)
	v_readfirstlane_b32 s10, v1
	s_cbranch_scc1 .LBB79_2
; %bb.1:
	v_mov_b32_e32 v1, 0
	s_ashr_i32 s3, s14, 31
	s_add_u32 s2, s6, s14
	s_addc_u32 s3, s7, s3
	global_load_u8 v1, v1, s[2:3]
	s_waitcnt vmcnt(0)
	v_and_b32_e32 v1, 1, v1
	s_delay_alu instid0(VALU_DEP_1)
	v_cmp_eq_u32_e64 s33, 1, v1
.LBB79_2:
	s_load_b64 s[6:7], s[0:1], 0x20
	s_cmp_eq_u64 s[4:5], 0
	s_cbranch_scc1 .LBB79_4
; %bb.3:
	s_ashr_i32 s15, s14, 31
	s_delay_alu instid0(SALU_CYCLE_1) | instskip(NEXT) | instid1(SALU_CYCLE_1)
	s_lshl_b64 s[2:3], s[14:15], 2
	s_add_u32 s2, s4, s2
	s_addc_u32 s3, s5, s3
	s_load_b32 s2, s[2:3], 0x0
	s_waitcnt lgkmcnt(0)
	s_ashr_i32 s3, s2, 31
	s_delay_alu instid0(SALU_CYCLE_1)
	s_cmp_eq_u64 s[6:7], s[2:3]
	s_cbranch_scc0 .LBB79_5
	s_branch .LBB79_140
.LBB79_4:
	s_mov_b32 s2, s14
	s_delay_alu instid0(SALU_CYCLE_1)
	s_ashr_i32 s3, s2, 31
	s_waitcnt lgkmcnt(0)
	s_cmp_eq_u64 s[6:7], s[2:3]
	s_cbranch_scc1 .LBB79_140
.LBB79_5:
	s_clause 0x1
	s_load_b512 s[16:31], s[0:1], 0x88
	s_load_b64 s[34:35], s[0:1], 0x8
	s_mov_b32 s54, 0
	s_mov_b32 s55, 0
	s_waitcnt lgkmcnt(0)
	s_cmp_eq_u64 s[22:23], 0
	s_cbranch_scc1 .LBB79_7
; %bb.6:
	s_ashr_i32 s13, s12, 31
	s_delay_alu instid0(SALU_CYCLE_1) | instskip(NEXT) | instid1(SALU_CYCLE_1)
	s_lshl_b64 s[4:5], s[12:13], 2
	s_add_u32 s4, s22, s4
	s_addc_u32 s5, s23, s5
	s_load_b32 s55, s[4:5], 0x0
.LBB79_7:
	s_cmp_eq_u64 s[28:29], 0
	s_cbranch_scc1 .LBB79_9
; %bb.8:
	s_ashr_i32 s13, s12, 31
	s_delay_alu instid0(SALU_CYCLE_1) | instskip(NEXT) | instid1(SALU_CYCLE_1)
	s_lshl_b64 s[4:5], s[12:13], 2
	s_add_u32 s4, s28, s4
	s_addc_u32 s5, s29, s5
	s_load_b32 s54, s[4:5], 0x0
.LBB79_9:
	s_cmp_lt_i32 s34, 1
	s_cbranch_scc1 .LBB79_140
; %bb.10:
	s_sub_i32 s3, 0, s8
	s_clause 0x1
	s_load_b64 s[4:5], s[0:1], 0x5c
	s_load_b128 s[44:47], s[0:1], 0x4c
	s_mul_i32 s3, s3, s10
	s_abs_i32 s6, s12
	s_mul_hi_u32 s3, s10, s3
	s_ashr_i32 s9, s9, 31
	s_add_i32 s10, s10, s3
	s_ashr_i32 s3, s12, 31
	s_mul_hi_u32 s7, s6, s10
	s_xor_b32 s3, s3, s9
	s_mul_i32 s10, s7, s8
	s_add_i32 s9, s7, 1
	s_sub_i32 s6, s6, s10
	s_load_b256 s[36:43], s[0:1], 0x2c
	s_sub_i32 s10, s6, s8
	s_cmp_ge_u32 s6, s8
	s_mov_b32 s53, 0
	s_cselect_b32 s7, s9, s7
	s_cselect_b32 s6, s10, s6
	s_add_i32 s9, s7, 1
	s_cmp_ge_u32 s6, s8
	s_waitcnt lgkmcnt(0)
	s_mul_i32 s52, s46, s14
	s_cselect_b32 s6, s9, s7
	s_clause 0x1
	s_load_b128 s[48:51], s[0:1], 0x7c
	s_load_b64 s[10:11], s[0:1], 0x6c
	s_xor_b32 s8, s6, s3
	s_lshl_b64 s[6:7], s[52:53], 1
	s_sub_i32 s3, s8, s3
	s_mul_i32 s52, s47, s12
	s_add_u32 s8, s24, s6
	s_addc_u32 s9, s25, s7
	s_lshl_b64 s[6:7], s[52:53], 1
	s_mul_i32 s52, s4, s14
	s_add_u32 s29, s8, s6
	s_addc_u32 s56, s9, s7
	s_lshl_b64 s[6:7], s[52:53], 1
	;; [unrolled: 4-line block ×3, first 2 shown]
	v_dual_mov_b32 v13, 0 :: v_dual_lshlrev_b32 v10, 3, v0
	s_add_u32 s57, s6, s4
	s_mul_i32 s52, s36, s12
	s_addc_u32 s36, s7, s5
	s_load_b64 s[6:7], s[0:1], 0xc8
	s_lshl_b64 s[4:5], s[52:53], 2
	v_mbcnt_lo_u32_b32 v1, -1, 0
	v_and_b32_e32 v2, 0x100, v10
	s_mul_i32 s52, s38, s14
	s_add_u32 s58, s16, s4
	s_addc_u32 s59, s17, s5
	s_lshl_b64 s[4:5], s[52:53], 1
	s_mul_i32 s52, s3, s41
	s_load_b32 s0, s[0:1], 0x28
	s_add_u32 s8, s18, s4
	v_or_b32_e32 v11, v1, v2
	s_addc_u32 s9, s19, s5
	s_lshl_b64 s[4:5], s[52:53], 1
	s_mul_i32 s52, s42, s14
	s_add_u32 s41, s8, s4
	s_waitcnt lgkmcnt(0)
	s_addc_u32 s51, s9, s5
	s_lshl_b64 s[4:5], s[52:53], 1
	s_mul_i32 s52, s3, s45
	v_or_b32_e32 v12, 0x60, v11
	s_add_u32 s8, s20, s4
	s_addc_u32 s3, s21, s5
	s_lshl_b64 s[4:5], s[52:53], 1
	s_mul_i32 s52, s2, s48
	s_add_u32 s45, s8, s4
	s_addc_u32 s48, s3, s5
	s_lshl_b64 s[2:3], s[52:53], 1
	v_lshrrev_b32_e32 v3, 5, v12
	v_or_b32_e32 v17, 0xa0, v11
	v_or_b32_e32 v19, 0xe0, v11
	s_mul_i32 s52, s49, s12
	s_add_u32 s4, s6, s2
	s_addc_u32 s5, s7, s3
	s_lshl_b64 s[2:3], s[52:53], 1
	v_or_b32_e32 v15, 64, v11
	s_add_u32 s49, s4, s2
	v_or_b32_e32 v16, 0x80, v11
	v_and_b32_e32 v3, 10, v3
	v_or_b32_e32 v18, 0xc0, v11
	v_and_b32_e32 v6, 32, v0
	v_lshrrev_b32_e32 v7, 5, v17
	v_lshrrev_b32_e32 v24, 5, v19
	s_addc_u32 s60, s5, s3
	s_add_i32 s1, s34, 0x7ff
	v_lshrrev_b32_e32 v4, 5, v2
	s_lshr_b32 s61, s1, 11
	s_bitcmp1_b32 s0, 0
	v_lshrrev_b32_e32 v5, 5, v15
	v_add_lshl_u32 v3, v3, v11, 1
	v_lshrrev_b32_e32 v8, 5, v16
	v_or_b32_e32 v9, v1, v6
	v_and_b32_e32 v7, 12, v7
	v_lshrrev_b32_e32 v23, 5, v18
	v_and_b32_e32 v26, 14, v24
	s_cselect_b32 s62, -1, 0
	s_cmp_gt_i32 s35, 0
	v_add_lshl_u32 v4, v4, v11, 1
	s_cselect_b32 s63, -1, 0
	s_add_i32 s0, 0, 0x420
	v_add_lshl_u32 v5, v5, v11, 1
	v_add_nc_u32_e32 v22, 0, v3
	v_add_lshl_u32 v8, v8, v11, 1
	v_lshrrev_b32_e32 v25, 2, v9
	v_add_lshl_u32 v7, v7, v11, 1
	v_add_lshl_u32 v33, v23, v11, 1
	;; [unrolled: 1-line block ×3, first 2 shown]
	v_add_nc_u32_e32 v30, s0, v3
	v_and_b32_e32 v3, 15, v1
	s_and_b32 s1, s34, 0x1ff
	v_and_b32_e32 v27, 14, v25
	v_add_nc_u32_e32 v25, 0, v33
	v_add_nc_u32_e32 v26, 0, v34
	;; [unrolled: 1-line block ×7, first 2 shown]
	s_cmp_eq_u32 s1, 0
	v_add_nc_u32_e32 v34, s0, v34
	v_cmp_ne_u32_e64 s0, 0, v3
	v_cmp_lt_u32_e64 s1, 1, v3
	v_cmp_lt_u32_e64 s2, 3, v3
	;; [unrolled: 1-line block ×3, first 2 shown]
	v_add_nc_u32_e32 v3, -1, v1
	v_add_nc_u32_e32 v20, 0, v4
	v_lshrrev_b32_e32 v4, 2, v0
	v_or_b32_e32 v6, 31, v6
	s_mul_i32 s52, s10, s14
	v_cmp_gt_i32_e32 vcc_lo, 0, v3
	s_cselect_b32 s64, -1, 0
	v_and_b32_e32 v4, 8, v4
	s_lshl_b64 s[14:15], s[52:53], 1
	s_add_i32 s65, s61, -1
	v_cndmask_b32_e32 v3, v3, v1, vcc_lo
	s_mul_i32 s52, s11, s12
	v_cmp_eq_u32_e64 s5, v6, v0
	v_cmp_gt_u32_e64 s6, 2, v0
	v_cmp_gt_u32_e64 s8, 32, v0
	v_cmp_lt_u32_e64 s9, 31, v0
	v_cmp_eq_u32_e64 s10, 0, v0
	s_add_u32 s14, s30, s14
	v_lshlrev_b32_e32 v0, 1, v1
	s_addc_u32 s11, s31, s15
	s_lshl_b64 s[12:13], s[52:53], 1
	v_add_nc_u32_e32 v35, 0, v4
	v_and_b32_e32 v4, 1, v1
	s_add_u32 s12, s14, s12
	v_lshlrev_b32_e32 v37, 2, v3
	s_addc_u32 s11, s11, s13
	v_lshlrev_b32_e32 v3, 1, v2
	v_add_co_u32 v0, s12, s12, v0
	v_add_nc_u32_e32 v21, 0, v5
	v_lshl_add_u32 v9, v9, 3, v27
	v_and_b32_e32 v5, 16, v1
	v_cmp_eq_u32_e64 s7, 0, v4
	v_add_co_ci_u32_e64 v4, null, s11, 0, s12
	v_add_co_u32 v38, vcc_lo, v0, v3
	v_or_b32_e32 v14, 32, v11
	v_add_nc_u32_e32 v23, 0, v8
	v_add_nc_u32_e32 v24, 0, v7
	v_lshl_add_u32 v27, v9, 1, 0
	v_cmp_ne_u32_e64 s4, 0, v5
	v_add_nc_u32_e32 v36, 0, v10
	v_cmp_eq_u32_e64 s11, 0, v1
	v_add_co_ci_u32_e32 v39, vcc_lo, 0, v4, vcc_lo
	v_or_b32_e32 v40, 1, v10
	v_or_b32_e32 v41, 2, v10
	;; [unrolled: 1-line block ×7, first 2 shown]
	v_lshlrev_b32_e32 v47, 1, v1
	v_lshlrev_b32_e32 v48, 1, v2
	s_mov_b32 s66, 0x3e9b6dac
	s_add_i32 s67, 0, 0x850
	s_mov_b32 s68, 0
	s_branch .LBB79_12
.LBB79_11:                              ;   in Loop: Header=BB79_12 Depth=1
	s_or_b32 exec_lo, exec_lo, s12
	s_add_u32 s57, s57, 0x400
	s_addc_u32 s36, s36, 0
	s_add_u32 s29, s29, 0x400
	s_addc_u32 s56, s56, 0
	;; [unrolled: 2-line block ×4, first 2 shown]
	s_add_i32 s68, s68, 1
	s_delay_alu instid0(SALU_CYCLE_1)
	s_cmp_eq_u32 s68, s61
	s_cbranch_scc1 .LBB79_140
.LBB79_12:                              ; =>This Loop Header: Depth=1
                                        ;     Child Loop BB79_61 Depth 2
	v_add_co_u32 v0, s12, s29, v47
	s_delay_alu instid0(VALU_DEP_1) | instskip(SKIP_1) | instid1(VALU_DEP_2)
	v_add_co_ci_u32_e64 v1, null, s56, 0, s12
	s_lshl_b32 s30, s68, 9
	v_add_co_u32 v0, vcc_lo, v0, v48
	s_sub_i32 s23, s34, s30
	s_delay_alu instid0(VALU_DEP_2)
	v_add_co_ci_u32_e32 v1, vcc_lo, 0, v1, vcc_lo
	v_cmp_gt_u32_e64 s12, s23, v11
	s_waitcnt lgkmcnt(0)
	v_mov_b32_e32 v2, 0
	s_waitcnt_vscnt null, 0x0
	s_barrier
	buffer_gl0_inv
	s_and_saveexec_b32 s13, s12
	s_cbranch_execz .LBB79_14
; %bb.13:                               ;   in Loop: Header=BB79_12 Depth=1
	global_load_u16 v2, v[0:1], off
.LBB79_14:                              ;   in Loop: Header=BB79_12 Depth=1
	s_or_b32 exec_lo, exec_lo, s13
	v_cmp_gt_u32_e64 s13, s23, v14
	v_dual_mov_b32 v3, 0 :: v_dual_mov_b32 v4, 0
	s_delay_alu instid0(VALU_DEP_2)
	s_and_saveexec_b32 s14, s13
	s_cbranch_execz .LBB79_16
; %bb.15:                               ;   in Loop: Header=BB79_12 Depth=1
	global_load_u16 v4, v[0:1], off offset:64
.LBB79_16:                              ;   in Loop: Header=BB79_12 Depth=1
	s_or_b32 exec_lo, exec_lo, s14
	v_cmp_gt_u32_e64 s14, s23, v15
	s_delay_alu instid0(VALU_DEP_1)
	s_and_saveexec_b32 s15, s14
	s_cbranch_execz .LBB79_18
; %bb.17:                               ;   in Loop: Header=BB79_12 Depth=1
	global_load_u16 v3, v[0:1], off offset:128
.LBB79_18:                              ;   in Loop: Header=BB79_12 Depth=1
	s_or_b32 exec_lo, exec_lo, s15
	v_cmp_gt_u32_e64 s15, s23, v12
	v_mov_b32_e32 v5, 0
	v_mov_b32_e32 v7, 0
	s_delay_alu instid0(VALU_DEP_3)
	s_and_saveexec_b32 s16, s15
	s_cbranch_execz .LBB79_20
; %bb.19:                               ;   in Loop: Header=BB79_12 Depth=1
	global_load_u16 v7, v[0:1], off offset:192
.LBB79_20:                              ;   in Loop: Header=BB79_12 Depth=1
	s_or_b32 exec_lo, exec_lo, s16
	v_cmp_gt_u32_e64 s16, s23, v16
	s_delay_alu instid0(VALU_DEP_1)
	s_and_saveexec_b32 s17, s16
	s_cbranch_execz .LBB79_22
; %bb.21:                               ;   in Loop: Header=BB79_12 Depth=1
	global_load_u16 v5, v[0:1], off offset:256
.LBB79_22:                              ;   in Loop: Header=BB79_12 Depth=1
	s_or_b32 exec_lo, exec_lo, s17
	v_cmp_gt_u32_e64 s17, s23, v17
	v_dual_mov_b32 v8, 0 :: v_dual_mov_b32 v9, 0
	s_delay_alu instid0(VALU_DEP_2)
	s_and_saveexec_b32 s18, s17
	s_cbranch_execz .LBB79_24
; %bb.23:                               ;   in Loop: Header=BB79_12 Depth=1
	global_load_u16 v9, v[0:1], off offset:320
.LBB79_24:                              ;   in Loop: Header=BB79_12 Depth=1
	s_or_b32 exec_lo, exec_lo, s18
	v_cmp_gt_u32_e64 s18, s23, v18
	s_delay_alu instid0(VALU_DEP_1)
	s_and_saveexec_b32 s19, s18
	s_cbranch_execz .LBB79_26
; %bb.25:                               ;   in Loop: Header=BB79_12 Depth=1
	global_load_u16 v8, v[0:1], off offset:384
.LBB79_26:                              ;   in Loop: Header=BB79_12 Depth=1
	s_or_b32 exec_lo, exec_lo, s19
	v_cmp_gt_u32_e64 s19, s23, v19
	v_dual_mov_b32 v6, 0 :: v_dual_mov_b32 v49, 0
	s_delay_alu instid0(VALU_DEP_2)
	s_and_saveexec_b32 s20, s19
	s_cbranch_execz .LBB79_28
; %bb.27:                               ;   in Loop: Header=BB79_12 Depth=1
	global_load_u16 v49, v[0:1], off offset:448
.LBB79_28:                              ;   in Loop: Header=BB79_12 Depth=1
	s_or_b32 exec_lo, exec_lo, s20
	s_waitcnt vmcnt(0)
	ds_store_b16 v20, v2
	ds_store_b16 v20, v4 offset:64
	ds_store_b16 v21, v3 offset:128
	;; [unrolled: 1-line block ×7, first 2 shown]
	; wave barrier
	ds_load_b128 v[0:3], v27
	v_add_co_u32 v4, s20, s57, v47
	s_delay_alu instid0(VALU_DEP_1) | instskip(SKIP_1) | instid1(VALU_DEP_2)
	v_add_co_ci_u32_e64 v5, null, s36, 0, s20
	s_waitcnt lgkmcnt(0)
	v_add_co_u32 v4, vcc_lo, v4, v48
	s_delay_alu instid0(VALU_DEP_2)
	v_add_co_ci_u32_e32 v5, vcc_lo, 0, v5, vcc_lo
	s_barrier
	buffer_gl0_inv
	s_and_saveexec_b32 s20, s12
	s_cbranch_execz .LBB79_30
; %bb.29:                               ;   in Loop: Header=BB79_12 Depth=1
	global_load_u16 v6, v[4:5], off
.LBB79_30:                              ;   in Loop: Header=BB79_12 Depth=1
	s_or_b32 exec_lo, exec_lo, s20
	v_dual_mov_b32 v7, 0 :: v_dual_mov_b32 v8, 0
	s_and_saveexec_b32 s20, s13
	s_cbranch_execz .LBB79_32
; %bb.31:                               ;   in Loop: Header=BB79_12 Depth=1
	global_load_u16 v8, v[4:5], off offset:64
.LBB79_32:                              ;   in Loop: Header=BB79_12 Depth=1
	s_or_b32 exec_lo, exec_lo, s20
	s_and_saveexec_b32 s20, s14
	s_cbranch_execz .LBB79_34
; %bb.33:                               ;   in Loop: Header=BB79_12 Depth=1
	global_load_u16 v7, v[4:5], off offset:128
.LBB79_34:                              ;   in Loop: Header=BB79_12 Depth=1
	s_or_b32 exec_lo, exec_lo, s20
	v_mov_b32_e32 v9, 0
	v_mov_b32_e32 v49, 0
	s_and_saveexec_b32 s20, s15
	s_cbranch_execz .LBB79_36
; %bb.35:                               ;   in Loop: Header=BB79_12 Depth=1
	global_load_u16 v49, v[4:5], off offset:192
.LBB79_36:                              ;   in Loop: Header=BB79_12 Depth=1
	s_or_b32 exec_lo, exec_lo, s20
	s_and_saveexec_b32 s20, s16
	s_cbranch_execz .LBB79_38
; %bb.37:                               ;   in Loop: Header=BB79_12 Depth=1
	global_load_u16 v9, v[4:5], off offset:256
.LBB79_38:                              ;   in Loop: Header=BB79_12 Depth=1
	s_or_b32 exec_lo, exec_lo, s20
	v_dual_mov_b32 v50, 0 :: v_dual_mov_b32 v51, 0
	s_and_saveexec_b32 s20, s17
	s_cbranch_execnz .LBB79_130
; %bb.39:                               ;   in Loop: Header=BB79_12 Depth=1
	s_or_b32 exec_lo, exec_lo, s20
	s_and_saveexec_b32 s20, s18
	s_cbranch_execnz .LBB79_131
.LBB79_40:                              ;   in Loop: Header=BB79_12 Depth=1
	s_or_b32 exec_lo, exec_lo, s20
	v_mov_b32_e32 v52, 0
	s_and_saveexec_b32 s20, s19
	s_cbranch_execz .LBB79_42
.LBB79_41:                              ;   in Loop: Header=BB79_12 Depth=1
	global_load_u16 v52, v[4:5], off offset:448
.LBB79_42:                              ;   in Loop: Header=BB79_12 Depth=1
	s_or_b32 exec_lo, exec_lo, s20
	s_waitcnt vmcnt(0)
	ds_store_b16 v20, v6
	ds_store_b16 v20, v8 offset:64
	ds_store_b16 v21, v7 offset:128
	;; [unrolled: 1-line block ×7, first 2 shown]
	; wave barrier
	ds_load_b128 v[4:7], v27
	s_waitcnt lgkmcnt(0)
	v_cvt_f32_f16_e32 v8, v4
	s_delay_alu instid0(VALU_DEP_1) | instskip(NEXT) | instid1(VALU_DEP_1)
	v_add_f32_e32 v49, s54, v8
	v_cmp_ge_f32_e32 vcc_lo, 0x41a00000, v49
	s_and_b32 s20, s62, vcc_lo
	s_delay_alu instid0(SALU_CYCLE_1)
	s_and_saveexec_b32 s21, s20
	s_cbranch_execz .LBB79_44
; %bb.43:                               ;   in Loop: Header=BB79_12 Depth=1
	v_mul_f32_e32 v8, 0x3fb8aa3b, v49
	v_cmp_ngt_f32_e32 vcc_lo, 0xc2ce8ed0, v49
	s_delay_alu instid0(VALU_DEP_2) | instskip(SKIP_1) | instid1(VALU_DEP_2)
	v_rndne_f32_e32 v9, v8
	v_fma_f32 v50, 0x3fb8aa3b, v49, -v8
	v_sub_f32_e32 v8, v8, v9
	s_delay_alu instid0(VALU_DEP_2) | instskip(SKIP_1) | instid1(VALU_DEP_2)
	v_fmac_f32_e32 v50, 0x32a5705f, v49
	v_cvt_i32_f32_e32 v9, v9
	v_add_f32_e32 v8, v8, v50
	s_delay_alu instid0(VALU_DEP_1) | instskip(SKIP_2) | instid1(VALU_DEP_1)
	v_exp_f32_e32 v8, v8
	s_waitcnt_depctr 0xfff
	v_ldexp_f32 v8, v8, v9
	v_cndmask_b32_e32 v8, 0, v8, vcc_lo
	v_cmp_nlt_f32_e32 vcc_lo, 0x42b17218, v49
	s_delay_alu instid0(VALU_DEP_2) | instskip(NEXT) | instid1(VALU_DEP_1)
	v_cndmask_b32_e32 v49, 0x7f800000, v8, vcc_lo
	v_add_f32_e32 v50, 1.0, v49
	s_delay_alu instid0(VALU_DEP_1) | instskip(NEXT) | instid1(VALU_DEP_1)
	v_cvt_f64_f32_e32 v[8:9], v50
	v_frexp_exp_i32_f64_e32 v8, v[8:9]
	v_frexp_mant_f32_e32 v9, v50
	s_delay_alu instid0(VALU_DEP_1) | instskip(SKIP_1) | instid1(VALU_DEP_1)
	v_cmp_gt_f32_e32 vcc_lo, 0x3f2aaaab, v9
	v_add_f32_e32 v9, -1.0, v50
	v_sub_f32_e32 v52, v9, v50
	v_sub_f32_e32 v9, v49, v9
	v_cmp_gt_f32_e64 s20, 0x33800000, v49
	s_delay_alu instid0(VALU_DEP_3) | instskip(NEXT) | instid1(VALU_DEP_1)
	v_add_f32_e32 v52, 1.0, v52
	v_add_f32_e32 v9, v9, v52
	v_subrev_co_ci_u32_e32 v8, vcc_lo, 0, v8, vcc_lo
	v_cmp_eq_f32_e32 vcc_lo, 0x7f800000, v49
	s_delay_alu instid0(VALU_DEP_2) | instskip(SKIP_2) | instid1(VALU_DEP_2)
	v_sub_nc_u32_e32 v51, 0, v8
	v_cvt_f32_i32_e32 v8, v8
	s_or_b32 vcc_lo, s20, vcc_lo
	v_ldexp_f32 v50, v50, v51
	v_ldexp_f32 v9, v9, v51
	s_delay_alu instid0(VALU_DEP_2) | instskip(NEXT) | instid1(VALU_DEP_1)
	v_add_f32_e32 v53, 1.0, v50
	v_dual_add_f32 v51, -1.0, v50 :: v_dual_add_f32 v52, -1.0, v53
	s_delay_alu instid0(VALU_DEP_1) | instskip(NEXT) | instid1(VALU_DEP_2)
	v_add_f32_e32 v54, 1.0, v51
	v_sub_f32_e32 v52, v50, v52
	s_delay_alu instid0(VALU_DEP_2) | instskip(NEXT) | instid1(VALU_DEP_2)
	v_sub_f32_e32 v50, v50, v54
	v_add_f32_e32 v52, v9, v52
	s_delay_alu instid0(VALU_DEP_2) | instskip(NEXT) | instid1(VALU_DEP_1)
	v_add_f32_e32 v9, v9, v50
	v_dual_add_f32 v55, v51, v9 :: v_dual_add_f32 v54, v53, v52
	s_delay_alu instid0(VALU_DEP_1) | instskip(NEXT) | instid1(VALU_DEP_2)
	v_sub_f32_e32 v51, v51, v55
	v_rcp_f32_e32 v50, v54
	v_sub_f32_e32 v53, v53, v54
	s_delay_alu instid0(VALU_DEP_1) | instskip(SKIP_2) | instid1(VALU_DEP_1)
	v_dual_add_f32 v9, v9, v51 :: v_dual_add_f32 v52, v52, v53
	s_waitcnt_depctr 0xfff
	v_mul_f32_e32 v56, v55, v50
	v_mul_f32_e32 v57, v54, v56
	s_delay_alu instid0(VALU_DEP_1) | instskip(NEXT) | instid1(VALU_DEP_1)
	v_fma_f32 v53, v56, v54, -v57
	v_fmac_f32_e32 v53, v56, v52
	s_delay_alu instid0(VALU_DEP_1) | instskip(NEXT) | instid1(VALU_DEP_1)
	v_add_f32_e32 v58, v57, v53
	v_sub_f32_e32 v59, v55, v58
	s_delay_alu instid0(VALU_DEP_1) | instskip(NEXT) | instid1(VALU_DEP_1)
	v_sub_f32_e32 v55, v55, v59
	v_sub_f32_e32 v55, v55, v58
	;; [unrolled: 1-line block ×3, first 2 shown]
	s_delay_alu instid0(VALU_DEP_2) | instskip(NEXT) | instid1(VALU_DEP_2)
	v_add_f32_e32 v9, v9, v55
	v_sub_f32_e32 v51, v51, v53
	s_delay_alu instid0(VALU_DEP_1) | instskip(NEXT) | instid1(VALU_DEP_1)
	v_add_f32_e32 v9, v51, v9
	v_add_f32_e32 v51, v59, v9
	s_delay_alu instid0(VALU_DEP_1) | instskip(NEXT) | instid1(VALU_DEP_1)
	v_mul_f32_e32 v53, v50, v51
	v_dual_sub_f32 v58, v59, v51 :: v_dual_mul_f32 v55, v54, v53
	s_delay_alu instid0(VALU_DEP_1) | instskip(NEXT) | instid1(VALU_DEP_2)
	v_add_f32_e32 v9, v9, v58
	v_fma_f32 v54, v53, v54, -v55
	s_delay_alu instid0(VALU_DEP_1) | instskip(NEXT) | instid1(VALU_DEP_1)
	v_fmac_f32_e32 v54, v53, v52
	v_add_f32_e32 v52, v55, v54
	s_delay_alu instid0(VALU_DEP_1) | instskip(NEXT) | instid1(VALU_DEP_1)
	v_sub_f32_e32 v57, v51, v52
	v_sub_f32_e32 v51, v51, v57
	s_delay_alu instid0(VALU_DEP_1) | instskip(NEXT) | instid1(VALU_DEP_1)
	v_sub_f32_e32 v51, v51, v52
	v_add_f32_e32 v9, v9, v51
	v_add_f32_e32 v51, v56, v53
	v_sub_f32_e32 v55, v52, v55
	s_delay_alu instid0(VALU_DEP_1) | instskip(NEXT) | instid1(VALU_DEP_1)
	v_sub_f32_e32 v52, v55, v54
	v_dual_add_f32 v9, v52, v9 :: v_dual_sub_f32 v52, v51, v56
	s_delay_alu instid0(VALU_DEP_1) | instskip(NEXT) | instid1(VALU_DEP_1)
	v_add_f32_e32 v9, v57, v9
	v_dual_sub_f32 v52, v53, v52 :: v_dual_mul_f32 v9, v50, v9
	s_delay_alu instid0(VALU_DEP_1) | instskip(NEXT) | instid1(VALU_DEP_1)
	v_add_f32_e32 v9, v52, v9
	v_add_f32_e32 v50, v51, v9
	s_delay_alu instid0(VALU_DEP_1) | instskip(NEXT) | instid1(VALU_DEP_1)
	v_mul_f32_e32 v52, v50, v50
	v_fmaak_f32 v53, s66, v52, 0x3ecc95a3
	v_mul_f32_e32 v54, v50, v52
	s_delay_alu instid0(VALU_DEP_2) | instskip(SKIP_2) | instid1(VALU_DEP_3)
	v_fmaak_f32 v52, v52, v53, 0x3f2aaada
	v_ldexp_f32 v53, v50, 1
	v_sub_f32_e32 v50, v50, v51
	v_mul_f32_e32 v52, v54, v52
	v_mul_f32_e32 v54, 0x3f317218, v8
	s_delay_alu instid0(VALU_DEP_2) | instskip(NEXT) | instid1(VALU_DEP_1)
	v_add_f32_e32 v51, v53, v52
	v_dual_sub_f32 v9, v9, v50 :: v_dual_sub_f32 v50, v51, v53
	s_delay_alu instid0(VALU_DEP_3) | instskip(NEXT) | instid1(VALU_DEP_2)
	v_fma_f32 v53, 0x3f317218, v8, -v54
	v_ldexp_f32 v9, v9, 1
	s_delay_alu instid0(VALU_DEP_2) | instskip(NEXT) | instid1(VALU_DEP_1)
	v_dual_sub_f32 v50, v52, v50 :: v_dual_fmac_f32 v53, 0xb102e308, v8
	v_dual_add_f32 v8, v9, v50 :: v_dual_add_f32 v9, v54, v53
	s_delay_alu instid0(VALU_DEP_1) | instskip(NEXT) | instid1(VALU_DEP_1)
	v_add_f32_e32 v50, v51, v8
	v_add_f32_e32 v52, v9, v50
	s_delay_alu instid0(VALU_DEP_1) | instskip(NEXT) | instid1(VALU_DEP_1)
	v_sub_f32_e32 v55, v52, v9
	v_sub_f32_e32 v56, v52, v55
	;; [unrolled: 1-line block ×4, first 2 shown]
	s_delay_alu instid0(VALU_DEP_2) | instskip(SKIP_1) | instid1(VALU_DEP_1)
	v_sub_f32_e32 v8, v8, v51
	v_sub_f32_e32 v54, v9, v54
	v_sub_f32_e32 v53, v53, v54
	s_delay_alu instid0(VALU_DEP_1) | instskip(SKIP_1) | instid1(VALU_DEP_1)
	v_add_f32_e32 v51, v53, v8
	v_sub_f32_e32 v9, v9, v56
	v_add_f32_e32 v9, v50, v9
	s_delay_alu instid0(VALU_DEP_3) | instskip(NEXT) | instid1(VALU_DEP_1)
	v_sub_f32_e32 v50, v51, v53
	v_dual_sub_f32 v8, v8, v50 :: v_dual_add_f32 v9, v51, v9
	s_delay_alu instid0(VALU_DEP_1) | instskip(NEXT) | instid1(VALU_DEP_1)
	v_dual_sub_f32 v51, v51, v50 :: v_dual_add_f32 v54, v52, v9
	v_dual_sub_f32 v51, v53, v51 :: v_dual_sub_f32 v50, v54, v52
	s_delay_alu instid0(VALU_DEP_1) | instskip(NEXT) | instid1(VALU_DEP_1)
	v_dual_add_f32 v8, v8, v51 :: v_dual_sub_f32 v9, v9, v50
	v_add_f32_e32 v8, v8, v9
	s_delay_alu instid0(VALU_DEP_1) | instskip(NEXT) | instid1(VALU_DEP_1)
	v_add_f32_e32 v8, v54, v8
	v_cndmask_b32_e32 v49, v8, v49, vcc_lo
.LBB79_44:                              ;   in Loop: Header=BB79_12 Depth=1
	s_or_b32 exec_lo, exec_lo, s21
	v_lshrrev_b32_e32 v4, 16, v4
	s_delay_alu instid0(VALU_DEP_1) | instskip(NEXT) | instid1(VALU_DEP_1)
	v_cvt_f32_f16_e32 v4, v4
	v_add_f32_e32 v50, s54, v4
	s_delay_alu instid0(VALU_DEP_1) | instskip(SKIP_1) | instid1(SALU_CYCLE_1)
	v_cmp_ge_f32_e32 vcc_lo, 0x41a00000, v50
	s_and_b32 s20, s62, vcc_lo
	s_and_saveexec_b32 s21, s20
	s_cbranch_execz .LBB79_46
; %bb.45:                               ;   in Loop: Header=BB79_12 Depth=1
	v_mul_f32_e32 v4, 0x3fb8aa3b, v50
	v_cmp_ngt_f32_e32 vcc_lo, 0xc2ce8ed0, v50
	s_delay_alu instid0(VALU_DEP_2) | instskip(SKIP_1) | instid1(VALU_DEP_1)
	v_rndne_f32_e32 v8, v4
	v_fma_f32 v9, 0x3fb8aa3b, v50, -v4
	v_dual_sub_f32 v4, v4, v8 :: v_dual_fmac_f32 v9, 0x32a5705f, v50
	v_cvt_i32_f32_e32 v8, v8
	s_delay_alu instid0(VALU_DEP_2) | instskip(NEXT) | instid1(VALU_DEP_1)
	v_add_f32_e32 v4, v4, v9
	v_exp_f32_e32 v4, v4
	s_waitcnt_depctr 0xfff
	v_ldexp_f32 v4, v4, v8
	s_delay_alu instid0(VALU_DEP_1) | instskip(SKIP_1) | instid1(VALU_DEP_2)
	v_cndmask_b32_e32 v4, 0, v4, vcc_lo
	v_cmp_nlt_f32_e32 vcc_lo, 0x42b17218, v50
	v_cndmask_b32_e32 v4, 0x7f800000, v4, vcc_lo
	s_delay_alu instid0(VALU_DEP_1) | instskip(NEXT) | instid1(VALU_DEP_1)
	v_add_f32_e32 v50, 1.0, v4
	v_cvt_f64_f32_e32 v[8:9], v50
	s_delay_alu instid0(VALU_DEP_1) | instskip(SKIP_1) | instid1(VALU_DEP_1)
	v_frexp_exp_i32_f64_e32 v8, v[8:9]
	v_frexp_mant_f32_e32 v9, v50
	v_cmp_gt_f32_e32 vcc_lo, 0x3f2aaaab, v9
	v_add_f32_e32 v9, -1.0, v50
	s_delay_alu instid0(VALU_DEP_1) | instskip(NEXT) | instid1(VALU_DEP_1)
	v_dual_sub_f32 v52, v9, v50 :: v_dual_sub_f32 v9, v4, v9
	v_add_f32_e32 v52, 1.0, v52
	s_delay_alu instid0(VALU_DEP_1) | instskip(SKIP_1) | instid1(VALU_DEP_1)
	v_add_f32_e32 v9, v9, v52
	v_subrev_co_ci_u32_e32 v8, vcc_lo, 0, v8, vcc_lo
	v_sub_nc_u32_e32 v51, 0, v8
	v_cvt_f32_i32_e32 v8, v8
	s_delay_alu instid0(VALU_DEP_2) | instskip(SKIP_1) | instid1(VALU_DEP_2)
	v_ldexp_f32 v50, v50, v51
	v_ldexp_f32 v9, v9, v51
	v_add_f32_e32 v53, 1.0, v50
	v_add_f32_e32 v51, -1.0, v50
	v_cmp_eq_f32_e32 vcc_lo, 0x7f800000, v4
	v_cmp_gt_f32_e64 s20, 0x33800000, v4
	s_delay_alu instid0(VALU_DEP_4) | instskip(NEXT) | instid1(VALU_DEP_4)
	v_add_f32_e32 v52, -1.0, v53
	v_add_f32_e32 v54, 1.0, v51
	s_delay_alu instid0(VALU_DEP_3) | instskip(NEXT) | instid1(VALU_DEP_2)
	s_or_b32 vcc_lo, s20, vcc_lo
	v_sub_f32_e32 v52, v50, v52
	s_delay_alu instid0(VALU_DEP_2) | instskip(NEXT) | instid1(VALU_DEP_2)
	v_sub_f32_e32 v50, v50, v54
	v_add_f32_e32 v52, v9, v52
	s_delay_alu instid0(VALU_DEP_2) | instskip(NEXT) | instid1(VALU_DEP_1)
	v_add_f32_e32 v9, v9, v50
	v_add_f32_e32 v55, v51, v9
	s_delay_alu instid0(VALU_DEP_1) | instskip(NEXT) | instid1(VALU_DEP_1)
	v_dual_sub_f32 v51, v51, v55 :: v_dual_add_f32 v54, v53, v52
	v_add_f32_e32 v9, v9, v51
	s_delay_alu instid0(VALU_DEP_2) | instskip(SKIP_1) | instid1(VALU_DEP_1)
	v_rcp_f32_e32 v50, v54
	v_sub_f32_e32 v53, v53, v54
	v_add_f32_e32 v52, v52, v53
	s_waitcnt_depctr 0xfff
	v_mul_f32_e32 v56, v55, v50
	s_delay_alu instid0(VALU_DEP_1) | instskip(NEXT) | instid1(VALU_DEP_1)
	v_mul_f32_e32 v57, v54, v56
	v_fma_f32 v53, v56, v54, -v57
	s_delay_alu instid0(VALU_DEP_1) | instskip(NEXT) | instid1(VALU_DEP_1)
	v_fmac_f32_e32 v53, v56, v52
	v_add_f32_e32 v58, v57, v53
	s_delay_alu instid0(VALU_DEP_1) | instskip(SKIP_1) | instid1(VALU_DEP_2)
	v_sub_f32_e32 v59, v55, v58
	v_sub_f32_e32 v51, v58, v57
	;; [unrolled: 1-line block ×3, first 2 shown]
	s_delay_alu instid0(VALU_DEP_2) | instskip(NEXT) | instid1(VALU_DEP_2)
	v_sub_f32_e32 v51, v51, v53
	v_sub_f32_e32 v55, v55, v58
	s_delay_alu instid0(VALU_DEP_1) | instskip(NEXT) | instid1(VALU_DEP_1)
	v_add_f32_e32 v9, v9, v55
	v_add_f32_e32 v9, v51, v9
	s_delay_alu instid0(VALU_DEP_1) | instskip(NEXT) | instid1(VALU_DEP_1)
	v_add_f32_e32 v51, v59, v9
	v_mul_f32_e32 v53, v50, v51
	s_delay_alu instid0(VALU_DEP_1) | instskip(NEXT) | instid1(VALU_DEP_1)
	v_dual_sub_f32 v58, v59, v51 :: v_dual_mul_f32 v55, v54, v53
	v_add_f32_e32 v9, v9, v58
	s_delay_alu instid0(VALU_DEP_2) | instskip(NEXT) | instid1(VALU_DEP_1)
	v_fma_f32 v54, v53, v54, -v55
	v_fmac_f32_e32 v54, v53, v52
	s_delay_alu instid0(VALU_DEP_1) | instskip(NEXT) | instid1(VALU_DEP_1)
	v_add_f32_e32 v52, v55, v54
	v_sub_f32_e32 v57, v51, v52
	s_delay_alu instid0(VALU_DEP_1) | instskip(NEXT) | instid1(VALU_DEP_1)
	v_sub_f32_e32 v51, v51, v57
	v_sub_f32_e32 v51, v51, v52
	s_delay_alu instid0(VALU_DEP_1) | instskip(SKIP_2) | instid1(VALU_DEP_1)
	v_add_f32_e32 v9, v9, v51
	v_add_f32_e32 v51, v56, v53
	v_sub_f32_e32 v55, v52, v55
	v_sub_f32_e32 v52, v55, v54
	s_delay_alu instid0(VALU_DEP_1) | instskip(NEXT) | instid1(VALU_DEP_1)
	v_dual_add_f32 v9, v52, v9 :: v_dual_sub_f32 v52, v51, v56
	v_add_f32_e32 v9, v57, v9
	s_delay_alu instid0(VALU_DEP_1) | instskip(NEXT) | instid1(VALU_DEP_1)
	v_dual_sub_f32 v52, v53, v52 :: v_dual_mul_f32 v9, v50, v9
	v_add_f32_e32 v9, v52, v9
	s_delay_alu instid0(VALU_DEP_1) | instskip(NEXT) | instid1(VALU_DEP_1)
	v_add_f32_e32 v50, v51, v9
	v_mul_f32_e32 v52, v50, v50
	s_delay_alu instid0(VALU_DEP_1) | instskip(SKIP_1) | instid1(VALU_DEP_2)
	v_fmaak_f32 v53, s66, v52, 0x3ecc95a3
	v_mul_f32_e32 v54, v50, v52
	v_fmaak_f32 v52, v52, v53, 0x3f2aaada
	v_ldexp_f32 v53, v50, 1
	v_sub_f32_e32 v50, v50, v51
	s_delay_alu instid0(VALU_DEP_3) | instskip(SKIP_1) | instid1(VALU_DEP_2)
	v_mul_f32_e32 v52, v54, v52
	v_mul_f32_e32 v54, 0x3f317218, v8
	v_add_f32_e32 v51, v53, v52
	s_delay_alu instid0(VALU_DEP_1) | instskip(NEXT) | instid1(VALU_DEP_3)
	v_dual_sub_f32 v9, v9, v50 :: v_dual_sub_f32 v50, v51, v53
	v_fma_f32 v53, 0x3f317218, v8, -v54
	s_delay_alu instid0(VALU_DEP_2) | instskip(NEXT) | instid1(VALU_DEP_2)
	v_ldexp_f32 v9, v9, 1
	v_dual_sub_f32 v50, v52, v50 :: v_dual_fmac_f32 v53, 0xb102e308, v8
	s_delay_alu instid0(VALU_DEP_1) | instskip(NEXT) | instid1(VALU_DEP_1)
	v_dual_add_f32 v8, v9, v50 :: v_dual_add_f32 v9, v54, v53
	v_add_f32_e32 v50, v51, v8
	s_delay_alu instid0(VALU_DEP_1) | instskip(NEXT) | instid1(VALU_DEP_1)
	v_add_f32_e32 v52, v9, v50
	v_sub_f32_e32 v55, v52, v9
	s_delay_alu instid0(VALU_DEP_1) | instskip(SKIP_2) | instid1(VALU_DEP_2)
	v_sub_f32_e32 v56, v52, v55
	v_sub_f32_e32 v51, v50, v51
	;; [unrolled: 1-line block ×5, first 2 shown]
	s_delay_alu instid0(VALU_DEP_1) | instskip(NEXT) | instid1(VALU_DEP_1)
	v_sub_f32_e32 v53, v53, v54
	v_add_f32_e32 v51, v53, v8
	v_sub_f32_e32 v9, v9, v56
	s_delay_alu instid0(VALU_DEP_1) | instskip(NEXT) | instid1(VALU_DEP_3)
	v_add_f32_e32 v9, v50, v9
	v_sub_f32_e32 v50, v51, v53
	s_delay_alu instid0(VALU_DEP_1) | instskip(NEXT) | instid1(VALU_DEP_1)
	v_dual_sub_f32 v8, v8, v50 :: v_dual_add_f32 v9, v51, v9
	v_dual_sub_f32 v51, v51, v50 :: v_dual_add_f32 v54, v52, v9
	s_delay_alu instid0(VALU_DEP_1) | instskip(NEXT) | instid1(VALU_DEP_1)
	v_dual_sub_f32 v51, v53, v51 :: v_dual_sub_f32 v50, v54, v52
	v_dual_add_f32 v8, v8, v51 :: v_dual_sub_f32 v9, v9, v50
	s_delay_alu instid0(VALU_DEP_1) | instskip(NEXT) | instid1(VALU_DEP_1)
	v_add_f32_e32 v8, v8, v9
	v_add_f32_e32 v8, v54, v8
	s_delay_alu instid0(VALU_DEP_1)
	v_cndmask_b32_e32 v50, v8, v4, vcc_lo
.LBB79_46:                              ;   in Loop: Header=BB79_12 Depth=1
	s_or_b32 exec_lo, exec_lo, s21
	v_cvt_f32_f16_e32 v4, v5
	s_delay_alu instid0(VALU_DEP_1) | instskip(NEXT) | instid1(VALU_DEP_1)
	v_add_f32_e32 v51, s54, v4
	v_cmp_ge_f32_e32 vcc_lo, 0x41a00000, v51
	s_and_b32 s20, s62, vcc_lo
	s_delay_alu instid0(SALU_CYCLE_1)
	s_and_saveexec_b32 s21, s20
	s_cbranch_execz .LBB79_48
; %bb.47:                               ;   in Loop: Header=BB79_12 Depth=1
	v_mul_f32_e32 v4, 0x3fb8aa3b, v51
	v_cmp_ngt_f32_e32 vcc_lo, 0xc2ce8ed0, v51
	s_delay_alu instid0(VALU_DEP_2) | instskip(SKIP_1) | instid1(VALU_DEP_1)
	v_rndne_f32_e32 v8, v4
	v_fma_f32 v9, 0x3fb8aa3b, v51, -v4
	v_dual_sub_f32 v4, v4, v8 :: v_dual_fmac_f32 v9, 0x32a5705f, v51
	v_cvt_i32_f32_e32 v8, v8
	s_delay_alu instid0(VALU_DEP_2) | instskip(NEXT) | instid1(VALU_DEP_1)
	v_add_f32_e32 v4, v4, v9
	v_exp_f32_e32 v4, v4
	s_waitcnt_depctr 0xfff
	v_ldexp_f32 v4, v4, v8
	s_delay_alu instid0(VALU_DEP_1) | instskip(SKIP_1) | instid1(VALU_DEP_2)
	v_cndmask_b32_e32 v4, 0, v4, vcc_lo
	v_cmp_nlt_f32_e32 vcc_lo, 0x42b17218, v51
	v_cndmask_b32_e32 v4, 0x7f800000, v4, vcc_lo
	s_delay_alu instid0(VALU_DEP_1) | instskip(NEXT) | instid1(VALU_DEP_1)
	v_add_f32_e32 v51, 1.0, v4
	v_cvt_f64_f32_e32 v[8:9], v51
	s_delay_alu instid0(VALU_DEP_1) | instskip(SKIP_1) | instid1(VALU_DEP_1)
	v_frexp_exp_i32_f64_e32 v8, v[8:9]
	v_frexp_mant_f32_e32 v9, v51
	v_cmp_gt_f32_e32 vcc_lo, 0x3f2aaaab, v9
	v_add_f32_e32 v9, -1.0, v51
	s_delay_alu instid0(VALU_DEP_1) | instskip(NEXT) | instid1(VALU_DEP_1)
	v_sub_f32_e32 v53, v9, v51
	v_add_f32_e32 v53, 1.0, v53
	v_subrev_co_ci_u32_e32 v8, vcc_lo, 0, v8, vcc_lo
	s_delay_alu instid0(VALU_DEP_1) | instskip(SKIP_1) | instid1(VALU_DEP_2)
	v_sub_nc_u32_e32 v52, 0, v8
	v_cvt_f32_i32_e32 v8, v8
	v_ldexp_f32 v51, v51, v52
	s_delay_alu instid0(VALU_DEP_1) | instskip(NEXT) | instid1(VALU_DEP_1)
	v_dual_sub_f32 v9, v4, v9 :: v_dual_add_f32 v54, 1.0, v51
	v_add_f32_e32 v9, v9, v53
	v_cmp_eq_f32_e32 vcc_lo, 0x7f800000, v4
	v_cmp_gt_f32_e64 s20, 0x33800000, v4
	s_delay_alu instid0(VALU_DEP_4) | instskip(NEXT) | instid1(VALU_DEP_4)
	v_add_f32_e32 v53, -1.0, v54
	v_ldexp_f32 v9, v9, v52
	v_add_f32_e32 v52, -1.0, v51
	s_delay_alu instid0(VALU_DEP_4) | instskip(NEXT) | instid1(VALU_DEP_3)
	s_or_b32 vcc_lo, s20, vcc_lo
	v_sub_f32_e32 v53, v51, v53
	s_delay_alu instid0(VALU_DEP_2) | instskip(NEXT) | instid1(VALU_DEP_2)
	v_add_f32_e32 v55, 1.0, v52
	v_add_f32_e32 v53, v9, v53
	s_delay_alu instid0(VALU_DEP_2) | instskip(NEXT) | instid1(VALU_DEP_1)
	v_sub_f32_e32 v51, v51, v55
	v_add_f32_e32 v9, v9, v51
	s_delay_alu instid0(VALU_DEP_1) | instskip(NEXT) | instid1(VALU_DEP_1)
	v_add_f32_e32 v56, v52, v9
	v_dual_add_f32 v55, v54, v53 :: v_dual_sub_f32 v52, v52, v56
	s_delay_alu instid0(VALU_DEP_1) | instskip(SKIP_1) | instid1(VALU_DEP_1)
	v_rcp_f32_e32 v51, v55
	v_sub_f32_e32 v54, v54, v55
	v_add_f32_e32 v53, v53, v54
	s_waitcnt_depctr 0xfff
	v_mul_f32_e32 v57, v56, v51
	s_delay_alu instid0(VALU_DEP_1) | instskip(NEXT) | instid1(VALU_DEP_1)
	v_mul_f32_e32 v58, v55, v57
	v_fma_f32 v54, v57, v55, -v58
	s_delay_alu instid0(VALU_DEP_1) | instskip(SKIP_1) | instid1(VALU_DEP_2)
	v_fmac_f32_e32 v54, v57, v53
	v_add_f32_e32 v9, v9, v52
	v_add_f32_e32 v59, v58, v54
	s_delay_alu instid0(VALU_DEP_1) | instskip(SKIP_1) | instid1(VALU_DEP_2)
	v_sub_f32_e32 v60, v56, v59
	v_sub_f32_e32 v52, v59, v58
	;; [unrolled: 1-line block ×3, first 2 shown]
	s_delay_alu instid0(VALU_DEP_2) | instskip(NEXT) | instid1(VALU_DEP_2)
	v_sub_f32_e32 v52, v52, v54
	v_sub_f32_e32 v56, v56, v59
	s_delay_alu instid0(VALU_DEP_1) | instskip(NEXT) | instid1(VALU_DEP_1)
	v_add_f32_e32 v9, v9, v56
	v_add_f32_e32 v9, v52, v9
	s_delay_alu instid0(VALU_DEP_1) | instskip(NEXT) | instid1(VALU_DEP_1)
	v_add_f32_e32 v52, v60, v9
	v_mul_f32_e32 v54, v51, v52
	s_delay_alu instid0(VALU_DEP_1) | instskip(NEXT) | instid1(VALU_DEP_1)
	v_dual_sub_f32 v59, v60, v52 :: v_dual_mul_f32 v56, v55, v54
	v_add_f32_e32 v9, v9, v59
	s_delay_alu instid0(VALU_DEP_2) | instskip(NEXT) | instid1(VALU_DEP_1)
	v_fma_f32 v55, v54, v55, -v56
	v_fmac_f32_e32 v55, v54, v53
	s_delay_alu instid0(VALU_DEP_1) | instskip(NEXT) | instid1(VALU_DEP_1)
	v_add_f32_e32 v53, v56, v55
	v_sub_f32_e32 v58, v52, v53
	s_delay_alu instid0(VALU_DEP_1) | instskip(NEXT) | instid1(VALU_DEP_1)
	v_sub_f32_e32 v52, v52, v58
	v_sub_f32_e32 v52, v52, v53
	s_delay_alu instid0(VALU_DEP_1) | instskip(SKIP_2) | instid1(VALU_DEP_1)
	v_add_f32_e32 v9, v9, v52
	v_add_f32_e32 v52, v57, v54
	v_sub_f32_e32 v56, v53, v56
	v_sub_f32_e32 v53, v56, v55
	s_delay_alu instid0(VALU_DEP_1) | instskip(NEXT) | instid1(VALU_DEP_4)
	v_add_f32_e32 v9, v53, v9
	v_sub_f32_e32 v53, v52, v57
	s_delay_alu instid0(VALU_DEP_2) | instskip(NEXT) | instid1(VALU_DEP_2)
	v_add_f32_e32 v9, v58, v9
	v_sub_f32_e32 v53, v54, v53
	s_delay_alu instid0(VALU_DEP_2) | instskip(NEXT) | instid1(VALU_DEP_1)
	v_mul_f32_e32 v9, v51, v9
	v_add_f32_e32 v9, v53, v9
	s_delay_alu instid0(VALU_DEP_1) | instskip(NEXT) | instid1(VALU_DEP_1)
	v_add_f32_e32 v51, v52, v9
	v_mul_f32_e32 v53, v51, v51
	s_delay_alu instid0(VALU_DEP_1) | instskip(SKIP_1) | instid1(VALU_DEP_2)
	v_fmaak_f32 v54, s66, v53, 0x3ecc95a3
	v_mul_f32_e32 v55, v51, v53
	v_fmaak_f32 v53, v53, v54, 0x3f2aaada
	v_ldexp_f32 v54, v51, 1
	v_sub_f32_e32 v51, v51, v52
	s_delay_alu instid0(VALU_DEP_3) | instskip(SKIP_1) | instid1(VALU_DEP_2)
	v_mul_f32_e32 v53, v55, v53
	v_mul_f32_e32 v55, 0x3f317218, v8
	v_dual_sub_f32 v9, v9, v51 :: v_dual_add_f32 v52, v54, v53
	s_delay_alu instid0(VALU_DEP_1) | instskip(NEXT) | instid1(VALU_DEP_2)
	v_ldexp_f32 v9, v9, 1
	v_sub_f32_e32 v51, v52, v54
	s_delay_alu instid0(VALU_DEP_4) | instskip(NEXT) | instid1(VALU_DEP_1)
	v_fma_f32 v54, 0x3f317218, v8, -v55
	v_dual_sub_f32 v51, v53, v51 :: v_dual_fmac_f32 v54, 0xb102e308, v8
	s_delay_alu instid0(VALU_DEP_1) | instskip(NEXT) | instid1(VALU_DEP_1)
	v_dual_add_f32 v8, v9, v51 :: v_dual_add_f32 v9, v55, v54
	v_add_f32_e32 v51, v52, v8
	s_delay_alu instid0(VALU_DEP_2) | instskip(NEXT) | instid1(VALU_DEP_2)
	v_sub_f32_e32 v55, v9, v55
	v_dual_add_f32 v53, v9, v51 :: v_dual_sub_f32 v52, v51, v52
	s_delay_alu instid0(VALU_DEP_2) | instskip(NEXT) | instid1(VALU_DEP_2)
	v_sub_f32_e32 v54, v54, v55
	v_sub_f32_e32 v56, v53, v9
	s_delay_alu instid0(VALU_DEP_3) | instskip(NEXT) | instid1(VALU_DEP_2)
	v_sub_f32_e32 v8, v8, v52
	v_sub_f32_e32 v57, v53, v56
	;; [unrolled: 1-line block ×3, first 2 shown]
	s_delay_alu instid0(VALU_DEP_2) | instskip(NEXT) | instid1(VALU_DEP_1)
	v_dual_add_f32 v52, v54, v8 :: v_dual_sub_f32 v9, v9, v57
	v_add_f32_e32 v9, v51, v9
	s_delay_alu instid0(VALU_DEP_2) | instskip(NEXT) | instid1(VALU_DEP_2)
	v_sub_f32_e32 v51, v52, v54
	v_add_f32_e32 v9, v52, v9
	s_delay_alu instid0(VALU_DEP_2) | instskip(NEXT) | instid1(VALU_DEP_2)
	v_sub_f32_e32 v52, v52, v51
	v_dual_sub_f32 v8, v8, v51 :: v_dual_add_f32 v55, v53, v9
	s_delay_alu instid0(VALU_DEP_1) | instskip(NEXT) | instid1(VALU_DEP_1)
	v_dual_sub_f32 v52, v54, v52 :: v_dual_sub_f32 v51, v55, v53
	v_dual_add_f32 v8, v8, v52 :: v_dual_sub_f32 v9, v9, v51
	s_delay_alu instid0(VALU_DEP_1) | instskip(NEXT) | instid1(VALU_DEP_1)
	v_add_f32_e32 v8, v8, v9
	v_add_f32_e32 v8, v55, v8
	s_delay_alu instid0(VALU_DEP_1)
	v_cndmask_b32_e32 v51, v8, v4, vcc_lo
.LBB79_48:                              ;   in Loop: Header=BB79_12 Depth=1
	s_or_b32 exec_lo, exec_lo, s21
	v_lshrrev_b32_e32 v4, 16, v5
	s_delay_alu instid0(VALU_DEP_1) | instskip(NEXT) | instid1(VALU_DEP_1)
	v_cvt_f32_f16_e32 v4, v4
	v_add_f32_e32 v52, s54, v4
	s_delay_alu instid0(VALU_DEP_1) | instskip(SKIP_1) | instid1(SALU_CYCLE_1)
	v_cmp_ge_f32_e32 vcc_lo, 0x41a00000, v52
	s_and_b32 s20, s62, vcc_lo
	s_and_saveexec_b32 s21, s20
	s_cbranch_execz .LBB79_50
; %bb.49:                               ;   in Loop: Header=BB79_12 Depth=1
	v_mul_f32_e32 v4, 0x3fb8aa3b, v52
	v_cmp_ngt_f32_e32 vcc_lo, 0xc2ce8ed0, v52
	s_delay_alu instid0(VALU_DEP_2) | instskip(SKIP_1) | instid1(VALU_DEP_2)
	v_rndne_f32_e32 v5, v4
	v_fma_f32 v8, 0x3fb8aa3b, v52, -v4
	v_sub_f32_e32 v4, v4, v5
	s_delay_alu instid0(VALU_DEP_2) | instskip(SKIP_1) | instid1(VALU_DEP_2)
	v_fmac_f32_e32 v8, 0x32a5705f, v52
	v_cvt_i32_f32_e32 v5, v5
	v_add_f32_e32 v4, v4, v8
	s_delay_alu instid0(VALU_DEP_1) | instskip(SKIP_2) | instid1(VALU_DEP_1)
	v_exp_f32_e32 v4, v4
	s_waitcnt_depctr 0xfff
	v_ldexp_f32 v4, v4, v5
	v_cndmask_b32_e32 v4, 0, v4, vcc_lo
	v_cmp_nlt_f32_e32 vcc_lo, 0x42b17218, v52
	s_delay_alu instid0(VALU_DEP_2) | instskip(NEXT) | instid1(VALU_DEP_1)
	v_cndmask_b32_e32 v8, 0x7f800000, v4, vcc_lo
	v_add_f32_e32 v9, 1.0, v8
	s_delay_alu instid0(VALU_DEP_1) | instskip(NEXT) | instid1(VALU_DEP_1)
	v_cvt_f64_f32_e32 v[4:5], v9
	v_frexp_exp_i32_f64_e32 v4, v[4:5]
	v_frexp_mant_f32_e32 v5, v9
	s_delay_alu instid0(VALU_DEP_1) | instskip(SKIP_1) | instid1(VALU_DEP_1)
	v_cmp_gt_f32_e32 vcc_lo, 0x3f2aaaab, v5
	v_add_f32_e32 v5, -1.0, v9
	v_sub_f32_e32 v53, v5, v9
	v_sub_f32_e32 v5, v8, v5
	s_delay_alu instid0(VALU_DEP_2) | instskip(NEXT) | instid1(VALU_DEP_1)
	v_add_f32_e32 v53, 1.0, v53
	v_add_f32_e32 v5, v5, v53
	v_cmp_gt_f32_e64 s20, 0x33800000, v8
	v_subrev_co_ci_u32_e32 v4, vcc_lo, 0, v4, vcc_lo
	v_cmp_eq_f32_e32 vcc_lo, 0x7f800000, v8
	s_delay_alu instid0(VALU_DEP_2) | instskip(SKIP_2) | instid1(VALU_DEP_2)
	v_sub_nc_u32_e32 v52, 0, v4
	v_cvt_f32_i32_e32 v4, v4
	s_or_b32 vcc_lo, s20, vcc_lo
	v_ldexp_f32 v9, v9, v52
	v_ldexp_f32 v5, v5, v52
	s_delay_alu instid0(VALU_DEP_2) | instskip(NEXT) | instid1(VALU_DEP_1)
	v_add_f32_e32 v52, -1.0, v9
	v_dual_add_f32 v54, 1.0, v9 :: v_dual_add_f32 v55, 1.0, v52
	s_delay_alu instid0(VALU_DEP_1) | instskip(NEXT) | instid1(VALU_DEP_1)
	v_add_f32_e32 v53, -1.0, v54
	v_sub_f32_e32 v53, v9, v53
	s_delay_alu instid0(VALU_DEP_3) | instskip(NEXT) | instid1(VALU_DEP_2)
	v_sub_f32_e32 v9, v9, v55
	v_add_f32_e32 v53, v5, v53
	s_delay_alu instid0(VALU_DEP_2) | instskip(NEXT) | instid1(VALU_DEP_1)
	v_add_f32_e32 v5, v5, v9
	v_add_f32_e32 v56, v52, v5
	s_delay_alu instid0(VALU_DEP_1) | instskip(NEXT) | instid1(VALU_DEP_1)
	v_dual_add_f32 v55, v54, v53 :: v_dual_sub_f32 v52, v52, v56
	v_rcp_f32_e32 v9, v55
	v_sub_f32_e32 v54, v54, v55
	s_delay_alu instid0(VALU_DEP_1) | instskip(SKIP_2) | instid1(VALU_DEP_1)
	v_add_f32_e32 v53, v53, v54
	s_waitcnt_depctr 0xfff
	v_mul_f32_e32 v57, v56, v9
	v_mul_f32_e32 v58, v55, v57
	s_delay_alu instid0(VALU_DEP_1) | instskip(NEXT) | instid1(VALU_DEP_1)
	v_fma_f32 v54, v57, v55, -v58
	v_fmac_f32_e32 v54, v57, v53
	s_delay_alu instid0(VALU_DEP_1) | instskip(NEXT) | instid1(VALU_DEP_1)
	v_add_f32_e32 v59, v58, v54
	v_sub_f32_e32 v60, v56, v59
	s_delay_alu instid0(VALU_DEP_1) | instskip(SKIP_1) | instid1(VALU_DEP_2)
	v_sub_f32_e32 v56, v56, v60
	v_dual_add_f32 v5, v5, v52 :: v_dual_sub_f32 v52, v59, v58
	v_sub_f32_e32 v56, v56, v59
	s_delay_alu instid0(VALU_DEP_1) | instskip(NEXT) | instid1(VALU_DEP_1)
	v_dual_sub_f32 v52, v52, v54 :: v_dual_add_f32 v5, v5, v56
	v_add_f32_e32 v5, v52, v5
	s_delay_alu instid0(VALU_DEP_1) | instskip(NEXT) | instid1(VALU_DEP_1)
	v_add_f32_e32 v52, v60, v5
	v_mul_f32_e32 v54, v9, v52
	s_delay_alu instid0(VALU_DEP_1) | instskip(NEXT) | instid1(VALU_DEP_1)
	v_dual_sub_f32 v59, v60, v52 :: v_dual_mul_f32 v56, v55, v54
	v_add_f32_e32 v5, v5, v59
	s_delay_alu instid0(VALU_DEP_2) | instskip(NEXT) | instid1(VALU_DEP_1)
	v_fma_f32 v55, v54, v55, -v56
	v_fmac_f32_e32 v55, v54, v53
	s_delay_alu instid0(VALU_DEP_1) | instskip(NEXT) | instid1(VALU_DEP_1)
	v_add_f32_e32 v53, v56, v55
	v_sub_f32_e32 v58, v52, v53
	s_delay_alu instid0(VALU_DEP_1) | instskip(NEXT) | instid1(VALU_DEP_1)
	v_sub_f32_e32 v52, v52, v58
	v_sub_f32_e32 v52, v52, v53
	s_delay_alu instid0(VALU_DEP_1) | instskip(SKIP_2) | instid1(VALU_DEP_1)
	v_add_f32_e32 v5, v5, v52
	v_add_f32_e32 v52, v57, v54
	v_sub_f32_e32 v56, v53, v56
	v_sub_f32_e32 v53, v56, v55
	s_delay_alu instid0(VALU_DEP_1) | instskip(NEXT) | instid1(VALU_DEP_4)
	v_add_f32_e32 v5, v53, v5
	v_sub_f32_e32 v53, v52, v57
	s_delay_alu instid0(VALU_DEP_2) | instskip(NEXT) | instid1(VALU_DEP_2)
	v_add_f32_e32 v5, v58, v5
	v_sub_f32_e32 v53, v54, v53
	s_delay_alu instid0(VALU_DEP_2) | instskip(NEXT) | instid1(VALU_DEP_1)
	v_mul_f32_e32 v5, v9, v5
	v_add_f32_e32 v5, v53, v5
	s_delay_alu instid0(VALU_DEP_1) | instskip(NEXT) | instid1(VALU_DEP_1)
	v_add_f32_e32 v9, v52, v5
	v_mul_f32_e32 v53, v9, v9
	s_delay_alu instid0(VALU_DEP_1) | instskip(SKIP_1) | instid1(VALU_DEP_2)
	v_fmaak_f32 v54, s66, v53, 0x3ecc95a3
	v_mul_f32_e32 v55, v9, v53
	v_fmaak_f32 v53, v53, v54, 0x3f2aaada
	v_ldexp_f32 v54, v9, 1
	s_delay_alu instid0(VALU_DEP_2) | instskip(NEXT) | instid1(VALU_DEP_1)
	v_mul_f32_e32 v53, v55, v53
	v_dual_sub_f32 v9, v9, v52 :: v_dual_add_f32 v52, v54, v53
	s_delay_alu instid0(VALU_DEP_1) | instskip(NEXT) | instid1(VALU_DEP_2)
	v_sub_f32_e32 v5, v5, v9
	v_sub_f32_e32 v9, v52, v54
	s_delay_alu instid0(VALU_DEP_2) | instskip(NEXT) | instid1(VALU_DEP_2)
	v_ldexp_f32 v5, v5, 1
	v_sub_f32_e32 v9, v53, v9
	v_mul_f32_e32 v55, 0x3f317218, v4
	s_delay_alu instid0(VALU_DEP_1) | instskip(NEXT) | instid1(VALU_DEP_1)
	v_fma_f32 v54, 0x3f317218, v4, -v55
	v_fmac_f32_e32 v54, 0xb102e308, v4
	s_delay_alu instid0(VALU_DEP_1) | instskip(NEXT) | instid1(VALU_DEP_1)
	v_dual_add_f32 v4, v5, v9 :: v_dual_add_f32 v5, v55, v54
	v_add_f32_e32 v9, v52, v4
	s_delay_alu instid0(VALU_DEP_1) | instskip(SKIP_1) | instid1(VALU_DEP_2)
	v_add_f32_e32 v53, v5, v9
	v_sub_f32_e32 v52, v9, v52
	v_sub_f32_e32 v56, v53, v5
	s_delay_alu instid0(VALU_DEP_2) | instskip(NEXT) | instid1(VALU_DEP_2)
	v_dual_sub_f32 v4, v4, v52 :: v_dual_sub_f32 v55, v5, v55
	v_sub_f32_e32 v57, v53, v56
	s_delay_alu instid0(VALU_DEP_2) | instskip(NEXT) | instid1(VALU_DEP_1)
	v_dual_sub_f32 v9, v9, v56 :: v_dual_sub_f32 v54, v54, v55
	v_dual_sub_f32 v5, v5, v57 :: v_dual_add_f32 v52, v54, v4
	s_delay_alu instid0(VALU_DEP_1) | instskip(NEXT) | instid1(VALU_DEP_2)
	v_add_f32_e32 v5, v9, v5
	v_sub_f32_e32 v9, v52, v54
	s_delay_alu instid0(VALU_DEP_2) | instskip(NEXT) | instid1(VALU_DEP_2)
	v_add_f32_e32 v5, v52, v5
	v_sub_f32_e32 v52, v52, v9
	v_sub_f32_e32 v4, v4, v9
	s_delay_alu instid0(VALU_DEP_2) | instskip(NEXT) | instid1(VALU_DEP_1)
	v_dual_add_f32 v55, v53, v5 :: v_dual_sub_f32 v52, v54, v52
	v_dual_sub_f32 v9, v55, v53 :: v_dual_add_f32 v4, v4, v52
	s_delay_alu instid0(VALU_DEP_1) | instskip(NEXT) | instid1(VALU_DEP_1)
	v_sub_f32_e32 v5, v5, v9
	v_add_f32_e32 v4, v4, v5
	s_delay_alu instid0(VALU_DEP_1) | instskip(NEXT) | instid1(VALU_DEP_1)
	v_add_f32_e32 v4, v55, v4
	v_cndmask_b32_e32 v52, v4, v8, vcc_lo
.LBB79_50:                              ;   in Loop: Header=BB79_12 Depth=1
	s_or_b32 exec_lo, exec_lo, s21
	v_cvt_f32_f16_e32 v4, v6
	s_delay_alu instid0(VALU_DEP_1) | instskip(NEXT) | instid1(VALU_DEP_1)
	v_add_f32_e32 v53, s54, v4
	v_cmp_ge_f32_e32 vcc_lo, 0x41a00000, v53
	s_and_b32 s20, s62, vcc_lo
	s_delay_alu instid0(SALU_CYCLE_1)
	s_and_saveexec_b32 s21, s20
	s_cbranch_execz .LBB79_52
; %bb.51:                               ;   in Loop: Header=BB79_12 Depth=1
	v_mul_f32_e32 v4, 0x3fb8aa3b, v53
	v_cmp_ngt_f32_e32 vcc_lo, 0xc2ce8ed0, v53
	s_delay_alu instid0(VALU_DEP_2) | instskip(SKIP_1) | instid1(VALU_DEP_2)
	v_rndne_f32_e32 v5, v4
	v_fma_f32 v8, 0x3fb8aa3b, v53, -v4
	v_sub_f32_e32 v4, v4, v5
	s_delay_alu instid0(VALU_DEP_2) | instskip(SKIP_1) | instid1(VALU_DEP_2)
	v_fmac_f32_e32 v8, 0x32a5705f, v53
	v_cvt_i32_f32_e32 v5, v5
	v_add_f32_e32 v4, v4, v8
	s_delay_alu instid0(VALU_DEP_1) | instskip(SKIP_2) | instid1(VALU_DEP_1)
	v_exp_f32_e32 v4, v4
	s_waitcnt_depctr 0xfff
	v_ldexp_f32 v4, v4, v5
	v_cndmask_b32_e32 v4, 0, v4, vcc_lo
	v_cmp_nlt_f32_e32 vcc_lo, 0x42b17218, v53
	s_delay_alu instid0(VALU_DEP_2) | instskip(NEXT) | instid1(VALU_DEP_1)
	v_cndmask_b32_e32 v8, 0x7f800000, v4, vcc_lo
	v_add_f32_e32 v9, 1.0, v8
	s_delay_alu instid0(VALU_DEP_1) | instskip(NEXT) | instid1(VALU_DEP_1)
	v_cvt_f64_f32_e32 v[4:5], v9
	v_frexp_exp_i32_f64_e32 v4, v[4:5]
	v_frexp_mant_f32_e32 v5, v9
	s_delay_alu instid0(VALU_DEP_1) | instskip(SKIP_1) | instid1(VALU_DEP_1)
	v_cmp_gt_f32_e32 vcc_lo, 0x3f2aaaab, v5
	v_add_f32_e32 v5, -1.0, v9
	v_sub_f32_e32 v54, v5, v9
	v_subrev_co_ci_u32_e32 v4, vcc_lo, 0, v4, vcc_lo
	s_delay_alu instid0(VALU_DEP_1) | instskip(SKIP_1) | instid1(VALU_DEP_2)
	v_sub_nc_u32_e32 v53, 0, v4
	v_cvt_f32_i32_e32 v4, v4
	v_ldexp_f32 v9, v9, v53
	s_delay_alu instid0(VALU_DEP_1) | instskip(SKIP_3) | instid1(VALU_DEP_3)
	v_dual_add_f32 v54, 1.0, v54 :: v_dual_add_f32 v55, 1.0, v9
	v_sub_f32_e32 v5, v8, v5
	v_cmp_eq_f32_e32 vcc_lo, 0x7f800000, v8
	v_cmp_gt_f32_e64 s20, 0x33800000, v8
	v_add_f32_e32 v5, v5, v54
	s_delay_alu instid0(VALU_DEP_2) | instskip(NEXT) | instid1(VALU_DEP_1)
	s_or_b32 vcc_lo, s20, vcc_lo
	v_ldexp_f32 v5, v5, v53
	v_dual_add_f32 v53, -1.0, v9 :: v_dual_add_f32 v54, -1.0, v55
	s_delay_alu instid0(VALU_DEP_1) | instskip(NEXT) | instid1(VALU_DEP_2)
	v_add_f32_e32 v56, 1.0, v53
	v_sub_f32_e32 v54, v9, v54
	s_delay_alu instid0(VALU_DEP_2) | instskip(NEXT) | instid1(VALU_DEP_2)
	v_sub_f32_e32 v9, v9, v56
	v_add_f32_e32 v54, v5, v54
	s_delay_alu instid0(VALU_DEP_1) | instskip(NEXT) | instid1(VALU_DEP_1)
	v_dual_add_f32 v5, v5, v9 :: v_dual_add_f32 v56, v55, v54
	v_add_f32_e32 v57, v53, v5
	s_delay_alu instid0(VALU_DEP_2) | instskip(SKIP_1) | instid1(VALU_DEP_1)
	v_rcp_f32_e32 v9, v56
	v_sub_f32_e32 v55, v55, v56
	v_dual_sub_f32 v53, v53, v57 :: v_dual_add_f32 v54, v54, v55
	s_delay_alu instid0(VALU_DEP_1) | instskip(SKIP_2) | instid1(VALU_DEP_1)
	v_add_f32_e32 v5, v5, v53
	s_waitcnt_depctr 0xfff
	v_mul_f32_e32 v58, v57, v9
	v_mul_f32_e32 v59, v56, v58
	s_delay_alu instid0(VALU_DEP_1) | instskip(NEXT) | instid1(VALU_DEP_1)
	v_fma_f32 v55, v58, v56, -v59
	v_fmac_f32_e32 v55, v58, v54
	s_delay_alu instid0(VALU_DEP_1) | instskip(NEXT) | instid1(VALU_DEP_1)
	v_add_f32_e32 v60, v59, v55
	v_sub_f32_e32 v61, v57, v60
	v_sub_f32_e32 v53, v60, v59
	s_delay_alu instid0(VALU_DEP_2) | instskip(NEXT) | instid1(VALU_DEP_2)
	v_sub_f32_e32 v57, v57, v61
	v_sub_f32_e32 v53, v53, v55
	s_delay_alu instid0(VALU_DEP_2) | instskip(NEXT) | instid1(VALU_DEP_1)
	v_sub_f32_e32 v57, v57, v60
	v_add_f32_e32 v5, v5, v57
	s_delay_alu instid0(VALU_DEP_1) | instskip(NEXT) | instid1(VALU_DEP_1)
	v_add_f32_e32 v5, v53, v5
	v_add_f32_e32 v53, v61, v5
	s_delay_alu instid0(VALU_DEP_1) | instskip(NEXT) | instid1(VALU_DEP_1)
	v_mul_f32_e32 v55, v9, v53
	v_mul_f32_e32 v57, v56, v55
	s_delay_alu instid0(VALU_DEP_1) | instskip(NEXT) | instid1(VALU_DEP_1)
	v_fma_f32 v56, v55, v56, -v57
	v_fmac_f32_e32 v56, v55, v54
	v_sub_f32_e32 v60, v61, v53
	s_delay_alu instid0(VALU_DEP_2) | instskip(NEXT) | instid1(VALU_DEP_2)
	v_add_f32_e32 v54, v57, v56
	v_add_f32_e32 v5, v5, v60
	s_delay_alu instid0(VALU_DEP_2) | instskip(NEXT) | instid1(VALU_DEP_1)
	v_sub_f32_e32 v59, v53, v54
	v_sub_f32_e32 v53, v53, v59
	s_delay_alu instid0(VALU_DEP_1) | instskip(NEXT) | instid1(VALU_DEP_1)
	v_sub_f32_e32 v53, v53, v54
	v_add_f32_e32 v5, v5, v53
	v_add_f32_e32 v53, v58, v55
	v_sub_f32_e32 v57, v54, v57
	s_delay_alu instid0(VALU_DEP_1) | instskip(NEXT) | instid1(VALU_DEP_1)
	v_sub_f32_e32 v54, v57, v56
	v_dual_add_f32 v5, v54, v5 :: v_dual_sub_f32 v54, v53, v58
	s_delay_alu instid0(VALU_DEP_1) | instskip(NEXT) | instid1(VALU_DEP_1)
	v_add_f32_e32 v5, v59, v5
	v_dual_sub_f32 v54, v55, v54 :: v_dual_mul_f32 v5, v9, v5
	s_delay_alu instid0(VALU_DEP_1) | instskip(NEXT) | instid1(VALU_DEP_1)
	v_add_f32_e32 v5, v54, v5
	v_add_f32_e32 v9, v53, v5
	s_delay_alu instid0(VALU_DEP_1) | instskip(NEXT) | instid1(VALU_DEP_1)
	v_mul_f32_e32 v54, v9, v9
	v_fmaak_f32 v55, s66, v54, 0x3ecc95a3
	v_mul_f32_e32 v56, v9, v54
	s_delay_alu instid0(VALU_DEP_2) | instskip(SKIP_1) | instid1(VALU_DEP_2)
	v_fmaak_f32 v54, v54, v55, 0x3f2aaada
	v_ldexp_f32 v55, v9, 1
	v_dual_sub_f32 v9, v9, v53 :: v_dual_mul_f32 v54, v56, v54
	s_delay_alu instid0(VALU_DEP_1) | instskip(NEXT) | instid1(VALU_DEP_2)
	v_dual_mul_f32 v56, 0x3f317218, v4 :: v_dual_sub_f32 v5, v5, v9
	v_add_f32_e32 v53, v55, v54
	s_delay_alu instid0(VALU_DEP_2) | instskip(NEXT) | instid1(VALU_DEP_2)
	v_ldexp_f32 v5, v5, 1
	v_sub_f32_e32 v9, v53, v55
	s_delay_alu instid0(VALU_DEP_4) | instskip(NEXT) | instid1(VALU_DEP_2)
	v_fma_f32 v55, 0x3f317218, v4, -v56
	v_sub_f32_e32 v9, v54, v9
	s_delay_alu instid0(VALU_DEP_1) | instskip(NEXT) | instid1(VALU_DEP_1)
	v_dual_fmac_f32 v55, 0xb102e308, v4 :: v_dual_add_f32 v4, v5, v9
	v_add_f32_e32 v5, v56, v55
	s_delay_alu instid0(VALU_DEP_2) | instskip(NEXT) | instid1(VALU_DEP_2)
	v_add_f32_e32 v9, v53, v4
	v_sub_f32_e32 v56, v5, v56
	s_delay_alu instid0(VALU_DEP_1) | instskip(SKIP_1) | instid1(VALU_DEP_2)
	v_dual_add_f32 v54, v5, v9 :: v_dual_sub_f32 v55, v55, v56
	v_sub_f32_e32 v53, v9, v53
	v_sub_f32_e32 v57, v54, v5
	s_delay_alu instid0(VALU_DEP_2) | instskip(NEXT) | instid1(VALU_DEP_2)
	v_sub_f32_e32 v4, v4, v53
	v_sub_f32_e32 v58, v54, v57
	;; [unrolled: 1-line block ×3, first 2 shown]
	s_delay_alu instid0(VALU_DEP_3) | instskip(NEXT) | instid1(VALU_DEP_3)
	v_add_f32_e32 v53, v55, v4
	v_sub_f32_e32 v5, v5, v58
	s_delay_alu instid0(VALU_DEP_1) | instskip(NEXT) | instid1(VALU_DEP_3)
	v_add_f32_e32 v5, v9, v5
	v_sub_f32_e32 v9, v53, v55
	s_delay_alu instid0(VALU_DEP_2) | instskip(NEXT) | instid1(VALU_DEP_2)
	v_add_f32_e32 v5, v53, v5
	v_sub_f32_e32 v53, v53, v9
	v_sub_f32_e32 v4, v4, v9
	s_delay_alu instid0(VALU_DEP_3) | instskip(NEXT) | instid1(VALU_DEP_3)
	v_add_f32_e32 v56, v54, v5
	v_sub_f32_e32 v53, v55, v53
	s_delay_alu instid0(VALU_DEP_2) | instskip(NEXT) | instid1(VALU_DEP_2)
	v_sub_f32_e32 v9, v56, v54
	v_add_f32_e32 v4, v4, v53
	s_delay_alu instid0(VALU_DEP_2) | instskip(NEXT) | instid1(VALU_DEP_1)
	v_sub_f32_e32 v5, v5, v9
	v_add_f32_e32 v4, v4, v5
	s_delay_alu instid0(VALU_DEP_1) | instskip(NEXT) | instid1(VALU_DEP_1)
	v_add_f32_e32 v4, v56, v4
	v_cndmask_b32_e32 v53, v4, v8, vcc_lo
.LBB79_52:                              ;   in Loop: Header=BB79_12 Depth=1
	s_or_b32 exec_lo, exec_lo, s21
	v_lshrrev_b32_e32 v4, 16, v6
	s_delay_alu instid0(VALU_DEP_1) | instskip(NEXT) | instid1(VALU_DEP_1)
	v_cvt_f32_f16_e32 v4, v4
	v_add_f32_e32 v54, s54, v4
	s_delay_alu instid0(VALU_DEP_1) | instskip(SKIP_1) | instid1(SALU_CYCLE_1)
	v_cmp_ge_f32_e32 vcc_lo, 0x41a00000, v54
	s_and_b32 s20, s62, vcc_lo
	s_and_saveexec_b32 s21, s20
	s_cbranch_execz .LBB79_54
; %bb.53:                               ;   in Loop: Header=BB79_12 Depth=1
	v_mul_f32_e32 v4, 0x3fb8aa3b, v54
	v_cmp_ngt_f32_e32 vcc_lo, 0xc2ce8ed0, v54
	s_delay_alu instid0(VALU_DEP_2) | instskip(SKIP_1) | instid1(VALU_DEP_2)
	v_rndne_f32_e32 v5, v4
	v_fma_f32 v6, 0x3fb8aa3b, v54, -v4
	v_sub_f32_e32 v4, v4, v5
	s_delay_alu instid0(VALU_DEP_2) | instskip(SKIP_1) | instid1(VALU_DEP_2)
	v_fmac_f32_e32 v6, 0x32a5705f, v54
	v_cvt_i32_f32_e32 v5, v5
	v_add_f32_e32 v4, v4, v6
	s_delay_alu instid0(VALU_DEP_1) | instskip(SKIP_2) | instid1(VALU_DEP_1)
	v_exp_f32_e32 v4, v4
	s_waitcnt_depctr 0xfff
	v_ldexp_f32 v4, v4, v5
	v_cndmask_b32_e32 v4, 0, v4, vcc_lo
	v_cmp_nlt_f32_e32 vcc_lo, 0x42b17218, v54
	s_delay_alu instid0(VALU_DEP_2) | instskip(NEXT) | instid1(VALU_DEP_1)
	v_cndmask_b32_e32 v6, 0x7f800000, v4, vcc_lo
	v_add_f32_e32 v8, 1.0, v6
	s_delay_alu instid0(VALU_DEP_1) | instskip(NEXT) | instid1(VALU_DEP_1)
	v_cvt_f64_f32_e32 v[4:5], v8
	v_frexp_exp_i32_f64_e32 v4, v[4:5]
	v_frexp_mant_f32_e32 v5, v8
	s_delay_alu instid0(VALU_DEP_1) | instskip(SKIP_1) | instid1(VALU_DEP_1)
	v_cmp_gt_f32_e32 vcc_lo, 0x3f2aaaab, v5
	v_add_f32_e32 v5, -1.0, v8
	v_dual_sub_f32 v54, v5, v8 :: v_dual_sub_f32 v5, v6, v5
	s_delay_alu instid0(VALU_DEP_1) | instskip(NEXT) | instid1(VALU_DEP_1)
	v_add_f32_e32 v54, 1.0, v54
	v_add_f32_e32 v5, v5, v54
	v_subrev_co_ci_u32_e32 v4, vcc_lo, 0, v4, vcc_lo
	s_delay_alu instid0(VALU_DEP_1) | instskip(SKIP_1) | instid1(VALU_DEP_2)
	v_sub_nc_u32_e32 v9, 0, v4
	v_cvt_f32_i32_e32 v4, v4
	v_ldexp_f32 v8, v8, v9
	v_ldexp_f32 v5, v5, v9
	s_delay_alu instid0(VALU_DEP_2) | instskip(NEXT) | instid1(VALU_DEP_1)
	v_add_f32_e32 v55, 1.0, v8
	v_dual_add_f32 v9, -1.0, v8 :: v_dual_add_f32 v54, -1.0, v55
	s_delay_alu instid0(VALU_DEP_1) | instskip(NEXT) | instid1(VALU_DEP_2)
	v_add_f32_e32 v56, 1.0, v9
	v_sub_f32_e32 v54, v8, v54
	s_delay_alu instid0(VALU_DEP_2) | instskip(NEXT) | instid1(VALU_DEP_2)
	v_sub_f32_e32 v8, v8, v56
	v_add_f32_e32 v54, v5, v54
	s_delay_alu instid0(VALU_DEP_2) | instskip(NEXT) | instid1(VALU_DEP_1)
	v_add_f32_e32 v5, v5, v8
	v_add_f32_e32 v57, v9, v5
	v_cmp_eq_f32_e32 vcc_lo, 0x7f800000, v6
	v_cmp_gt_f32_e64 s20, 0x33800000, v6
	s_delay_alu instid0(VALU_DEP_3) | instskip(NEXT) | instid1(VALU_DEP_2)
	v_dual_sub_f32 v9, v9, v57 :: v_dual_add_f32 v56, v55, v54
	s_or_b32 vcc_lo, s20, vcc_lo
	s_delay_alu instid0(VALU_DEP_1) | instskip(NEXT) | instid1(VALU_DEP_2)
	v_add_f32_e32 v5, v5, v9
	v_rcp_f32_e32 v8, v56
	v_sub_f32_e32 v55, v55, v56
	s_delay_alu instid0(VALU_DEP_1) | instskip(SKIP_2) | instid1(VALU_DEP_1)
	v_add_f32_e32 v54, v54, v55
	s_waitcnt_depctr 0xfff
	v_mul_f32_e32 v58, v57, v8
	v_mul_f32_e32 v59, v56, v58
	s_delay_alu instid0(VALU_DEP_1) | instskip(NEXT) | instid1(VALU_DEP_1)
	v_fma_f32 v55, v58, v56, -v59
	v_fmac_f32_e32 v55, v58, v54
	s_delay_alu instid0(VALU_DEP_1) | instskip(NEXT) | instid1(VALU_DEP_1)
	v_add_f32_e32 v60, v59, v55
	v_sub_f32_e32 v61, v57, v60
	s_delay_alu instid0(VALU_DEP_1) | instskip(NEXT) | instid1(VALU_DEP_1)
	v_sub_f32_e32 v57, v57, v61
	v_sub_f32_e32 v57, v57, v60
	s_delay_alu instid0(VALU_DEP_1) | instskip(SKIP_1) | instid1(VALU_DEP_1)
	v_add_f32_e32 v5, v5, v57
	v_sub_f32_e32 v9, v60, v59
	v_sub_f32_e32 v9, v9, v55
	s_delay_alu instid0(VALU_DEP_1) | instskip(NEXT) | instid1(VALU_DEP_1)
	v_add_f32_e32 v5, v9, v5
	v_add_f32_e32 v9, v61, v5
	s_delay_alu instid0(VALU_DEP_1) | instskip(NEXT) | instid1(VALU_DEP_1)
	v_mul_f32_e32 v55, v8, v9
	v_dual_sub_f32 v60, v61, v9 :: v_dual_mul_f32 v57, v56, v55
	s_delay_alu instid0(VALU_DEP_1) | instskip(NEXT) | instid1(VALU_DEP_2)
	v_add_f32_e32 v5, v5, v60
	v_fma_f32 v56, v55, v56, -v57
	s_delay_alu instid0(VALU_DEP_1) | instskip(NEXT) | instid1(VALU_DEP_1)
	v_fmac_f32_e32 v56, v55, v54
	v_add_f32_e32 v54, v57, v56
	s_delay_alu instid0(VALU_DEP_1) | instskip(NEXT) | instid1(VALU_DEP_1)
	v_sub_f32_e32 v59, v9, v54
	v_sub_f32_e32 v9, v9, v59
	s_delay_alu instid0(VALU_DEP_1) | instskip(NEXT) | instid1(VALU_DEP_1)
	v_sub_f32_e32 v9, v9, v54
	v_add_f32_e32 v5, v5, v9
	v_add_f32_e32 v9, v58, v55
	v_sub_f32_e32 v57, v54, v57
	s_delay_alu instid0(VALU_DEP_1) | instskip(NEXT) | instid1(VALU_DEP_1)
	v_sub_f32_e32 v54, v57, v56
	v_dual_add_f32 v5, v54, v5 :: v_dual_sub_f32 v54, v9, v58
	s_delay_alu instid0(VALU_DEP_1) | instskip(NEXT) | instid1(VALU_DEP_1)
	v_add_f32_e32 v5, v59, v5
	v_dual_sub_f32 v54, v55, v54 :: v_dual_mul_f32 v5, v8, v5
	s_delay_alu instid0(VALU_DEP_1) | instskip(NEXT) | instid1(VALU_DEP_1)
	v_add_f32_e32 v5, v54, v5
	v_add_f32_e32 v8, v9, v5
	s_delay_alu instid0(VALU_DEP_1) | instskip(NEXT) | instid1(VALU_DEP_1)
	v_mul_f32_e32 v54, v8, v8
	v_fmaak_f32 v55, s66, v54, 0x3ecc95a3
	v_mul_f32_e32 v56, v8, v54
	s_delay_alu instid0(VALU_DEP_2) | instskip(SKIP_1) | instid1(VALU_DEP_2)
	v_fmaak_f32 v54, v54, v55, 0x3f2aaada
	v_ldexp_f32 v55, v8, 1
	v_mul_f32_e32 v54, v56, v54
	v_sub_f32_e32 v8, v8, v9
	s_delay_alu instid0(VALU_DEP_2) | instskip(NEXT) | instid1(VALU_DEP_2)
	v_dual_mul_f32 v56, 0x3f317218, v4 :: v_dual_add_f32 v9, v55, v54
	v_sub_f32_e32 v5, v5, v8
	s_delay_alu instid0(VALU_DEP_2) | instskip(NEXT) | instid1(VALU_DEP_3)
	v_sub_f32_e32 v8, v9, v55
	v_fma_f32 v55, 0x3f317218, v4, -v56
	s_delay_alu instid0(VALU_DEP_3) | instskip(NEXT) | instid1(VALU_DEP_3)
	v_ldexp_f32 v5, v5, 1
	v_sub_f32_e32 v8, v54, v8
	s_delay_alu instid0(VALU_DEP_3) | instskip(NEXT) | instid1(VALU_DEP_2)
	v_fmac_f32_e32 v55, 0xb102e308, v4
	v_add_f32_e32 v4, v5, v8
	s_delay_alu instid0(VALU_DEP_1) | instskip(NEXT) | instid1(VALU_DEP_1)
	v_add_f32_e32 v8, v9, v4
	v_sub_f32_e32 v9, v8, v9
	s_delay_alu instid0(VALU_DEP_1) | instskip(SKIP_1) | instid1(VALU_DEP_1)
	v_sub_f32_e32 v4, v4, v9
	v_add_f32_e32 v5, v56, v55
	v_add_f32_e32 v54, v5, v8
	s_delay_alu instid0(VALU_DEP_1) | instskip(NEXT) | instid1(VALU_DEP_1)
	v_dual_sub_f32 v56, v5, v56 :: v_dual_sub_f32 v57, v54, v5
	v_dual_sub_f32 v55, v55, v56 :: v_dual_sub_f32 v8, v8, v57
	v_sub_f32_e32 v58, v54, v57
	s_delay_alu instid0(VALU_DEP_1) | instskip(NEXT) | instid1(VALU_DEP_1)
	v_sub_f32_e32 v5, v5, v58
	v_add_f32_e32 v5, v8, v5
	s_delay_alu instid0(VALU_DEP_4) | instskip(NEXT) | instid1(VALU_DEP_1)
	v_add_f32_e32 v9, v55, v4
	v_add_f32_e32 v5, v9, v5
	s_delay_alu instid0(VALU_DEP_1) | instskip(SKIP_1) | instid1(VALU_DEP_1)
	v_add_f32_e32 v56, v54, v5
	v_sub_f32_e32 v8, v9, v55
	v_sub_f32_e32 v9, v9, v8
	;; [unrolled: 1-line block ×3, first 2 shown]
	s_delay_alu instid0(VALU_DEP_2) | instskip(NEXT) | instid1(VALU_DEP_1)
	v_dual_sub_f32 v8, v56, v54 :: v_dual_sub_f32 v9, v55, v9
	v_dual_sub_f32 v5, v5, v8 :: v_dual_add_f32 v4, v4, v9
	s_delay_alu instid0(VALU_DEP_1) | instskip(NEXT) | instid1(VALU_DEP_1)
	v_add_f32_e32 v4, v4, v5
	v_add_f32_e32 v4, v56, v4
	s_delay_alu instid0(VALU_DEP_1)
	v_cndmask_b32_e32 v54, v4, v6, vcc_lo
.LBB79_54:                              ;   in Loop: Header=BB79_12 Depth=1
	s_or_b32 exec_lo, exec_lo, s21
	v_cvt_f32_f16_e32 v4, v7
	s_delay_alu instid0(VALU_DEP_1) | instskip(NEXT) | instid1(VALU_DEP_1)
	v_add_f32_e32 v55, s54, v4
	v_cmp_ge_f32_e32 vcc_lo, 0x41a00000, v55
	s_and_b32 s20, s62, vcc_lo
	s_delay_alu instid0(SALU_CYCLE_1)
	s_and_saveexec_b32 s21, s20
	s_cbranch_execz .LBB79_56
; %bb.55:                               ;   in Loop: Header=BB79_12 Depth=1
	v_mul_f32_e32 v4, 0x3fb8aa3b, v55
	v_cmp_ngt_f32_e32 vcc_lo, 0xc2ce8ed0, v55
	s_delay_alu instid0(VALU_DEP_2) | instskip(SKIP_1) | instid1(VALU_DEP_2)
	v_rndne_f32_e32 v5, v4
	v_fma_f32 v6, 0x3fb8aa3b, v55, -v4
	v_sub_f32_e32 v4, v4, v5
	s_delay_alu instid0(VALU_DEP_2) | instskip(SKIP_1) | instid1(VALU_DEP_2)
	v_fmac_f32_e32 v6, 0x32a5705f, v55
	v_cvt_i32_f32_e32 v5, v5
	v_add_f32_e32 v4, v4, v6
	s_delay_alu instid0(VALU_DEP_1) | instskip(SKIP_2) | instid1(VALU_DEP_1)
	v_exp_f32_e32 v4, v4
	s_waitcnt_depctr 0xfff
	v_ldexp_f32 v4, v4, v5
	v_cndmask_b32_e32 v4, 0, v4, vcc_lo
	v_cmp_nlt_f32_e32 vcc_lo, 0x42b17218, v55
	s_delay_alu instid0(VALU_DEP_2) | instskip(NEXT) | instid1(VALU_DEP_1)
	v_cndmask_b32_e32 v6, 0x7f800000, v4, vcc_lo
	v_add_f32_e32 v8, 1.0, v6
	s_delay_alu instid0(VALU_DEP_1) | instskip(NEXT) | instid1(VALU_DEP_1)
	v_cvt_f64_f32_e32 v[4:5], v8
	v_frexp_exp_i32_f64_e32 v4, v[4:5]
	v_frexp_mant_f32_e32 v5, v8
	s_delay_alu instid0(VALU_DEP_1) | instskip(SKIP_1) | instid1(VALU_DEP_1)
	v_cmp_gt_f32_e32 vcc_lo, 0x3f2aaaab, v5
	v_add_f32_e32 v5, -1.0, v8
	v_sub_f32_e32 v55, v5, v8
	v_sub_f32_e32 v5, v6, v5
	s_delay_alu instid0(VALU_DEP_2) | instskip(NEXT) | instid1(VALU_DEP_1)
	v_add_f32_e32 v55, 1.0, v55
	v_add_f32_e32 v5, v5, v55
	v_cmp_gt_f32_e64 s20, 0x33800000, v6
	v_subrev_co_ci_u32_e32 v4, vcc_lo, 0, v4, vcc_lo
	v_cmp_eq_f32_e32 vcc_lo, 0x7f800000, v6
	s_delay_alu instid0(VALU_DEP_2) | instskip(SKIP_2) | instid1(VALU_DEP_2)
	v_sub_nc_u32_e32 v9, 0, v4
	v_cvt_f32_i32_e32 v4, v4
	s_or_b32 vcc_lo, s20, vcc_lo
	v_ldexp_f32 v8, v8, v9
	v_ldexp_f32 v5, v5, v9
	s_delay_alu instid0(VALU_DEP_2) | instskip(SKIP_1) | instid1(VALU_DEP_2)
	v_add_f32_e32 v56, 1.0, v8
	v_add_f32_e32 v9, -1.0, v8
	v_add_f32_e32 v55, -1.0, v56
	s_delay_alu instid0(VALU_DEP_2) | instskip(NEXT) | instid1(VALU_DEP_2)
	v_add_f32_e32 v57, 1.0, v9
	v_sub_f32_e32 v55, v8, v55
	s_delay_alu instid0(VALU_DEP_1) | instskip(NEXT) | instid1(VALU_DEP_1)
	v_dual_sub_f32 v8, v8, v57 :: v_dual_add_f32 v55, v5, v55
	v_add_f32_e32 v5, v5, v8
	s_delay_alu instid0(VALU_DEP_1) | instskip(NEXT) | instid1(VALU_DEP_1)
	v_dual_add_f32 v57, v56, v55 :: v_dual_add_f32 v58, v9, v5
	v_rcp_f32_e32 v8, v57
	s_delay_alu instid0(VALU_DEP_1) | instskip(NEXT) | instid1(VALU_DEP_1)
	v_dual_sub_f32 v56, v56, v57 :: v_dual_sub_f32 v9, v9, v58
	v_add_f32_e32 v55, v55, v56
	s_waitcnt_depctr 0xfff
	v_mul_f32_e32 v59, v58, v8
	s_delay_alu instid0(VALU_DEP_1) | instskip(NEXT) | instid1(VALU_DEP_1)
	v_mul_f32_e32 v60, v57, v59
	v_fma_f32 v56, v59, v57, -v60
	s_delay_alu instid0(VALU_DEP_1) | instskip(NEXT) | instid1(VALU_DEP_1)
	v_dual_fmac_f32 v56, v59, v55 :: v_dual_add_f32 v5, v5, v9
	v_add_f32_e32 v61, v60, v56
	s_delay_alu instid0(VALU_DEP_1) | instskip(NEXT) | instid1(VALU_DEP_1)
	v_sub_f32_e32 v62, v58, v61
	v_dual_sub_f32 v58, v58, v62 :: v_dual_sub_f32 v9, v61, v60
	s_delay_alu instid0(VALU_DEP_1) | instskip(NEXT) | instid1(VALU_DEP_1)
	v_dual_sub_f32 v58, v58, v61 :: v_dual_sub_f32 v9, v9, v56
	v_add_f32_e32 v5, v5, v58
	s_delay_alu instid0(VALU_DEP_1) | instskip(NEXT) | instid1(VALU_DEP_1)
	v_add_f32_e32 v5, v9, v5
	v_add_f32_e32 v9, v62, v5
	s_delay_alu instid0(VALU_DEP_1) | instskip(NEXT) | instid1(VALU_DEP_1)
	v_mul_f32_e32 v56, v8, v9
	v_dual_mul_f32 v58, v57, v56 :: v_dual_sub_f32 v61, v62, v9
	s_delay_alu instid0(VALU_DEP_1) | instskip(NEXT) | instid1(VALU_DEP_2)
	v_fma_f32 v57, v56, v57, -v58
	v_add_f32_e32 v5, v5, v61
	s_delay_alu instid0(VALU_DEP_2) | instskip(NEXT) | instid1(VALU_DEP_1)
	v_fmac_f32_e32 v57, v56, v55
	v_add_f32_e32 v55, v58, v57
	s_delay_alu instid0(VALU_DEP_1) | instskip(NEXT) | instid1(VALU_DEP_1)
	v_sub_f32_e32 v60, v9, v55
	v_dual_sub_f32 v58, v55, v58 :: v_dual_sub_f32 v9, v9, v60
	s_delay_alu instid0(VALU_DEP_1) | instskip(NEXT) | instid1(VALU_DEP_2)
	v_sub_f32_e32 v9, v9, v55
	v_sub_f32_e32 v55, v58, v57
	s_delay_alu instid0(VALU_DEP_2) | instskip(SKIP_1) | instid1(VALU_DEP_2)
	v_add_f32_e32 v5, v5, v9
	v_add_f32_e32 v9, v59, v56
	v_add_f32_e32 v5, v55, v5
	s_delay_alu instid0(VALU_DEP_2) | instskip(NEXT) | instid1(VALU_DEP_2)
	v_sub_f32_e32 v55, v9, v59
	v_add_f32_e32 v5, v60, v5
	s_delay_alu instid0(VALU_DEP_2) | instskip(NEXT) | instid1(VALU_DEP_2)
	v_sub_f32_e32 v55, v56, v55
	v_mul_f32_e32 v5, v8, v5
	s_delay_alu instid0(VALU_DEP_1) | instskip(NEXT) | instid1(VALU_DEP_1)
	v_add_f32_e32 v5, v55, v5
	v_add_f32_e32 v8, v9, v5
	s_delay_alu instid0(VALU_DEP_1) | instskip(NEXT) | instid1(VALU_DEP_1)
	v_mul_f32_e32 v55, v8, v8
	v_fmaak_f32 v56, s66, v55, 0x3ecc95a3
	v_mul_f32_e32 v57, v8, v55
	s_delay_alu instid0(VALU_DEP_2) | instskip(SKIP_1) | instid1(VALU_DEP_2)
	v_fmaak_f32 v55, v55, v56, 0x3f2aaada
	v_ldexp_f32 v56, v8, 1
	v_dual_sub_f32 v8, v8, v9 :: v_dual_mul_f32 v55, v57, v55
	v_mul_f32_e32 v57, 0x3f317218, v4
	s_delay_alu instid0(VALU_DEP_2) | instskip(NEXT) | instid1(VALU_DEP_3)
	v_sub_f32_e32 v5, v5, v8
	v_add_f32_e32 v9, v56, v55
	s_delay_alu instid0(VALU_DEP_2) | instskip(NEXT) | instid1(VALU_DEP_2)
	v_ldexp_f32 v5, v5, 1
	v_sub_f32_e32 v8, v9, v56
	v_fma_f32 v56, 0x3f317218, v4, -v57
	s_delay_alu instid0(VALU_DEP_2) | instskip(NEXT) | instid1(VALU_DEP_2)
	v_sub_f32_e32 v8, v55, v8
	v_fmac_f32_e32 v56, 0xb102e308, v4
	s_delay_alu instid0(VALU_DEP_2) | instskip(NEXT) | instid1(VALU_DEP_2)
	v_add_f32_e32 v4, v5, v8
	v_add_f32_e32 v5, v57, v56
	s_delay_alu instid0(VALU_DEP_2) | instskip(NEXT) | instid1(VALU_DEP_2)
	v_add_f32_e32 v8, v9, v4
	v_sub_f32_e32 v57, v5, v57
	s_delay_alu instid0(VALU_DEP_2) | instskip(SKIP_1) | instid1(VALU_DEP_3)
	v_add_f32_e32 v55, v5, v8
	v_sub_f32_e32 v9, v8, v9
	v_sub_f32_e32 v56, v56, v57
	s_delay_alu instid0(VALU_DEP_3) | instskip(NEXT) | instid1(VALU_DEP_1)
	v_sub_f32_e32 v58, v55, v5
	v_dual_sub_f32 v4, v4, v9 :: v_dual_sub_f32 v59, v55, v58
	v_sub_f32_e32 v8, v8, v58
	s_delay_alu instid0(VALU_DEP_2) | instskip(NEXT) | instid1(VALU_DEP_3)
	v_add_f32_e32 v9, v56, v4
	v_sub_f32_e32 v5, v5, v59
	s_delay_alu instid0(VALU_DEP_1) | instskip(NEXT) | instid1(VALU_DEP_1)
	v_dual_add_f32 v5, v8, v5 :: v_dual_sub_f32 v8, v9, v56
	v_add_f32_e32 v5, v9, v5
	s_delay_alu instid0(VALU_DEP_2) | instskip(NEXT) | instid1(VALU_DEP_2)
	v_sub_f32_e32 v9, v9, v8
	v_dual_sub_f32 v4, v4, v8 :: v_dual_add_f32 v57, v55, v5
	s_delay_alu instid0(VALU_DEP_1) | instskip(NEXT) | instid1(VALU_DEP_1)
	v_dual_sub_f32 v9, v56, v9 :: v_dual_sub_f32 v8, v57, v55
	v_dual_add_f32 v4, v4, v9 :: v_dual_sub_f32 v5, v5, v8
	s_delay_alu instid0(VALU_DEP_1) | instskip(NEXT) | instid1(VALU_DEP_1)
	v_add_f32_e32 v4, v4, v5
	v_add_f32_e32 v4, v57, v4
	s_delay_alu instid0(VALU_DEP_1)
	v_cndmask_b32_e32 v55, v4, v6, vcc_lo
.LBB79_56:                              ;   in Loop: Header=BB79_12 Depth=1
	s_or_b32 exec_lo, exec_lo, s21
	v_lshrrev_b32_e32 v4, 16, v7
	s_delay_alu instid0(VALU_DEP_1) | instskip(NEXT) | instid1(VALU_DEP_1)
	v_cvt_f32_f16_e32 v4, v4
	v_add_f32_e32 v56, s54, v4
	s_delay_alu instid0(VALU_DEP_1) | instskip(SKIP_1) | instid1(SALU_CYCLE_1)
	v_cmp_ge_f32_e32 vcc_lo, 0x41a00000, v56
	s_and_b32 s20, s62, vcc_lo
	s_and_saveexec_b32 s21, s20
	s_cbranch_execz .LBB79_58
; %bb.57:                               ;   in Loop: Header=BB79_12 Depth=1
	v_mul_f32_e32 v4, 0x3fb8aa3b, v56
	v_cmp_ngt_f32_e32 vcc_lo, 0xc2ce8ed0, v56
	s_delay_alu instid0(VALU_DEP_2) | instskip(SKIP_1) | instid1(VALU_DEP_2)
	v_rndne_f32_e32 v5, v4
	v_fma_f32 v6, 0x3fb8aa3b, v56, -v4
	v_sub_f32_e32 v4, v4, v5
	s_delay_alu instid0(VALU_DEP_2) | instskip(SKIP_1) | instid1(VALU_DEP_2)
	v_fmac_f32_e32 v6, 0x32a5705f, v56
	v_cvt_i32_f32_e32 v5, v5
	v_add_f32_e32 v4, v4, v6
	s_delay_alu instid0(VALU_DEP_1) | instskip(SKIP_2) | instid1(VALU_DEP_1)
	v_exp_f32_e32 v4, v4
	s_waitcnt_depctr 0xfff
	v_ldexp_f32 v4, v4, v5
	v_cndmask_b32_e32 v4, 0, v4, vcc_lo
	v_cmp_nlt_f32_e32 vcc_lo, 0x42b17218, v56
	s_delay_alu instid0(VALU_DEP_2) | instskip(NEXT) | instid1(VALU_DEP_1)
	v_cndmask_b32_e32 v6, 0x7f800000, v4, vcc_lo
	v_add_f32_e32 v7, 1.0, v6
	s_delay_alu instid0(VALU_DEP_1) | instskip(NEXT) | instid1(VALU_DEP_1)
	v_cvt_f64_f32_e32 v[4:5], v7
	v_frexp_exp_i32_f64_e32 v4, v[4:5]
	v_frexp_mant_f32_e32 v5, v7
	s_delay_alu instid0(VALU_DEP_1) | instskip(SKIP_1) | instid1(VALU_DEP_1)
	v_cmp_gt_f32_e32 vcc_lo, 0x3f2aaaab, v5
	v_add_f32_e32 v5, -1.0, v7
	v_sub_f32_e32 v9, v5, v7
	v_sub_f32_e32 v5, v6, v5
	s_delay_alu instid0(VALU_DEP_2) | instskip(NEXT) | instid1(VALU_DEP_1)
	v_add_f32_e32 v9, 1.0, v9
	v_add_f32_e32 v5, v5, v9
	v_cmp_gt_f32_e64 s20, 0x33800000, v6
	v_subrev_co_ci_u32_e32 v4, vcc_lo, 0, v4, vcc_lo
	v_cmp_eq_f32_e32 vcc_lo, 0x7f800000, v6
	s_delay_alu instid0(VALU_DEP_2) | instskip(SKIP_2) | instid1(VALU_DEP_2)
	v_sub_nc_u32_e32 v8, 0, v4
	v_cvt_f32_i32_e32 v4, v4
	s_or_b32 vcc_lo, s20, vcc_lo
	v_ldexp_f32 v7, v7, v8
	v_ldexp_f32 v5, v5, v8
	s_delay_alu instid0(VALU_DEP_2) | instskip(NEXT) | instid1(VALU_DEP_1)
	v_add_f32_e32 v56, 1.0, v7
	v_dual_add_f32 v8, -1.0, v7 :: v_dual_add_f32 v9, -1.0, v56
	s_delay_alu instid0(VALU_DEP_1) | instskip(NEXT) | instid1(VALU_DEP_2)
	v_add_f32_e32 v57, 1.0, v8
	v_sub_f32_e32 v9, v7, v9
	s_delay_alu instid0(VALU_DEP_2) | instskip(NEXT) | instid1(VALU_DEP_2)
	v_sub_f32_e32 v7, v7, v57
	v_add_f32_e32 v9, v5, v9
	s_delay_alu instid0(VALU_DEP_2) | instskip(NEXT) | instid1(VALU_DEP_1)
	v_add_f32_e32 v5, v5, v7
	v_add_f32_e32 v58, v8, v5
	s_delay_alu instid0(VALU_DEP_1) | instskip(NEXT) | instid1(VALU_DEP_4)
	v_sub_f32_e32 v8, v8, v58
	v_add_f32_e32 v57, v56, v9
	s_delay_alu instid0(VALU_DEP_1) | instskip(NEXT) | instid1(VALU_DEP_2)
	v_rcp_f32_e32 v7, v57
	v_dual_sub_f32 v56, v56, v57 :: v_dual_add_f32 v5, v5, v8
	s_delay_alu instid0(VALU_DEP_1) | instskip(SKIP_2) | instid1(VALU_DEP_1)
	v_add_f32_e32 v9, v9, v56
	s_waitcnt_depctr 0xfff
	v_mul_f32_e32 v59, v58, v7
	v_mul_f32_e32 v60, v57, v59
	s_delay_alu instid0(VALU_DEP_1) | instskip(NEXT) | instid1(VALU_DEP_1)
	v_fma_f32 v56, v59, v57, -v60
	v_fmac_f32_e32 v56, v59, v9
	s_delay_alu instid0(VALU_DEP_1) | instskip(NEXT) | instid1(VALU_DEP_1)
	v_add_f32_e32 v61, v60, v56
	v_sub_f32_e32 v62, v58, v61
	v_sub_f32_e32 v8, v61, v60
	s_delay_alu instid0(VALU_DEP_2) | instskip(NEXT) | instid1(VALU_DEP_1)
	v_sub_f32_e32 v58, v58, v62
	v_sub_f32_e32 v58, v58, v61
	s_delay_alu instid0(VALU_DEP_1) | instskip(NEXT) | instid1(VALU_DEP_1)
	v_dual_sub_f32 v8, v8, v56 :: v_dual_add_f32 v5, v5, v58
	v_add_f32_e32 v5, v8, v5
	s_delay_alu instid0(VALU_DEP_1) | instskip(NEXT) | instid1(VALU_DEP_1)
	v_add_f32_e32 v8, v62, v5
	v_mul_f32_e32 v56, v7, v8
	v_sub_f32_e32 v61, v62, v8
	s_delay_alu instid0(VALU_DEP_2) | instskip(NEXT) | instid1(VALU_DEP_2)
	v_mul_f32_e32 v58, v57, v56
	v_add_f32_e32 v5, v5, v61
	s_delay_alu instid0(VALU_DEP_2) | instskip(NEXT) | instid1(VALU_DEP_1)
	v_fma_f32 v57, v56, v57, -v58
	v_fmac_f32_e32 v57, v56, v9
	s_delay_alu instid0(VALU_DEP_1) | instskip(NEXT) | instid1(VALU_DEP_1)
	v_add_f32_e32 v9, v58, v57
	v_sub_f32_e32 v60, v8, v9
	s_delay_alu instid0(VALU_DEP_1) | instskip(NEXT) | instid1(VALU_DEP_1)
	v_sub_f32_e32 v8, v8, v60
	v_sub_f32_e32 v8, v8, v9
	s_delay_alu instid0(VALU_DEP_1) | instskip(SKIP_2) | instid1(VALU_DEP_1)
	v_add_f32_e32 v5, v5, v8
	v_add_f32_e32 v8, v59, v56
	v_sub_f32_e32 v58, v9, v58
	v_sub_f32_e32 v9, v58, v57
	s_delay_alu instid0(VALU_DEP_1) | instskip(NEXT) | instid1(VALU_DEP_4)
	v_add_f32_e32 v5, v9, v5
	v_sub_f32_e32 v9, v8, v59
	s_delay_alu instid0(VALU_DEP_2) | instskip(NEXT) | instid1(VALU_DEP_2)
	v_add_f32_e32 v5, v60, v5
	v_sub_f32_e32 v9, v56, v9
	s_delay_alu instid0(VALU_DEP_2) | instskip(NEXT) | instid1(VALU_DEP_1)
	v_mul_f32_e32 v5, v7, v5
	v_add_f32_e32 v5, v9, v5
	s_delay_alu instid0(VALU_DEP_1) | instskip(NEXT) | instid1(VALU_DEP_1)
	v_add_f32_e32 v7, v8, v5
	v_mul_f32_e32 v9, v7, v7
	s_delay_alu instid0(VALU_DEP_1) | instskip(SKIP_1) | instid1(VALU_DEP_2)
	v_fmaak_f32 v56, s66, v9, 0x3ecc95a3
	v_mul_f32_e32 v57, v7, v9
	v_fmaak_f32 v9, v9, v56, 0x3f2aaada
	v_ldexp_f32 v56, v7, 1
	v_sub_f32_e32 v7, v7, v8
	s_delay_alu instid0(VALU_DEP_3) | instskip(SKIP_1) | instid1(VALU_DEP_2)
	v_mul_f32_e32 v9, v57, v9
	v_mul_f32_e32 v57, 0x3f317218, v4
	v_dual_sub_f32 v5, v5, v7 :: v_dual_add_f32 v8, v56, v9
	s_delay_alu instid0(VALU_DEP_1) | instskip(NEXT) | instid1(VALU_DEP_2)
	v_ldexp_f32 v5, v5, 1
	v_sub_f32_e32 v7, v8, v56
	s_delay_alu instid0(VALU_DEP_4) | instskip(NEXT) | instid1(VALU_DEP_1)
	v_fma_f32 v56, 0x3f317218, v4, -v57
	v_dual_sub_f32 v7, v9, v7 :: v_dual_fmac_f32 v56, 0xb102e308, v4
	s_delay_alu instid0(VALU_DEP_1) | instskip(NEXT) | instid1(VALU_DEP_1)
	v_add_f32_e32 v4, v5, v7
	v_add_f32_e32 v7, v8, v4
	s_delay_alu instid0(VALU_DEP_1) | instskip(NEXT) | instid1(VALU_DEP_1)
	v_sub_f32_e32 v8, v7, v8
	v_sub_f32_e32 v4, v4, v8
	v_add_f32_e32 v5, v57, v56
	s_delay_alu instid0(VALU_DEP_1) | instskip(SKIP_1) | instid1(VALU_DEP_2)
	v_add_f32_e32 v9, v5, v7
	v_sub_f32_e32 v57, v5, v57
	v_sub_f32_e32 v58, v9, v5
	s_delay_alu instid0(VALU_DEP_1) | instskip(NEXT) | instid1(VALU_DEP_1)
	v_dual_sub_f32 v56, v56, v57 :: v_dual_sub_f32 v59, v9, v58
	v_dual_sub_f32 v7, v7, v58 :: v_dual_add_f32 v8, v56, v4
	s_delay_alu instid0(VALU_DEP_2) | instskip(NEXT) | instid1(VALU_DEP_1)
	v_sub_f32_e32 v5, v5, v59
	v_add_f32_e32 v5, v7, v5
	s_delay_alu instid0(VALU_DEP_3) | instskip(NEXT) | instid1(VALU_DEP_2)
	v_sub_f32_e32 v7, v8, v56
	v_add_f32_e32 v5, v8, v5
	s_delay_alu instid0(VALU_DEP_2) | instskip(NEXT) | instid1(VALU_DEP_2)
	v_sub_f32_e32 v8, v8, v7
	v_dual_sub_f32 v4, v4, v7 :: v_dual_add_f32 v57, v9, v5
	s_delay_alu instid0(VALU_DEP_1) | instskip(NEXT) | instid1(VALU_DEP_1)
	v_dual_sub_f32 v8, v56, v8 :: v_dual_sub_f32 v7, v57, v9
	v_dual_add_f32 v4, v4, v8 :: v_dual_sub_f32 v5, v5, v7
	s_delay_alu instid0(VALU_DEP_1) | instskip(NEXT) | instid1(VALU_DEP_1)
	v_add_f32_e32 v4, v4, v5
	v_add_f32_e32 v4, v57, v4
	s_delay_alu instid0(VALU_DEP_1)
	v_cndmask_b32_e32 v56, v4, v6, vcc_lo
.LBB79_58:                              ;   in Loop: Header=BB79_12 Depth=1
	s_or_b32 exec_lo, exec_lo, s21
	v_lshrrev_b32_e32 v5, 16, v2
	v_lshrrev_b32_e32 v6, 16, v3
	;; [unrolled: 1-line block ×4, first 2 shown]
	v_cvt_f32_f16_e32 v4, v3
	v_cvt_f32_f16_e32 v2, v2
	;; [unrolled: 1-line block ×8, first 2 shown]
	v_dual_mul_f32 v57, s55, v4 :: v_dual_mul_f32 v58, s55, v3
	v_mul_f32_e32 v61, s55, v2
	s_delay_alu instid0(VALU_DEP_4)
	v_dual_mul_f32 v59, s55, v5 :: v_dual_mul_f32 v60, s55, v6
	v_dual_mul_f32 v63, s55, v1 :: v_dual_mul_f32 v62, s55, v7
	v_mul_f32_e32 v64, s55, v0
	s_and_b32 vcc_lo, exec_lo, s63
	s_barrier
	buffer_gl0_inv
	s_cbranch_vccz .LBB79_122
; %bb.59:                               ;   in Loop: Header=BB79_12 Depth=1
	v_dual_mul_f32 v65, v56, v7 :: v_dual_mul_f32 v70, v55, v4
	v_add_co_u32 v7, s20, s41, v47
	s_delay_alu instid0(VALU_DEP_1) | instskip(SKIP_1) | instid1(VALU_DEP_1)
	v_add_co_ci_u32_e64 v8, null, s51, 0, s20
	v_add_co_u32 v9, s20, s45, v47
	v_add_co_ci_u32_e64 v69, null, s48, 0, s20
	s_delay_alu instid0(VALU_DEP_4) | instskip(NEXT) | instid1(VALU_DEP_4)
	v_add_co_u32 v66, vcc_lo, v7, v48
	v_add_co_ci_u32_e32 v67, vcc_lo, 0, v8, vcc_lo
	s_delay_alu instid0(VALU_DEP_4) | instskip(NEXT) | instid1(VALU_DEP_4)
	v_add_co_u32 v68, vcc_lo, v9, v48
	v_add_co_ci_u32_e32 v69, vcc_lo, 0, v69, vcc_lo
	v_cmp_gt_u32_e32 vcc_lo, s23, v10
	s_cmp_lg_u32 s68, 0
	v_cmp_gt_u32_e64 s21, s23, v40
	s_cselect_b32 s31, -1, 0
	s_cmp_eq_u32 s68, s65
	v_cmp_gt_u32_e64 s22, s23, v41
	s_cselect_b32 s69, -1, 0
	s_or_b32 s20, s64, vcc_lo
	v_cmp_gt_u32_e32 vcc_lo, s23, v42
	v_cmp_gt_u32_e64 s24, s23, v43
	v_cmp_gt_u32_e64 s25, s23, v44
	;; [unrolled: 1-line block ×4, first 2 shown]
	v_dual_mul_f32 v71, v54, v3 :: v_dual_mul_f32 v72, v53, v2
	v_dual_mul_f32 v73, v52, v5 :: v_dual_mul_f32 v76, v49, v0
	;; [unrolled: 1-line block ×3, first 2 shown]
	s_mov_b32 s52, 0
	s_or_b32 s21, s64, s21
	s_or_b32 s22, s64, s22
	s_or_b32 s23, s64, vcc_lo
	s_or_b32 s24, s64, s24
	s_or_b32 s25, s64, s25
	;; [unrolled: 1-line block ×4, first 2 shown]
	s_mov_b32 s38, s52
	s_mov_b32 s42, s52
	;; [unrolled: 1-line block ×5, first 2 shown]
	s_branch .LBB79_61
.LBB79_60:                              ;   in Loop: Header=BB79_61 Depth=2
	s_or_b32 exec_lo, exec_lo, s28
	v_cndmask_b32_e64 v5, v94, v7, s11
	v_cndmask_b32_e64 v6, v93, v6, s11
	s_add_i32 s70, s70, -1
	s_add_i32 s71, s71, 8
	s_add_i32 s46, s46, s50
	v_fma_f32 v5, v5, v80, v78
	v_mul_f32_e32 v6, v6, v80
	s_add_i32 s42, s42, s44
	s_add_i32 s38, s38, s40
	;; [unrolled: 1-line block ×3, first 2 shown]
	v_cndmask_b32_e64 v5, v5, v78, s10
	v_cndmask_b32_e64 v6, v6, v80, s10
	s_cmp_eq_u32 s70, 0
	s_waitcnt lgkmcnt(0)
	s_delay_alu instid0(VALU_DEP_1) | instskip(NEXT) | instid1(VALU_DEP_1)
	v_fmac_f32_e32 v5, v4, v6
	v_fmac_f32_e32 v77, v5, v82
	v_fma_mix_f32 v64, v5, v0, v64 op_sel_hi:[0,1,0]
	s_delay_alu instid0(VALU_DEP_2) | instskip(SKIP_1) | instid1(VALU_DEP_2)
	v_fmac_f32_e32 v79, v77, v84
	v_fma_mix_f32 v60, v77, v0, v60 op_sel:[0,1,0] op_sel_hi:[0,1,0]
	v_fmac_f32_e32 v81, v79, v86
	v_fma_mix_f32 v63, v79, v1, v63 op_sel_hi:[0,1,0]
	s_delay_alu instid0(VALU_DEP_2) | instskip(SKIP_1) | instid1(VALU_DEP_2)
	v_fmac_f32_e32 v83, v81, v87
	v_fma_mix_f32 v59, v81, v1, v59 op_sel:[0,1,0] op_sel_hi:[0,1,0]
	;; [unrolled: 5-line block ×3, first 2 shown]
	v_fmac_f32_e32 v89, v88, v91
	v_fma_mix_f32 v57, v88, v3, v57 op_sel_hi:[0,1,0]
	s_delay_alu instid0(VALU_DEP_2)
	v_fma_mix_f32 v62, v89, v3, v62 op_sel:[0,1,0] op_sel_hi:[0,1,0]
	s_cbranch_scc1 .LBB79_122
.LBB79_61:                              ;   Parent Loop BB79_12 Depth=1
                                        ; =>  This Inner Loop Header: Depth=2
	s_lshl_b64 s[72:73], s[52:53], 2
	s_mov_b32 s39, s53
	s_add_u32 s72, s58, s72
	s_addc_u32 s73, s59, s73
	v_dual_mov_b32 v2, 0 :: v_dual_mov_b32 v3, 0
	global_load_b32 v77, v13, s[72:73]
	s_lshl_b64 s[72:73], s[38:39], 1
	s_delay_alu instid0(SALU_CYCLE_1)
	v_add_co_u32 v0, vcc_lo, v66, s72
	v_add_co_ci_u32_e32 v1, vcc_lo, s73, v67, vcc_lo
	s_and_saveexec_b32 s28, s12
	s_cbranch_execnz .LBB79_81
; %bb.62:                               ;   in Loop: Header=BB79_61 Depth=2
	s_or_b32 exec_lo, exec_lo, s28
	s_and_saveexec_b32 s28, s13
	s_cbranch_execnz .LBB79_82
.LBB79_63:                              ;   in Loop: Header=BB79_61 Depth=2
	s_or_b32 exec_lo, exec_lo, s28
	v_mov_b32_e32 v4, 0
	s_and_saveexec_b32 s28, s14
	s_cbranch_execnz .LBB79_83
.LBB79_64:                              ;   in Loop: Header=BB79_61 Depth=2
	s_or_b32 exec_lo, exec_lo, s28
	s_and_saveexec_b32 s28, s15
	s_cbranch_execnz .LBB79_84
.LBB79_65:                              ;   in Loop: Header=BB79_61 Depth=2
	s_or_b32 exec_lo, exec_lo, s28
	v_mov_b32_e32 v5, 0
	s_and_saveexec_b32 s28, s16
	s_cbranch_execnz .LBB79_85
.LBB79_66:                              ;   in Loop: Header=BB79_61 Depth=2
	s_or_b32 exec_lo, exec_lo, s28
	s_and_saveexec_b32 s28, s17
	s_cbranch_execnz .LBB79_86
.LBB79_67:                              ;   in Loop: Header=BB79_61 Depth=2
	s_or_b32 exec_lo, exec_lo, s28
	v_mov_b32_e32 v6, 0
	s_and_saveexec_b32 s28, s18
	s_cbranch_execnz .LBB79_87
.LBB79_68:                              ;   in Loop: Header=BB79_61 Depth=2
	s_or_b32 exec_lo, exec_lo, s28
	s_and_saveexec_b32 s28, s19
	s_cbranch_execz .LBB79_70
.LBB79_69:                              ;   in Loop: Header=BB79_61 Depth=2
	global_load_u16 v0, v[0:1], off offset:448
	s_waitcnt vmcnt(0)
	v_lshl_or_b32 v6, v0, 16, v6
.LBB79_70:                              ;   in Loop: Header=BB79_61 Depth=2
	s_or_b32 exec_lo, exec_lo, s28
	s_waitcnt vmcnt(0)
	ds_store_b16 v20, v3
	ds_store_b16 v20, v2 offset:64
	ds_store_b16 v21, v4 offset:128
	ds_store_b16_d16_hi v22, v4 offset:192
	ds_store_b16 v23, v5 offset:256
	ds_store_b16_d16_hi v24, v5 offset:320
	;; [unrolled: 2-line block ×3, first 2 shown]
	; wave barrier
	ds_load_b128 v[4:7], v27
	s_mov_b32 s43, s53
	v_dual_mov_b32 v2, 0 :: v_dual_mov_b32 v3, 0
	s_lshl_b64 s[72:73], s[42:43], 1
	s_delay_alu instid0(SALU_CYCLE_1)
	v_add_co_u32 v0, vcc_lo, v68, s72
	v_add_co_ci_u32_e32 v1, vcc_lo, s73, v69, vcc_lo
	s_and_saveexec_b32 s28, s12
	s_cbranch_execnz .LBB79_88
; %bb.71:                               ;   in Loop: Header=BB79_61 Depth=2
	s_or_b32 exec_lo, exec_lo, s28
	s_and_saveexec_b32 s28, s13
	s_cbranch_execnz .LBB79_89
.LBB79_72:                              ;   in Loop: Header=BB79_61 Depth=2
	s_or_b32 exec_lo, exec_lo, s28
	v_mov_b32_e32 v8, 0
	s_and_saveexec_b32 s28, s14
	s_cbranch_execnz .LBB79_90
.LBB79_73:                              ;   in Loop: Header=BB79_61 Depth=2
	s_or_b32 exec_lo, exec_lo, s28
	s_and_saveexec_b32 s28, s15
	s_cbranch_execnz .LBB79_91
.LBB79_74:                              ;   in Loop: Header=BB79_61 Depth=2
	s_or_b32 exec_lo, exec_lo, s28
	v_mov_b32_e32 v9, 0
	s_and_saveexec_b32 s28, s16
	s_cbranch_execnz .LBB79_92
.LBB79_75:                              ;   in Loop: Header=BB79_61 Depth=2
	s_or_b32 exec_lo, exec_lo, s28
	s_and_saveexec_b32 s28, s17
	s_cbranch_execnz .LBB79_93
.LBB79_76:                              ;   in Loop: Header=BB79_61 Depth=2
	s_or_b32 exec_lo, exec_lo, s28
	v_mov_b32_e32 v78, 0
	s_and_saveexec_b32 s28, s18
	s_cbranch_execnz .LBB79_94
.LBB79_77:                              ;   in Loop: Header=BB79_61 Depth=2
	s_or_b32 exec_lo, exec_lo, s28
	s_and_saveexec_b32 s28, s19
	s_cbranch_execz .LBB79_79
.LBB79_78:                              ;   in Loop: Header=BB79_61 Depth=2
	global_load_u16 v0, v[0:1], off offset:448
	s_waitcnt vmcnt(0)
	v_lshl_or_b32 v78, v0, 16, v78
.LBB79_79:                              ;   in Loop: Header=BB79_61 Depth=2
	s_or_b32 exec_lo, exec_lo, s28
	s_waitcnt vmcnt(0)
	ds_store_b16 v20, v3 offset:1056
	ds_store_b16 v28, v2 offset:64
	;; [unrolled: 1-line block ×3, first 2 shown]
	ds_store_b16_d16_hi v30, v8 offset:192
	ds_store_b16 v31, v9 offset:256
	ds_store_b16_d16_hi v32, v9 offset:320
	ds_store_b16 v33, v78 offset:384
	ds_store_b16_d16_hi v34, v78 offset:448
	; wave barrier
	ds_load_b128 v[0:3], v27 offset:1056
	s_and_not1_b32 vcc_lo, exec_lo, s31
	s_cbranch_vccnz .LBB79_95
; %bb.80:                               ;   in Loop: Header=BB79_61 Depth=2
	v_mov_b32_e32 v8, s71
	ds_load_b64 v[8:9], v8
	s_cbranch_execz .LBB79_96
	s_branch .LBB79_99
.LBB79_81:                              ;   in Loop: Header=BB79_61 Depth=2
	global_load_u16 v3, v[0:1], off
	s_or_b32 exec_lo, exec_lo, s28
	s_and_saveexec_b32 s28, s13
	s_cbranch_execz .LBB79_63
.LBB79_82:                              ;   in Loop: Header=BB79_61 Depth=2
	global_load_u16 v2, v[0:1], off offset:64
	s_or_b32 exec_lo, exec_lo, s28
	v_mov_b32_e32 v4, 0
	s_and_saveexec_b32 s28, s14
	s_cbranch_execz .LBB79_64
.LBB79_83:                              ;   in Loop: Header=BB79_61 Depth=2
	global_load_u16 v4, v[0:1], off offset:128
	s_or_b32 exec_lo, exec_lo, s28
	s_and_saveexec_b32 s28, s15
	s_cbranch_execz .LBB79_65
.LBB79_84:                              ;   in Loop: Header=BB79_61 Depth=2
	global_load_u16 v5, v[0:1], off offset:192
	s_waitcnt vmcnt(0)
	v_lshl_or_b32 v4, v5, 16, v4
	s_or_b32 exec_lo, exec_lo, s28
	v_mov_b32_e32 v5, 0
	s_and_saveexec_b32 s28, s16
	s_cbranch_execz .LBB79_66
.LBB79_85:                              ;   in Loop: Header=BB79_61 Depth=2
	global_load_u16 v5, v[0:1], off offset:256
	s_or_b32 exec_lo, exec_lo, s28
	s_and_saveexec_b32 s28, s17
	s_cbranch_execz .LBB79_67
.LBB79_86:                              ;   in Loop: Header=BB79_61 Depth=2
	global_load_u16 v6, v[0:1], off offset:320
	s_waitcnt vmcnt(0)
	v_lshl_or_b32 v5, v6, 16, v5
	s_or_b32 exec_lo, exec_lo, s28
	v_mov_b32_e32 v6, 0
	s_and_saveexec_b32 s28, s18
	s_cbranch_execz .LBB79_68
.LBB79_87:                              ;   in Loop: Header=BB79_61 Depth=2
	global_load_u16 v6, v[0:1], off offset:384
	s_or_b32 exec_lo, exec_lo, s28
	s_and_saveexec_b32 s28, s19
	s_cbranch_execnz .LBB79_69
	s_branch .LBB79_70
.LBB79_88:                              ;   in Loop: Header=BB79_61 Depth=2
	global_load_u16 v3, v[0:1], off
	s_or_b32 exec_lo, exec_lo, s28
	s_and_saveexec_b32 s28, s13
	s_cbranch_execz .LBB79_72
.LBB79_89:                              ;   in Loop: Header=BB79_61 Depth=2
	global_load_u16 v2, v[0:1], off offset:64
	s_or_b32 exec_lo, exec_lo, s28
	v_mov_b32_e32 v8, 0
	s_and_saveexec_b32 s28, s14
	s_cbranch_execz .LBB79_73
.LBB79_90:                              ;   in Loop: Header=BB79_61 Depth=2
	global_load_u16 v8, v[0:1], off offset:128
	s_or_b32 exec_lo, exec_lo, s28
	s_and_saveexec_b32 s28, s15
	s_cbranch_execz .LBB79_74
.LBB79_91:                              ;   in Loop: Header=BB79_61 Depth=2
	global_load_u16 v9, v[0:1], off offset:192
	s_waitcnt vmcnt(0)
	v_lshl_or_b32 v8, v9, 16, v8
	s_or_b32 exec_lo, exec_lo, s28
	v_mov_b32_e32 v9, 0
	s_and_saveexec_b32 s28, s16
	s_cbranch_execz .LBB79_75
.LBB79_92:                              ;   in Loop: Header=BB79_61 Depth=2
	global_load_u16 v9, v[0:1], off offset:256
	s_or_b32 exec_lo, exec_lo, s28
	s_and_saveexec_b32 s28, s17
	s_cbranch_execz .LBB79_76
.LBB79_93:                              ;   in Loop: Header=BB79_61 Depth=2
	global_load_u16 v78, v[0:1], off offset:320
	s_waitcnt vmcnt(0)
	v_lshl_or_b32 v9, v78, 16, v9
	s_or_b32 exec_lo, exec_lo, s28
	v_mov_b32_e32 v78, 0
	s_and_saveexec_b32 s28, s18
	s_cbranch_execz .LBB79_77
.LBB79_94:                              ;   in Loop: Header=BB79_61 Depth=2
	global_load_u16 v78, v[0:1], off offset:384
	s_or_b32 exec_lo, exec_lo, s28
	s_and_saveexec_b32 s28, s19
	s_cbranch_execnz .LBB79_78
	s_branch .LBB79_79
.LBB79_95:                              ;   in Loop: Header=BB79_61 Depth=2
                                        ; implicit-def: $vgpr8
.LBB79_96:                              ;   in Loop: Header=BB79_61 Depth=2
	s_waitcnt lgkmcnt(0)
	v_mov_b32_e32 v9, 0
	s_and_not1_b32 vcc_lo, exec_lo, s33
	s_cbranch_vccnz .LBB79_98
; %bb.97:                               ;   in Loop: Header=BB79_61 Depth=2
	s_mov_b32 s47, s53
	s_delay_alu instid0(SALU_CYCLE_1) | instskip(NEXT) | instid1(SALU_CYCLE_1)
	s_lshl_b64 s[72:73], s[46:47], 1
	s_add_u32 s72, s49, s72
	s_addc_u32 s73, s60, s73
	global_load_u16 v8, v13, s[72:73]
	s_waitcnt vmcnt(0)
	v_cvt_f32_f16_e32 v9, v8
.LBB79_98:                              ;   in Loop: Header=BB79_61 Depth=2
	v_mov_b32_e32 v8, 1.0
.LBB79_99:                              ;   in Loop: Header=BB79_61 Depth=2
	s_waitcnt lgkmcnt(9)
	v_lshrrev_b32_e32 v78, 16, v5
	v_lshrrev_b32_e32 v81, 16, v7
	v_cvt_f32_f16_e32 v7, v7
	v_lshrrev_b32_e32 v79, 16, v6
	v_cvt_f32_f16_e32 v5, v5
	v_cvt_f32_f16_e32 v83, v78
	v_mul_f32_e32 v88, 0x3fb8aa3b, v77
	v_cvt_f32_f16_e32 v89, v81
	v_lshrrev_b32_e32 v77, 16, v4
	v_cvt_f32_f16_e32 v4, v4
	s_delay_alu instid0(VALU_DEP_4)
	v_dual_mul_f32 v83, v73, v83 :: v_dual_mul_f32 v80, v88, v49
	v_mul_f32_e32 v7, v70, v7
	v_cvt_f32_f16_e32 v85, v79
	v_cvt_f32_f16_e32 v77, v77
	v_mul_f32_e32 v79, v88, v51
	v_cmp_gt_f32_e32 vcc_lo, 0xc2fc0000, v80
	v_mul_f32_e32 v4, v76, v4
	v_cvt_f32_f16_e32 v6, v6
	v_mul_f32_e32 v91, v88, v56
	v_mul_f32_e32 v5, v74, v5
	v_cndmask_b32_e64 v80, 0, 0x42800000, vcc_lo
	v_cndmask_b32_e64 v81, 1.0, 0x1f800000, vcc_lo
	v_dual_mul_f32 v6, v72, v6 :: v_dual_mul_f32 v85, v71, v85
	v_mul_f32_e32 v89, v65, v89
	s_delay_alu instid0(VALU_DEP_4) | instskip(NEXT) | instid1(VALU_DEP_3)
	v_fmac_f32_e32 v80, v88, v49
	v_cndmask_b32_e64 v85, 0, v85, s25
	s_delay_alu instid0(VALU_DEP_3) | instskip(NEXT) | instid1(VALU_DEP_3)
	v_cndmask_b32_e64 v89, 0, v89, s27
	v_exp_f32_e32 v78, v80
	s_waitcnt_depctr 0xfff
	v_dual_mul_f32 v82, v88, v50 :: v_dual_mul_f32 v81, v78, v81
	s_delay_alu instid0(VALU_DEP_1) | instskip(SKIP_3) | instid1(VALU_DEP_4)
	v_cmp_gt_f32_e64 s28, 0xc2fc0000, v82
	v_cndmask_b32_e64 v78, 0, v4, s20
	v_mul_f32_e32 v4, v75, v77
	v_cmp_gt_f32_e32 vcc_lo, 0xc2fc0000, v79
	v_cndmask_b32_e64 v82, 0, 0x42800000, s28
	v_cndmask_b32_e64 v84, 1.0, 0x1f800000, s28
	s_delay_alu instid0(VALU_DEP_4) | instskip(SKIP_1) | instid1(VALU_DEP_4)
	v_cndmask_b32_e64 v77, 0, v4, s21
	v_cndmask_b32_e64 v79, 0, 0x42800000, vcc_lo
	v_fmac_f32_e32 v82, v88, v50
	s_delay_alu instid0(VALU_DEP_1) | instskip(SKIP_1) | instid1(VALU_DEP_1)
	v_exp_f32_e32 v80, v82
	v_mul_f32_e32 v82, v88, v52
	v_cmp_gt_f32_e64 s28, 0xc2fc0000, v82
	s_waitcnt_depctr 0xfff
	v_mul_f32_e32 v84, v80, v84
	v_cndmask_b32_e64 v80, 1.0, v81, s20
	v_cndmask_b32_e64 v81, 0, 0x42800000, s28
	s_delay_alu instid0(VALU_DEP_3) | instskip(SKIP_1) | instid1(VALU_DEP_3)
	v_cndmask_b32_e64 v82, 1.0, v84, s21
	v_cndmask_b32_e64 v84, 1.0, 0x1f800000, vcc_lo
	v_fmac_f32_e32 v81, v88, v52
	s_delay_alu instid0(VALU_DEP_1) | instskip(SKIP_1) | instid1(VALU_DEP_1)
	v_exp_f32_e32 v81, v81
	v_fmac_f32_e32 v79, v88, v51
	v_exp_f32_e32 v4, v79
	v_mul_f32_e32 v79, v88, v53
	s_delay_alu instid0(VALU_DEP_1)
	v_cmp_gt_f32_e32 vcc_lo, 0xc2fc0000, v79
	v_cndmask_b32_e64 v79, 0, v5, s22
	v_cndmask_b32_e64 v5, 1.0, 0x1f800000, s28
	s_waitcnt_depctr 0xfff
	v_mul_f32_e32 v4, v4, v84
	v_cndmask_b32_e64 v86, 0, 0x42800000, vcc_lo
	s_delay_alu instid0(VALU_DEP_2) | instskip(SKIP_1) | instid1(VALU_DEP_3)
	v_cndmask_b32_e64 v84, 1.0, v4, s22
	v_mul_f32_e32 v87, v88, v54
	v_fmac_f32_e32 v86, v88, v53
	v_mul_f32_e32 v4, v81, v5
	v_cndmask_b32_e64 v5, 1.0, 0x1f800000, vcc_lo
	v_cndmask_b32_e64 v81, 0, v83, s23
	v_cmp_gt_f32_e64 s28, 0xc2fc0000, v87
	v_exp_f32_e32 v90, v86
	v_cndmask_b32_e64 v86, 1.0, v4, s23
	v_cndmask_b32_e64 v83, 0, v6, s24
	s_delay_alu instid0(VALU_DEP_3) | instskip(SKIP_3) | instid1(VALU_DEP_4)
	v_cndmask_b32_e64 v87, 0, 0x42800000, s28
	v_cndmask_b32_e64 v6, 1.0, 0x1f800000, s28
	v_cmp_gt_f32_e64 s28, 0xc2fc0000, v91
	v_fma_f32 v91, v82, v78, v77
	v_fmac_f32_e32 v87, v88, v54
	s_delay_alu instid0(TRANS32_DEP_1) | instskip(NEXT) | instid1(VALU_DEP_2)
	v_mul_f32_e32 v5, v90, v5
	v_exp_f32_e32 v4, v87
	v_mul_f32_e32 v87, v88, v55
	s_delay_alu instid0(VALU_DEP_1) | instskip(NEXT) | instid1(VALU_DEP_3)
	v_cmp_gt_f32_e32 vcc_lo, 0xc2fc0000, v87
	v_cndmask_b32_e64 v87, 1.0, v5, s24
	v_cndmask_b32_e64 v5, 0, 0x42800000, s28
	s_waitcnt_depctr 0xfff
	v_mul_f32_e32 v4, v4, v6
	v_cndmask_b32_e64 v90, 0, 0x42800000, vcc_lo
	v_mul_f32_e32 v6, v82, v80
	v_fmac_f32_e32 v5, v88, v56
	s_delay_alu instid0(VALU_DEP_4) | instskip(NEXT) | instid1(VALU_DEP_4)
	v_cndmask_b32_e64 v92, 1.0, v4, s25
	v_fmac_f32_e32 v90, v88, v55
	s_delay_alu instid0(VALU_DEP_4)
	v_mul_f32_e32 v4, v6, v84
	v_fma_f32 v6, v91, v84, v79
	v_cndmask_b32_e64 v88, 1.0, 0x1f800000, vcc_lo
	v_exp_f32_e32 v5, v5
	v_exp_f32_e32 v90, v90
	v_mul_f32_e32 v4, v4, v86
	v_fma_f32 v6, v6, v86, v81
	s_delay_alu instid0(VALU_DEP_2) | instskip(NEXT) | instid1(VALU_DEP_2)
	v_mul_f32_e32 v4, v4, v87
	v_fma_f32 v6, v6, v87, v83
	s_waitcnt_depctr 0xfff
	v_mul_f32_e32 v90, v90, v88
	v_cndmask_b32_e64 v88, 0, v7, s26
	v_cndmask_b32_e64 v7, 1.0, 0x1f800000, s28
	v_mul_f32_e32 v4, v4, v92
	v_fma_f32 v6, v6, v92, v85
	v_cndmask_b32_e64 v90, 1.0, v90, s26
	s_delay_alu instid0(VALU_DEP_1) | instskip(NEXT) | instid1(VALU_DEP_1)
	v_dual_mul_f32 v5, v5, v7 :: v_dual_mul_f32 v4, v4, v90
	v_cndmask_b32_e64 v91, 1.0, v5, s27
	s_delay_alu instid0(VALU_DEP_4) | instskip(NEXT) | instid1(VALU_DEP_2)
	v_fma_f32 v5, v6, v90, v88
	v_mul_f32_e32 v4, v4, v91
	s_delay_alu instid0(VALU_DEP_2) | instskip(NEXT) | instid1(VALU_DEP_2)
	v_fma_f32 v5, v5, v91, v89
	v_mov_b32_dpp v7, v4 row_shr:1 row_mask:0xf bank_mask:0xf
	s_delay_alu instid0(VALU_DEP_2)
	v_mov_b32_dpp v6, v5 row_shr:1 row_mask:0xf bank_mask:0xf
	s_and_saveexec_b32 s28, s0
; %bb.100:                              ;   in Loop: Header=BB79_61 Depth=2
	s_delay_alu instid0(VALU_DEP_2) | instskip(NEXT) | instid1(VALU_DEP_1)
	v_mul_f32_e32 v7, v4, v7
	v_dual_fmac_f32 v5, v4, v6 :: v_dual_mov_b32 v4, v7
; %bb.101:                              ;   in Loop: Header=BB79_61 Depth=2
	s_or_b32 exec_lo, exec_lo, s28
	s_delay_alu instid0(VALU_DEP_1) | instskip(NEXT) | instid1(VALU_DEP_2)
	v_mov_b32_dpp v6, v4 row_shr:2 row_mask:0xf bank_mask:0xf
	v_mov_b32_dpp v7, v5 row_shr:2 row_mask:0xf bank_mask:0xf
	s_and_saveexec_b32 s28, s1
; %bb.102:                              ;   in Loop: Header=BB79_61 Depth=2
	s_delay_alu instid0(VALU_DEP_1) | instskip(NEXT) | instid1(VALU_DEP_3)
	v_fmac_f32_e32 v5, v4, v7
	v_mul_f32_e32 v4, v4, v6
; %bb.103:                              ;   in Loop: Header=BB79_61 Depth=2
	s_or_b32 exec_lo, exec_lo, s28
	s_delay_alu instid0(VALU_DEP_1) | instskip(NEXT) | instid1(VALU_DEP_3)
	v_mov_b32_dpp v6, v4 row_shr:4 row_mask:0xf bank_mask:0xf
	v_mov_b32_dpp v7, v5 row_shr:4 row_mask:0xf bank_mask:0xf
	s_and_saveexec_b32 s28, s2
; %bb.104:                              ;   in Loop: Header=BB79_61 Depth=2
	s_delay_alu instid0(VALU_DEP_1) | instskip(NEXT) | instid1(VALU_DEP_3)
	v_fmac_f32_e32 v5, v4, v7
	v_mul_f32_e32 v4, v4, v6
; %bb.105:                              ;   in Loop: Header=BB79_61 Depth=2
	s_or_b32 exec_lo, exec_lo, s28
	s_delay_alu instid0(VALU_DEP_1) | instskip(NEXT) | instid1(VALU_DEP_3)
	v_mov_b32_dpp v6, v4 row_shr:8 row_mask:0xf bank_mask:0xf
	v_mov_b32_dpp v7, v5 row_shr:8 row_mask:0xf bank_mask:0xf
	s_and_saveexec_b32 s28, s3
; %bb.106:                              ;   in Loop: Header=BB79_61 Depth=2
	s_delay_alu instid0(VALU_DEP_1) | instskip(NEXT) | instid1(VALU_DEP_3)
	v_fmac_f32_e32 v5, v4, v7
	v_mul_f32_e32 v4, v4, v6
; %bb.107:                              ;   in Loop: Header=BB79_61 Depth=2
	s_or_b32 exec_lo, exec_lo, s28
	ds_swizzle_b32 v7, v4 offset:swizzle(BROADCAST,32,15)
	ds_swizzle_b32 v6, v5 offset:swizzle(BROADCAST,32,15)
	s_and_saveexec_b32 s28, s4
	s_cbranch_execz .LBB79_109
; %bb.108:                              ;   in Loop: Header=BB79_61 Depth=2
	s_waitcnt lgkmcnt(1)
	v_mul_f32_e32 v7, v4, v7
	s_waitcnt lgkmcnt(0)
	s_delay_alu instid0(VALU_DEP_1)
	v_dual_fmac_f32 v5, v4, v6 :: v_dual_mov_b32 v4, v7
.LBB79_109:                             ;   in Loop: Header=BB79_61 Depth=2
	s_or_b32 exec_lo, exec_lo, s28
	s_and_saveexec_b32 s28, s5
	s_cbranch_execz .LBB79_111
; %bb.110:                              ;   in Loop: Header=BB79_61 Depth=2
	ds_store_b64 v35, v[4:5] offset:2112
.LBB79_111:                             ;   in Loop: Header=BB79_61 Depth=2
	s_or_b32 exec_lo, exec_lo, s28
	s_waitcnt lgkmcnt(0)
	s_waitcnt_vscnt null, 0x0
	s_barrier
	buffer_gl0_inv
	s_and_saveexec_b32 s28, s6
	s_cbranch_execz .LBB79_113
; %bb.112:                              ;   in Loop: Header=BB79_61 Depth=2
	ds_load_b64 v[6:7], v36 offset:2112
	s_waitcnt lgkmcnt(0)
	v_mov_b32_dpp v93, v6 row_shr:1 row_mask:0xf bank_mask:0xf
	v_mov_b32_dpp v94, v7 row_shr:1 row_mask:0xf bank_mask:0xf
	s_delay_alu instid0(VALU_DEP_2) | instskip(NEXT) | instid1(VALU_DEP_2)
	v_mul_f32_e32 v93, v6, v93
	v_fma_f32 v94, v6, v94, v7
	s_delay_alu instid0(VALU_DEP_2) | instskip(NEXT) | instid1(VALU_DEP_2)
	v_cndmask_b32_e64 v6, v93, v6, s7
	v_cndmask_b32_e64 v7, v94, v7, s7
	ds_store_b64 v36, v[6:7] offset:2112
.LBB79_113:                             ;   in Loop: Header=BB79_61 Depth=2
	s_or_b32 exec_lo, exec_lo, s28
	s_waitcnt lgkmcnt(0)
	s_barrier
	buffer_gl0_inv
                                        ; implicit-def: $vgpr7
	s_and_saveexec_b32 s28, s9
	s_cbranch_execz .LBB79_115
; %bb.114:                              ;   in Loop: Header=BB79_61 Depth=2
	ds_load_b64 v[6:7], v35 offset:2104
	s_waitcnt lgkmcnt(0)
	v_mul_f32_e32 v93, v4, v6
	s_delay_alu instid0(VALU_DEP_1)
	v_dual_fmac_f32 v5, v4, v7 :: v_dual_mov_b32 v4, v93
.LBB79_115:                             ;   in Loop: Header=BB79_61 Depth=2
	s_or_b32 exec_lo, exec_lo, s28
	ds_bpermute_b32 v93, v37, v4
	ds_bpermute_b32 v94, v37, v5
	s_and_saveexec_b32 s28, s8
	s_cbranch_execz .LBB79_119
; %bb.116:                              ;   in Loop: Header=BB79_61 Depth=2
	ds_load_b64 v[4:5], v13 offset:2120
	s_and_saveexec_b32 s39, s10
	s_cbranch_execz .LBB79_118
; %bb.117:                              ;   in Loop: Header=BB79_61 Depth=2
	ds_store_b64 v13, v[8:9] offset:2120
.LBB79_118:                             ;   in Loop: Header=BB79_61 Depth=2
	s_or_b32 exec_lo, exec_lo, s39
	s_waitcnt lgkmcnt(0)
	v_fmac_f32_e32 v5, v9, v4
	s_delay_alu instid0(VALU_DEP_1)
	v_dual_mul_f32 v8, v8, v4 :: v_dual_mov_b32 v9, v5
.LBB79_119:                             ;   in Loop: Header=BB79_61 Depth=2
	s_or_b32 exec_lo, exec_lo, s28
	s_waitcnt lgkmcnt(0)
	s_barrier
	buffer_gl0_inv
	ds_load_b32 v4, v13 offset:2124
	s_and_saveexec_b32 s28, s10
	s_cbranch_execz .LBB79_60
; %bb.120:                              ;   in Loop: Header=BB79_61 Depth=2
	v_mov_b32_e32 v5, s71
	s_and_not1_b32 vcc_lo, exec_lo, s69
	ds_store_b64 v5, v[8:9]
	s_cbranch_vccnz .LBB79_60
; %bb.121:                              ;   in Loop: Header=BB79_61 Depth=2
	s_mov_b32 s47, s53
	v_cvt_f16_f32_e32 v5, v9
	s_lshl_b64 s[72:73], s[46:47], 1
	s_delay_alu instid0(SALU_CYCLE_1)
	s_add_u32 s72, s49, s72
	s_addc_u32 s73, s60, s73
	global_store_b16 v13, v5, s[72:73]
	s_branch .LBB79_60
.LBB79_122:                             ;   in Loop: Header=BB79_12 Depth=1
	v_cvt_f16_f32_e32 v0, v64
	v_cvt_f16_f32_e32 v1, v63
	;; [unrolled: 1-line block ×8, first 2 shown]
	s_waitcnt_vscnt null, 0x0
	v_pack_b32_f16 v3, v3, v4
	v_pack_b32_f16 v2, v2, v5
	;; [unrolled: 1-line block ×4, first 2 shown]
	s_barrier
	buffer_gl0_inv
	s_mov_b32 s31, s53
	ds_store_b128 v27, v[0:3]
	; wave barrier
	ds_load_u16 v8, v20 offset:64
	ds_load_u16 v7, v21 offset:128
	;; [unrolled: 1-line block ×7, first 2 shown]
	s_lshl_b64 s[20:21], s[30:31], 1
	s_delay_alu instid0(SALU_CYCLE_1)
	v_add_co_u32 v0, vcc_lo, v38, s20
	v_add_co_ci_u32_e32 v1, vcc_lo, s21, v39, vcc_lo
	s_and_saveexec_b32 s20, s12
	s_cbranch_execnz .LBB79_132
; %bb.123:                              ;   in Loop: Header=BB79_12 Depth=1
	s_or_b32 exec_lo, exec_lo, s20
	s_and_saveexec_b32 s12, s13
	s_cbranch_execnz .LBB79_133
.LBB79_124:                             ;   in Loop: Header=BB79_12 Depth=1
	s_or_b32 exec_lo, exec_lo, s12
	s_and_saveexec_b32 s12, s14
	s_cbranch_execnz .LBB79_134
.LBB79_125:                             ;   in Loop: Header=BB79_12 Depth=1
	s_or_b32 exec_lo, exec_lo, s12
	s_and_saveexec_b32 s12, s15
	s_cbranch_execnz .LBB79_135
.LBB79_126:                             ;   in Loop: Header=BB79_12 Depth=1
	s_or_b32 exec_lo, exec_lo, s12
	s_and_saveexec_b32 s12, s16
	s_cbranch_execnz .LBB79_136
.LBB79_127:                             ;   in Loop: Header=BB79_12 Depth=1
	s_or_b32 exec_lo, exec_lo, s12
	s_and_saveexec_b32 s12, s17
	s_cbranch_execnz .LBB79_137
.LBB79_128:                             ;   in Loop: Header=BB79_12 Depth=1
	s_or_b32 exec_lo, exec_lo, s12
	s_and_saveexec_b32 s12, s18
	s_cbranch_execnz .LBB79_138
.LBB79_129:                             ;   in Loop: Header=BB79_12 Depth=1
	s_or_b32 exec_lo, exec_lo, s12
	s_and_saveexec_b32 s12, s19
	s_cbranch_execz .LBB79_11
	s_branch .LBB79_139
.LBB79_130:                             ;   in Loop: Header=BB79_12 Depth=1
	global_load_u16 v51, v[4:5], off offset:320
	s_or_b32 exec_lo, exec_lo, s20
	s_and_saveexec_b32 s20, s18
	s_cbranch_execz .LBB79_40
.LBB79_131:                             ;   in Loop: Header=BB79_12 Depth=1
	global_load_u16 v50, v[4:5], off offset:384
	s_or_b32 exec_lo, exec_lo, s20
	v_mov_b32_e32 v52, 0
	s_and_saveexec_b32 s20, s19
	s_cbranch_execnz .LBB79_41
	s_branch .LBB79_42
.LBB79_132:                             ;   in Loop: Header=BB79_12 Depth=1
	ds_load_u16 v9, v20
	s_waitcnt lgkmcnt(0)
	global_store_b16 v[0:1], v9, off
	s_or_b32 exec_lo, exec_lo, s20
	s_and_saveexec_b32 s12, s13
	s_cbranch_execz .LBB79_124
.LBB79_133:                             ;   in Loop: Header=BB79_12 Depth=1
	s_waitcnt lgkmcnt(6)
	global_store_b16 v[0:1], v8, off offset:64
	s_or_b32 exec_lo, exec_lo, s12
	s_and_saveexec_b32 s12, s14
	s_cbranch_execz .LBB79_125
.LBB79_134:                             ;   in Loop: Header=BB79_12 Depth=1
	s_waitcnt lgkmcnt(5)
	global_store_b16 v[0:1], v7, off offset:128
	s_or_b32 exec_lo, exec_lo, s12
	s_and_saveexec_b32 s12, s15
	s_cbranch_execz .LBB79_126
.LBB79_135:                             ;   in Loop: Header=BB79_12 Depth=1
	s_waitcnt lgkmcnt(4)
	global_store_b16 v[0:1], v6, off offset:192
	s_or_b32 exec_lo, exec_lo, s12
	s_and_saveexec_b32 s12, s16
	s_cbranch_execz .LBB79_127
.LBB79_136:                             ;   in Loop: Header=BB79_12 Depth=1
	s_waitcnt lgkmcnt(3)
	global_store_b16 v[0:1], v5, off offset:256
	s_or_b32 exec_lo, exec_lo, s12
	s_and_saveexec_b32 s12, s17
	s_cbranch_execz .LBB79_128
.LBB79_137:                             ;   in Loop: Header=BB79_12 Depth=1
	s_waitcnt lgkmcnt(2)
	global_store_b16 v[0:1], v4, off offset:320
	s_or_b32 exec_lo, exec_lo, s12
	s_and_saveexec_b32 s12, s18
	s_cbranch_execz .LBB79_129
.LBB79_138:                             ;   in Loop: Header=BB79_12 Depth=1
	s_waitcnt lgkmcnt(1)
	global_store_b16 v[0:1], v3, off offset:384
	s_or_b32 exec_lo, exec_lo, s12
	s_and_saveexec_b32 s12, s19
	s_cbranch_execz .LBB79_11
.LBB79_139:                             ;   in Loop: Header=BB79_12 Depth=1
	s_waitcnt lgkmcnt(0)
	global_store_b16 v[0:1], v2, off offset:448
	s_branch .LBB79_11
.LBB79_140:
	s_nop 0
	s_sendmsg sendmsg(MSG_DEALLOC_VGPRS)
	s_endpgm
	.section	.rodata,"a",@progbits
	.p2align	6, 0x0
	.amdhsa_kernel _Z25selective_scan_fwd_kernelI32Selective_Scan_fwd_kernel_traitsILi64ELi8ELi1ELb0ELb1ELb1ELb0ELb0EN3c104HalfEfS2_EEv13SSMParamsBase
		.amdhsa_group_segment_fixed_size 0
		.amdhsa_private_segment_fixed_size 0
		.amdhsa_kernarg_size 248
		.amdhsa_user_sgpr_count 14
		.amdhsa_user_sgpr_dispatch_ptr 0
		.amdhsa_user_sgpr_queue_ptr 0
		.amdhsa_user_sgpr_kernarg_segment_ptr 1
		.amdhsa_user_sgpr_dispatch_id 0
		.amdhsa_user_sgpr_private_segment_size 0
		.amdhsa_wavefront_size32 1
		.amdhsa_uses_dynamic_stack 0
		.amdhsa_enable_private_segment 0
		.amdhsa_system_sgpr_workgroup_id_x 1
		.amdhsa_system_sgpr_workgroup_id_y 1
		.amdhsa_system_sgpr_workgroup_id_z 0
		.amdhsa_system_sgpr_workgroup_info 0
		.amdhsa_system_vgpr_workitem_id 0
		.amdhsa_next_free_vgpr 95
		.amdhsa_next_free_sgpr 74
		.amdhsa_reserve_vcc 1
		.amdhsa_float_round_mode_32 0
		.amdhsa_float_round_mode_16_64 0
		.amdhsa_float_denorm_mode_32 3
		.amdhsa_float_denorm_mode_16_64 3
		.amdhsa_dx10_clamp 1
		.amdhsa_ieee_mode 1
		.amdhsa_fp16_overflow 0
		.amdhsa_workgroup_processor_mode 1
		.amdhsa_memory_ordered 1
		.amdhsa_forward_progress 0
		.amdhsa_shared_vgpr_count 0
		.amdhsa_exception_fp_ieee_invalid_op 0
		.amdhsa_exception_fp_denorm_src 0
		.amdhsa_exception_fp_ieee_div_zero 0
		.amdhsa_exception_fp_ieee_overflow 0
		.amdhsa_exception_fp_ieee_underflow 0
		.amdhsa_exception_fp_ieee_inexact 0
		.amdhsa_exception_int_div_zero 0
	.end_amdhsa_kernel
	.section	.text._Z25selective_scan_fwd_kernelI32Selective_Scan_fwd_kernel_traitsILi64ELi8ELi1ELb0ELb1ELb1ELb0ELb0EN3c104HalfEfS2_EEv13SSMParamsBase,"axG",@progbits,_Z25selective_scan_fwd_kernelI32Selective_Scan_fwd_kernel_traitsILi64ELi8ELi1ELb0ELb1ELb1ELb0ELb0EN3c104HalfEfS2_EEv13SSMParamsBase,comdat
.Lfunc_end79:
	.size	_Z25selective_scan_fwd_kernelI32Selective_Scan_fwd_kernel_traitsILi64ELi8ELi1ELb0ELb1ELb1ELb0ELb0EN3c104HalfEfS2_EEv13SSMParamsBase, .Lfunc_end79-_Z25selective_scan_fwd_kernelI32Selective_Scan_fwd_kernel_traitsILi64ELi8ELi1ELb0ELb1ELb1ELb0ELb0EN3c104HalfEfS2_EEv13SSMParamsBase
                                        ; -- End function
	.section	.AMDGPU.csdata,"",@progbits
; Kernel info:
; codeLenInByte = 11788
; NumSgprs: 76
; NumVgprs: 95
; ScratchSize: 0
; MemoryBound: 0
; FloatMode: 240
; IeeeMode: 1
; LDSByteSize: 0 bytes/workgroup (compile time only)
; SGPRBlocks: 9
; VGPRBlocks: 11
; NumSGPRsForWavesPerEU: 76
; NumVGPRsForWavesPerEU: 95
; Occupancy: 16
; WaveLimiterHint : 0
; COMPUTE_PGM_RSRC2:SCRATCH_EN: 0
; COMPUTE_PGM_RSRC2:USER_SGPR: 14
; COMPUTE_PGM_RSRC2:TRAP_HANDLER: 0
; COMPUTE_PGM_RSRC2:TGID_X_EN: 1
; COMPUTE_PGM_RSRC2:TGID_Y_EN: 1
; COMPUTE_PGM_RSRC2:TGID_Z_EN: 0
; COMPUTE_PGM_RSRC2:TIDIG_COMP_CNT: 0
	.section	.text._Z25selective_scan_fwd_kernelI32Selective_Scan_fwd_kernel_traitsILi64ELi16ELi1ELb1ELb1ELb1ELb1ELb1EN3c104HalfEfS2_EEv13SSMParamsBase,"axG",@progbits,_Z25selective_scan_fwd_kernelI32Selective_Scan_fwd_kernel_traitsILi64ELi16ELi1ELb1ELb1ELb1ELb1ELb1EN3c104HalfEfS2_EEv13SSMParamsBase,comdat
	.protected	_Z25selective_scan_fwd_kernelI32Selective_Scan_fwd_kernel_traitsILi64ELi16ELi1ELb1ELb1ELb1ELb1ELb1EN3c104HalfEfS2_EEv13SSMParamsBase ; -- Begin function _Z25selective_scan_fwd_kernelI32Selective_Scan_fwd_kernel_traitsILi64ELi16ELi1ELb1ELb1ELb1ELb1ELb1EN3c104HalfEfS2_EEv13SSMParamsBase
	.globl	_Z25selective_scan_fwd_kernelI32Selective_Scan_fwd_kernel_traitsILi64ELi16ELi1ELb1ELb1ELb1ELb1ELb1EN3c104HalfEfS2_EEv13SSMParamsBase
	.p2align	8
	.type	_Z25selective_scan_fwd_kernelI32Selective_Scan_fwd_kernel_traitsILi64ELi16ELi1ELb1ELb1ELb1ELb1ELb1EN3c104HalfEfS2_EEv13SSMParamsBase,@function
_Z25selective_scan_fwd_kernelI32Selective_Scan_fwd_kernel_traitsILi64ELi16ELi1ELb1ELb1ELb1ELb1ELb1EN3c104HalfEfS2_EEv13SSMParamsBase: ; @_Z25selective_scan_fwd_kernelI32Selective_Scan_fwd_kernel_traitsILi64ELi16ELi1ELb1ELb1ELb1ELb1ELb1EN3c104HalfEfS2_EEv13SSMParamsBase
; %bb.0:
	s_clause 0x2
	s_load_b32 s11, s[0:1], 0x18
	s_load_b256 s[36:43], s[0:1], 0xc8
	s_load_b128 s[4:7], s[0:1], 0xe8
	s_mov_b32 s12, s15
	s_ashr_i32 s15, s14, 31
	s_mov_b32 s47, 0
	s_lshl_b64 s[8:9], s[14:15], 2
	s_waitcnt lgkmcnt(0)
	s_abs_i32 s10, s11
	s_add_u32 s2, s42, s8
	v_cvt_f32_u32_e32 v1, s10
	s_addc_u32 s3, s43, s9
	s_cmp_eq_u64 s[6:7], 0
	s_delay_alu instid0(VALU_DEP_1) | instskip(SKIP_2) | instid1(VALU_DEP_1)
	v_rcp_iflag_f32_e32 v1, v1
	s_waitcnt_depctr 0xfff
	v_mul_f32_e32 v1, 0x4f7ffffe, v1
	v_cvt_u32_f32_e32 v1, v1
	s_delay_alu instid0(VALU_DEP_1)
	v_readfirstlane_b32 s33, v1
	s_cbranch_scc1 .LBB80_2
; %bb.1:
	v_mov_b32_e32 v1, 0
	s_add_u32 s6, s6, s14
	s_addc_u32 s7, s7, s15
	global_load_u8 v1, v1, s[6:7]
	s_waitcnt vmcnt(0)
	v_and_b32_e32 v1, 1, v1
	s_delay_alu instid0(VALU_DEP_1)
	v_cmp_eq_u32_e64 s47, 1, v1
.LBB80_2:
	s_load_b64 s[6:7], s[0:1], 0x20
	s_cmp_eq_u64 s[4:5], 0
	s_cbranch_scc1 .LBB80_4
; %bb.3:
	s_add_u32 s4, s4, s8
	s_addc_u32 s5, s5, s9
	s_load_b32 s14, s[4:5], 0x0
	s_waitcnt lgkmcnt(0)
	s_ashr_i32 s15, s14, 31
.LBB80_4:
	s_waitcnt lgkmcnt(0)
	s_cmp_eq_u64 s[6:7], s[14:15]
	s_cbranch_scc1 .LBB80_300
; %bb.5:
	s_load_b512 s[16:31], s[0:1], 0x88
	s_load_b64 s[34:35], s[2:3], 0x0
	s_mov_b32 s66, 0
	s_mov_b32 s67, 0
	s_waitcnt lgkmcnt(0)
	s_cmp_eq_u64 s[22:23], 0
	s_cbranch_scc1 .LBB80_7
; %bb.6:
	s_ashr_i32 s13, s12, 31
	s_delay_alu instid0(SALU_CYCLE_1) | instskip(NEXT) | instid1(SALU_CYCLE_1)
	s_lshl_b64 s[2:3], s[12:13], 2
	s_add_u32 s2, s22, s2
	s_addc_u32 s3, s23, s3
	s_load_b32 s67, s[2:3], 0x0
.LBB80_7:
	s_cmp_eq_u64 s[28:29], 0
	s_cbranch_scc1 .LBB80_9
; %bb.8:
	s_ashr_i32 s13, s12, 31
	s_delay_alu instid0(SALU_CYCLE_1) | instskip(NEXT) | instid1(SALU_CYCLE_1)
	s_lshl_b64 s[2:3], s[12:13], 2
	s_add_u32 s2, s28, s2
	s_addc_u32 s3, s29, s3
	s_load_b32 s66, s[2:3], 0x0
.LBB80_9:
	s_sub_i32 s68, s35, s34
	s_delay_alu instid0(SALU_CYCLE_1)
	s_cmp_lt_i32 s68, 1
	s_cbranch_scc1 .LBB80_300
; %bb.10:
	s_sub_i32 s2, 0, s10
	s_load_b256 s[48:55], s[0:1], 0x4c
	s_mul_i32 s2, s2, s33
	s_abs_i32 s3, s12
	s_mul_hi_u32 s2, s33, s2
	s_ashr_i32 s5, s11, 31
	s_add_i32 s33, s33, s2
	s_ashr_i32 s2, s12, 31
	s_mul_hi_u32 s4, s3, s33
	s_xor_b32 s5, s2, s5
	s_mul_i32 s6, s4, s10
	s_load_b256 s[56:63], s[0:1], 0x2c
	s_sub_i32 s2, s3, s6
	s_add_i32 s3, s4, 1
	s_sub_i32 s6, s2, s10
	s_cmp_ge_u32 s2, s10
	s_mov_b32 s65, 0
	s_cselect_b32 s3, s3, s4
	s_cselect_b32 s2, s6, s2
	s_add_i32 s4, s3, 1
	s_cmp_ge_u32 s2, s10
	s_waitcnt lgkmcnt(0)
	s_mul_i32 s64, s34, s50
	s_cselect_b32 s4, s4, s3
	s_lshl_b64 s[2:3], s[64:65], 1
	s_xor_b32 s4, s4, s5
	s_mul_i32 s64, s51, s12
	s_sub_i32 s6, s4, s5
	s_add_u32 s4, s24, s2
	s_addc_u32 s5, s25, s3
	s_lshl_b64 s[2:3], s[64:65], 1
	s_mul_i32 s64, s34, s52
	s_add_u32 s63, s4, s2
	s_addc_u32 s69, s5, s3
	s_lshl_b64 s[2:3], s[64:65], 1
	s_mul_i32 s64, s53, s12
	;; [unrolled: 4-line block ×3, first 2 shown]
	s_add_u32 s70, s4, s2
	s_addc_u32 s56, s5, s3
	s_load_b64 s[4:5], s[0:1], 0x7c
	v_dual_mov_b32 v21, 0 :: v_dual_lshlrev_b32 v18, 4, v0
	s_lshl_b64 s[2:3], s[64:65], 2
	s_mul_i32 s64, s34, s58
	s_add_u32 s71, s16, s2
	v_mbcnt_lo_u32_b32 v19, -1, 0
	v_and_b32_e32 v1, 0x200, v18
	s_addc_u32 s72, s17, s3
	s_lshl_b64 s[2:3], s[64:65], 1
	s_mul_i32 s64, s6, s61
	s_add_u32 s7, s18, s2
	s_addc_u32 s8, s19, s3
	s_clause 0x3
	s_load_b128 s[16:19], s[0:1], 0x6c
	s_load_b32 s74, s[0:1], 0x84
	s_load_b32 s77, s[0:1], 0xc
	;; [unrolled: 1-line block ×3, first 2 shown]
	v_or_b32_e32 v20, v19, v1
	s_lshl_b64 s[2:3], s[64:65], 1
	s_mul_i32 s64, s34, s62
	s_add_u32 s61, s7, s2
	s_addc_u32 s62, s8, s3
	s_lshl_b64 s[2:3], s[64:65], 1
	s_mul_i32 s64, s6, s49
	v_or_b32_e32 v24, 0x60, v20
	v_and_b32_e32 v14, 32, v0
	s_add_u32 s7, s20, s2
	s_addc_u32 s6, s21, s3
	s_lshl_b64 s[2:3], s[64:65], 1
	s_waitcnt lgkmcnt(0)
	s_mul_i32 s64, s14, s4
	s_add_u32 s49, s7, s2
	s_addc_u32 s73, s6, s3
	s_lshl_b64 s[2:3], s[64:65], 1
	v_or_b32_e32 v26, 0xa0, v20
	v_or_b32_e32 v28, 0xe0, v20
	v_or_b32_e32 v30, 0x120, v20
	v_or_b32_e32 v32, 0x160, v20
	v_or_b32_e32 v34, 0x1a0, v20
	v_lshrrev_b32_e32 v2, 5, v24
	v_or_b32_e32 v36, 0x1e0, v20
	v_or_b32_e32 v16, v19, v14
	s_mul_i32 s64, s5, s12
	s_add_u32 s4, s36, s2
	s_addc_u32 s5, s37, s3
	s_lshl_b64 s[2:3], s[64:65], 1
	v_or_b32_e32 v23, 64, v20
	s_add_u32 s75, s4, s2
	v_or_b32_e32 v25, 0x80, v20
	v_or_b32_e32 v27, 0xc0, v20
	;; [unrolled: 1-line block ×6, first 2 shown]
	v_and_b32_e32 v2, 18, v2
	v_lshrrev_b32_e32 v5, 5, v26
	v_lshrrev_b32_e32 v8, 5, v28
	;; [unrolled: 1-line block ×6, first 2 shown]
	v_lshrrev_b16 v50, 1, v16
	s_addc_u32 s76, s5, s3
	s_add_i32 s2, s68, 0x7ff
	v_lshrrev_b32_e32 v3, 5, v1
	s_lshr_b32 s78, s2, 11
	s_bitcmp1_b32 s0, 0
	v_lshrrev_b32_e32 v4, 5, v23
	v_lshrrev_b32_e32 v6, 5, v25
	v_add_lshl_u32 v2, v2, v20, 1
	v_and_b32_e32 v5, 20, v5
	v_lshrrev_b32_e32 v7, 5, v27
	v_and_b32_e32 v8, 22, v8
	v_lshrrev_b32_e32 v10, 5, v29
	;; [unrolled: 2-line block ×5, first 2 shown]
	v_and_b32_e32 v51, 30, v49
	v_lshlrev_b32_e32 v16, 4, v16
	v_and_b32_e32 v52, 30, v50
	s_cselect_b32 s79, -1, 0
	s_cmp_gt_i32 s77, 0
	v_add_lshl_u32 v3, v3, v20, 1
	s_cselect_b32 s80, -1, 0
	s_add_i32 s0, 0, 0x840
	v_add_lshl_u32 v4, v4, v20, 1
	v_add_lshl_u32 v6, v6, v20, 1
	v_add_nc_u32_e32 v39, 0, v2
	v_add_lshl_u32 v5, v5, v20, 1
	v_add_lshl_u32 v7, v7, v20, 1
	;; [unrolled: 1-line block ×12, first 2 shown]
	v_add_nc_u32_e32 v55, s0, v2
	v_and_b32_e32 v2, 15, v19
	s_and_b32 s1, s68, 0x3ff
	v_add_nc_u32_e32 v51, 0, v67
	v_add_nc_u32_e32 v53, s0, v3
	;; [unrolled: 1-line block ×15, first 2 shown]
	s_cmp_eq_u32 s1, 0
	v_add_nc_u32_e32 v68, s0, v16
	v_cmp_ne_u32_e64 s0, 0, v2
	v_cmp_lt_u32_e64 s1, 1, v2
	v_cmp_lt_u32_e64 s2, 3, v2
	;; [unrolled: 1-line block ×3, first 2 shown]
	v_add_nc_u32_e32 v2, -1, v19
	v_add_nc_u32_e32 v37, 0, v3
	v_lshrrev_b32_e32 v3, 2, v0
	s_mul_i32 s64, s34, s16
	v_add_nc_u32_e32 v41, 0, v5
	v_or_b32_e32 v5, 31, v14
	v_cmp_gt_i32_e32 vcc_lo, 0, v2
	s_cselect_b32 s81, -1, 0
	s_lshl_b64 s[14:15], s[64:65], 1
	v_and_b32_e32 v3, 8, v3
	s_add_i32 s82, s78, -1
	v_cndmask_b32_e32 v2, v2, v19, vcc_lo
	s_mul_i32 s64, s17, s12
	s_add_u32 s13, s30, s14
	s_addc_u32 s16, s31, s15
	s_lshl_b64 s[14:15], s[64:65], 1
	v_cmp_eq_u32_e64 s5, v5, v0
	v_cmp_gt_u32_e64 s6, 2, v0
	v_lshl_add_u32 v70, v0, 3, 0
	v_cmp_gt_u32_e64 s8, 32, v0
	v_cmp_lt_u32_e64 s9, 31, v0
	v_cmp_eq_u32_e64 s10, 0, v0
	s_mul_i32 s64, s34, s54
	v_lshlrev_b32_e32 v0, 1, v19
	s_add_u32 s13, s13, s14
	v_add_nc_u32_e32 v69, 0, v3
	v_and_b32_e32 v3, 1, v19
	s_addc_u32 s16, s16, s15
	s_lshl_b64 s[14:15], s[64:65], 1
	v_add_nc_u32_e32 v38, 0, v4
	v_and_b32_e32 v4, 16, v19
	s_mul_i32 s64, s55, s12
	s_add_u32 s17, s38, s14
	v_lshlrev_b32_e32 v71, 2, v2
	s_addc_u32 s20, s39, s15
	s_lshl_b64 s[14:15], s[64:65], 1
	v_add_co_u32 v2, s13, s13, v0
	s_mul_i32 s64, s34, s18
	v_cmp_eq_u32_e64 s7, 0, v3
	v_add_co_ci_u32_e64 v3, null, s16, 0, s13
	s_add_u32 s16, s17, s14
	v_cmp_ne_u32_e64 s4, 0, v4
	s_addc_u32 s17, s20, s15
	s_lshl_b64 s[14:15], s[64:65], 1
	v_lshlrev_b32_e32 v4, 1, v1
	s_mul_i32 s64, s19, s12
	s_add_u32 s14, s40, s14
	s_addc_u32 s15, s41, s15
	s_lshl_b64 s[12:13], s[64:65], 1
	v_add_co_u32 v72, vcc_lo, v2, v4
	s_add_u32 s12, s14, s12
	v_add_co_u32 v2, s14, s16, v0
	v_add_co_ci_u32_e32 v73, vcc_lo, 0, v3, vcc_lo
	v_add_co_ci_u32_e64 v3, null, s17, 0, s14
	s_addc_u32 s13, s15, s13
	v_add_co_u32 v0, s12, s12, v0
	s_delay_alu instid0(VALU_DEP_1) | instskip(SKIP_2) | instid1(VALU_DEP_4)
	v_add_co_ci_u32_e64 v5, null, s13, 0, s12
	v_add_co_u32 v74, vcc_lo, v2, v4
	v_add_co_ci_u32_e32 v75, vcc_lo, 0, v3, vcc_lo
	v_add_co_u32 v76, vcc_lo, v0, v4
	v_or_b32_e32 v22, 32, v20
	v_add_nc_u32_e32 v40, 0, v6
	v_add_nc_u32_e32 v42, 0, v7
	v_add_nc_u32_e32 v43, 0, v8
	v_add_nc_u32_e32 v44, 0, v10
	v_add_nc_u32_e32 v45, 0, v9
	v_add_nc_u32_e32 v46, 0, v12
	v_add_nc_u32_e32 v47, 0, v11
	v_add_nc_u32_e32 v48, 0, v13
	v_add_nc_u32_e32 v49, 0, v15
	v_add_nc_u32_e32 v50, 0, v17
	v_add_nc_u32_e32 v52, 0, v16
	v_cmp_eq_u32_e64 s11, 0, v19
	v_add_co_ci_u32_e32 v77, vcc_lo, 0, v5, vcc_lo
	v_or_b32_e32 v78, 1, v18
	v_or_b32_e32 v79, 2, v18
	;; [unrolled: 1-line block ×15, first 2 shown]
	v_lshlrev_b32_e32 v93, 1, v1
	s_mov_b32 s83, 0x3e9b6dac
	s_add_i32 s84, 0, 0x1090
	s_mov_b32 s85, 0xbfb8aa3b
	s_mov_b32 s86, 0xb2a5705f
	;; [unrolled: 1-line block ×3, first 2 shown]
	s_branch .LBB80_12
.LBB80_11:                              ;   in Loop: Header=BB80_12 Depth=1
	s_or_b32 exec_lo, exec_lo, s12
	s_add_u32 s70, s70, 0x800
	s_addc_u32 s56, s56, 0
	s_add_u32 s63, s63, 0x800
	s_addc_u32 s69, s69, 0
	;; [unrolled: 2-line block ×4, first 2 shown]
	s_add_i32 s87, s87, 1
	s_delay_alu instid0(SALU_CYCLE_1)
	s_cmp_lg_u32 s87, s78
	s_cbranch_scc0 .LBB80_300
.LBB80_12:                              ; =>This Loop Header: Depth=1
                                        ;     Child Loop BB80_109 Depth 2
	s_waitcnt lgkmcnt(14)
	v_lshlrev_b32_e32 v16, 1, v19
	s_lshl_b32 s50, s87, 10
	s_waitcnt lgkmcnt(0)
	v_mov_b32_e32 v2, 0
	s_sub_i32 s40, s68, s50
	v_add_co_u32 v0, s12, s63, v16
	s_delay_alu instid0(VALU_DEP_1) | instskip(SKIP_1) | instid1(VALU_DEP_3)
	v_add_co_ci_u32_e64 v1, null, s69, 0, s12
	v_cmp_gt_u32_e64 s12, s40, v20
	v_add_co_u32 v0, vcc_lo, v0, v93
	s_delay_alu instid0(VALU_DEP_3)
	v_add_co_ci_u32_e32 v1, vcc_lo, 0, v1, vcc_lo
	s_waitcnt_vscnt null, 0x0
	s_barrier
	buffer_gl0_inv
	s_and_saveexec_b32 s13, s12
	s_cbranch_execz .LBB80_14
; %bb.13:                               ;   in Loop: Header=BB80_12 Depth=1
	global_load_u16 v2, v[0:1], off
.LBB80_14:                              ;   in Loop: Header=BB80_12 Depth=1
	s_or_b32 exec_lo, exec_lo, s13
	v_cmp_gt_u32_e64 s13, s40, v22
	v_dual_mov_b32 v3, 0 :: v_dual_mov_b32 v4, 0
	s_delay_alu instid0(VALU_DEP_2)
	s_and_saveexec_b32 s14, s13
	s_cbranch_execz .LBB80_16
; %bb.15:                               ;   in Loop: Header=BB80_12 Depth=1
	global_load_u16 v4, v[0:1], off offset:64
.LBB80_16:                              ;   in Loop: Header=BB80_12 Depth=1
	s_or_b32 exec_lo, exec_lo, s14
	v_cmp_gt_u32_e64 s14, s40, v23
	s_delay_alu instid0(VALU_DEP_1)
	s_and_saveexec_b32 s15, s14
	s_cbranch_execz .LBB80_18
; %bb.17:                               ;   in Loop: Header=BB80_12 Depth=1
	global_load_u16 v3, v[0:1], off offset:128
.LBB80_18:                              ;   in Loop: Header=BB80_12 Depth=1
	s_or_b32 exec_lo, exec_lo, s15
	v_cmp_gt_u32_e64 s15, s40, v24
	v_dual_mov_b32 v5, 0 :: v_dual_mov_b32 v6, 0
	s_delay_alu instid0(VALU_DEP_2)
	s_and_saveexec_b32 s16, s15
	s_cbranch_execz .LBB80_20
; %bb.19:                               ;   in Loop: Header=BB80_12 Depth=1
	global_load_u16 v6, v[0:1], off offset:192
.LBB80_20:                              ;   in Loop: Header=BB80_12 Depth=1
	s_or_b32 exec_lo, exec_lo, s16
	v_cmp_gt_u32_e64 s16, s40, v25
	s_delay_alu instid0(VALU_DEP_1)
	s_and_saveexec_b32 s17, s16
	s_cbranch_execz .LBB80_22
; %bb.21:                               ;   in Loop: Header=BB80_12 Depth=1
	global_load_u16 v5, v[0:1], off offset:256
.LBB80_22:                              ;   in Loop: Header=BB80_12 Depth=1
	;; [unrolled: 17-line block ×3, first 2 shown]
	s_or_b32 exec_lo, exec_lo, s19
	v_cmp_gt_u32_e64 s19, s40, v28
	v_mov_b32_e32 v9, 0
	v_mov_b32_e32 v11, 0
	s_delay_alu instid0(VALU_DEP_3)
	s_and_saveexec_b32 s20, s19
	s_cbranch_execz .LBB80_28
; %bb.27:                               ;   in Loop: Header=BB80_12 Depth=1
	global_load_u16 v11, v[0:1], off offset:448
.LBB80_28:                              ;   in Loop: Header=BB80_12 Depth=1
	s_or_b32 exec_lo, exec_lo, s20
	v_cmp_gt_u32_e64 s20, s40, v29
	s_delay_alu instid0(VALU_DEP_1)
	s_and_saveexec_b32 s21, s20
	s_cbranch_execz .LBB80_30
; %bb.29:                               ;   in Loop: Header=BB80_12 Depth=1
	global_load_u16 v9, v[0:1], off offset:512
.LBB80_30:                              ;   in Loop: Header=BB80_12 Depth=1
	s_or_b32 exec_lo, exec_lo, s21
	v_cmp_gt_u32_e64 s21, s40, v30
	v_dual_mov_b32 v12, 0 :: v_dual_mov_b32 v13, 0
	s_delay_alu instid0(VALU_DEP_2)
	s_and_saveexec_b32 s22, s21
	s_cbranch_execz .LBB80_32
; %bb.31:                               ;   in Loop: Header=BB80_12 Depth=1
	global_load_u16 v13, v[0:1], off offset:576
.LBB80_32:                              ;   in Loop: Header=BB80_12 Depth=1
	s_or_b32 exec_lo, exec_lo, s22
	v_cmp_gt_u32_e64 s22, s40, v31
	s_delay_alu instid0(VALU_DEP_1)
	s_and_saveexec_b32 s23, s22
	s_cbranch_execz .LBB80_34
; %bb.33:                               ;   in Loop: Header=BB80_12 Depth=1
	global_load_u16 v12, v[0:1], off offset:640
.LBB80_34:                              ;   in Loop: Header=BB80_12 Depth=1
	s_or_b32 exec_lo, exec_lo, s23
	v_cmp_gt_u32_e64 s23, s40, v32
	v_dual_mov_b32 v14, 0 :: v_dual_mov_b32 v15, 0
	s_delay_alu instid0(VALU_DEP_2)
	;; [unrolled: 17-line block ×4, first 2 shown]
	s_and_saveexec_b32 s28, s27
	s_cbranch_execz .LBB80_44
; %bb.43:                               ;   in Loop: Header=BB80_12 Depth=1
	global_load_u16 v95, v[0:1], off offset:960
.LBB80_44:                              ;   in Loop: Header=BB80_12 Depth=1
	s_or_b32 exec_lo, exec_lo, s28
	s_waitcnt vmcnt(0)
	ds_store_b16 v37, v2
	ds_store_b16 v37, v4 offset:64
	ds_store_b16 v38, v3 offset:128
	ds_store_b16 v39, v6 offset:192
	ds_store_b16 v40, v5 offset:256
	ds_store_b16 v41, v8 offset:320
	ds_store_b16 v42, v7 offset:384
	ds_store_b16 v43, v11 offset:448
	ds_store_b16 v44, v9 offset:512
	ds_store_b16 v45, v13 offset:576
	ds_store_b16 v46, v12 offset:640
	ds_store_b16 v47, v15 offset:704
	ds_store_b16 v48, v14 offset:768
	ds_store_b16 v49, v94 offset:832
	ds_store_b16 v50, v17 offset:896
	ds_store_b16 v51, v95 offset:960
	; wave barrier
	ds_load_b128 v[0:3], v52
	ds_load_b128 v[4:7], v52 offset:16
	v_add_co_u32 v8, s28, s70, v16
	s_delay_alu instid0(VALU_DEP_1) | instskip(SKIP_1) | instid1(VALU_DEP_2)
	v_add_co_ci_u32_e64 v9, null, s56, 0, s28
	s_waitcnt lgkmcnt(0)
	v_add_co_u32 v8, vcc_lo, v8, v93
	s_delay_alu instid0(VALU_DEP_2)
	v_add_co_ci_u32_e32 v9, vcc_lo, 0, v9, vcc_lo
	s_barrier
	buffer_gl0_inv
	s_and_saveexec_b32 s28, s12
	s_cbranch_execz .LBB80_46
; %bb.45:                               ;   in Loop: Header=BB80_12 Depth=1
	global_load_u16 v10, v[8:9], off
.LBB80_46:                              ;   in Loop: Header=BB80_12 Depth=1
	s_or_b32 exec_lo, exec_lo, s28
	v_dual_mov_b32 v11, 0 :: v_dual_mov_b32 v12, 0
	s_and_saveexec_b32 s28, s13
	s_cbranch_execz .LBB80_48
; %bb.47:                               ;   in Loop: Header=BB80_12 Depth=1
	global_load_u16 v12, v[8:9], off offset:64
.LBB80_48:                              ;   in Loop: Header=BB80_12 Depth=1
	s_or_b32 exec_lo, exec_lo, s28
	s_and_saveexec_b32 s28, s14
	s_cbranch_execz .LBB80_50
; %bb.49:                               ;   in Loop: Header=BB80_12 Depth=1
	global_load_u16 v11, v[8:9], off offset:128
.LBB80_50:                              ;   in Loop: Header=BB80_12 Depth=1
	s_or_b32 exec_lo, exec_lo, s28
	v_dual_mov_b32 v13, 0 :: v_dual_mov_b32 v14, 0
	s_and_saveexec_b32 s28, s15
	s_cbranch_execz .LBB80_52
; %bb.51:                               ;   in Loop: Header=BB80_12 Depth=1
	global_load_u16 v14, v[8:9], off offset:192
.LBB80_52:                              ;   in Loop: Header=BB80_12 Depth=1
	s_or_b32 exec_lo, exec_lo, s28
	s_and_saveexec_b32 s28, s16
	s_cbranch_execz .LBB80_54
; %bb.53:                               ;   in Loop: Header=BB80_12 Depth=1
	global_load_u16 v13, v[8:9], off offset:256
.LBB80_54:                              ;   in Loop: Header=BB80_12 Depth=1
	s_or_b32 exec_lo, exec_lo, s28
	v_mov_b32_e32 v15, 0
	v_mov_b32_e32 v17, 0
	s_and_saveexec_b32 s28, s17
	s_cbranch_execz .LBB80_56
; %bb.55:                               ;   in Loop: Header=BB80_12 Depth=1
	global_load_u16 v17, v[8:9], off offset:320
.LBB80_56:                              ;   in Loop: Header=BB80_12 Depth=1
	s_or_b32 exec_lo, exec_lo, s28
	s_and_saveexec_b32 s28, s18
	s_cbranch_execz .LBB80_58
; %bb.57:                               ;   in Loop: Header=BB80_12 Depth=1
	global_load_u16 v15, v[8:9], off offset:384
.LBB80_58:                              ;   in Loop: Header=BB80_12 Depth=1
	s_or_b32 exec_lo, exec_lo, s28
	v_dual_mov_b32 v94, 0 :: v_dual_mov_b32 v95, 0
	s_and_saveexec_b32 s28, s19
	s_cbranch_execz .LBB80_60
; %bb.59:                               ;   in Loop: Header=BB80_12 Depth=1
	global_load_u16 v95, v[8:9], off offset:448
.LBB80_60:                              ;   in Loop: Header=BB80_12 Depth=1
	s_or_b32 exec_lo, exec_lo, s28
	s_and_saveexec_b32 s28, s20
	s_cbranch_execz .LBB80_62
; %bb.61:                               ;   in Loop: Header=BB80_12 Depth=1
	global_load_u16 v94, v[8:9], off offset:512
.LBB80_62:                              ;   in Loop: Header=BB80_12 Depth=1
	s_or_b32 exec_lo, exec_lo, s28
	v_dual_mov_b32 v96, 0 :: v_dual_mov_b32 v97, 0
	;; [unrolled: 13-line block ×4, first 2 shown]
	s_and_saveexec_b32 s28, s25
	s_cbranch_execnz .LBB80_267
; %bb.71:                               ;   in Loop: Header=BB80_12 Depth=1
	s_or_b32 exec_lo, exec_lo, s28
	s_and_saveexec_b32 s28, s26
	s_cbranch_execnz .LBB80_268
.LBB80_72:                              ;   in Loop: Header=BB80_12 Depth=1
	s_or_b32 exec_lo, exec_lo, s28
	v_mov_b32_e32 v102, 0
	s_and_saveexec_b32 s28, s27
	s_cbranch_execz .LBB80_74
.LBB80_73:                              ;   in Loop: Header=BB80_12 Depth=1
	global_load_u16 v102, v[8:9], off offset:960
.LBB80_74:                              ;   in Loop: Header=BB80_12 Depth=1
	s_or_b32 exec_lo, exec_lo, s28
	s_waitcnt vmcnt(0)
	ds_store_b16 v37, v10
	ds_store_b16 v37, v12 offset:64
	ds_store_b16 v38, v11 offset:128
	;; [unrolled: 1-line block ×15, first 2 shown]
	; wave barrier
	ds_load_b128 v[12:15], v52
	ds_load_b128 v[8:11], v52 offset:16
	s_waitcnt lgkmcnt(1)
	v_cvt_f32_f16_e32 v17, v12
	s_delay_alu instid0(VALU_DEP_1) | instskip(NEXT) | instid1(VALU_DEP_1)
	v_add_f32_e32 v94, s66, v17
	v_cmp_ge_f32_e32 vcc_lo, 0x41a00000, v94
	s_and_b32 s28, s79, vcc_lo
	s_delay_alu instid0(SALU_CYCLE_1)
	s_and_saveexec_b32 s29, s28
	s_cbranch_execz .LBB80_76
; %bb.75:                               ;   in Loop: Header=BB80_12 Depth=1
	v_mul_f32_e32 v17, 0x3fb8aa3b, v94
	v_cmp_ngt_f32_e32 vcc_lo, 0xc2ce8ed0, v94
	s_delay_alu instid0(VALU_DEP_2) | instskip(SKIP_1) | instid1(VALU_DEP_1)
	v_rndne_f32_e32 v95, v17
	v_fma_f32 v96, 0x3fb8aa3b, v94, -v17
	v_dual_sub_f32 v17, v17, v95 :: v_dual_fmac_f32 v96, 0x32a5705f, v94
	v_cvt_i32_f32_e32 v95, v95
	s_delay_alu instid0(VALU_DEP_2) | instskip(NEXT) | instid1(VALU_DEP_1)
	v_add_f32_e32 v17, v17, v96
	v_exp_f32_e32 v17, v17
	s_waitcnt_depctr 0xfff
	v_ldexp_f32 v17, v17, v95
	s_delay_alu instid0(VALU_DEP_1) | instskip(SKIP_1) | instid1(VALU_DEP_2)
	v_cndmask_b32_e32 v17, 0, v17, vcc_lo
	v_cmp_nlt_f32_e32 vcc_lo, 0x42b17218, v94
	v_cndmask_b32_e32 v17, 0x7f800000, v17, vcc_lo
	s_delay_alu instid0(VALU_DEP_1) | instskip(NEXT) | instid1(VALU_DEP_1)
	v_add_f32_e32 v96, 1.0, v17
	v_cvt_f64_f32_e32 v[94:95], v96
	s_delay_alu instid0(VALU_DEP_1) | instskip(SKIP_1) | instid1(VALU_DEP_1)
	v_frexp_exp_i32_f64_e32 v94, v[94:95]
	v_frexp_mant_f32_e32 v95, v96
	v_cmp_gt_f32_e32 vcc_lo, 0x3f2aaaab, v95
	v_add_f32_e32 v95, -1.0, v96
	s_delay_alu instid0(VALU_DEP_1) | instskip(NEXT) | instid1(VALU_DEP_1)
	v_dual_sub_f32 v98, v95, v96 :: v_dual_sub_f32 v95, v17, v95
	v_add_f32_e32 v98, 1.0, v98
	v_subrev_co_ci_u32_e32 v94, vcc_lo, 0, v94, vcc_lo
	s_delay_alu instid0(VALU_DEP_1) | instskip(SKIP_1) | instid1(VALU_DEP_2)
	v_sub_nc_u32_e32 v97, 0, v94
	v_cvt_f32_i32_e32 v94, v94
	v_ldexp_f32 v96, v96, v97
	v_add_f32_e32 v95, v95, v98
	s_delay_alu instid0(VALU_DEP_1) | instskip(NEXT) | instid1(VALU_DEP_3)
	v_ldexp_f32 v95, v95, v97
	v_add_f32_e32 v99, 1.0, v96
	s_delay_alu instid0(VALU_DEP_1) | instskip(NEXT) | instid1(VALU_DEP_1)
	v_add_f32_e32 v98, -1.0, v99
	v_sub_f32_e32 v98, v96, v98
	v_cmp_eq_f32_e32 vcc_lo, 0x7f800000, v17
	v_cmp_gt_f32_e64 s28, 0x33800000, v17
	s_delay_alu instid0(VALU_DEP_3) | instskip(NEXT) | instid1(VALU_DEP_2)
	v_dual_add_f32 v98, v95, v98 :: v_dual_add_f32 v97, -1.0, v96
	s_or_b32 vcc_lo, s28, vcc_lo
	s_delay_alu instid0(VALU_DEP_1) | instskip(NEXT) | instid1(VALU_DEP_1)
	v_add_f32_e32 v100, 1.0, v97
	v_sub_f32_e32 v96, v96, v100
	s_delay_alu instid0(VALU_DEP_3) | instskip(NEXT) | instid1(VALU_DEP_1)
	v_add_f32_e32 v100, v99, v98
	v_sub_f32_e32 v99, v99, v100
	s_delay_alu instid0(VALU_DEP_3) | instskip(SKIP_1) | instid1(VALU_DEP_2)
	v_add_f32_e32 v95, v95, v96
	v_rcp_f32_e32 v96, v100
	v_add_f32_e32 v98, v98, v99
	s_delay_alu instid0(VALU_DEP_2) | instskip(NEXT) | instid1(VALU_DEP_1)
	v_add_f32_e32 v101, v97, v95
	v_sub_f32_e32 v97, v97, v101
	s_waitcnt_depctr 0xfff
	v_dual_mul_f32 v102, v101, v96 :: v_dual_add_f32 v95, v95, v97
	s_delay_alu instid0(VALU_DEP_1) | instskip(NEXT) | instid1(VALU_DEP_1)
	v_mul_f32_e32 v103, v100, v102
	v_fma_f32 v99, v102, v100, -v103
	s_delay_alu instid0(VALU_DEP_1) | instskip(NEXT) | instid1(VALU_DEP_1)
	v_fmac_f32_e32 v99, v102, v98
	v_add_f32_e32 v104, v103, v99
	s_delay_alu instid0(VALU_DEP_1) | instskip(NEXT) | instid1(VALU_DEP_1)
	v_sub_f32_e32 v105, v101, v104
	v_sub_f32_e32 v101, v101, v105
	;; [unrolled: 1-line block ×3, first 2 shown]
	s_delay_alu instid0(VALU_DEP_2) | instskip(NEXT) | instid1(VALU_DEP_2)
	v_sub_f32_e32 v101, v101, v104
	v_sub_f32_e32 v97, v97, v99
	s_delay_alu instid0(VALU_DEP_2) | instskip(NEXT) | instid1(VALU_DEP_1)
	v_add_f32_e32 v95, v95, v101
	v_add_f32_e32 v95, v97, v95
	s_delay_alu instid0(VALU_DEP_1) | instskip(NEXT) | instid1(VALU_DEP_1)
	v_add_f32_e32 v97, v105, v95
	v_mul_f32_e32 v99, v96, v97
	s_delay_alu instid0(VALU_DEP_1) | instskip(NEXT) | instid1(VALU_DEP_1)
	v_dual_sub_f32 v104, v105, v97 :: v_dual_mul_f32 v101, v100, v99
	v_add_f32_e32 v95, v95, v104
	s_delay_alu instid0(VALU_DEP_2) | instskip(NEXT) | instid1(VALU_DEP_1)
	v_fma_f32 v100, v99, v100, -v101
	v_fmac_f32_e32 v100, v99, v98
	s_delay_alu instid0(VALU_DEP_1) | instskip(NEXT) | instid1(VALU_DEP_1)
	v_add_f32_e32 v98, v101, v100
	v_sub_f32_e32 v103, v97, v98
	v_sub_f32_e32 v101, v98, v101
	s_delay_alu instid0(VALU_DEP_2) | instskip(NEXT) | instid1(VALU_DEP_1)
	v_sub_f32_e32 v97, v97, v103
	v_sub_f32_e32 v97, v97, v98
	s_delay_alu instid0(VALU_DEP_1) | instskip(SKIP_1) | instid1(VALU_DEP_1)
	v_dual_sub_f32 v98, v101, v100 :: v_dual_add_f32 v95, v95, v97
	v_add_f32_e32 v97, v102, v99
	v_dual_add_f32 v95, v98, v95 :: v_dual_sub_f32 v98, v97, v102
	s_delay_alu instid0(VALU_DEP_1) | instskip(NEXT) | instid1(VALU_DEP_1)
	v_add_f32_e32 v95, v103, v95
	v_dual_sub_f32 v98, v99, v98 :: v_dual_mul_f32 v95, v96, v95
	s_delay_alu instid0(VALU_DEP_1) | instskip(NEXT) | instid1(VALU_DEP_1)
	v_add_f32_e32 v95, v98, v95
	v_add_f32_e32 v96, v97, v95
	s_delay_alu instid0(VALU_DEP_1) | instskip(NEXT) | instid1(VALU_DEP_1)
	v_mul_f32_e32 v98, v96, v96
	v_fmaak_f32 v99, s83, v98, 0x3ecc95a3
	v_mul_f32_e32 v100, v96, v98
	s_delay_alu instid0(VALU_DEP_2) | instskip(SKIP_2) | instid1(VALU_DEP_3)
	v_fmaak_f32 v98, v98, v99, 0x3f2aaada
	v_ldexp_f32 v99, v96, 1
	v_sub_f32_e32 v96, v96, v97
	v_mul_f32_e32 v98, v100, v98
	s_delay_alu instid0(VALU_DEP_2) | instskip(NEXT) | instid1(VALU_DEP_2)
	v_dual_mul_f32 v100, 0x3f317218, v94 :: v_dual_sub_f32 v95, v95, v96
	v_add_f32_e32 v97, v99, v98
	s_delay_alu instid0(VALU_DEP_2) | instskip(NEXT) | instid1(VALU_DEP_2)
	v_ldexp_f32 v95, v95, 1
	v_sub_f32_e32 v96, v97, v99
	s_delay_alu instid0(VALU_DEP_4) | instskip(NEXT) | instid1(VALU_DEP_1)
	v_fma_f32 v99, 0x3f317218, v94, -v100
	v_dual_sub_f32 v96, v98, v96 :: v_dual_fmac_f32 v99, 0xb102e308, v94
	s_delay_alu instid0(VALU_DEP_1) | instskip(NEXT) | instid1(VALU_DEP_1)
	v_dual_add_f32 v94, v95, v96 :: v_dual_add_f32 v95, v100, v99
	v_add_f32_e32 v96, v97, v94
	s_delay_alu instid0(VALU_DEP_2) | instskip(NEXT) | instid1(VALU_DEP_2)
	v_sub_f32_e32 v100, v95, v100
	v_dual_add_f32 v98, v95, v96 :: v_dual_sub_f32 v97, v96, v97
	s_delay_alu instid0(VALU_DEP_2) | instskip(NEXT) | instid1(VALU_DEP_2)
	v_sub_f32_e32 v99, v99, v100
	v_sub_f32_e32 v101, v98, v95
	s_delay_alu instid0(VALU_DEP_3) | instskip(NEXT) | instid1(VALU_DEP_2)
	v_sub_f32_e32 v94, v94, v97
	v_sub_f32_e32 v102, v98, v101
	s_delay_alu instid0(VALU_DEP_2) | instskip(NEXT) | instid1(VALU_DEP_2)
	v_dual_sub_f32 v96, v96, v101 :: v_dual_add_f32 v97, v99, v94
	v_sub_f32_e32 v95, v95, v102
	s_delay_alu instid0(VALU_DEP_1) | instskip(NEXT) | instid1(VALU_DEP_3)
	v_add_f32_e32 v95, v96, v95
	v_sub_f32_e32 v96, v97, v99
	s_delay_alu instid0(VALU_DEP_2) | instskip(NEXT) | instid1(VALU_DEP_2)
	v_add_f32_e32 v95, v97, v95
	v_sub_f32_e32 v97, v97, v96
	v_sub_f32_e32 v94, v94, v96
	s_delay_alu instid0(VALU_DEP_2) | instskip(NEXT) | instid1(VALU_DEP_1)
	v_dual_add_f32 v100, v98, v95 :: v_dual_sub_f32 v97, v99, v97
	v_sub_f32_e32 v96, v100, v98
	s_delay_alu instid0(VALU_DEP_1) | instskip(NEXT) | instid1(VALU_DEP_1)
	v_dual_add_f32 v94, v94, v97 :: v_dual_sub_f32 v95, v95, v96
	v_add_f32_e32 v94, v94, v95
	s_delay_alu instid0(VALU_DEP_1) | instskip(NEXT) | instid1(VALU_DEP_1)
	v_add_f32_e32 v94, v100, v94
	v_cndmask_b32_e32 v94, v94, v17, vcc_lo
.LBB80_76:                              ;   in Loop: Header=BB80_12 Depth=1
	s_or_b32 exec_lo, exec_lo, s29
	v_lshrrev_b32_e32 v12, 16, v12
	s_delay_alu instid0(VALU_DEP_1) | instskip(NEXT) | instid1(VALU_DEP_1)
	v_cvt_f32_f16_e32 v12, v12
	v_add_f32_e32 v95, s66, v12
	s_delay_alu instid0(VALU_DEP_1) | instskip(SKIP_1) | instid1(SALU_CYCLE_1)
	v_cmp_ge_f32_e32 vcc_lo, 0x41a00000, v95
	s_and_b32 s28, s79, vcc_lo
	s_and_saveexec_b32 s29, s28
	s_cbranch_execz .LBB80_78
; %bb.77:                               ;   in Loop: Header=BB80_12 Depth=1
	v_mul_f32_e32 v12, 0x3fb8aa3b, v95
	v_cmp_ngt_f32_e32 vcc_lo, 0xc2ce8ed0, v95
	s_delay_alu instid0(VALU_DEP_2) | instskip(SKIP_1) | instid1(VALU_DEP_2)
	v_rndne_f32_e32 v17, v12
	v_fma_f32 v96, 0x3fb8aa3b, v95, -v12
	v_sub_f32_e32 v12, v12, v17
	s_delay_alu instid0(VALU_DEP_2) | instskip(SKIP_1) | instid1(VALU_DEP_2)
	v_fmac_f32_e32 v96, 0x32a5705f, v95
	v_cvt_i32_f32_e32 v17, v17
	v_add_f32_e32 v12, v12, v96
	s_delay_alu instid0(VALU_DEP_1) | instskip(SKIP_2) | instid1(VALU_DEP_1)
	v_exp_f32_e32 v12, v12
	s_waitcnt_depctr 0xfff
	v_ldexp_f32 v12, v12, v17
	v_cndmask_b32_e32 v12, 0, v12, vcc_lo
	v_cmp_nlt_f32_e32 vcc_lo, 0x42b17218, v95
	s_delay_alu instid0(VALU_DEP_2) | instskip(NEXT) | instid1(VALU_DEP_1)
	v_cndmask_b32_e32 v12, 0x7f800000, v12, vcc_lo
	v_add_f32_e32 v17, 1.0, v12
	s_delay_alu instid0(VALU_DEP_1) | instskip(NEXT) | instid1(VALU_DEP_1)
	v_cvt_f64_f32_e32 v[95:96], v17
	v_frexp_exp_i32_f64_e32 v95, v[95:96]
	v_frexp_mant_f32_e32 v96, v17
	s_delay_alu instid0(VALU_DEP_1) | instskip(SKIP_1) | instid1(VALU_DEP_1)
	v_cmp_gt_f32_e32 vcc_lo, 0x3f2aaaab, v96
	v_add_f32_e32 v96, -1.0, v17
	v_sub_f32_e32 v98, v96, v17
	v_sub_f32_e32 v96, v12, v96
	s_delay_alu instid0(VALU_DEP_2) | instskip(NEXT) | instid1(VALU_DEP_1)
	v_add_f32_e32 v98, 1.0, v98
	v_add_f32_e32 v96, v96, v98
	v_subrev_co_ci_u32_e32 v95, vcc_lo, 0, v95, vcc_lo
	s_delay_alu instid0(VALU_DEP_1) | instskip(SKIP_1) | instid1(VALU_DEP_2)
	v_sub_nc_u32_e32 v97, 0, v95
	v_cvt_f32_i32_e32 v95, v95
	v_ldexp_f32 v17, v17, v97
	v_ldexp_f32 v96, v96, v97
	s_delay_alu instid0(VALU_DEP_2) | instskip(NEXT) | instid1(VALU_DEP_1)
	v_add_f32_e32 v99, 1.0, v17
	v_dual_add_f32 v97, -1.0, v17 :: v_dual_add_f32 v98, -1.0, v99
	s_delay_alu instid0(VALU_DEP_1) | instskip(NEXT) | instid1(VALU_DEP_2)
	v_add_f32_e32 v100, 1.0, v97
	v_sub_f32_e32 v98, v17, v98
	s_delay_alu instid0(VALU_DEP_2) | instskip(NEXT) | instid1(VALU_DEP_1)
	v_sub_f32_e32 v17, v17, v100
	v_add_f32_e32 v17, v96, v17
	s_delay_alu instid0(VALU_DEP_1) | instskip(SKIP_2) | instid1(VALU_DEP_3)
	v_add_f32_e32 v101, v97, v17
	v_cmp_eq_f32_e32 vcc_lo, 0x7f800000, v12
	v_cmp_gt_f32_e64 s28, 0x33800000, v12
	v_dual_sub_f32 v97, v97, v101 :: v_dual_add_f32 v98, v96, v98
	s_delay_alu instid0(VALU_DEP_2) | instskip(NEXT) | instid1(VALU_DEP_1)
	s_or_b32 vcc_lo, s28, vcc_lo
	v_dual_add_f32 v17, v17, v97 :: v_dual_add_f32 v100, v99, v98
	s_delay_alu instid0(VALU_DEP_1) | instskip(SKIP_1) | instid1(VALU_DEP_1)
	v_rcp_f32_e32 v96, v100
	v_sub_f32_e32 v99, v99, v100
	v_add_f32_e32 v98, v98, v99
	s_waitcnt_depctr 0xfff
	v_mul_f32_e32 v102, v101, v96
	s_delay_alu instid0(VALU_DEP_1) | instskip(NEXT) | instid1(VALU_DEP_1)
	v_mul_f32_e32 v103, v100, v102
	v_fma_f32 v99, v102, v100, -v103
	s_delay_alu instid0(VALU_DEP_1) | instskip(NEXT) | instid1(VALU_DEP_1)
	v_fmac_f32_e32 v99, v102, v98
	v_add_f32_e32 v104, v103, v99
	s_delay_alu instid0(VALU_DEP_1) | instskip(SKIP_1) | instid1(VALU_DEP_2)
	v_sub_f32_e32 v105, v101, v104
	v_sub_f32_e32 v97, v104, v103
	;; [unrolled: 1-line block ×3, first 2 shown]
	s_delay_alu instid0(VALU_DEP_2) | instskip(NEXT) | instid1(VALU_DEP_2)
	v_sub_f32_e32 v97, v97, v99
	v_sub_f32_e32 v101, v101, v104
	s_delay_alu instid0(VALU_DEP_1) | instskip(NEXT) | instid1(VALU_DEP_1)
	v_add_f32_e32 v17, v17, v101
	v_add_f32_e32 v17, v97, v17
	s_delay_alu instid0(VALU_DEP_1) | instskip(NEXT) | instid1(VALU_DEP_1)
	v_add_f32_e32 v97, v105, v17
	v_mul_f32_e32 v99, v96, v97
	s_delay_alu instid0(VALU_DEP_1) | instskip(NEXT) | instid1(VALU_DEP_1)
	v_mul_f32_e32 v101, v100, v99
	v_fma_f32 v100, v99, v100, -v101
	s_delay_alu instid0(VALU_DEP_1) | instskip(SKIP_1) | instid1(VALU_DEP_2)
	v_fmac_f32_e32 v100, v99, v98
	v_sub_f32_e32 v104, v105, v97
	v_add_f32_e32 v98, v101, v100
	s_delay_alu instid0(VALU_DEP_2) | instskip(NEXT) | instid1(VALU_DEP_2)
	v_add_f32_e32 v17, v17, v104
	v_sub_f32_e32 v103, v97, v98
	s_delay_alu instid0(VALU_DEP_1) | instskip(NEXT) | instid1(VALU_DEP_1)
	v_sub_f32_e32 v97, v97, v103
	v_sub_f32_e32 v97, v97, v98
	s_delay_alu instid0(VALU_DEP_1) | instskip(SKIP_2) | instid1(VALU_DEP_1)
	v_add_f32_e32 v17, v17, v97
	v_add_f32_e32 v97, v102, v99
	v_sub_f32_e32 v101, v98, v101
	v_sub_f32_e32 v98, v101, v100
	s_delay_alu instid0(VALU_DEP_1) | instskip(NEXT) | instid1(VALU_DEP_1)
	v_dual_add_f32 v17, v98, v17 :: v_dual_sub_f32 v98, v97, v102
	v_add_f32_e32 v17, v103, v17
	s_delay_alu instid0(VALU_DEP_1) | instskip(NEXT) | instid1(VALU_DEP_1)
	v_dual_sub_f32 v98, v99, v98 :: v_dual_mul_f32 v17, v96, v17
	v_add_f32_e32 v17, v98, v17
	s_delay_alu instid0(VALU_DEP_1) | instskip(NEXT) | instid1(VALU_DEP_1)
	v_add_f32_e32 v96, v97, v17
	v_mul_f32_e32 v98, v96, v96
	s_delay_alu instid0(VALU_DEP_1) | instskip(SKIP_1) | instid1(VALU_DEP_2)
	v_fmaak_f32 v99, s83, v98, 0x3ecc95a3
	v_mul_f32_e32 v100, v96, v98
	v_fmaak_f32 v98, v98, v99, 0x3f2aaada
	v_ldexp_f32 v99, v96, 1
	s_delay_alu instid0(VALU_DEP_2) | instskip(SKIP_1) | instid1(VALU_DEP_2)
	v_mul_f32_e32 v98, v100, v98
	v_sub_f32_e32 v96, v96, v97
	v_dual_mul_f32 v100, 0x3f317218, v95 :: v_dual_add_f32 v97, v99, v98
	s_delay_alu instid0(VALU_DEP_2) | instskip(NEXT) | instid1(VALU_DEP_2)
	v_sub_f32_e32 v17, v17, v96
	v_sub_f32_e32 v96, v97, v99
	s_delay_alu instid0(VALU_DEP_3) | instskip(NEXT) | instid1(VALU_DEP_3)
	v_fma_f32 v99, 0x3f317218, v95, -v100
	v_ldexp_f32 v17, v17, 1
	s_delay_alu instid0(VALU_DEP_2) | instskip(NEXT) | instid1(VALU_DEP_1)
	v_dual_sub_f32 v96, v98, v96 :: v_dual_fmac_f32 v99, 0xb102e308, v95
	v_add_f32_e32 v17, v17, v96
	s_delay_alu instid0(VALU_DEP_1) | instskip(NEXT) | instid1(VALU_DEP_1)
	v_dual_add_f32 v95, v100, v99 :: v_dual_add_f32 v96, v97, v17
	v_sub_f32_e32 v100, v95, v100
	s_delay_alu instid0(VALU_DEP_2) | instskip(NEXT) | instid1(VALU_DEP_2)
	v_dual_add_f32 v98, v95, v96 :: v_dual_sub_f32 v97, v96, v97
	v_sub_f32_e32 v99, v99, v100
	s_delay_alu instid0(VALU_DEP_2) | instskip(NEXT) | instid1(VALU_DEP_1)
	v_sub_f32_e32 v101, v98, v95
	v_sub_f32_e32 v102, v98, v101
	;; [unrolled: 1-line block ×4, first 2 shown]
	s_delay_alu instid0(VALU_DEP_1) | instskip(NEXT) | instid1(VALU_DEP_4)
	v_add_f32_e32 v97, v99, v17
	v_sub_f32_e32 v95, v95, v102
	s_delay_alu instid0(VALU_DEP_1) | instskip(NEXT) | instid1(VALU_DEP_3)
	v_add_f32_e32 v95, v96, v95
	v_sub_f32_e32 v96, v97, v99
	s_delay_alu instid0(VALU_DEP_2) | instskip(NEXT) | instid1(VALU_DEP_2)
	v_add_f32_e32 v95, v97, v95
	v_sub_f32_e32 v97, v97, v96
	s_delay_alu instid0(VALU_DEP_2) | instskip(NEXT) | instid1(VALU_DEP_1)
	v_dual_sub_f32 v17, v17, v96 :: v_dual_add_f32 v100, v98, v95
	v_dual_sub_f32 v96, v100, v98 :: v_dual_sub_f32 v97, v99, v97
	s_delay_alu instid0(VALU_DEP_1) | instskip(NEXT) | instid1(VALU_DEP_2)
	v_sub_f32_e32 v95, v95, v96
	v_add_f32_e32 v17, v17, v97
	s_delay_alu instid0(VALU_DEP_1) | instskip(NEXT) | instid1(VALU_DEP_1)
	v_add_f32_e32 v17, v17, v95
	v_add_f32_e32 v17, v100, v17
	s_delay_alu instid0(VALU_DEP_1)
	v_cndmask_b32_e32 v95, v17, v12, vcc_lo
.LBB80_78:                              ;   in Loop: Header=BB80_12 Depth=1
	s_or_b32 exec_lo, exec_lo, s29
	v_cvt_f32_f16_e32 v12, v13
	s_delay_alu instid0(VALU_DEP_1) | instskip(NEXT) | instid1(VALU_DEP_1)
	v_add_f32_e32 v96, s66, v12
	v_cmp_ge_f32_e32 vcc_lo, 0x41a00000, v96
	s_and_b32 s28, s79, vcc_lo
	s_delay_alu instid0(SALU_CYCLE_1)
	s_and_saveexec_b32 s29, s28
	s_cbranch_execz .LBB80_80
; %bb.79:                               ;   in Loop: Header=BB80_12 Depth=1
	v_mul_f32_e32 v12, 0x3fb8aa3b, v96
	v_cmp_ngt_f32_e32 vcc_lo, 0xc2ce8ed0, v96
	s_delay_alu instid0(VALU_DEP_2) | instskip(SKIP_1) | instid1(VALU_DEP_1)
	v_rndne_f32_e32 v17, v12
	v_fma_f32 v97, 0x3fb8aa3b, v96, -v12
	v_dual_sub_f32 v12, v12, v17 :: v_dual_fmac_f32 v97, 0x32a5705f, v96
	v_cvt_i32_f32_e32 v17, v17
	s_delay_alu instid0(VALU_DEP_2) | instskip(NEXT) | instid1(VALU_DEP_1)
	v_add_f32_e32 v12, v12, v97
	v_exp_f32_e32 v12, v12
	s_waitcnt_depctr 0xfff
	v_ldexp_f32 v12, v12, v17
	s_delay_alu instid0(VALU_DEP_1) | instskip(SKIP_1) | instid1(VALU_DEP_2)
	v_cndmask_b32_e32 v12, 0, v12, vcc_lo
	v_cmp_nlt_f32_e32 vcc_lo, 0x42b17218, v96
	v_cndmask_b32_e32 v12, 0x7f800000, v12, vcc_lo
	s_delay_alu instid0(VALU_DEP_1) | instskip(NEXT) | instid1(VALU_DEP_1)
	v_add_f32_e32 v17, 1.0, v12
	v_cvt_f64_f32_e32 v[96:97], v17
	s_delay_alu instid0(VALU_DEP_1) | instskip(SKIP_1) | instid1(VALU_DEP_1)
	v_frexp_exp_i32_f64_e32 v96, v[96:97]
	v_frexp_mant_f32_e32 v97, v17
	v_cmp_gt_f32_e32 vcc_lo, 0x3f2aaaab, v97
	v_add_f32_e32 v97, -1.0, v17
	s_delay_alu instid0(VALU_DEP_1) | instskip(SKIP_1) | instid1(VALU_DEP_2)
	v_sub_f32_e32 v99, v97, v17
	v_sub_f32_e32 v97, v12, v97
	v_add_f32_e32 v99, 1.0, v99
	s_delay_alu instid0(VALU_DEP_1) | instskip(SKIP_3) | instid1(VALU_DEP_2)
	v_add_f32_e32 v97, v97, v99
	v_cmp_gt_f32_e64 s28, 0x33800000, v12
	v_subrev_co_ci_u32_e32 v96, vcc_lo, 0, v96, vcc_lo
	v_cmp_eq_f32_e32 vcc_lo, 0x7f800000, v12
	v_sub_nc_u32_e32 v98, 0, v96
	v_cvt_f32_i32_e32 v96, v96
	s_or_b32 vcc_lo, s28, vcc_lo
	s_delay_alu instid0(VALU_DEP_2) | instskip(SKIP_1) | instid1(VALU_DEP_2)
	v_ldexp_f32 v17, v17, v98
	v_ldexp_f32 v97, v97, v98
	v_add_f32_e32 v100, 1.0, v17
	s_delay_alu instid0(VALU_DEP_1) | instskip(NEXT) | instid1(VALU_DEP_1)
	v_dual_add_f32 v98, -1.0, v17 :: v_dual_add_f32 v99, -1.0, v100
	v_add_f32_e32 v101, 1.0, v98
	s_delay_alu instid0(VALU_DEP_2) | instskip(NEXT) | instid1(VALU_DEP_2)
	v_sub_f32_e32 v99, v17, v99
	v_sub_f32_e32 v17, v17, v101
	s_delay_alu instid0(VALU_DEP_1) | instskip(NEXT) | instid1(VALU_DEP_1)
	v_add_f32_e32 v17, v97, v17
	v_dual_add_f32 v102, v98, v17 :: v_dual_add_f32 v99, v97, v99
	s_delay_alu instid0(VALU_DEP_1) | instskip(NEXT) | instid1(VALU_DEP_1)
	v_dual_sub_f32 v98, v98, v102 :: v_dual_add_f32 v101, v100, v99
	v_rcp_f32_e32 v97, v101
	v_sub_f32_e32 v100, v100, v101
	s_delay_alu instid0(VALU_DEP_1) | instskip(SKIP_2) | instid1(VALU_DEP_1)
	v_add_f32_e32 v99, v99, v100
	s_waitcnt_depctr 0xfff
	v_mul_f32_e32 v103, v102, v97
	v_mul_f32_e32 v104, v101, v103
	s_delay_alu instid0(VALU_DEP_1) | instskip(NEXT) | instid1(VALU_DEP_1)
	v_fma_f32 v100, v103, v101, -v104
	v_fmac_f32_e32 v100, v103, v99
	s_delay_alu instid0(VALU_DEP_1) | instskip(NEXT) | instid1(VALU_DEP_1)
	v_add_f32_e32 v105, v104, v100
	v_sub_f32_e32 v106, v102, v105
	s_delay_alu instid0(VALU_DEP_1) | instskip(SKIP_2) | instid1(VALU_DEP_3)
	v_sub_f32_e32 v102, v102, v106
	v_add_f32_e32 v17, v17, v98
	v_sub_f32_e32 v98, v105, v104
	v_sub_f32_e32 v102, v102, v105
	s_delay_alu instid0(VALU_DEP_1) | instskip(NEXT) | instid1(VALU_DEP_1)
	v_dual_sub_f32 v98, v98, v100 :: v_dual_add_f32 v17, v17, v102
	v_add_f32_e32 v17, v98, v17
	s_delay_alu instid0(VALU_DEP_1) | instskip(NEXT) | instid1(VALU_DEP_1)
	v_add_f32_e32 v98, v106, v17
	v_mul_f32_e32 v100, v97, v98
	s_delay_alu instid0(VALU_DEP_1) | instskip(NEXT) | instid1(VALU_DEP_1)
	v_dual_sub_f32 v105, v106, v98 :: v_dual_mul_f32 v102, v101, v100
	v_add_f32_e32 v17, v17, v105
	s_delay_alu instid0(VALU_DEP_2) | instskip(NEXT) | instid1(VALU_DEP_1)
	v_fma_f32 v101, v100, v101, -v102
	v_fmac_f32_e32 v101, v100, v99
	s_delay_alu instid0(VALU_DEP_1) | instskip(NEXT) | instid1(VALU_DEP_1)
	v_add_f32_e32 v99, v102, v101
	v_sub_f32_e32 v104, v98, v99
	s_delay_alu instid0(VALU_DEP_1) | instskip(NEXT) | instid1(VALU_DEP_1)
	v_sub_f32_e32 v98, v98, v104
	v_sub_f32_e32 v98, v98, v99
	s_delay_alu instid0(VALU_DEP_1) | instskip(SKIP_1) | instid1(VALU_DEP_1)
	v_dual_add_f32 v17, v17, v98 :: v_dual_add_f32 v98, v103, v100
	v_sub_f32_e32 v102, v99, v102
	v_sub_f32_e32 v99, v102, v101
	s_delay_alu instid0(VALU_DEP_1) | instskip(NEXT) | instid1(VALU_DEP_4)
	v_add_f32_e32 v17, v99, v17
	v_sub_f32_e32 v99, v98, v103
	s_delay_alu instid0(VALU_DEP_2) | instskip(NEXT) | instid1(VALU_DEP_2)
	v_add_f32_e32 v17, v104, v17
	v_sub_f32_e32 v99, v100, v99
	s_delay_alu instid0(VALU_DEP_2) | instskip(NEXT) | instid1(VALU_DEP_1)
	v_mul_f32_e32 v17, v97, v17
	v_add_f32_e32 v17, v99, v17
	s_delay_alu instid0(VALU_DEP_1) | instskip(NEXT) | instid1(VALU_DEP_1)
	v_add_f32_e32 v97, v98, v17
	v_mul_f32_e32 v99, v97, v97
	s_delay_alu instid0(VALU_DEP_1) | instskip(SKIP_1) | instid1(VALU_DEP_2)
	v_fmaak_f32 v100, s83, v99, 0x3ecc95a3
	v_mul_f32_e32 v101, v97, v99
	v_fmaak_f32 v99, v99, v100, 0x3f2aaada
	v_ldexp_f32 v100, v97, 1
	v_sub_f32_e32 v97, v97, v98
	s_delay_alu instid0(VALU_DEP_3) | instskip(SKIP_1) | instid1(VALU_DEP_2)
	v_mul_f32_e32 v99, v101, v99
	v_mul_f32_e32 v101, 0x3f317218, v96
	v_dual_sub_f32 v17, v17, v97 :: v_dual_add_f32 v98, v100, v99
	s_delay_alu instid0(VALU_DEP_1) | instskip(NEXT) | instid1(VALU_DEP_2)
	v_ldexp_f32 v17, v17, 1
	v_sub_f32_e32 v97, v98, v100
	s_delay_alu instid0(VALU_DEP_4) | instskip(NEXT) | instid1(VALU_DEP_1)
	v_fma_f32 v100, 0x3f317218, v96, -v101
	v_dual_sub_f32 v97, v99, v97 :: v_dual_fmac_f32 v100, 0xb102e308, v96
	s_delay_alu instid0(VALU_DEP_1) | instskip(NEXT) | instid1(VALU_DEP_1)
	v_add_f32_e32 v17, v17, v97
	v_dual_add_f32 v96, v101, v100 :: v_dual_add_f32 v97, v98, v17
	s_delay_alu instid0(VALU_DEP_1) | instskip(NEXT) | instid1(VALU_DEP_2)
	v_sub_f32_e32 v101, v96, v101
	v_dual_add_f32 v99, v96, v97 :: v_dual_sub_f32 v98, v97, v98
	s_delay_alu instid0(VALU_DEP_2) | instskip(NEXT) | instid1(VALU_DEP_2)
	v_sub_f32_e32 v100, v100, v101
	v_dual_sub_f32 v102, v99, v96 :: v_dual_sub_f32 v17, v17, v98
	s_delay_alu instid0(VALU_DEP_1) | instskip(NEXT) | instid1(VALU_DEP_2)
	v_sub_f32_e32 v103, v99, v102
	v_dual_sub_f32 v97, v97, v102 :: v_dual_add_f32 v98, v100, v17
	s_delay_alu instid0(VALU_DEP_2) | instskip(NEXT) | instid1(VALU_DEP_1)
	v_sub_f32_e32 v96, v96, v103
	v_add_f32_e32 v96, v97, v96
	s_delay_alu instid0(VALU_DEP_3) | instskip(NEXT) | instid1(VALU_DEP_2)
	v_sub_f32_e32 v97, v98, v100
	v_add_f32_e32 v96, v98, v96
	s_delay_alu instid0(VALU_DEP_2) | instskip(SKIP_1) | instid1(VALU_DEP_2)
	v_sub_f32_e32 v98, v98, v97
	v_sub_f32_e32 v17, v17, v97
	v_dual_add_f32 v101, v99, v96 :: v_dual_sub_f32 v98, v100, v98
	s_delay_alu instid0(VALU_DEP_1) | instskip(NEXT) | instid1(VALU_DEP_1)
	v_sub_f32_e32 v97, v101, v99
	v_dual_add_f32 v17, v17, v98 :: v_dual_sub_f32 v96, v96, v97
	s_delay_alu instid0(VALU_DEP_1) | instskip(NEXT) | instid1(VALU_DEP_1)
	v_add_f32_e32 v17, v17, v96
	v_add_f32_e32 v17, v101, v17
	s_delay_alu instid0(VALU_DEP_1)
	v_cndmask_b32_e32 v96, v17, v12, vcc_lo
.LBB80_80:                              ;   in Loop: Header=BB80_12 Depth=1
	s_or_b32 exec_lo, exec_lo, s29
	v_lshrrev_b32_e32 v12, 16, v13
	s_delay_alu instid0(VALU_DEP_1) | instskip(NEXT) | instid1(VALU_DEP_1)
	v_cvt_f32_f16_e32 v12, v12
	v_add_f32_e32 v97, s66, v12
	s_delay_alu instid0(VALU_DEP_1) | instskip(SKIP_1) | instid1(SALU_CYCLE_1)
	v_cmp_ge_f32_e32 vcc_lo, 0x41a00000, v97
	s_and_b32 s28, s79, vcc_lo
	s_and_saveexec_b32 s29, s28
	s_cbranch_execz .LBB80_82
; %bb.81:                               ;   in Loop: Header=BB80_12 Depth=1
	v_mul_f32_e32 v12, 0x3fb8aa3b, v97
	v_cmp_ngt_f32_e32 vcc_lo, 0xc2ce8ed0, v97
	s_delay_alu instid0(VALU_DEP_2) | instskip(SKIP_1) | instid1(VALU_DEP_2)
	v_rndne_f32_e32 v13, v12
	v_fma_f32 v17, 0x3fb8aa3b, v97, -v12
	v_sub_f32_e32 v12, v12, v13
	s_delay_alu instid0(VALU_DEP_2) | instskip(SKIP_1) | instid1(VALU_DEP_2)
	v_fmac_f32_e32 v17, 0x32a5705f, v97
	v_cvt_i32_f32_e32 v13, v13
	v_add_f32_e32 v12, v12, v17
	s_delay_alu instid0(VALU_DEP_1) | instskip(SKIP_2) | instid1(VALU_DEP_1)
	v_exp_f32_e32 v12, v12
	s_waitcnt_depctr 0xfff
	v_ldexp_f32 v12, v12, v13
	v_cndmask_b32_e32 v12, 0, v12, vcc_lo
	v_cmp_nlt_f32_e32 vcc_lo, 0x42b17218, v97
	s_delay_alu instid0(VALU_DEP_2) | instskip(NEXT) | instid1(VALU_DEP_1)
	v_cndmask_b32_e32 v17, 0x7f800000, v12, vcc_lo
	v_add_f32_e32 v97, 1.0, v17
	s_delay_alu instid0(VALU_DEP_1) | instskip(NEXT) | instid1(VALU_DEP_1)
	v_cvt_f64_f32_e32 v[12:13], v97
	v_frexp_exp_i32_f64_e32 v12, v[12:13]
	v_frexp_mant_f32_e32 v13, v97
	s_delay_alu instid0(VALU_DEP_1) | instskip(SKIP_1) | instid1(VALU_DEP_1)
	v_cmp_gt_f32_e32 vcc_lo, 0x3f2aaaab, v13
	v_add_f32_e32 v13, -1.0, v97
	v_sub_f32_e32 v99, v13, v97
	s_delay_alu instid0(VALU_DEP_1) | instskip(SKIP_1) | instid1(VALU_DEP_1)
	v_add_f32_e32 v99, 1.0, v99
	v_subrev_co_ci_u32_e32 v12, vcc_lo, 0, v12, vcc_lo
	v_sub_nc_u32_e32 v98, 0, v12
	v_cvt_f32_i32_e32 v12, v12
	s_delay_alu instid0(VALU_DEP_2) | instskip(NEXT) | instid1(VALU_DEP_1)
	v_ldexp_f32 v97, v97, v98
	v_add_f32_e32 v100, 1.0, v97
	v_sub_f32_e32 v13, v17, v13
	v_cmp_eq_f32_e32 vcc_lo, 0x7f800000, v17
	v_cmp_gt_f32_e64 s28, 0x33800000, v17
	s_delay_alu instid0(VALU_DEP_3) | instskip(SKIP_1) | instid1(VALU_DEP_3)
	v_add_f32_e32 v13, v13, v99
	v_add_f32_e32 v99, -1.0, v100
	s_or_b32 vcc_lo, s28, vcc_lo
	s_delay_alu instid0(VALU_DEP_2) | instskip(NEXT) | instid1(VALU_DEP_2)
	v_ldexp_f32 v13, v13, v98
	v_dual_add_f32 v98, -1.0, v97 :: v_dual_sub_f32 v99, v97, v99
	s_delay_alu instid0(VALU_DEP_1) | instskip(NEXT) | instid1(VALU_DEP_2)
	v_add_f32_e32 v101, 1.0, v98
	v_add_f32_e32 v99, v13, v99
	s_delay_alu instid0(VALU_DEP_2) | instskip(NEXT) | instid1(VALU_DEP_1)
	v_sub_f32_e32 v97, v97, v101
	v_add_f32_e32 v13, v13, v97
	s_delay_alu instid0(VALU_DEP_1) | instskip(NEXT) | instid1(VALU_DEP_1)
	v_dual_add_f32 v102, v98, v13 :: v_dual_add_f32 v101, v100, v99
	v_sub_f32_e32 v98, v98, v102
	s_delay_alu instid0(VALU_DEP_2) | instskip(NEXT) | instid1(VALU_DEP_1)
	v_rcp_f32_e32 v97, v101
	v_dual_sub_f32 v100, v100, v101 :: v_dual_add_f32 v13, v13, v98
	s_delay_alu instid0(VALU_DEP_1) | instskip(SKIP_2) | instid1(VALU_DEP_1)
	v_add_f32_e32 v99, v99, v100
	s_waitcnt_depctr 0xfff
	v_mul_f32_e32 v103, v102, v97
	v_mul_f32_e32 v104, v101, v103
	s_delay_alu instid0(VALU_DEP_1) | instskip(NEXT) | instid1(VALU_DEP_1)
	v_fma_f32 v100, v103, v101, -v104
	v_fmac_f32_e32 v100, v103, v99
	s_delay_alu instid0(VALU_DEP_1) | instskip(NEXT) | instid1(VALU_DEP_1)
	v_add_f32_e32 v105, v104, v100
	v_sub_f32_e32 v106, v102, v105
	v_sub_f32_e32 v98, v105, v104
	s_delay_alu instid0(VALU_DEP_2) | instskip(NEXT) | instid1(VALU_DEP_2)
	v_sub_f32_e32 v102, v102, v106
	v_sub_f32_e32 v98, v98, v100
	s_delay_alu instid0(VALU_DEP_2) | instskip(NEXT) | instid1(VALU_DEP_1)
	v_sub_f32_e32 v102, v102, v105
	v_add_f32_e32 v13, v13, v102
	s_delay_alu instid0(VALU_DEP_1) | instskip(NEXT) | instid1(VALU_DEP_1)
	v_add_f32_e32 v13, v98, v13
	v_add_f32_e32 v98, v106, v13
	s_delay_alu instid0(VALU_DEP_1) | instskip(NEXT) | instid1(VALU_DEP_1)
	v_mul_f32_e32 v100, v97, v98
	v_dual_sub_f32 v105, v106, v98 :: v_dual_mul_f32 v102, v101, v100
	s_delay_alu instid0(VALU_DEP_1) | instskip(NEXT) | instid1(VALU_DEP_1)
	v_fma_f32 v101, v100, v101, -v102
	v_fmac_f32_e32 v101, v100, v99
	s_delay_alu instid0(VALU_DEP_1) | instskip(NEXT) | instid1(VALU_DEP_1)
	v_add_f32_e32 v99, v102, v101
	v_dual_add_f32 v13, v13, v105 :: v_dual_sub_f32 v104, v98, v99
	s_delay_alu instid0(VALU_DEP_1) | instskip(NEXT) | instid1(VALU_DEP_1)
	v_sub_f32_e32 v98, v98, v104
	v_sub_f32_e32 v98, v98, v99
	s_delay_alu instid0(VALU_DEP_1) | instskip(SKIP_1) | instid1(VALU_DEP_1)
	v_dual_add_f32 v13, v13, v98 :: v_dual_add_f32 v98, v103, v100
	v_sub_f32_e32 v102, v99, v102
	v_sub_f32_e32 v99, v102, v101
	s_delay_alu instid0(VALU_DEP_1) | instskip(NEXT) | instid1(VALU_DEP_4)
	v_add_f32_e32 v13, v99, v13
	v_sub_f32_e32 v99, v98, v103
	s_delay_alu instid0(VALU_DEP_2) | instskip(NEXT) | instid1(VALU_DEP_2)
	v_add_f32_e32 v13, v104, v13
	v_sub_f32_e32 v99, v100, v99
	s_delay_alu instid0(VALU_DEP_2) | instskip(NEXT) | instid1(VALU_DEP_1)
	v_mul_f32_e32 v13, v97, v13
	v_add_f32_e32 v13, v99, v13
	s_delay_alu instid0(VALU_DEP_1) | instskip(NEXT) | instid1(VALU_DEP_1)
	v_add_f32_e32 v97, v98, v13
	v_mul_f32_e32 v99, v97, v97
	s_delay_alu instid0(VALU_DEP_1) | instskip(SKIP_1) | instid1(VALU_DEP_2)
	v_fmaak_f32 v100, s83, v99, 0x3ecc95a3
	v_mul_f32_e32 v101, v97, v99
	v_fmaak_f32 v99, v99, v100, 0x3f2aaada
	v_ldexp_f32 v100, v97, 1
	v_sub_f32_e32 v97, v97, v98
	s_delay_alu instid0(VALU_DEP_3) | instskip(SKIP_1) | instid1(VALU_DEP_2)
	v_mul_f32_e32 v99, v101, v99
	v_mul_f32_e32 v101, 0x3f317218, v12
	v_dual_sub_f32 v13, v13, v97 :: v_dual_add_f32 v98, v100, v99
	s_delay_alu instid0(VALU_DEP_1) | instskip(NEXT) | instid1(VALU_DEP_2)
	v_ldexp_f32 v13, v13, 1
	v_sub_f32_e32 v97, v98, v100
	s_delay_alu instid0(VALU_DEP_4) | instskip(NEXT) | instid1(VALU_DEP_1)
	v_fma_f32 v100, 0x3f317218, v12, -v101
	v_dual_sub_f32 v97, v99, v97 :: v_dual_fmac_f32 v100, 0xb102e308, v12
	s_delay_alu instid0(VALU_DEP_1) | instskip(NEXT) | instid1(VALU_DEP_2)
	v_add_f32_e32 v12, v13, v97
	v_add_f32_e32 v13, v101, v100
	s_delay_alu instid0(VALU_DEP_2) | instskip(NEXT) | instid1(VALU_DEP_2)
	v_add_f32_e32 v97, v98, v12
	v_sub_f32_e32 v101, v13, v101
	s_delay_alu instid0(VALU_DEP_2) | instskip(SKIP_1) | instid1(VALU_DEP_3)
	v_add_f32_e32 v99, v13, v97
	v_sub_f32_e32 v98, v97, v98
	v_sub_f32_e32 v100, v100, v101
	s_delay_alu instid0(VALU_DEP_3) | instskip(NEXT) | instid1(VALU_DEP_3)
	v_sub_f32_e32 v102, v99, v13
	v_sub_f32_e32 v12, v12, v98
	s_delay_alu instid0(VALU_DEP_2) | instskip(NEXT) | instid1(VALU_DEP_2)
	v_sub_f32_e32 v103, v99, v102
	v_dual_sub_f32 v97, v97, v102 :: v_dual_add_f32 v98, v100, v12
	s_delay_alu instid0(VALU_DEP_2) | instskip(NEXT) | instid1(VALU_DEP_1)
	v_sub_f32_e32 v13, v13, v103
	v_add_f32_e32 v13, v97, v13
	s_delay_alu instid0(VALU_DEP_3) | instskip(NEXT) | instid1(VALU_DEP_2)
	v_sub_f32_e32 v97, v98, v100
	v_add_f32_e32 v13, v98, v13
	s_delay_alu instid0(VALU_DEP_2) | instskip(SKIP_1) | instid1(VALU_DEP_1)
	v_sub_f32_e32 v12, v12, v97
	v_sub_f32_e32 v98, v98, v97
	v_dual_add_f32 v101, v99, v13 :: v_dual_sub_f32 v98, v100, v98
	s_delay_alu instid0(VALU_DEP_1) | instskip(NEXT) | instid1(VALU_DEP_1)
	v_dual_sub_f32 v97, v101, v99 :: v_dual_add_f32 v12, v12, v98
	v_sub_f32_e32 v13, v13, v97
	s_delay_alu instid0(VALU_DEP_1) | instskip(NEXT) | instid1(VALU_DEP_1)
	v_add_f32_e32 v12, v12, v13
	v_add_f32_e32 v12, v101, v12
	s_delay_alu instid0(VALU_DEP_1)
	v_cndmask_b32_e32 v97, v12, v17, vcc_lo
.LBB80_82:                              ;   in Loop: Header=BB80_12 Depth=1
	s_or_b32 exec_lo, exec_lo, s29
	v_cvt_f32_f16_e32 v12, v14
	s_delay_alu instid0(VALU_DEP_1) | instskip(NEXT) | instid1(VALU_DEP_1)
	v_add_f32_e32 v98, s66, v12
	v_cmp_ge_f32_e32 vcc_lo, 0x41a00000, v98
	s_and_b32 s28, s79, vcc_lo
	s_delay_alu instid0(SALU_CYCLE_1)
	s_and_saveexec_b32 s29, s28
	s_cbranch_execz .LBB80_84
; %bb.83:                               ;   in Loop: Header=BB80_12 Depth=1
	v_mul_f32_e32 v12, 0x3fb8aa3b, v98
	v_cmp_ngt_f32_e32 vcc_lo, 0xc2ce8ed0, v98
	s_delay_alu instid0(VALU_DEP_2) | instskip(SKIP_1) | instid1(VALU_DEP_1)
	v_rndne_f32_e32 v13, v12
	v_fma_f32 v17, 0x3fb8aa3b, v98, -v12
	v_dual_sub_f32 v12, v12, v13 :: v_dual_fmac_f32 v17, 0x32a5705f, v98
	v_cvt_i32_f32_e32 v13, v13
	s_delay_alu instid0(VALU_DEP_2) | instskip(NEXT) | instid1(VALU_DEP_1)
	v_add_f32_e32 v12, v12, v17
	v_exp_f32_e32 v12, v12
	s_waitcnt_depctr 0xfff
	v_ldexp_f32 v12, v12, v13
	s_delay_alu instid0(VALU_DEP_1) | instskip(SKIP_1) | instid1(VALU_DEP_2)
	v_cndmask_b32_e32 v12, 0, v12, vcc_lo
	v_cmp_nlt_f32_e32 vcc_lo, 0x42b17218, v98
	v_cndmask_b32_e32 v17, 0x7f800000, v12, vcc_lo
	s_delay_alu instid0(VALU_DEP_1) | instskip(NEXT) | instid1(VALU_DEP_1)
	v_add_f32_e32 v98, 1.0, v17
	v_cvt_f64_f32_e32 v[12:13], v98
	s_delay_alu instid0(VALU_DEP_1) | instskip(SKIP_1) | instid1(VALU_DEP_1)
	v_frexp_exp_i32_f64_e32 v12, v[12:13]
	v_frexp_mant_f32_e32 v13, v98
	v_cmp_gt_f32_e32 vcc_lo, 0x3f2aaaab, v13
	v_add_f32_e32 v13, -1.0, v98
	s_delay_alu instid0(VALU_DEP_1) | instskip(SKIP_2) | instid1(VALU_DEP_3)
	v_sub_f32_e32 v100, v13, v98
	v_sub_f32_e32 v13, v17, v13
	v_cmp_gt_f32_e64 s28, 0x33800000, v17
	v_add_f32_e32 v100, 1.0, v100
	s_delay_alu instid0(VALU_DEP_1) | instskip(SKIP_2) | instid1(VALU_DEP_2)
	v_add_f32_e32 v13, v13, v100
	v_subrev_co_ci_u32_e32 v12, vcc_lo, 0, v12, vcc_lo
	v_cmp_eq_f32_e32 vcc_lo, 0x7f800000, v17
	v_sub_nc_u32_e32 v99, 0, v12
	v_cvt_f32_i32_e32 v12, v12
	s_or_b32 vcc_lo, s28, vcc_lo
	s_delay_alu instid0(VALU_DEP_2) | instskip(SKIP_1) | instid1(VALU_DEP_2)
	v_ldexp_f32 v98, v98, v99
	v_ldexp_f32 v13, v13, v99
	v_add_f32_e32 v99, -1.0, v98
	s_delay_alu instid0(VALU_DEP_1) | instskip(NEXT) | instid1(VALU_DEP_1)
	v_dual_add_f32 v101, 1.0, v98 :: v_dual_add_f32 v102, 1.0, v99
	v_add_f32_e32 v100, -1.0, v101
	s_delay_alu instid0(VALU_DEP_1) | instskip(NEXT) | instid1(VALU_DEP_3)
	v_sub_f32_e32 v100, v98, v100
	v_sub_f32_e32 v98, v98, v102
	s_delay_alu instid0(VALU_DEP_2) | instskip(NEXT) | instid1(VALU_DEP_2)
	v_add_f32_e32 v100, v13, v100
	v_add_f32_e32 v13, v13, v98
	s_delay_alu instid0(VALU_DEP_1) | instskip(NEXT) | instid1(VALU_DEP_1)
	v_dual_add_f32 v103, v99, v13 :: v_dual_add_f32 v102, v101, v100
	v_sub_f32_e32 v99, v99, v103
	s_delay_alu instid0(VALU_DEP_2) | instskip(SKIP_1) | instid1(VALU_DEP_1)
	v_rcp_f32_e32 v98, v102
	v_sub_f32_e32 v101, v101, v102
	v_dual_add_f32 v13, v13, v99 :: v_dual_add_f32 v100, v100, v101
	s_waitcnt_depctr 0xfff
	v_mul_f32_e32 v104, v103, v98
	s_delay_alu instid0(VALU_DEP_1) | instskip(NEXT) | instid1(VALU_DEP_1)
	v_mul_f32_e32 v105, v102, v104
	v_fma_f32 v101, v104, v102, -v105
	s_delay_alu instid0(VALU_DEP_1) | instskip(NEXT) | instid1(VALU_DEP_1)
	v_fmac_f32_e32 v101, v104, v100
	v_add_f32_e32 v106, v105, v101
	s_delay_alu instid0(VALU_DEP_1) | instskip(SKIP_1) | instid1(VALU_DEP_2)
	v_sub_f32_e32 v107, v103, v106
	v_sub_f32_e32 v99, v106, v105
	;; [unrolled: 1-line block ×3, first 2 shown]
	s_delay_alu instid0(VALU_DEP_2) | instskip(NEXT) | instid1(VALU_DEP_2)
	v_sub_f32_e32 v99, v99, v101
	v_sub_f32_e32 v103, v103, v106
	s_delay_alu instid0(VALU_DEP_1) | instskip(NEXT) | instid1(VALU_DEP_1)
	v_add_f32_e32 v13, v13, v103
	v_add_f32_e32 v13, v99, v13
	s_delay_alu instid0(VALU_DEP_1) | instskip(NEXT) | instid1(VALU_DEP_1)
	v_add_f32_e32 v99, v107, v13
	v_mul_f32_e32 v101, v98, v99
	s_delay_alu instid0(VALU_DEP_1) | instskip(NEXT) | instid1(VALU_DEP_1)
	v_dual_sub_f32 v106, v107, v99 :: v_dual_mul_f32 v103, v102, v101
	v_add_f32_e32 v13, v13, v106
	s_delay_alu instid0(VALU_DEP_2) | instskip(NEXT) | instid1(VALU_DEP_1)
	v_fma_f32 v102, v101, v102, -v103
	v_fmac_f32_e32 v102, v101, v100
	s_delay_alu instid0(VALU_DEP_1) | instskip(NEXT) | instid1(VALU_DEP_1)
	v_add_f32_e32 v100, v103, v102
	v_sub_f32_e32 v105, v99, v100
	s_delay_alu instid0(VALU_DEP_1) | instskip(NEXT) | instid1(VALU_DEP_1)
	v_sub_f32_e32 v99, v99, v105
	v_sub_f32_e32 v99, v99, v100
	s_delay_alu instid0(VALU_DEP_1) | instskip(SKIP_2) | instid1(VALU_DEP_1)
	v_add_f32_e32 v13, v13, v99
	v_add_f32_e32 v99, v104, v101
	v_sub_f32_e32 v103, v100, v103
	v_sub_f32_e32 v100, v103, v102
	s_delay_alu instid0(VALU_DEP_1) | instskip(NEXT) | instid1(VALU_DEP_1)
	v_dual_add_f32 v13, v100, v13 :: v_dual_sub_f32 v100, v99, v104
	v_add_f32_e32 v13, v105, v13
	s_delay_alu instid0(VALU_DEP_1) | instskip(NEXT) | instid1(VALU_DEP_1)
	v_dual_sub_f32 v100, v101, v100 :: v_dual_mul_f32 v13, v98, v13
	v_add_f32_e32 v13, v100, v13
	s_delay_alu instid0(VALU_DEP_1) | instskip(NEXT) | instid1(VALU_DEP_1)
	v_add_f32_e32 v98, v99, v13
	v_mul_f32_e32 v100, v98, v98
	s_delay_alu instid0(VALU_DEP_1) | instskip(SKIP_1) | instid1(VALU_DEP_2)
	v_fmaak_f32 v101, s83, v100, 0x3ecc95a3
	v_mul_f32_e32 v102, v98, v100
	v_fmaak_f32 v100, v100, v101, 0x3f2aaada
	v_ldexp_f32 v101, v98, 1
	v_sub_f32_e32 v98, v98, v99
	s_delay_alu instid0(VALU_DEP_3) | instskip(NEXT) | instid1(VALU_DEP_2)
	v_mul_f32_e32 v100, v102, v100
	v_dual_mul_f32 v102, 0x3f317218, v12 :: v_dual_sub_f32 v13, v13, v98
	s_delay_alu instid0(VALU_DEP_2) | instskip(NEXT) | instid1(VALU_DEP_2)
	v_add_f32_e32 v99, v101, v100
	v_ldexp_f32 v13, v13, 1
	s_delay_alu instid0(VALU_DEP_2) | instskip(NEXT) | instid1(VALU_DEP_4)
	v_sub_f32_e32 v98, v99, v101
	v_fma_f32 v101, 0x3f317218, v12, -v102
	s_delay_alu instid0(VALU_DEP_1) | instskip(NEXT) | instid1(VALU_DEP_1)
	v_dual_sub_f32 v98, v100, v98 :: v_dual_fmac_f32 v101, 0xb102e308, v12
	v_add_f32_e32 v12, v13, v98
	s_delay_alu instid0(VALU_DEP_1) | instskip(NEXT) | instid1(VALU_DEP_1)
	v_add_f32_e32 v98, v99, v12
	v_sub_f32_e32 v99, v98, v99
	s_delay_alu instid0(VALU_DEP_1) | instskip(NEXT) | instid1(VALU_DEP_1)
	v_dual_sub_f32 v12, v12, v99 :: v_dual_add_f32 v13, v102, v101
	v_add_f32_e32 v100, v13, v98
	s_delay_alu instid0(VALU_DEP_1) | instskip(NEXT) | instid1(VALU_DEP_1)
	v_dual_sub_f32 v102, v13, v102 :: v_dual_sub_f32 v103, v100, v13
	v_dual_sub_f32 v101, v101, v102 :: v_dual_sub_f32 v104, v100, v103
	s_delay_alu instid0(VALU_DEP_1) | instskip(NEXT) | instid1(VALU_DEP_2)
	v_dual_sub_f32 v98, v98, v103 :: v_dual_add_f32 v99, v101, v12
	v_sub_f32_e32 v13, v13, v104
	s_delay_alu instid0(VALU_DEP_1) | instskip(NEXT) | instid1(VALU_DEP_3)
	v_add_f32_e32 v13, v98, v13
	v_sub_f32_e32 v98, v99, v101
	s_delay_alu instid0(VALU_DEP_2) | instskip(NEXT) | instid1(VALU_DEP_2)
	v_add_f32_e32 v13, v99, v13
	v_sub_f32_e32 v99, v99, v98
	v_sub_f32_e32 v12, v12, v98
	s_delay_alu instid0(VALU_DEP_2) | instskip(NEXT) | instid1(VALU_DEP_1)
	v_dual_add_f32 v102, v100, v13 :: v_dual_sub_f32 v99, v101, v99
	v_sub_f32_e32 v98, v102, v100
	s_delay_alu instid0(VALU_DEP_1) | instskip(NEXT) | instid1(VALU_DEP_1)
	v_dual_add_f32 v12, v12, v99 :: v_dual_sub_f32 v13, v13, v98
	v_add_f32_e32 v12, v12, v13
	s_delay_alu instid0(VALU_DEP_1) | instskip(NEXT) | instid1(VALU_DEP_1)
	v_add_f32_e32 v12, v102, v12
	v_cndmask_b32_e32 v98, v12, v17, vcc_lo
.LBB80_84:                              ;   in Loop: Header=BB80_12 Depth=1
	s_or_b32 exec_lo, exec_lo, s29
	v_lshrrev_b32_e32 v12, 16, v14
	s_delay_alu instid0(VALU_DEP_1) | instskip(NEXT) | instid1(VALU_DEP_1)
	v_cvt_f32_f16_e32 v12, v12
	v_add_f32_e32 v99, s66, v12
	s_delay_alu instid0(VALU_DEP_1) | instskip(SKIP_1) | instid1(SALU_CYCLE_1)
	v_cmp_ge_f32_e32 vcc_lo, 0x41a00000, v99
	s_and_b32 s28, s79, vcc_lo
	s_and_saveexec_b32 s29, s28
	s_cbranch_execz .LBB80_86
; %bb.85:                               ;   in Loop: Header=BB80_12 Depth=1
	v_mul_f32_e32 v12, 0x3fb8aa3b, v99
	v_cmp_ngt_f32_e32 vcc_lo, 0xc2ce8ed0, v99
	s_delay_alu instid0(VALU_DEP_2) | instskip(SKIP_1) | instid1(VALU_DEP_2)
	v_rndne_f32_e32 v13, v12
	v_fma_f32 v14, 0x3fb8aa3b, v99, -v12
	v_sub_f32_e32 v12, v12, v13
	s_delay_alu instid0(VALU_DEP_2) | instskip(SKIP_1) | instid1(VALU_DEP_2)
	v_fmac_f32_e32 v14, 0x32a5705f, v99
	v_cvt_i32_f32_e32 v13, v13
	v_add_f32_e32 v12, v12, v14
	s_delay_alu instid0(VALU_DEP_1) | instskip(SKIP_2) | instid1(VALU_DEP_1)
	v_exp_f32_e32 v12, v12
	s_waitcnt_depctr 0xfff
	v_ldexp_f32 v12, v12, v13
	v_cndmask_b32_e32 v12, 0, v12, vcc_lo
	v_cmp_nlt_f32_e32 vcc_lo, 0x42b17218, v99
	s_delay_alu instid0(VALU_DEP_2) | instskip(NEXT) | instid1(VALU_DEP_1)
	v_cndmask_b32_e32 v14, 0x7f800000, v12, vcc_lo
	v_add_f32_e32 v17, 1.0, v14
	s_delay_alu instid0(VALU_DEP_1) | instskip(NEXT) | instid1(VALU_DEP_1)
	v_cvt_f64_f32_e32 v[12:13], v17
	v_frexp_exp_i32_f64_e32 v12, v[12:13]
	v_frexp_mant_f32_e32 v13, v17
	s_delay_alu instid0(VALU_DEP_1) | instskip(SKIP_1) | instid1(VALU_DEP_1)
	v_cmp_gt_f32_e32 vcc_lo, 0x3f2aaaab, v13
	v_add_f32_e32 v13, -1.0, v17
	v_sub_f32_e32 v100, v13, v17
	v_sub_f32_e32 v13, v14, v13
	v_subrev_co_ci_u32_e32 v12, vcc_lo, 0, v12, vcc_lo
	s_delay_alu instid0(VALU_DEP_1) | instskip(SKIP_1) | instid1(VALU_DEP_2)
	v_sub_nc_u32_e32 v99, 0, v12
	v_cvt_f32_i32_e32 v12, v12
	v_ldexp_f32 v17, v17, v99
	s_delay_alu instid0(VALU_DEP_1) | instskip(NEXT) | instid1(VALU_DEP_1)
	v_dual_add_f32 v100, 1.0, v100 :: v_dual_add_f32 v101, 1.0, v17
	v_dual_add_f32 v13, v13, v100 :: v_dual_add_f32 v100, -1.0, v101
	s_delay_alu instid0(VALU_DEP_1) | instskip(SKIP_4) | instid1(VALU_DEP_4)
	v_ldexp_f32 v13, v13, v99
	v_add_f32_e32 v99, -1.0, v17
	v_cmp_eq_f32_e32 vcc_lo, 0x7f800000, v14
	v_cmp_gt_f32_e64 s28, 0x33800000, v14
	v_sub_f32_e32 v100, v17, v100
	v_add_f32_e32 v102, 1.0, v99
	s_delay_alu instid0(VALU_DEP_3) | instskip(NEXT) | instid1(VALU_DEP_2)
	s_or_b32 vcc_lo, s28, vcc_lo
	v_add_f32_e32 v100, v13, v100
	s_delay_alu instid0(VALU_DEP_2) | instskip(NEXT) | instid1(VALU_DEP_1)
	v_sub_f32_e32 v17, v17, v102
	v_add_f32_e32 v13, v13, v17
	s_delay_alu instid0(VALU_DEP_1) | instskip(NEXT) | instid1(VALU_DEP_1)
	v_dual_add_f32 v103, v99, v13 :: v_dual_add_f32 v102, v101, v100
	v_sub_f32_e32 v99, v99, v103
	s_delay_alu instid0(VALU_DEP_2) | instskip(SKIP_1) | instid1(VALU_DEP_1)
	v_rcp_f32_e32 v17, v102
	v_sub_f32_e32 v101, v101, v102
	v_dual_add_f32 v13, v13, v99 :: v_dual_add_f32 v100, v100, v101
	s_waitcnt_depctr 0xfff
	v_mul_f32_e32 v104, v103, v17
	s_delay_alu instid0(VALU_DEP_1) | instskip(NEXT) | instid1(VALU_DEP_1)
	v_mul_f32_e32 v105, v102, v104
	v_fma_f32 v101, v104, v102, -v105
	s_delay_alu instid0(VALU_DEP_1) | instskip(NEXT) | instid1(VALU_DEP_1)
	v_fmac_f32_e32 v101, v104, v100
	v_add_f32_e32 v106, v105, v101
	s_delay_alu instid0(VALU_DEP_1) | instskip(NEXT) | instid1(VALU_DEP_1)
	v_sub_f32_e32 v107, v103, v106
	v_sub_f32_e32 v103, v103, v107
	;; [unrolled: 1-line block ×3, first 2 shown]
	s_delay_alu instid0(VALU_DEP_2) | instskip(NEXT) | instid1(VALU_DEP_2)
	v_sub_f32_e32 v103, v103, v106
	v_sub_f32_e32 v99, v99, v101
	s_delay_alu instid0(VALU_DEP_2) | instskip(NEXT) | instid1(VALU_DEP_1)
	v_add_f32_e32 v13, v13, v103
	v_add_f32_e32 v13, v99, v13
	s_delay_alu instid0(VALU_DEP_1) | instskip(NEXT) | instid1(VALU_DEP_1)
	v_add_f32_e32 v99, v107, v13
	v_mul_f32_e32 v101, v17, v99
	s_delay_alu instid0(VALU_DEP_1) | instskip(NEXT) | instid1(VALU_DEP_1)
	v_dual_sub_f32 v106, v107, v99 :: v_dual_mul_f32 v103, v102, v101
	v_add_f32_e32 v13, v13, v106
	s_delay_alu instid0(VALU_DEP_2) | instskip(NEXT) | instid1(VALU_DEP_1)
	v_fma_f32 v102, v101, v102, -v103
	v_fmac_f32_e32 v102, v101, v100
	s_delay_alu instid0(VALU_DEP_1) | instskip(NEXT) | instid1(VALU_DEP_1)
	v_add_f32_e32 v100, v103, v102
	v_sub_f32_e32 v105, v99, v100
	v_sub_f32_e32 v103, v100, v103
	s_delay_alu instid0(VALU_DEP_2) | instskip(NEXT) | instid1(VALU_DEP_1)
	v_sub_f32_e32 v99, v99, v105
	v_sub_f32_e32 v99, v99, v100
	s_delay_alu instid0(VALU_DEP_1) | instskip(SKIP_1) | instid1(VALU_DEP_1)
	v_dual_sub_f32 v100, v103, v102 :: v_dual_add_f32 v13, v13, v99
	v_add_f32_e32 v99, v104, v101
	v_dual_add_f32 v13, v100, v13 :: v_dual_sub_f32 v100, v99, v104
	s_delay_alu instid0(VALU_DEP_1) | instskip(NEXT) | instid1(VALU_DEP_2)
	v_add_f32_e32 v13, v105, v13
	v_sub_f32_e32 v100, v101, v100
	s_delay_alu instid0(VALU_DEP_2) | instskip(NEXT) | instid1(VALU_DEP_1)
	v_mul_f32_e32 v13, v17, v13
	v_add_f32_e32 v13, v100, v13
	s_delay_alu instid0(VALU_DEP_1) | instskip(NEXT) | instid1(VALU_DEP_1)
	v_add_f32_e32 v17, v99, v13
	v_mul_f32_e32 v100, v17, v17
	s_delay_alu instid0(VALU_DEP_1) | instskip(SKIP_1) | instid1(VALU_DEP_2)
	v_fmaak_f32 v101, s83, v100, 0x3ecc95a3
	v_mul_f32_e32 v102, v17, v100
	v_fmaak_f32 v100, v100, v101, 0x3f2aaada
	v_ldexp_f32 v101, v17, 1
	s_delay_alu instid0(VALU_DEP_2) | instskip(NEXT) | instid1(VALU_DEP_1)
	v_dual_sub_f32 v17, v17, v99 :: v_dual_mul_f32 v100, v102, v100
	v_dual_mul_f32 v102, 0x3f317218, v12 :: v_dual_sub_f32 v13, v13, v17
	s_delay_alu instid0(VALU_DEP_2) | instskip(NEXT) | instid1(VALU_DEP_2)
	v_add_f32_e32 v99, v101, v100
	v_ldexp_f32 v13, v13, 1
	s_delay_alu instid0(VALU_DEP_2) | instskip(NEXT) | instid1(VALU_DEP_4)
	v_sub_f32_e32 v17, v99, v101
	v_fma_f32 v101, 0x3f317218, v12, -v102
	s_delay_alu instid0(VALU_DEP_2) | instskip(NEXT) | instid1(VALU_DEP_1)
	v_sub_f32_e32 v17, v100, v17
	v_dual_fmac_f32 v101, 0xb102e308, v12 :: v_dual_add_f32 v12, v13, v17
	s_delay_alu instid0(VALU_DEP_1) | instskip(NEXT) | instid1(VALU_DEP_1)
	v_add_f32_e32 v13, v102, v101
	v_dual_add_f32 v17, v99, v12 :: v_dual_sub_f32 v102, v13, v102
	s_delay_alu instid0(VALU_DEP_1) | instskip(SKIP_1) | instid1(VALU_DEP_3)
	v_add_f32_e32 v100, v13, v17
	v_sub_f32_e32 v99, v17, v99
	v_sub_f32_e32 v101, v101, v102
	s_delay_alu instid0(VALU_DEP_3) | instskip(NEXT) | instid1(VALU_DEP_3)
	v_sub_f32_e32 v103, v100, v13
	v_sub_f32_e32 v12, v12, v99
	s_delay_alu instid0(VALU_DEP_2) | instskip(SKIP_1) | instid1(VALU_DEP_3)
	v_sub_f32_e32 v104, v100, v103
	v_sub_f32_e32 v17, v17, v103
	v_add_f32_e32 v99, v101, v12
	s_delay_alu instid0(VALU_DEP_3) | instskip(NEXT) | instid1(VALU_DEP_1)
	v_sub_f32_e32 v13, v13, v104
	v_add_f32_e32 v13, v17, v13
	s_delay_alu instid0(VALU_DEP_3) | instskip(NEXT) | instid1(VALU_DEP_2)
	v_sub_f32_e32 v17, v99, v101
	v_add_f32_e32 v13, v99, v13
	s_delay_alu instid0(VALU_DEP_2) | instskip(SKIP_1) | instid1(VALU_DEP_2)
	v_sub_f32_e32 v99, v99, v17
	v_sub_f32_e32 v12, v12, v17
	v_dual_add_f32 v102, v100, v13 :: v_dual_sub_f32 v99, v101, v99
	s_delay_alu instid0(VALU_DEP_1) | instskip(NEXT) | instid1(VALU_DEP_1)
	v_dual_sub_f32 v17, v102, v100 :: v_dual_add_f32 v12, v12, v99
	v_sub_f32_e32 v13, v13, v17
	s_delay_alu instid0(VALU_DEP_1) | instskip(NEXT) | instid1(VALU_DEP_1)
	v_add_f32_e32 v12, v12, v13
	v_add_f32_e32 v12, v102, v12
	s_delay_alu instid0(VALU_DEP_1)
	v_cndmask_b32_e32 v99, v12, v14, vcc_lo
.LBB80_86:                              ;   in Loop: Header=BB80_12 Depth=1
	s_or_b32 exec_lo, exec_lo, s29
	v_cvt_f32_f16_e32 v12, v15
	s_delay_alu instid0(VALU_DEP_1) | instskip(NEXT) | instid1(VALU_DEP_1)
	v_add_f32_e32 v100, s66, v12
	v_cmp_ge_f32_e32 vcc_lo, 0x41a00000, v100
	s_and_b32 s28, s79, vcc_lo
	s_delay_alu instid0(SALU_CYCLE_1)
	s_and_saveexec_b32 s29, s28
	s_cbranch_execz .LBB80_88
; %bb.87:                               ;   in Loop: Header=BB80_12 Depth=1
	v_mul_f32_e32 v12, 0x3fb8aa3b, v100
	v_cmp_ngt_f32_e32 vcc_lo, 0xc2ce8ed0, v100
	s_delay_alu instid0(VALU_DEP_2) | instskip(SKIP_1) | instid1(VALU_DEP_2)
	v_rndne_f32_e32 v13, v12
	v_fma_f32 v14, 0x3fb8aa3b, v100, -v12
	v_sub_f32_e32 v12, v12, v13
	s_delay_alu instid0(VALU_DEP_2) | instskip(SKIP_1) | instid1(VALU_DEP_2)
	v_fmac_f32_e32 v14, 0x32a5705f, v100
	v_cvt_i32_f32_e32 v13, v13
	v_add_f32_e32 v12, v12, v14
	s_delay_alu instid0(VALU_DEP_1) | instskip(SKIP_2) | instid1(VALU_DEP_1)
	v_exp_f32_e32 v12, v12
	s_waitcnt_depctr 0xfff
	v_ldexp_f32 v12, v12, v13
	v_cndmask_b32_e32 v12, 0, v12, vcc_lo
	v_cmp_nlt_f32_e32 vcc_lo, 0x42b17218, v100
	s_delay_alu instid0(VALU_DEP_2) | instskip(NEXT) | instid1(VALU_DEP_1)
	v_cndmask_b32_e32 v14, 0x7f800000, v12, vcc_lo
	v_add_f32_e32 v17, 1.0, v14
	s_delay_alu instid0(VALU_DEP_1) | instskip(NEXT) | instid1(VALU_DEP_1)
	v_cvt_f64_f32_e32 v[12:13], v17
	v_frexp_exp_i32_f64_e32 v12, v[12:13]
	v_frexp_mant_f32_e32 v13, v17
	s_delay_alu instid0(VALU_DEP_1) | instskip(SKIP_1) | instid1(VALU_DEP_1)
	v_cmp_gt_f32_e32 vcc_lo, 0x3f2aaaab, v13
	v_add_f32_e32 v13, -1.0, v17
	v_sub_f32_e32 v101, v13, v17
	s_delay_alu instid0(VALU_DEP_1) | instskip(SKIP_2) | instid1(VALU_DEP_2)
	v_add_f32_e32 v101, 1.0, v101
	v_sub_f32_e32 v13, v14, v13
	v_cmp_gt_f32_e64 s28, 0x33800000, v14
	v_add_f32_e32 v13, v13, v101
	v_subrev_co_ci_u32_e32 v12, vcc_lo, 0, v12, vcc_lo
	v_cmp_eq_f32_e32 vcc_lo, 0x7f800000, v14
	s_delay_alu instid0(VALU_DEP_2) | instskip(SKIP_2) | instid1(VALU_DEP_2)
	v_sub_nc_u32_e32 v100, 0, v12
	v_cvt_f32_i32_e32 v12, v12
	s_or_b32 vcc_lo, s28, vcc_lo
	v_ldexp_f32 v17, v17, v100
	v_ldexp_f32 v13, v13, v100
	s_delay_alu instid0(VALU_DEP_2) | instskip(NEXT) | instid1(VALU_DEP_1)
	v_add_f32_e32 v100, -1.0, v17
	v_dual_add_f32 v102, 1.0, v17 :: v_dual_add_f32 v103, 1.0, v100
	s_delay_alu instid0(VALU_DEP_1) | instskip(NEXT) | instid1(VALU_DEP_1)
	v_add_f32_e32 v101, -1.0, v102
	v_sub_f32_e32 v101, v17, v101
	s_delay_alu instid0(VALU_DEP_3) | instskip(NEXT) | instid1(VALU_DEP_2)
	v_sub_f32_e32 v17, v17, v103
	v_add_f32_e32 v101, v13, v101
	s_delay_alu instid0(VALU_DEP_2) | instskip(NEXT) | instid1(VALU_DEP_1)
	v_add_f32_e32 v13, v13, v17
	v_add_f32_e32 v104, v100, v13
	s_delay_alu instid0(VALU_DEP_1) | instskip(NEXT) | instid1(VALU_DEP_1)
	v_dual_sub_f32 v100, v100, v104 :: v_dual_add_f32 v103, v102, v101
	v_add_f32_e32 v13, v13, v100
	s_delay_alu instid0(VALU_DEP_2) | instskip(SKIP_1) | instid1(VALU_DEP_1)
	v_rcp_f32_e32 v17, v103
	v_sub_f32_e32 v102, v102, v103
	v_add_f32_e32 v101, v101, v102
	s_waitcnt_depctr 0xfff
	v_mul_f32_e32 v105, v104, v17
	s_delay_alu instid0(VALU_DEP_1) | instskip(NEXT) | instid1(VALU_DEP_1)
	v_mul_f32_e32 v106, v103, v105
	v_fma_f32 v102, v105, v103, -v106
	s_delay_alu instid0(VALU_DEP_1) | instskip(NEXT) | instid1(VALU_DEP_1)
	v_fmac_f32_e32 v102, v105, v101
	v_add_f32_e32 v107, v106, v102
	s_delay_alu instid0(VALU_DEP_1) | instskip(SKIP_1) | instid1(VALU_DEP_2)
	v_sub_f32_e32 v108, v104, v107
	v_sub_f32_e32 v100, v107, v106
	;; [unrolled: 1-line block ×3, first 2 shown]
	s_delay_alu instid0(VALU_DEP_1) | instskip(NEXT) | instid1(VALU_DEP_1)
	v_sub_f32_e32 v104, v104, v107
	v_dual_sub_f32 v100, v100, v102 :: v_dual_add_f32 v13, v13, v104
	s_delay_alu instid0(VALU_DEP_1) | instskip(NEXT) | instid1(VALU_DEP_1)
	v_add_f32_e32 v13, v100, v13
	v_add_f32_e32 v100, v108, v13
	s_delay_alu instid0(VALU_DEP_1) | instskip(NEXT) | instid1(VALU_DEP_1)
	v_mul_f32_e32 v102, v17, v100
	v_dual_sub_f32 v107, v108, v100 :: v_dual_mul_f32 v104, v103, v102
	s_delay_alu instid0(VALU_DEP_1) | instskip(NEXT) | instid1(VALU_DEP_2)
	v_add_f32_e32 v13, v13, v107
	v_fma_f32 v103, v102, v103, -v104
	s_delay_alu instid0(VALU_DEP_1) | instskip(NEXT) | instid1(VALU_DEP_1)
	v_fmac_f32_e32 v103, v102, v101
	v_add_f32_e32 v101, v104, v103
	s_delay_alu instid0(VALU_DEP_1) | instskip(NEXT) | instid1(VALU_DEP_1)
	v_sub_f32_e32 v106, v100, v101
	v_sub_f32_e32 v100, v100, v106
	s_delay_alu instid0(VALU_DEP_1) | instskip(NEXT) | instid1(VALU_DEP_1)
	v_sub_f32_e32 v100, v100, v101
	v_add_f32_e32 v13, v13, v100
	v_add_f32_e32 v100, v105, v102
	v_sub_f32_e32 v104, v101, v104
	s_delay_alu instid0(VALU_DEP_1) | instskip(NEXT) | instid1(VALU_DEP_1)
	v_sub_f32_e32 v101, v104, v103
	v_add_f32_e32 v13, v101, v13
	s_delay_alu instid0(VALU_DEP_4) | instskip(NEXT) | instid1(VALU_DEP_2)
	v_sub_f32_e32 v101, v100, v105
	v_add_f32_e32 v13, v106, v13
	s_delay_alu instid0(VALU_DEP_2) | instskip(NEXT) | instid1(VALU_DEP_2)
	v_sub_f32_e32 v101, v102, v101
	v_mul_f32_e32 v13, v17, v13
	s_delay_alu instid0(VALU_DEP_1) | instskip(NEXT) | instid1(VALU_DEP_1)
	v_add_f32_e32 v13, v101, v13
	v_add_f32_e32 v17, v100, v13
	s_delay_alu instid0(VALU_DEP_1) | instskip(NEXT) | instid1(VALU_DEP_1)
	v_mul_f32_e32 v101, v17, v17
	v_fmaak_f32 v102, s83, v101, 0x3ecc95a3
	v_mul_f32_e32 v103, v17, v101
	s_delay_alu instid0(VALU_DEP_2) | instskip(SKIP_1) | instid1(VALU_DEP_2)
	v_fmaak_f32 v101, v101, v102, 0x3f2aaada
	v_ldexp_f32 v102, v17, 1
	v_mul_f32_e32 v101, v103, v101
	s_delay_alu instid0(VALU_DEP_1) | instskip(NEXT) | instid1(VALU_DEP_1)
	v_dual_sub_f32 v17, v17, v100 :: v_dual_add_f32 v100, v102, v101
	v_sub_f32_e32 v13, v13, v17
	s_delay_alu instid0(VALU_DEP_2) | instskip(NEXT) | instid1(VALU_DEP_2)
	v_sub_f32_e32 v17, v100, v102
	v_ldexp_f32 v13, v13, 1
	s_delay_alu instid0(VALU_DEP_2) | instskip(SKIP_1) | instid1(VALU_DEP_1)
	v_sub_f32_e32 v17, v101, v17
	v_mul_f32_e32 v103, 0x3f317218, v12
	v_fma_f32 v102, 0x3f317218, v12, -v103
	s_delay_alu instid0(VALU_DEP_1) | instskip(NEXT) | instid1(VALU_DEP_1)
	v_fmac_f32_e32 v102, 0xb102e308, v12
	v_dual_add_f32 v12, v13, v17 :: v_dual_add_f32 v13, v103, v102
	s_delay_alu instid0(VALU_DEP_1) | instskip(NEXT) | instid1(VALU_DEP_1)
	v_add_f32_e32 v17, v100, v12
	v_add_f32_e32 v101, v13, v17
	v_sub_f32_e32 v100, v17, v100
	s_delay_alu instid0(VALU_DEP_2) | instskip(NEXT) | instid1(VALU_DEP_2)
	v_sub_f32_e32 v104, v101, v13
	v_dual_sub_f32 v12, v12, v100 :: v_dual_sub_f32 v103, v13, v103
	s_delay_alu instid0(VALU_DEP_2) | instskip(NEXT) | instid1(VALU_DEP_2)
	v_sub_f32_e32 v105, v101, v104
	v_dual_sub_f32 v17, v17, v104 :: v_dual_sub_f32 v102, v102, v103
	s_delay_alu instid0(VALU_DEP_1) | instskip(NEXT) | instid1(VALU_DEP_1)
	v_dual_sub_f32 v13, v13, v105 :: v_dual_add_f32 v100, v102, v12
	v_add_f32_e32 v13, v17, v13
	s_delay_alu instid0(VALU_DEP_2) | instskip(NEXT) | instid1(VALU_DEP_2)
	v_sub_f32_e32 v17, v100, v102
	v_add_f32_e32 v13, v100, v13
	s_delay_alu instid0(VALU_DEP_2) | instskip(SKIP_1) | instid1(VALU_DEP_2)
	v_sub_f32_e32 v100, v100, v17
	v_sub_f32_e32 v12, v12, v17
	v_dual_add_f32 v103, v101, v13 :: v_dual_sub_f32 v100, v102, v100
	s_delay_alu instid0(VALU_DEP_1) | instskip(NEXT) | instid1(VALU_DEP_1)
	v_dual_sub_f32 v17, v103, v101 :: v_dual_add_f32 v12, v12, v100
	v_sub_f32_e32 v13, v13, v17
	s_delay_alu instid0(VALU_DEP_1) | instskip(NEXT) | instid1(VALU_DEP_1)
	v_add_f32_e32 v12, v12, v13
	v_add_f32_e32 v12, v103, v12
	s_delay_alu instid0(VALU_DEP_1)
	v_cndmask_b32_e32 v100, v12, v14, vcc_lo
.LBB80_88:                              ;   in Loop: Header=BB80_12 Depth=1
	s_or_b32 exec_lo, exec_lo, s29
	v_lshrrev_b32_e32 v12, 16, v15
	s_delay_alu instid0(VALU_DEP_1) | instskip(NEXT) | instid1(VALU_DEP_1)
	v_cvt_f32_f16_e32 v12, v12
	v_add_f32_e32 v101, s66, v12
	s_delay_alu instid0(VALU_DEP_1) | instskip(SKIP_1) | instid1(SALU_CYCLE_1)
	v_cmp_ge_f32_e32 vcc_lo, 0x41a00000, v101
	s_and_b32 s28, s79, vcc_lo
	s_and_saveexec_b32 s29, s28
	s_cbranch_execz .LBB80_90
; %bb.89:                               ;   in Loop: Header=BB80_12 Depth=1
	v_mul_f32_e32 v12, 0x3fb8aa3b, v101
	v_cmp_ngt_f32_e32 vcc_lo, 0xc2ce8ed0, v101
	s_delay_alu instid0(VALU_DEP_2) | instskip(SKIP_1) | instid1(VALU_DEP_2)
	v_rndne_f32_e32 v13, v12
	v_fma_f32 v14, 0x3fb8aa3b, v101, -v12
	v_sub_f32_e32 v12, v12, v13
	s_delay_alu instid0(VALU_DEP_2) | instskip(SKIP_1) | instid1(VALU_DEP_2)
	v_fmac_f32_e32 v14, 0x32a5705f, v101
	v_cvt_i32_f32_e32 v13, v13
	v_add_f32_e32 v12, v12, v14
	s_delay_alu instid0(VALU_DEP_1) | instskip(SKIP_2) | instid1(VALU_DEP_1)
	v_exp_f32_e32 v12, v12
	s_waitcnt_depctr 0xfff
	v_ldexp_f32 v12, v12, v13
	v_cndmask_b32_e32 v12, 0, v12, vcc_lo
	v_cmp_nlt_f32_e32 vcc_lo, 0x42b17218, v101
	s_delay_alu instid0(VALU_DEP_2) | instskip(NEXT) | instid1(VALU_DEP_1)
	v_cndmask_b32_e32 v14, 0x7f800000, v12, vcc_lo
	v_add_f32_e32 v15, 1.0, v14
	s_delay_alu instid0(VALU_DEP_1) | instskip(NEXT) | instid1(VALU_DEP_1)
	v_cvt_f64_f32_e32 v[12:13], v15
	v_frexp_exp_i32_f64_e32 v12, v[12:13]
	v_frexp_mant_f32_e32 v13, v15
	s_delay_alu instid0(VALU_DEP_1) | instskip(SKIP_1) | instid1(VALU_DEP_1)
	v_cmp_gt_f32_e32 vcc_lo, 0x3f2aaaab, v13
	v_add_f32_e32 v13, -1.0, v15
	v_sub_f32_e32 v101, v13, v15
	v_sub_f32_e32 v13, v14, v13
	s_delay_alu instid0(VALU_DEP_2) | instskip(NEXT) | instid1(VALU_DEP_1)
	v_add_f32_e32 v101, 1.0, v101
	v_add_f32_e32 v13, v13, v101
	v_cmp_gt_f32_e64 s28, 0x33800000, v14
	v_subrev_co_ci_u32_e32 v12, vcc_lo, 0, v12, vcc_lo
	v_cmp_eq_f32_e32 vcc_lo, 0x7f800000, v14
	s_delay_alu instid0(VALU_DEP_2) | instskip(SKIP_2) | instid1(VALU_DEP_2)
	v_sub_nc_u32_e32 v17, 0, v12
	v_cvt_f32_i32_e32 v12, v12
	s_or_b32 vcc_lo, s28, vcc_lo
	v_ldexp_f32 v15, v15, v17
	v_ldexp_f32 v13, v13, v17
	s_delay_alu instid0(VALU_DEP_2) | instskip(SKIP_1) | instid1(VALU_DEP_2)
	v_add_f32_e32 v102, 1.0, v15
	v_add_f32_e32 v17, -1.0, v15
	v_add_f32_e32 v101, -1.0, v102
	s_delay_alu instid0(VALU_DEP_2) | instskip(NEXT) | instid1(VALU_DEP_2)
	v_add_f32_e32 v103, 1.0, v17
	v_sub_f32_e32 v101, v15, v101
	s_delay_alu instid0(VALU_DEP_2) | instskip(NEXT) | instid1(VALU_DEP_2)
	v_sub_f32_e32 v15, v15, v103
	v_add_f32_e32 v101, v13, v101
	s_delay_alu instid0(VALU_DEP_2) | instskip(NEXT) | instid1(VALU_DEP_1)
	v_add_f32_e32 v13, v13, v15
	v_add_f32_e32 v104, v17, v13
	s_delay_alu instid0(VALU_DEP_3) | instskip(NEXT) | instid1(VALU_DEP_1)
	v_add_f32_e32 v103, v102, v101
	v_rcp_f32_e32 v15, v103
	v_sub_f32_e32 v102, v102, v103
	s_delay_alu instid0(VALU_DEP_1) | instskip(SKIP_2) | instid1(VALU_DEP_1)
	v_add_f32_e32 v101, v101, v102
	s_waitcnt_depctr 0xfff
	v_mul_f32_e32 v105, v104, v15
	v_dual_mul_f32 v106, v103, v105 :: v_dual_sub_f32 v17, v17, v104
	s_delay_alu instid0(VALU_DEP_1) | instskip(NEXT) | instid1(VALU_DEP_2)
	v_fma_f32 v102, v105, v103, -v106
	v_add_f32_e32 v13, v13, v17
	s_delay_alu instid0(VALU_DEP_2) | instskip(NEXT) | instid1(VALU_DEP_1)
	v_fmac_f32_e32 v102, v105, v101
	v_add_f32_e32 v107, v106, v102
	s_delay_alu instid0(VALU_DEP_1) | instskip(NEXT) | instid1(VALU_DEP_1)
	v_dual_sub_f32 v108, v104, v107 :: v_dual_sub_f32 v17, v107, v106
	v_dual_sub_f32 v104, v104, v108 :: v_dual_sub_f32 v17, v17, v102
	s_delay_alu instid0(VALU_DEP_1) | instskip(NEXT) | instid1(VALU_DEP_1)
	v_sub_f32_e32 v104, v104, v107
	v_add_f32_e32 v13, v13, v104
	s_delay_alu instid0(VALU_DEP_1) | instskip(NEXT) | instid1(VALU_DEP_1)
	v_add_f32_e32 v13, v17, v13
	v_add_f32_e32 v17, v108, v13
	s_delay_alu instid0(VALU_DEP_1) | instskip(NEXT) | instid1(VALU_DEP_1)
	v_mul_f32_e32 v102, v15, v17
	v_dual_sub_f32 v107, v108, v17 :: v_dual_mul_f32 v104, v103, v102
	s_delay_alu instid0(VALU_DEP_1) | instskip(NEXT) | instid1(VALU_DEP_2)
	v_add_f32_e32 v13, v13, v107
	v_fma_f32 v103, v102, v103, -v104
	s_delay_alu instid0(VALU_DEP_1) | instskip(NEXT) | instid1(VALU_DEP_1)
	v_fmac_f32_e32 v103, v102, v101
	v_add_f32_e32 v101, v104, v103
	s_delay_alu instid0(VALU_DEP_1) | instskip(SKIP_1) | instid1(VALU_DEP_2)
	v_sub_f32_e32 v106, v17, v101
	v_sub_f32_e32 v104, v101, v104
	;; [unrolled: 1-line block ×3, first 2 shown]
	s_delay_alu instid0(VALU_DEP_1) | instskip(NEXT) | instid1(VALU_DEP_3)
	v_sub_f32_e32 v17, v17, v101
	v_sub_f32_e32 v101, v104, v103
	s_delay_alu instid0(VALU_DEP_2) | instskip(SKIP_1) | instid1(VALU_DEP_2)
	v_add_f32_e32 v13, v13, v17
	v_add_f32_e32 v17, v105, v102
	;; [unrolled: 1-line block ×3, first 2 shown]
	s_delay_alu instid0(VALU_DEP_2) | instskip(NEXT) | instid1(VALU_DEP_2)
	v_sub_f32_e32 v101, v17, v105
	v_add_f32_e32 v13, v106, v13
	s_delay_alu instid0(VALU_DEP_2) | instskip(NEXT) | instid1(VALU_DEP_2)
	v_sub_f32_e32 v101, v102, v101
	v_mul_f32_e32 v13, v15, v13
	s_delay_alu instid0(VALU_DEP_1) | instskip(NEXT) | instid1(VALU_DEP_1)
	v_add_f32_e32 v13, v101, v13
	v_add_f32_e32 v15, v17, v13
	s_delay_alu instid0(VALU_DEP_1) | instskip(NEXT) | instid1(VALU_DEP_1)
	v_mul_f32_e32 v101, v15, v15
	v_fmaak_f32 v102, s83, v101, 0x3ecc95a3
	v_mul_f32_e32 v103, v15, v101
	s_delay_alu instid0(VALU_DEP_2) | instskip(SKIP_2) | instid1(VALU_DEP_3)
	v_fmaak_f32 v101, v101, v102, 0x3f2aaada
	v_ldexp_f32 v102, v15, 1
	v_sub_f32_e32 v15, v15, v17
	v_mul_f32_e32 v101, v103, v101
	v_mul_f32_e32 v103, 0x3f317218, v12
	s_delay_alu instid0(VALU_DEP_3) | instskip(NEXT) | instid1(VALU_DEP_3)
	v_sub_f32_e32 v13, v13, v15
	v_add_f32_e32 v17, v102, v101
	s_delay_alu instid0(VALU_DEP_2) | instskip(NEXT) | instid1(VALU_DEP_2)
	v_ldexp_f32 v13, v13, 1
	v_sub_f32_e32 v15, v17, v102
	v_fma_f32 v102, 0x3f317218, v12, -v103
	s_delay_alu instid0(VALU_DEP_1) | instskip(NEXT) | instid1(VALU_DEP_1)
	v_dual_sub_f32 v15, v101, v15 :: v_dual_fmac_f32 v102, 0xb102e308, v12
	v_dual_add_f32 v12, v13, v15 :: v_dual_add_f32 v13, v103, v102
	s_delay_alu instid0(VALU_DEP_1) | instskip(NEXT) | instid1(VALU_DEP_1)
	v_add_f32_e32 v15, v17, v12
	v_add_f32_e32 v101, v13, v15
	v_sub_f32_e32 v17, v15, v17
	s_delay_alu instid0(VALU_DEP_2) | instskip(NEXT) | instid1(VALU_DEP_2)
	v_sub_f32_e32 v104, v101, v13
	v_dual_sub_f32 v103, v13, v103 :: v_dual_sub_f32 v12, v12, v17
	s_delay_alu instid0(VALU_DEP_1) | instskip(SKIP_1) | instid1(VALU_DEP_2)
	v_dual_sub_f32 v105, v101, v104 :: v_dual_sub_f32 v102, v102, v103
	v_sub_f32_e32 v15, v15, v104
	v_sub_f32_e32 v13, v13, v105
	s_delay_alu instid0(VALU_DEP_3) | instskip(NEXT) | instid1(VALU_DEP_2)
	v_add_f32_e32 v17, v102, v12
	v_add_f32_e32 v13, v15, v13
	s_delay_alu instid0(VALU_DEP_2) | instskip(NEXT) | instid1(VALU_DEP_2)
	v_sub_f32_e32 v15, v17, v102
	v_add_f32_e32 v13, v17, v13
	s_delay_alu instid0(VALU_DEP_2) | instskip(NEXT) | instid1(VALU_DEP_2)
	v_sub_f32_e32 v17, v17, v15
	v_dual_sub_f32 v12, v12, v15 :: v_dual_add_f32 v103, v101, v13
	s_delay_alu instid0(VALU_DEP_2) | instskip(NEXT) | instid1(VALU_DEP_2)
	v_sub_f32_e32 v17, v102, v17
	v_sub_f32_e32 v15, v103, v101
	s_delay_alu instid0(VALU_DEP_1) | instskip(NEXT) | instid1(VALU_DEP_1)
	v_dual_add_f32 v12, v12, v17 :: v_dual_sub_f32 v13, v13, v15
	v_add_f32_e32 v12, v12, v13
	s_delay_alu instid0(VALU_DEP_1) | instskip(NEXT) | instid1(VALU_DEP_1)
	v_add_f32_e32 v12, v103, v12
	v_cndmask_b32_e32 v101, v12, v14, vcc_lo
.LBB80_90:                              ;   in Loop: Header=BB80_12 Depth=1
	s_or_b32 exec_lo, exec_lo, s29
	s_waitcnt lgkmcnt(0)
	v_cvt_f32_f16_e32 v12, v8
	s_delay_alu instid0(VALU_DEP_1) | instskip(NEXT) | instid1(VALU_DEP_1)
	v_add_f32_e32 v104, s66, v12
	v_cmp_ge_f32_e32 vcc_lo, 0x41a00000, v104
	s_and_b32 s28, s79, vcc_lo
	s_delay_alu instid0(SALU_CYCLE_1)
	s_and_saveexec_b32 s29, s28
	s_cbranch_execz .LBB80_92
; %bb.91:                               ;   in Loop: Header=BB80_12 Depth=1
	v_mul_f32_e32 v12, 0x3fb8aa3b, v104
	v_cmp_ngt_f32_e32 vcc_lo, 0xc2ce8ed0, v104
	s_delay_alu instid0(VALU_DEP_2) | instskip(SKIP_1) | instid1(VALU_DEP_2)
	v_rndne_f32_e32 v13, v12
	v_fma_f32 v14, 0x3fb8aa3b, v104, -v12
	v_sub_f32_e32 v12, v12, v13
	s_delay_alu instid0(VALU_DEP_2) | instskip(SKIP_1) | instid1(VALU_DEP_2)
	v_fmac_f32_e32 v14, 0x32a5705f, v104
	v_cvt_i32_f32_e32 v13, v13
	v_add_f32_e32 v12, v12, v14
	s_delay_alu instid0(VALU_DEP_1) | instskip(SKIP_2) | instid1(VALU_DEP_1)
	v_exp_f32_e32 v12, v12
	s_waitcnt_depctr 0xfff
	v_ldexp_f32 v12, v12, v13
	v_cndmask_b32_e32 v12, 0, v12, vcc_lo
	v_cmp_nlt_f32_e32 vcc_lo, 0x42b17218, v104
	s_delay_alu instid0(VALU_DEP_2) | instskip(NEXT) | instid1(VALU_DEP_1)
	v_cndmask_b32_e32 v14, 0x7f800000, v12, vcc_lo
	v_add_f32_e32 v15, 1.0, v14
	s_delay_alu instid0(VALU_DEP_1) | instskip(NEXT) | instid1(VALU_DEP_1)
	v_cvt_f64_f32_e32 v[12:13], v15
	v_frexp_exp_i32_f64_e32 v12, v[12:13]
	v_frexp_mant_f32_e32 v13, v15
	s_delay_alu instid0(VALU_DEP_1) | instskip(SKIP_1) | instid1(VALU_DEP_1)
	v_cmp_gt_f32_e32 vcc_lo, 0x3f2aaaab, v13
	v_add_f32_e32 v13, -1.0, v15
	v_dual_sub_f32 v102, v13, v15 :: v_dual_sub_f32 v13, v14, v13
	s_delay_alu instid0(VALU_DEP_1) | instskip(NEXT) | instid1(VALU_DEP_1)
	v_add_f32_e32 v102, 1.0, v102
	v_add_f32_e32 v13, v13, v102
	v_subrev_co_ci_u32_e32 v12, vcc_lo, 0, v12, vcc_lo
	s_delay_alu instid0(VALU_DEP_1) | instskip(SKIP_1) | instid1(VALU_DEP_2)
	v_sub_nc_u32_e32 v17, 0, v12
	v_cvt_f32_i32_e32 v12, v12
	v_ldexp_f32 v15, v15, v17
	v_ldexp_f32 v13, v13, v17
	s_delay_alu instid0(VALU_DEP_2) | instskip(SKIP_3) | instid1(VALU_DEP_4)
	v_add_f32_e32 v103, 1.0, v15
	v_add_f32_e32 v17, -1.0, v15
	v_cmp_eq_f32_e32 vcc_lo, 0x7f800000, v14
	v_cmp_gt_f32_e64 s28, 0x33800000, v14
	v_add_f32_e32 v102, -1.0, v103
	s_delay_alu instid0(VALU_DEP_4) | instskip(NEXT) | instid1(VALU_DEP_3)
	v_add_f32_e32 v104, 1.0, v17
	s_or_b32 vcc_lo, s28, vcc_lo
	s_delay_alu instid0(VALU_DEP_2) | instskip(NEXT) | instid1(VALU_DEP_1)
	v_sub_f32_e32 v102, v15, v102
	v_dual_sub_f32 v15, v15, v104 :: v_dual_add_f32 v102, v13, v102
	s_delay_alu instid0(VALU_DEP_1) | instskip(NEXT) | instid1(VALU_DEP_1)
	v_add_f32_e32 v13, v13, v15
	v_dual_add_f32 v105, v17, v13 :: v_dual_add_f32 v104, v103, v102
	s_delay_alu instid0(VALU_DEP_1) | instskip(NEXT) | instid1(VALU_DEP_2)
	v_sub_f32_e32 v17, v17, v105
	v_rcp_f32_e32 v15, v104
	v_sub_f32_e32 v103, v103, v104
	s_delay_alu instid0(VALU_DEP_1) | instskip(SKIP_2) | instid1(VALU_DEP_1)
	v_dual_add_f32 v102, v102, v103 :: v_dual_add_f32 v13, v13, v17
	s_waitcnt_depctr 0xfff
	v_mul_f32_e32 v106, v105, v15
	v_mul_f32_e32 v107, v104, v106
	s_delay_alu instid0(VALU_DEP_1) | instskip(NEXT) | instid1(VALU_DEP_1)
	v_fma_f32 v103, v106, v104, -v107
	v_fmac_f32_e32 v103, v106, v102
	s_delay_alu instid0(VALU_DEP_1) | instskip(NEXT) | instid1(VALU_DEP_1)
	v_add_f32_e32 v108, v107, v103
	v_sub_f32_e32 v109, v105, v108
	s_delay_alu instid0(VALU_DEP_1) | instskip(SKIP_1) | instid1(VALU_DEP_2)
	v_sub_f32_e32 v105, v105, v109
	v_sub_f32_e32 v17, v108, v107
	;; [unrolled: 1-line block ×3, first 2 shown]
	s_delay_alu instid0(VALU_DEP_2) | instskip(NEXT) | instid1(VALU_DEP_2)
	v_sub_f32_e32 v17, v17, v103
	v_add_f32_e32 v13, v13, v105
	s_delay_alu instid0(VALU_DEP_1) | instskip(NEXT) | instid1(VALU_DEP_1)
	v_add_f32_e32 v13, v17, v13
	v_add_f32_e32 v17, v109, v13
	s_delay_alu instid0(VALU_DEP_1) | instskip(NEXT) | instid1(VALU_DEP_1)
	v_mul_f32_e32 v103, v15, v17
	v_dual_sub_f32 v108, v109, v17 :: v_dual_mul_f32 v105, v104, v103
	s_delay_alu instid0(VALU_DEP_1) | instskip(NEXT) | instid1(VALU_DEP_2)
	v_add_f32_e32 v13, v13, v108
	v_fma_f32 v104, v103, v104, -v105
	s_delay_alu instid0(VALU_DEP_1) | instskip(NEXT) | instid1(VALU_DEP_1)
	v_fmac_f32_e32 v104, v103, v102
	v_add_f32_e32 v102, v105, v104
	s_delay_alu instid0(VALU_DEP_1) | instskip(NEXT) | instid1(VALU_DEP_1)
	v_sub_f32_e32 v107, v17, v102
	v_sub_f32_e32 v17, v17, v107
	s_delay_alu instid0(VALU_DEP_1) | instskip(NEXT) | instid1(VALU_DEP_1)
	v_sub_f32_e32 v17, v17, v102
	v_add_f32_e32 v13, v13, v17
	v_add_f32_e32 v17, v106, v103
	v_sub_f32_e32 v105, v102, v105
	s_delay_alu instid0(VALU_DEP_1) | instskip(NEXT) | instid1(VALU_DEP_1)
	v_sub_f32_e32 v102, v105, v104
	v_dual_add_f32 v13, v102, v13 :: v_dual_sub_f32 v102, v17, v106
	s_delay_alu instid0(VALU_DEP_1) | instskip(NEXT) | instid1(VALU_DEP_2)
	v_add_f32_e32 v13, v107, v13
	v_sub_f32_e32 v102, v103, v102
	s_delay_alu instid0(VALU_DEP_2) | instskip(NEXT) | instid1(VALU_DEP_1)
	v_mul_f32_e32 v13, v15, v13
	v_add_f32_e32 v13, v102, v13
	s_delay_alu instid0(VALU_DEP_1) | instskip(NEXT) | instid1(VALU_DEP_1)
	v_add_f32_e32 v15, v17, v13
	v_mul_f32_e32 v102, v15, v15
	s_delay_alu instid0(VALU_DEP_1) | instskip(SKIP_1) | instid1(VALU_DEP_2)
	v_fmaak_f32 v103, s83, v102, 0x3ecc95a3
	v_mul_f32_e32 v104, v15, v102
	v_fmaak_f32 v102, v102, v103, 0x3f2aaada
	v_ldexp_f32 v103, v15, 1
	s_delay_alu instid0(VALU_DEP_2) | instskip(NEXT) | instid1(VALU_DEP_1)
	v_dual_sub_f32 v15, v15, v17 :: v_dual_mul_f32 v102, v104, v102
	v_dual_mul_f32 v104, 0x3f317218, v12 :: v_dual_sub_f32 v13, v13, v15
	s_delay_alu instid0(VALU_DEP_2) | instskip(NEXT) | instid1(VALU_DEP_2)
	v_add_f32_e32 v17, v103, v102
	v_ldexp_f32 v13, v13, 1
	s_delay_alu instid0(VALU_DEP_2) | instskip(NEXT) | instid1(VALU_DEP_4)
	v_sub_f32_e32 v15, v17, v103
	v_fma_f32 v103, 0x3f317218, v12, -v104
	s_delay_alu instid0(VALU_DEP_2) | instskip(NEXT) | instid1(VALU_DEP_1)
	v_sub_f32_e32 v15, v102, v15
	v_dual_fmac_f32 v103, 0xb102e308, v12 :: v_dual_add_f32 v12, v13, v15
	s_delay_alu instid0(VALU_DEP_1) | instskip(NEXT) | instid1(VALU_DEP_2)
	v_add_f32_e32 v13, v104, v103
	v_add_f32_e32 v15, v17, v12
	s_delay_alu instid0(VALU_DEP_2) | instskip(NEXT) | instid1(VALU_DEP_2)
	v_sub_f32_e32 v104, v13, v104
	v_dual_add_f32 v102, v13, v15 :: v_dual_sub_f32 v17, v15, v17
	s_delay_alu instid0(VALU_DEP_2) | instskip(NEXT) | instid1(VALU_DEP_2)
	v_sub_f32_e32 v103, v103, v104
	v_sub_f32_e32 v105, v102, v13
	s_delay_alu instid0(VALU_DEP_3) | instskip(NEXT) | instid1(VALU_DEP_2)
	v_sub_f32_e32 v12, v12, v17
	v_sub_f32_e32 v106, v102, v105
	;; [unrolled: 1-line block ×3, first 2 shown]
	s_delay_alu instid0(VALU_DEP_3) | instskip(NEXT) | instid1(VALU_DEP_3)
	v_add_f32_e32 v17, v103, v12
	v_sub_f32_e32 v13, v13, v106
	s_delay_alu instid0(VALU_DEP_1) | instskip(NEXT) | instid1(VALU_DEP_3)
	v_add_f32_e32 v13, v15, v13
	v_sub_f32_e32 v15, v17, v103
	s_delay_alu instid0(VALU_DEP_2) | instskip(NEXT) | instid1(VALU_DEP_2)
	v_add_f32_e32 v13, v17, v13
	v_sub_f32_e32 v17, v17, v15
	v_sub_f32_e32 v12, v12, v15
	s_delay_alu instid0(VALU_DEP_3) | instskip(NEXT) | instid1(VALU_DEP_3)
	v_add_f32_e32 v104, v102, v13
	v_sub_f32_e32 v17, v103, v17
	s_delay_alu instid0(VALU_DEP_2) | instskip(NEXT) | instid1(VALU_DEP_1)
	v_sub_f32_e32 v15, v104, v102
	v_dual_add_f32 v12, v12, v17 :: v_dual_sub_f32 v13, v13, v15
	s_delay_alu instid0(VALU_DEP_1) | instskip(NEXT) | instid1(VALU_DEP_1)
	v_add_f32_e32 v12, v12, v13
	v_add_f32_e32 v12, v104, v12
	s_delay_alu instid0(VALU_DEP_1)
	v_cndmask_b32_e32 v104, v12, v14, vcc_lo
.LBB80_92:                              ;   in Loop: Header=BB80_12 Depth=1
	s_or_b32 exec_lo, exec_lo, s29
	v_lshrrev_b32_e32 v8, 16, v8
	s_delay_alu instid0(VALU_DEP_1) | instskip(NEXT) | instid1(VALU_DEP_1)
	v_cvt_f32_f16_e32 v8, v8
	v_add_f32_e32 v115, s66, v8
	s_delay_alu instid0(VALU_DEP_1) | instskip(SKIP_1) | instid1(SALU_CYCLE_1)
	v_cmp_ge_f32_e32 vcc_lo, 0x41a00000, v115
	s_and_b32 s28, s79, vcc_lo
	s_and_saveexec_b32 s29, s28
	s_cbranch_execz .LBB80_94
; %bb.93:                               ;   in Loop: Header=BB80_12 Depth=1
	v_mul_f32_e32 v8, 0x3fb8aa3b, v115
	v_cmp_ngt_f32_e32 vcc_lo, 0xc2ce8ed0, v115
	s_delay_alu instid0(VALU_DEP_2) | instskip(SKIP_1) | instid1(VALU_DEP_1)
	v_rndne_f32_e32 v12, v8
	v_fma_f32 v13, 0x3fb8aa3b, v115, -v8
	v_dual_sub_f32 v8, v8, v12 :: v_dual_fmac_f32 v13, 0x32a5705f, v115
	v_cvt_i32_f32_e32 v12, v12
	s_delay_alu instid0(VALU_DEP_2) | instskip(NEXT) | instid1(VALU_DEP_1)
	v_add_f32_e32 v8, v8, v13
	v_exp_f32_e32 v8, v8
	s_waitcnt_depctr 0xfff
	v_ldexp_f32 v8, v8, v12
	s_delay_alu instid0(VALU_DEP_1) | instskip(SKIP_1) | instid1(VALU_DEP_2)
	v_cndmask_b32_e32 v8, 0, v8, vcc_lo
	v_cmp_nlt_f32_e32 vcc_lo, 0x42b17218, v115
	v_cndmask_b32_e32 v8, 0x7f800000, v8, vcc_lo
	s_delay_alu instid0(VALU_DEP_1) | instskip(NEXT) | instid1(VALU_DEP_1)
	v_add_f32_e32 v14, 1.0, v8
	v_cvt_f64_f32_e32 v[12:13], v14
	s_delay_alu instid0(VALU_DEP_1) | instskip(SKIP_1) | instid1(VALU_DEP_1)
	v_frexp_exp_i32_f64_e32 v12, v[12:13]
	v_frexp_mant_f32_e32 v13, v14
	v_cmp_gt_f32_e32 vcc_lo, 0x3f2aaaab, v13
	v_add_f32_e32 v13, -1.0, v14
	s_delay_alu instid0(VALU_DEP_1) | instskip(SKIP_1) | instid1(VALU_DEP_2)
	v_sub_f32_e32 v17, v13, v14
	v_sub_f32_e32 v13, v8, v13
	v_add_f32_e32 v17, 1.0, v17
	s_delay_alu instid0(VALU_DEP_1) | instskip(SKIP_3) | instid1(VALU_DEP_2)
	v_add_f32_e32 v13, v13, v17
	v_cmp_gt_f32_e64 s28, 0x33800000, v8
	v_subrev_co_ci_u32_e32 v12, vcc_lo, 0, v12, vcc_lo
	v_cmp_eq_f32_e32 vcc_lo, 0x7f800000, v8
	v_sub_nc_u32_e32 v15, 0, v12
	v_cvt_f32_i32_e32 v12, v12
	s_or_b32 vcc_lo, s28, vcc_lo
	s_delay_alu instid0(VALU_DEP_2) | instskip(SKIP_1) | instid1(VALU_DEP_2)
	v_ldexp_f32 v14, v14, v15
	v_ldexp_f32 v13, v13, v15
	v_add_f32_e32 v102, 1.0, v14
	v_add_f32_e32 v15, -1.0, v14
	s_delay_alu instid0(VALU_DEP_1) | instskip(NEXT) | instid1(VALU_DEP_3)
	v_add_f32_e32 v103, 1.0, v15
	v_add_f32_e32 v17, -1.0, v102
	s_delay_alu instid0(VALU_DEP_1) | instskip(NEXT) | instid1(VALU_DEP_1)
	v_sub_f32_e32 v17, v14, v17
	v_dual_sub_f32 v14, v14, v103 :: v_dual_add_f32 v17, v13, v17
	s_delay_alu instid0(VALU_DEP_1) | instskip(NEXT) | instid1(VALU_DEP_1)
	v_add_f32_e32 v103, v102, v17
	v_sub_f32_e32 v102, v102, v103
	s_delay_alu instid0(VALU_DEP_1) | instskip(NEXT) | instid1(VALU_DEP_4)
	v_add_f32_e32 v17, v17, v102
	v_add_f32_e32 v13, v13, v14
	v_rcp_f32_e32 v14, v103
	s_delay_alu instid0(VALU_DEP_1) | instskip(SKIP_2) | instid1(VALU_DEP_1)
	v_add_f32_e32 v105, v15, v13
	s_waitcnt_depctr 0xfff
	v_dual_sub_f32 v15, v15, v105 :: v_dual_mul_f32 v106, v105, v14
	v_mul_f32_e32 v107, v103, v106
	s_delay_alu instid0(VALU_DEP_1) | instskip(NEXT) | instid1(VALU_DEP_1)
	v_fma_f32 v102, v106, v103, -v107
	v_dual_fmac_f32 v102, v106, v17 :: v_dual_add_f32 v13, v13, v15
	s_delay_alu instid0(VALU_DEP_1) | instskip(NEXT) | instid1(VALU_DEP_1)
	v_add_f32_e32 v108, v107, v102
	v_sub_f32_e32 v109, v105, v108
	v_sub_f32_e32 v15, v108, v107
	s_delay_alu instid0(VALU_DEP_2) | instskip(NEXT) | instid1(VALU_DEP_2)
	v_sub_f32_e32 v105, v105, v109
	v_sub_f32_e32 v15, v15, v102
	s_delay_alu instid0(VALU_DEP_2) | instskip(NEXT) | instid1(VALU_DEP_1)
	v_sub_f32_e32 v105, v105, v108
	v_add_f32_e32 v13, v13, v105
	s_delay_alu instid0(VALU_DEP_1) | instskip(NEXT) | instid1(VALU_DEP_1)
	v_add_f32_e32 v13, v15, v13
	v_add_f32_e32 v15, v109, v13
	s_delay_alu instid0(VALU_DEP_1) | instskip(NEXT) | instid1(VALU_DEP_1)
	v_mul_f32_e32 v102, v14, v15
	v_dual_sub_f32 v108, v109, v15 :: v_dual_mul_f32 v105, v103, v102
	s_delay_alu instid0(VALU_DEP_1) | instskip(NEXT) | instid1(VALU_DEP_2)
	v_add_f32_e32 v13, v13, v108
	v_fma_f32 v103, v102, v103, -v105
	s_delay_alu instid0(VALU_DEP_1) | instskip(NEXT) | instid1(VALU_DEP_1)
	v_fmac_f32_e32 v103, v102, v17
	v_add_f32_e32 v17, v105, v103
	s_delay_alu instid0(VALU_DEP_1) | instskip(SKIP_1) | instid1(VALU_DEP_2)
	v_sub_f32_e32 v107, v15, v17
	v_sub_f32_e32 v105, v17, v105
	;; [unrolled: 1-line block ×3, first 2 shown]
	s_delay_alu instid0(VALU_DEP_1) | instskip(NEXT) | instid1(VALU_DEP_3)
	v_sub_f32_e32 v15, v15, v17
	v_sub_f32_e32 v17, v105, v103
	s_delay_alu instid0(VALU_DEP_2) | instskip(SKIP_1) | instid1(VALU_DEP_2)
	v_add_f32_e32 v13, v13, v15
	v_add_f32_e32 v15, v106, v102
	;; [unrolled: 1-line block ×3, first 2 shown]
	s_delay_alu instid0(VALU_DEP_2) | instskip(NEXT) | instid1(VALU_DEP_2)
	v_sub_f32_e32 v17, v15, v106
	v_add_f32_e32 v13, v107, v13
	s_delay_alu instid0(VALU_DEP_2) | instskip(NEXT) | instid1(VALU_DEP_2)
	v_sub_f32_e32 v17, v102, v17
	v_mul_f32_e32 v13, v14, v13
	s_delay_alu instid0(VALU_DEP_1) | instskip(NEXT) | instid1(VALU_DEP_1)
	v_add_f32_e32 v13, v17, v13
	v_add_f32_e32 v14, v15, v13
	s_delay_alu instid0(VALU_DEP_1) | instskip(NEXT) | instid1(VALU_DEP_1)
	v_mul_f32_e32 v17, v14, v14
	v_fmaak_f32 v102, s83, v17, 0x3ecc95a3
	v_mul_f32_e32 v103, v14, v17
	s_delay_alu instid0(VALU_DEP_2) | instskip(SKIP_1) | instid1(VALU_DEP_2)
	v_fmaak_f32 v17, v17, v102, 0x3f2aaada
	v_ldexp_f32 v102, v14, 1
	v_dual_sub_f32 v14, v14, v15 :: v_dual_mul_f32 v17, v103, v17
	v_mul_f32_e32 v103, 0x3f317218, v12
	s_delay_alu instid0(VALU_DEP_2) | instskip(NEXT) | instid1(VALU_DEP_3)
	v_sub_f32_e32 v13, v13, v14
	v_add_f32_e32 v15, v102, v17
	s_delay_alu instid0(VALU_DEP_2) | instskip(NEXT) | instid1(VALU_DEP_2)
	v_ldexp_f32 v13, v13, 1
	v_sub_f32_e32 v14, v15, v102
	v_fma_f32 v102, 0x3f317218, v12, -v103
	s_delay_alu instid0(VALU_DEP_2) | instskip(NEXT) | instid1(VALU_DEP_2)
	v_sub_f32_e32 v14, v17, v14
	v_fmac_f32_e32 v102, 0xb102e308, v12
	s_delay_alu instid0(VALU_DEP_2) | instskip(NEXT) | instid1(VALU_DEP_2)
	v_add_f32_e32 v12, v13, v14
	v_add_f32_e32 v13, v103, v102
	s_delay_alu instid0(VALU_DEP_1) | instskip(NEXT) | instid1(VALU_DEP_1)
	v_dual_add_f32 v14, v15, v12 :: v_dual_sub_f32 v103, v13, v103
	v_add_f32_e32 v17, v13, v14
	v_sub_f32_e32 v15, v14, v15
	s_delay_alu instid0(VALU_DEP_2) | instskip(NEXT) | instid1(VALU_DEP_2)
	v_dual_sub_f32 v102, v102, v103 :: v_dual_sub_f32 v105, v17, v13
	v_sub_f32_e32 v12, v12, v15
	s_delay_alu instid0(VALU_DEP_2) | instskip(SKIP_1) | instid1(VALU_DEP_3)
	v_sub_f32_e32 v106, v17, v105
	v_sub_f32_e32 v14, v14, v105
	v_add_f32_e32 v15, v102, v12
	s_delay_alu instid0(VALU_DEP_3) | instskip(NEXT) | instid1(VALU_DEP_1)
	v_sub_f32_e32 v13, v13, v106
	v_dual_add_f32 v13, v14, v13 :: v_dual_sub_f32 v14, v15, v102
	s_delay_alu instid0(VALU_DEP_1) | instskip(NEXT) | instid1(VALU_DEP_2)
	v_add_f32_e32 v13, v15, v13
	v_sub_f32_e32 v15, v15, v14
	s_delay_alu instid0(VALU_DEP_2) | instskip(NEXT) | instid1(VALU_DEP_1)
	v_dual_sub_f32 v12, v12, v14 :: v_dual_add_f32 v103, v17, v13
	v_dual_sub_f32 v15, v102, v15 :: v_dual_sub_f32 v14, v103, v17
	s_delay_alu instid0(VALU_DEP_1) | instskip(NEXT) | instid1(VALU_DEP_1)
	v_dual_add_f32 v12, v12, v15 :: v_dual_sub_f32 v13, v13, v14
	v_add_f32_e32 v12, v12, v13
	s_delay_alu instid0(VALU_DEP_1) | instskip(NEXT) | instid1(VALU_DEP_1)
	v_add_f32_e32 v12, v103, v12
	v_cndmask_b32_e32 v115, v12, v8, vcc_lo
.LBB80_94:                              ;   in Loop: Header=BB80_12 Depth=1
	s_or_b32 exec_lo, exec_lo, s29
	v_cvt_f32_f16_e32 v8, v9
	s_delay_alu instid0(VALU_DEP_1) | instskip(NEXT) | instid1(VALU_DEP_1)
	v_add_f32_e32 v118, s66, v8
	v_cmp_ge_f32_e32 vcc_lo, 0x41a00000, v118
	s_and_b32 s28, s79, vcc_lo
	s_delay_alu instid0(SALU_CYCLE_1)
	s_and_saveexec_b32 s29, s28
	s_cbranch_execz .LBB80_96
; %bb.95:                               ;   in Loop: Header=BB80_12 Depth=1
	v_mul_f32_e32 v8, 0x3fb8aa3b, v118
	v_cmp_ngt_f32_e32 vcc_lo, 0xc2ce8ed0, v118
	s_delay_alu instid0(VALU_DEP_2) | instskip(SKIP_1) | instid1(VALU_DEP_1)
	v_rndne_f32_e32 v12, v8
	v_fma_f32 v13, 0x3fb8aa3b, v118, -v8
	v_dual_sub_f32 v8, v8, v12 :: v_dual_fmac_f32 v13, 0x32a5705f, v118
	v_cvt_i32_f32_e32 v12, v12
	s_delay_alu instid0(VALU_DEP_2) | instskip(NEXT) | instid1(VALU_DEP_1)
	v_add_f32_e32 v8, v8, v13
	v_exp_f32_e32 v8, v8
	s_waitcnt_depctr 0xfff
	v_ldexp_f32 v8, v8, v12
	s_delay_alu instid0(VALU_DEP_1) | instskip(SKIP_1) | instid1(VALU_DEP_2)
	v_cndmask_b32_e32 v8, 0, v8, vcc_lo
	v_cmp_nlt_f32_e32 vcc_lo, 0x42b17218, v118
	v_cndmask_b32_e32 v8, 0x7f800000, v8, vcc_lo
	s_delay_alu instid0(VALU_DEP_1) | instskip(NEXT) | instid1(VALU_DEP_1)
	v_add_f32_e32 v14, 1.0, v8
	v_cvt_f64_f32_e32 v[12:13], v14
	s_delay_alu instid0(VALU_DEP_1) | instskip(SKIP_1) | instid1(VALU_DEP_1)
	v_frexp_exp_i32_f64_e32 v12, v[12:13]
	v_frexp_mant_f32_e32 v13, v14
	v_cmp_gt_f32_e32 vcc_lo, 0x3f2aaaab, v13
	v_add_f32_e32 v13, -1.0, v14
	s_delay_alu instid0(VALU_DEP_1) | instskip(SKIP_1) | instid1(VALU_DEP_2)
	v_sub_f32_e32 v17, v13, v14
	v_sub_f32_e32 v13, v8, v13
	v_add_f32_e32 v17, 1.0, v17
	s_delay_alu instid0(VALU_DEP_1) | instskip(SKIP_3) | instid1(VALU_DEP_2)
	v_add_f32_e32 v13, v13, v17
	v_cmp_gt_f32_e64 s28, 0x33800000, v8
	v_subrev_co_ci_u32_e32 v12, vcc_lo, 0, v12, vcc_lo
	v_cmp_eq_f32_e32 vcc_lo, 0x7f800000, v8
	v_sub_nc_u32_e32 v15, 0, v12
	v_cvt_f32_i32_e32 v12, v12
	s_or_b32 vcc_lo, s28, vcc_lo
	s_delay_alu instid0(VALU_DEP_2) | instskip(SKIP_1) | instid1(VALU_DEP_2)
	v_ldexp_f32 v14, v14, v15
	v_ldexp_f32 v13, v13, v15
	v_add_f32_e32 v102, 1.0, v14
	v_add_f32_e32 v15, -1.0, v14
	s_delay_alu instid0(VALU_DEP_1) | instskip(NEXT) | instid1(VALU_DEP_3)
	v_add_f32_e32 v103, 1.0, v15
	v_add_f32_e32 v17, -1.0, v102
	s_delay_alu instid0(VALU_DEP_1) | instskip(NEXT) | instid1(VALU_DEP_1)
	v_sub_f32_e32 v17, v14, v17
	v_dual_sub_f32 v14, v14, v103 :: v_dual_add_f32 v17, v13, v17
	s_delay_alu instid0(VALU_DEP_1) | instskip(NEXT) | instid1(VALU_DEP_1)
	v_add_f32_e32 v103, v102, v17
	v_sub_f32_e32 v102, v102, v103
	s_delay_alu instid0(VALU_DEP_1) | instskip(NEXT) | instid1(VALU_DEP_4)
	v_add_f32_e32 v17, v17, v102
	v_add_f32_e32 v13, v13, v14
	v_rcp_f32_e32 v14, v103
	s_delay_alu instid0(VALU_DEP_1) | instskip(SKIP_2) | instid1(VALU_DEP_1)
	v_add_f32_e32 v105, v15, v13
	s_waitcnt_depctr 0xfff
	v_dual_sub_f32 v15, v15, v105 :: v_dual_mul_f32 v106, v105, v14
	v_mul_f32_e32 v107, v103, v106
	s_delay_alu instid0(VALU_DEP_1) | instskip(NEXT) | instid1(VALU_DEP_1)
	v_fma_f32 v102, v106, v103, -v107
	v_dual_fmac_f32 v102, v106, v17 :: v_dual_add_f32 v13, v13, v15
	s_delay_alu instid0(VALU_DEP_1) | instskip(NEXT) | instid1(VALU_DEP_1)
	v_add_f32_e32 v108, v107, v102
	v_sub_f32_e32 v109, v105, v108
	v_sub_f32_e32 v15, v108, v107
	s_delay_alu instid0(VALU_DEP_2) | instskip(NEXT) | instid1(VALU_DEP_2)
	v_sub_f32_e32 v105, v105, v109
	v_sub_f32_e32 v15, v15, v102
	s_delay_alu instid0(VALU_DEP_2) | instskip(NEXT) | instid1(VALU_DEP_1)
	v_sub_f32_e32 v105, v105, v108
	v_add_f32_e32 v13, v13, v105
	s_delay_alu instid0(VALU_DEP_1) | instskip(NEXT) | instid1(VALU_DEP_1)
	v_add_f32_e32 v13, v15, v13
	v_add_f32_e32 v15, v109, v13
	s_delay_alu instid0(VALU_DEP_1) | instskip(NEXT) | instid1(VALU_DEP_1)
	v_mul_f32_e32 v102, v14, v15
	v_dual_sub_f32 v108, v109, v15 :: v_dual_mul_f32 v105, v103, v102
	s_delay_alu instid0(VALU_DEP_1) | instskip(NEXT) | instid1(VALU_DEP_2)
	v_add_f32_e32 v13, v13, v108
	v_fma_f32 v103, v102, v103, -v105
	s_delay_alu instid0(VALU_DEP_1) | instskip(NEXT) | instid1(VALU_DEP_1)
	v_fmac_f32_e32 v103, v102, v17
	v_add_f32_e32 v17, v105, v103
	s_delay_alu instid0(VALU_DEP_1) | instskip(SKIP_1) | instid1(VALU_DEP_2)
	v_sub_f32_e32 v107, v15, v17
	v_sub_f32_e32 v105, v17, v105
	;; [unrolled: 1-line block ×3, first 2 shown]
	s_delay_alu instid0(VALU_DEP_1) | instskip(NEXT) | instid1(VALU_DEP_3)
	v_sub_f32_e32 v15, v15, v17
	v_sub_f32_e32 v17, v105, v103
	s_delay_alu instid0(VALU_DEP_2) | instskip(SKIP_1) | instid1(VALU_DEP_2)
	v_add_f32_e32 v13, v13, v15
	v_add_f32_e32 v15, v106, v102
	;; [unrolled: 1-line block ×3, first 2 shown]
	s_delay_alu instid0(VALU_DEP_2) | instskip(NEXT) | instid1(VALU_DEP_2)
	v_sub_f32_e32 v17, v15, v106
	v_add_f32_e32 v13, v107, v13
	s_delay_alu instid0(VALU_DEP_2) | instskip(NEXT) | instid1(VALU_DEP_2)
	v_sub_f32_e32 v17, v102, v17
	v_mul_f32_e32 v13, v14, v13
	s_delay_alu instid0(VALU_DEP_1) | instskip(NEXT) | instid1(VALU_DEP_1)
	v_add_f32_e32 v13, v17, v13
	v_add_f32_e32 v14, v15, v13
	s_delay_alu instid0(VALU_DEP_1) | instskip(NEXT) | instid1(VALU_DEP_1)
	v_mul_f32_e32 v17, v14, v14
	v_fmaak_f32 v102, s83, v17, 0x3ecc95a3
	v_mul_f32_e32 v103, v14, v17
	s_delay_alu instid0(VALU_DEP_2) | instskip(SKIP_1) | instid1(VALU_DEP_2)
	v_fmaak_f32 v17, v17, v102, 0x3f2aaada
	v_ldexp_f32 v102, v14, 1
	v_dual_sub_f32 v14, v14, v15 :: v_dual_mul_f32 v17, v103, v17
	v_mul_f32_e32 v103, 0x3f317218, v12
	s_delay_alu instid0(VALU_DEP_2) | instskip(NEXT) | instid1(VALU_DEP_3)
	v_sub_f32_e32 v13, v13, v14
	v_add_f32_e32 v15, v102, v17
	s_delay_alu instid0(VALU_DEP_2) | instskip(NEXT) | instid1(VALU_DEP_2)
	v_ldexp_f32 v13, v13, 1
	v_sub_f32_e32 v14, v15, v102
	v_fma_f32 v102, 0x3f317218, v12, -v103
	s_delay_alu instid0(VALU_DEP_2) | instskip(NEXT) | instid1(VALU_DEP_2)
	v_sub_f32_e32 v14, v17, v14
	v_fmac_f32_e32 v102, 0xb102e308, v12
	s_delay_alu instid0(VALU_DEP_2) | instskip(NEXT) | instid1(VALU_DEP_2)
	v_add_f32_e32 v12, v13, v14
	v_add_f32_e32 v13, v103, v102
	s_delay_alu instid0(VALU_DEP_1) | instskip(NEXT) | instid1(VALU_DEP_1)
	v_dual_add_f32 v14, v15, v12 :: v_dual_sub_f32 v103, v13, v103
	v_add_f32_e32 v17, v13, v14
	v_sub_f32_e32 v15, v14, v15
	s_delay_alu instid0(VALU_DEP_2) | instskip(NEXT) | instid1(VALU_DEP_2)
	v_dual_sub_f32 v102, v102, v103 :: v_dual_sub_f32 v105, v17, v13
	v_sub_f32_e32 v12, v12, v15
	s_delay_alu instid0(VALU_DEP_2) | instskip(SKIP_1) | instid1(VALU_DEP_3)
	v_sub_f32_e32 v106, v17, v105
	v_sub_f32_e32 v14, v14, v105
	v_add_f32_e32 v15, v102, v12
	s_delay_alu instid0(VALU_DEP_3) | instskip(NEXT) | instid1(VALU_DEP_1)
	v_sub_f32_e32 v13, v13, v106
	v_dual_add_f32 v13, v14, v13 :: v_dual_sub_f32 v14, v15, v102
	s_delay_alu instid0(VALU_DEP_1) | instskip(NEXT) | instid1(VALU_DEP_2)
	v_add_f32_e32 v13, v15, v13
	v_sub_f32_e32 v15, v15, v14
	s_delay_alu instid0(VALU_DEP_2) | instskip(NEXT) | instid1(VALU_DEP_1)
	v_dual_sub_f32 v12, v12, v14 :: v_dual_add_f32 v103, v17, v13
	v_dual_sub_f32 v15, v102, v15 :: v_dual_sub_f32 v14, v103, v17
	s_delay_alu instid0(VALU_DEP_1) | instskip(NEXT) | instid1(VALU_DEP_1)
	v_dual_add_f32 v12, v12, v15 :: v_dual_sub_f32 v13, v13, v14
	v_add_f32_e32 v12, v12, v13
	s_delay_alu instid0(VALU_DEP_1) | instskip(NEXT) | instid1(VALU_DEP_1)
	v_add_f32_e32 v12, v103, v12
	v_cndmask_b32_e32 v118, v12, v8, vcc_lo
.LBB80_96:                              ;   in Loop: Header=BB80_12 Depth=1
	s_or_b32 exec_lo, exec_lo, s29
	v_lshrrev_b32_e32 v8, 16, v9
	s_delay_alu instid0(VALU_DEP_1) | instskip(NEXT) | instid1(VALU_DEP_1)
	v_cvt_f32_f16_e32 v8, v8
	v_add_f32_e32 v121, s66, v8
	s_delay_alu instid0(VALU_DEP_1) | instskip(SKIP_1) | instid1(SALU_CYCLE_1)
	v_cmp_ge_f32_e32 vcc_lo, 0x41a00000, v121
	s_and_b32 s28, s79, vcc_lo
	s_and_saveexec_b32 s29, s28
	s_cbranch_execz .LBB80_98
; %bb.97:                               ;   in Loop: Header=BB80_12 Depth=1
	v_mul_f32_e32 v8, 0x3fb8aa3b, v121
	v_cmp_ngt_f32_e32 vcc_lo, 0xc2ce8ed0, v121
	s_delay_alu instid0(VALU_DEP_2) | instskip(SKIP_1) | instid1(VALU_DEP_2)
	v_rndne_f32_e32 v9, v8
	v_fma_f32 v12, 0x3fb8aa3b, v121, -v8
	v_sub_f32_e32 v8, v8, v9
	s_delay_alu instid0(VALU_DEP_2) | instskip(SKIP_1) | instid1(VALU_DEP_2)
	v_fmac_f32_e32 v12, 0x32a5705f, v121
	v_cvt_i32_f32_e32 v9, v9
	v_add_f32_e32 v8, v8, v12
	s_delay_alu instid0(VALU_DEP_1) | instskip(SKIP_2) | instid1(VALU_DEP_1)
	v_exp_f32_e32 v8, v8
	s_waitcnt_depctr 0xfff
	v_ldexp_f32 v8, v8, v9
	v_cndmask_b32_e32 v8, 0, v8, vcc_lo
	v_cmp_nlt_f32_e32 vcc_lo, 0x42b17218, v121
	s_delay_alu instid0(VALU_DEP_2) | instskip(NEXT) | instid1(VALU_DEP_1)
	v_cndmask_b32_e32 v12, 0x7f800000, v8, vcc_lo
	v_add_f32_e32 v13, 1.0, v12
	s_delay_alu instid0(VALU_DEP_1) | instskip(NEXT) | instid1(VALU_DEP_1)
	v_cvt_f64_f32_e32 v[8:9], v13
	v_frexp_exp_i32_f64_e32 v8, v[8:9]
	v_frexp_mant_f32_e32 v9, v13
	s_delay_alu instid0(VALU_DEP_1) | instskip(SKIP_1) | instid1(VALU_DEP_1)
	v_cmp_gt_f32_e32 vcc_lo, 0x3f2aaaab, v9
	v_add_f32_e32 v9, -1.0, v13
	v_sub_f32_e32 v15, v9, v13
	s_delay_alu instid0(VALU_DEP_1) | instskip(SKIP_1) | instid1(VALU_DEP_1)
	v_add_f32_e32 v15, 1.0, v15
	v_subrev_co_ci_u32_e32 v8, vcc_lo, 0, v8, vcc_lo
	v_sub_nc_u32_e32 v14, 0, v8
	v_cvt_f32_i32_e32 v8, v8
	s_delay_alu instid0(VALU_DEP_2) | instskip(NEXT) | instid1(VALU_DEP_1)
	v_ldexp_f32 v13, v13, v14
	v_add_f32_e32 v17, 1.0, v13
	v_sub_f32_e32 v9, v12, v9
	v_cmp_eq_f32_e32 vcc_lo, 0x7f800000, v12
	v_cmp_gt_f32_e64 s28, 0x33800000, v12
	s_delay_alu instid0(VALU_DEP_3) | instskip(SKIP_1) | instid1(VALU_DEP_3)
	v_add_f32_e32 v9, v9, v15
	v_add_f32_e32 v15, -1.0, v17
	s_or_b32 vcc_lo, s28, vcc_lo
	s_delay_alu instid0(VALU_DEP_2) | instskip(NEXT) | instid1(VALU_DEP_2)
	v_ldexp_f32 v9, v9, v14
	v_dual_add_f32 v14, -1.0, v13 :: v_dual_sub_f32 v15, v13, v15
	s_delay_alu instid0(VALU_DEP_1) | instskip(NEXT) | instid1(VALU_DEP_1)
	v_dual_add_f32 v102, 1.0, v14 :: v_dual_add_f32 v15, v9, v15
	v_sub_f32_e32 v13, v13, v102
	s_delay_alu instid0(VALU_DEP_1) | instskip(NEXT) | instid1(VALU_DEP_1)
	v_add_f32_e32 v9, v9, v13
	v_dual_add_f32 v102, v17, v15 :: v_dual_add_f32 v103, v14, v9
	s_delay_alu instid0(VALU_DEP_1) | instskip(NEXT) | instid1(VALU_DEP_1)
	v_rcp_f32_e32 v13, v102
	v_dual_sub_f32 v17, v17, v102 :: v_dual_sub_f32 v14, v14, v103
	s_delay_alu instid0(VALU_DEP_1) | instskip(SKIP_2) | instid1(VALU_DEP_1)
	v_add_f32_e32 v9, v9, v14
	s_waitcnt_depctr 0xfff
	v_mul_f32_e32 v105, v103, v13
	v_mul_f32_e32 v106, v102, v105
	v_add_f32_e32 v15, v15, v17
	s_delay_alu instid0(VALU_DEP_2) | instskip(NEXT) | instid1(VALU_DEP_1)
	v_fma_f32 v17, v105, v102, -v106
	v_fmac_f32_e32 v17, v105, v15
	s_delay_alu instid0(VALU_DEP_1) | instskip(NEXT) | instid1(VALU_DEP_1)
	v_add_f32_e32 v107, v106, v17
	v_sub_f32_e32 v108, v103, v107
	v_sub_f32_e32 v14, v107, v106
	s_delay_alu instid0(VALU_DEP_1) | instskip(NEXT) | instid1(VALU_DEP_1)
	v_dual_sub_f32 v103, v103, v108 :: v_dual_sub_f32 v14, v14, v17
	v_sub_f32_e32 v103, v103, v107
	s_delay_alu instid0(VALU_DEP_1) | instskip(NEXT) | instid1(VALU_DEP_1)
	v_add_f32_e32 v9, v9, v103
	v_add_f32_e32 v9, v14, v9
	s_delay_alu instid0(VALU_DEP_1) | instskip(NEXT) | instid1(VALU_DEP_1)
	v_add_f32_e32 v14, v108, v9
	v_mul_f32_e32 v17, v13, v14
	v_sub_f32_e32 v107, v108, v14
	s_delay_alu instid0(VALU_DEP_2) | instskip(NEXT) | instid1(VALU_DEP_2)
	v_mul_f32_e32 v103, v102, v17
	v_add_f32_e32 v9, v9, v107
	s_delay_alu instid0(VALU_DEP_2) | instskip(NEXT) | instid1(VALU_DEP_1)
	v_fma_f32 v102, v17, v102, -v103
	v_fmac_f32_e32 v102, v17, v15
	s_delay_alu instid0(VALU_DEP_1) | instskip(NEXT) | instid1(VALU_DEP_1)
	v_add_f32_e32 v15, v103, v102
	v_sub_f32_e32 v106, v14, v15
	s_delay_alu instid0(VALU_DEP_1) | instskip(NEXT) | instid1(VALU_DEP_1)
	v_dual_sub_f32 v103, v15, v103 :: v_dual_sub_f32 v14, v14, v106
	v_dual_sub_f32 v14, v14, v15 :: v_dual_sub_f32 v15, v103, v102
	s_delay_alu instid0(VALU_DEP_1) | instskip(SKIP_1) | instid1(VALU_DEP_2)
	v_add_f32_e32 v9, v9, v14
	v_add_f32_e32 v14, v105, v17
	;; [unrolled: 1-line block ×3, first 2 shown]
	s_delay_alu instid0(VALU_DEP_2) | instskip(NEXT) | instid1(VALU_DEP_2)
	v_sub_f32_e32 v15, v14, v105
	v_add_f32_e32 v9, v106, v9
	s_delay_alu instid0(VALU_DEP_2) | instskip(NEXT) | instid1(VALU_DEP_2)
	v_sub_f32_e32 v15, v17, v15
	v_mul_f32_e32 v9, v13, v9
	s_delay_alu instid0(VALU_DEP_1) | instskip(NEXT) | instid1(VALU_DEP_1)
	v_add_f32_e32 v9, v15, v9
	v_add_f32_e32 v13, v14, v9
	s_delay_alu instid0(VALU_DEP_1) | instskip(NEXT) | instid1(VALU_DEP_1)
	v_mul_f32_e32 v15, v13, v13
	v_fmaak_f32 v17, s83, v15, 0x3ecc95a3
	s_delay_alu instid0(VALU_DEP_1) | instskip(SKIP_2) | instid1(VALU_DEP_3)
	v_dual_mul_f32 v102, v13, v15 :: v_dual_fmaak_f32 v15, v15, v17, 0x3f2aaada
	v_ldexp_f32 v17, v13, 1
	v_sub_f32_e32 v13, v13, v14
	v_dual_mul_f32 v15, v102, v15 :: v_dual_mul_f32 v102, 0x3f317218, v8
	s_delay_alu instid0(VALU_DEP_2) | instskip(NEXT) | instid1(VALU_DEP_2)
	v_sub_f32_e32 v9, v9, v13
	v_add_f32_e32 v14, v17, v15
	s_delay_alu instid0(VALU_DEP_2) | instskip(NEXT) | instid1(VALU_DEP_2)
	v_ldexp_f32 v9, v9, 1
	v_sub_f32_e32 v13, v14, v17
	v_fma_f32 v17, 0x3f317218, v8, -v102
	s_delay_alu instid0(VALU_DEP_2) | instskip(NEXT) | instid1(VALU_DEP_1)
	v_sub_f32_e32 v13, v15, v13
	v_dual_fmac_f32 v17, 0xb102e308, v8 :: v_dual_add_f32 v8, v9, v13
	s_delay_alu instid0(VALU_DEP_1) | instskip(NEXT) | instid1(VALU_DEP_1)
	v_add_f32_e32 v9, v102, v17
	v_dual_add_f32 v13, v14, v8 :: v_dual_sub_f32 v102, v9, v102
	s_delay_alu instid0(VALU_DEP_1) | instskip(SKIP_1) | instid1(VALU_DEP_3)
	v_add_f32_e32 v15, v9, v13
	v_sub_f32_e32 v14, v13, v14
	v_sub_f32_e32 v17, v17, v102
	s_delay_alu instid0(VALU_DEP_2) | instskip(NEXT) | instid1(VALU_DEP_1)
	v_dual_sub_f32 v103, v15, v9 :: v_dual_sub_f32 v8, v8, v14
	v_sub_f32_e32 v105, v15, v103
	v_sub_f32_e32 v13, v13, v103
	s_delay_alu instid0(VALU_DEP_3) | instskip(NEXT) | instid1(VALU_DEP_3)
	v_add_f32_e32 v14, v17, v8
	v_sub_f32_e32 v9, v9, v105
	s_delay_alu instid0(VALU_DEP_1) | instskip(NEXT) | instid1(VALU_DEP_3)
	v_add_f32_e32 v9, v13, v9
	v_sub_f32_e32 v13, v14, v17
	s_delay_alu instid0(VALU_DEP_2) | instskip(NEXT) | instid1(VALU_DEP_2)
	v_add_f32_e32 v9, v14, v9
	v_sub_f32_e32 v14, v14, v13
	v_sub_f32_e32 v8, v8, v13
	s_delay_alu instid0(VALU_DEP_3) | instskip(NEXT) | instid1(VALU_DEP_1)
	v_add_f32_e32 v102, v15, v9
	v_dual_sub_f32 v14, v17, v14 :: v_dual_sub_f32 v13, v102, v15
	s_delay_alu instid0(VALU_DEP_1) | instskip(NEXT) | instid1(VALU_DEP_1)
	v_dual_add_f32 v8, v8, v14 :: v_dual_sub_f32 v9, v9, v13
	v_add_f32_e32 v8, v8, v9
	s_delay_alu instid0(VALU_DEP_1) | instskip(NEXT) | instid1(VALU_DEP_1)
	v_add_f32_e32 v8, v102, v8
	v_cndmask_b32_e32 v121, v8, v12, vcc_lo
.LBB80_98:                              ;   in Loop: Header=BB80_12 Depth=1
	s_or_b32 exec_lo, exec_lo, s29
	v_cvt_f32_f16_e32 v8, v10
	s_delay_alu instid0(VALU_DEP_1) | instskip(NEXT) | instid1(VALU_DEP_1)
	v_add_f32_e32 v122, s66, v8
	v_cmp_ge_f32_e32 vcc_lo, 0x41a00000, v122
	s_and_b32 s28, s79, vcc_lo
	s_delay_alu instid0(SALU_CYCLE_1)
	s_and_saveexec_b32 s29, s28
	s_cbranch_execz .LBB80_100
; %bb.99:                               ;   in Loop: Header=BB80_12 Depth=1
	v_mul_f32_e32 v8, 0x3fb8aa3b, v122
	v_cmp_ngt_f32_e32 vcc_lo, 0xc2ce8ed0, v122
	s_delay_alu instid0(VALU_DEP_2) | instskip(SKIP_1) | instid1(VALU_DEP_2)
	v_rndne_f32_e32 v9, v8
	v_fma_f32 v12, 0x3fb8aa3b, v122, -v8
	v_sub_f32_e32 v8, v8, v9
	s_delay_alu instid0(VALU_DEP_2) | instskip(SKIP_1) | instid1(VALU_DEP_2)
	v_fmac_f32_e32 v12, 0x32a5705f, v122
	v_cvt_i32_f32_e32 v9, v9
	v_add_f32_e32 v8, v8, v12
	s_delay_alu instid0(VALU_DEP_1) | instskip(SKIP_2) | instid1(VALU_DEP_1)
	v_exp_f32_e32 v8, v8
	s_waitcnt_depctr 0xfff
	v_ldexp_f32 v8, v8, v9
	v_cndmask_b32_e32 v8, 0, v8, vcc_lo
	v_cmp_nlt_f32_e32 vcc_lo, 0x42b17218, v122
	s_delay_alu instid0(VALU_DEP_2) | instskip(NEXT) | instid1(VALU_DEP_1)
	v_cndmask_b32_e32 v12, 0x7f800000, v8, vcc_lo
	v_add_f32_e32 v13, 1.0, v12
	s_delay_alu instid0(VALU_DEP_1) | instskip(NEXT) | instid1(VALU_DEP_1)
	v_cvt_f64_f32_e32 v[8:9], v13
	v_frexp_exp_i32_f64_e32 v8, v[8:9]
	v_frexp_mant_f32_e32 v9, v13
	s_delay_alu instid0(VALU_DEP_1) | instskip(SKIP_1) | instid1(VALU_DEP_1)
	v_cmp_gt_f32_e32 vcc_lo, 0x3f2aaaab, v9
	v_add_f32_e32 v9, -1.0, v13
	v_sub_f32_e32 v15, v9, v13
	s_delay_alu instid0(VALU_DEP_1) | instskip(SKIP_1) | instid1(VALU_DEP_1)
	v_add_f32_e32 v15, 1.0, v15
	v_subrev_co_ci_u32_e32 v8, vcc_lo, 0, v8, vcc_lo
	v_sub_nc_u32_e32 v14, 0, v8
	v_cvt_f32_i32_e32 v8, v8
	s_delay_alu instid0(VALU_DEP_2) | instskip(NEXT) | instid1(VALU_DEP_1)
	v_ldexp_f32 v13, v13, v14
	v_add_f32_e32 v17, 1.0, v13
	v_sub_f32_e32 v9, v12, v9
	v_cmp_eq_f32_e32 vcc_lo, 0x7f800000, v12
	v_cmp_gt_f32_e64 s28, 0x33800000, v12
	s_delay_alu instid0(VALU_DEP_3) | instskip(NEXT) | instid1(VALU_DEP_2)
	v_add_f32_e32 v9, v9, v15
	s_or_b32 vcc_lo, s28, vcc_lo
	s_delay_alu instid0(VALU_DEP_1) | instskip(SKIP_1) | instid1(VALU_DEP_1)
	v_ldexp_f32 v9, v9, v14
	v_add_f32_e32 v14, -1.0, v13
	v_dual_add_f32 v15, -1.0, v17 :: v_dual_add_f32 v102, 1.0, v14
	s_delay_alu instid0(VALU_DEP_1) | instskip(NEXT) | instid1(VALU_DEP_2)
	v_sub_f32_e32 v15, v13, v15
	v_sub_f32_e32 v13, v13, v102
	s_delay_alu instid0(VALU_DEP_2) | instskip(NEXT) | instid1(VALU_DEP_2)
	v_add_f32_e32 v15, v9, v15
	v_add_f32_e32 v9, v9, v13
	s_delay_alu instid0(VALU_DEP_1) | instskip(NEXT) | instid1(VALU_DEP_1)
	v_dual_add_f32 v102, v17, v15 :: v_dual_add_f32 v103, v14, v9
	v_rcp_f32_e32 v13, v102
	s_delay_alu instid0(VALU_DEP_1) | instskip(NEXT) | instid1(VALU_DEP_1)
	v_dual_sub_f32 v17, v17, v102 :: v_dual_sub_f32 v14, v14, v103
	v_add_f32_e32 v15, v15, v17
	s_delay_alu instid0(VALU_DEP_2) | instskip(SKIP_2) | instid1(VALU_DEP_1)
	v_add_f32_e32 v9, v9, v14
	s_waitcnt_depctr 0xfff
	v_mul_f32_e32 v105, v103, v13
	v_mul_f32_e32 v106, v102, v105
	s_delay_alu instid0(VALU_DEP_1) | instskip(NEXT) | instid1(VALU_DEP_1)
	v_fma_f32 v17, v105, v102, -v106
	v_fmac_f32_e32 v17, v105, v15
	s_delay_alu instid0(VALU_DEP_1) | instskip(NEXT) | instid1(VALU_DEP_1)
	v_add_f32_e32 v107, v106, v17
	v_sub_f32_e32 v108, v103, v107
	v_sub_f32_e32 v14, v107, v106
	s_delay_alu instid0(VALU_DEP_1) | instskip(NEXT) | instid1(VALU_DEP_1)
	v_dual_sub_f32 v103, v103, v108 :: v_dual_sub_f32 v14, v14, v17
	v_sub_f32_e32 v103, v103, v107
	s_delay_alu instid0(VALU_DEP_1) | instskip(NEXT) | instid1(VALU_DEP_1)
	v_add_f32_e32 v9, v9, v103
	v_add_f32_e32 v9, v14, v9
	s_delay_alu instid0(VALU_DEP_1) | instskip(NEXT) | instid1(VALU_DEP_1)
	v_add_f32_e32 v14, v108, v9
	v_mul_f32_e32 v17, v13, v14
	v_sub_f32_e32 v107, v108, v14
	s_delay_alu instid0(VALU_DEP_2) | instskip(NEXT) | instid1(VALU_DEP_2)
	v_mul_f32_e32 v103, v102, v17
	v_add_f32_e32 v9, v9, v107
	s_delay_alu instid0(VALU_DEP_2) | instskip(NEXT) | instid1(VALU_DEP_1)
	v_fma_f32 v102, v17, v102, -v103
	v_fmac_f32_e32 v102, v17, v15
	s_delay_alu instid0(VALU_DEP_1) | instskip(NEXT) | instid1(VALU_DEP_1)
	v_add_f32_e32 v15, v103, v102
	v_sub_f32_e32 v106, v14, v15
	s_delay_alu instid0(VALU_DEP_1) | instskip(NEXT) | instid1(VALU_DEP_1)
	v_dual_sub_f32 v103, v15, v103 :: v_dual_sub_f32 v14, v14, v106
	v_dual_sub_f32 v14, v14, v15 :: v_dual_sub_f32 v15, v103, v102
	s_delay_alu instid0(VALU_DEP_1) | instskip(SKIP_1) | instid1(VALU_DEP_2)
	v_add_f32_e32 v9, v9, v14
	v_add_f32_e32 v14, v105, v17
	;; [unrolled: 1-line block ×3, first 2 shown]
	s_delay_alu instid0(VALU_DEP_2) | instskip(NEXT) | instid1(VALU_DEP_2)
	v_sub_f32_e32 v15, v14, v105
	v_add_f32_e32 v9, v106, v9
	s_delay_alu instid0(VALU_DEP_2) | instskip(NEXT) | instid1(VALU_DEP_2)
	v_sub_f32_e32 v15, v17, v15
	v_mul_f32_e32 v9, v13, v9
	s_delay_alu instid0(VALU_DEP_1) | instskip(NEXT) | instid1(VALU_DEP_1)
	v_add_f32_e32 v9, v15, v9
	v_add_f32_e32 v13, v14, v9
	s_delay_alu instid0(VALU_DEP_1) | instskip(NEXT) | instid1(VALU_DEP_1)
	v_mul_f32_e32 v15, v13, v13
	v_fmaak_f32 v17, s83, v15, 0x3ecc95a3
	s_delay_alu instid0(VALU_DEP_1) | instskip(SKIP_2) | instid1(VALU_DEP_3)
	v_dual_mul_f32 v102, v13, v15 :: v_dual_fmaak_f32 v15, v15, v17, 0x3f2aaada
	v_ldexp_f32 v17, v13, 1
	v_sub_f32_e32 v13, v13, v14
	v_dual_mul_f32 v15, v102, v15 :: v_dual_mul_f32 v102, 0x3f317218, v8
	s_delay_alu instid0(VALU_DEP_2) | instskip(NEXT) | instid1(VALU_DEP_2)
	v_sub_f32_e32 v9, v9, v13
	v_add_f32_e32 v14, v17, v15
	s_delay_alu instid0(VALU_DEP_2) | instskip(NEXT) | instid1(VALU_DEP_2)
	v_ldexp_f32 v9, v9, 1
	v_sub_f32_e32 v13, v14, v17
	v_fma_f32 v17, 0x3f317218, v8, -v102
	s_delay_alu instid0(VALU_DEP_2) | instskip(NEXT) | instid1(VALU_DEP_1)
	v_sub_f32_e32 v13, v15, v13
	v_dual_fmac_f32 v17, 0xb102e308, v8 :: v_dual_add_f32 v8, v9, v13
	s_delay_alu instid0(VALU_DEP_1) | instskip(NEXT) | instid1(VALU_DEP_1)
	v_add_f32_e32 v9, v102, v17
	v_dual_add_f32 v13, v14, v8 :: v_dual_sub_f32 v102, v9, v102
	s_delay_alu instid0(VALU_DEP_1) | instskip(SKIP_1) | instid1(VALU_DEP_3)
	v_add_f32_e32 v15, v9, v13
	v_sub_f32_e32 v14, v13, v14
	v_sub_f32_e32 v17, v17, v102
	s_delay_alu instid0(VALU_DEP_2) | instskip(NEXT) | instid1(VALU_DEP_1)
	v_dual_sub_f32 v103, v15, v9 :: v_dual_sub_f32 v8, v8, v14
	v_sub_f32_e32 v105, v15, v103
	v_sub_f32_e32 v13, v13, v103
	s_delay_alu instid0(VALU_DEP_3) | instskip(NEXT) | instid1(VALU_DEP_3)
	v_add_f32_e32 v14, v17, v8
	v_sub_f32_e32 v9, v9, v105
	s_delay_alu instid0(VALU_DEP_1) | instskip(NEXT) | instid1(VALU_DEP_3)
	v_add_f32_e32 v9, v13, v9
	v_sub_f32_e32 v13, v14, v17
	s_delay_alu instid0(VALU_DEP_2) | instskip(NEXT) | instid1(VALU_DEP_2)
	v_add_f32_e32 v9, v14, v9
	v_sub_f32_e32 v14, v14, v13
	v_sub_f32_e32 v8, v8, v13
	s_delay_alu instid0(VALU_DEP_3) | instskip(NEXT) | instid1(VALU_DEP_1)
	v_add_f32_e32 v102, v15, v9
	v_dual_sub_f32 v14, v17, v14 :: v_dual_sub_f32 v13, v102, v15
	s_delay_alu instid0(VALU_DEP_1) | instskip(NEXT) | instid1(VALU_DEP_1)
	v_dual_add_f32 v8, v8, v14 :: v_dual_sub_f32 v9, v9, v13
	v_add_f32_e32 v8, v8, v9
	s_delay_alu instid0(VALU_DEP_1) | instskip(NEXT) | instid1(VALU_DEP_1)
	v_add_f32_e32 v8, v102, v8
	v_cndmask_b32_e32 v122, v8, v12, vcc_lo
.LBB80_100:                             ;   in Loop: Header=BB80_12 Depth=1
	s_or_b32 exec_lo, exec_lo, s29
	v_lshrrev_b32_e32 v8, 16, v10
	s_delay_alu instid0(VALU_DEP_1) | instskip(NEXT) | instid1(VALU_DEP_1)
	v_cvt_f32_f16_e32 v8, v8
	v_add_f32_e32 v123, s66, v8
	s_delay_alu instid0(VALU_DEP_1) | instskip(SKIP_1) | instid1(SALU_CYCLE_1)
	v_cmp_ge_f32_e32 vcc_lo, 0x41a00000, v123
	s_and_b32 s28, s79, vcc_lo
	s_and_saveexec_b32 s29, s28
	s_cbranch_execz .LBB80_102
; %bb.101:                              ;   in Loop: Header=BB80_12 Depth=1
	v_mul_f32_e32 v8, 0x3fb8aa3b, v123
	v_cmp_ngt_f32_e32 vcc_lo, 0xc2ce8ed0, v123
	s_delay_alu instid0(VALU_DEP_2) | instskip(SKIP_1) | instid1(VALU_DEP_2)
	v_rndne_f32_e32 v9, v8
	v_fma_f32 v10, 0x3fb8aa3b, v123, -v8
	v_sub_f32_e32 v8, v8, v9
	s_delay_alu instid0(VALU_DEP_2) | instskip(SKIP_1) | instid1(VALU_DEP_2)
	v_fmac_f32_e32 v10, 0x32a5705f, v123
	v_cvt_i32_f32_e32 v9, v9
	v_add_f32_e32 v8, v8, v10
	s_delay_alu instid0(VALU_DEP_1) | instskip(SKIP_2) | instid1(VALU_DEP_1)
	v_exp_f32_e32 v8, v8
	s_waitcnt_depctr 0xfff
	v_ldexp_f32 v8, v8, v9
	v_cndmask_b32_e32 v8, 0, v8, vcc_lo
	v_cmp_nlt_f32_e32 vcc_lo, 0x42b17218, v123
	s_delay_alu instid0(VALU_DEP_2) | instskip(NEXT) | instid1(VALU_DEP_1)
	v_cndmask_b32_e32 v10, 0x7f800000, v8, vcc_lo
	v_add_f32_e32 v12, 1.0, v10
	s_delay_alu instid0(VALU_DEP_1) | instskip(NEXT) | instid1(VALU_DEP_1)
	v_cvt_f64_f32_e32 v[8:9], v12
	v_frexp_exp_i32_f64_e32 v8, v[8:9]
	v_frexp_mant_f32_e32 v9, v12
	s_delay_alu instid0(VALU_DEP_1) | instskip(SKIP_1) | instid1(VALU_DEP_1)
	v_cmp_gt_f32_e32 vcc_lo, 0x3f2aaaab, v9
	v_add_f32_e32 v9, -1.0, v12
	v_dual_sub_f32 v14, v9, v12 :: v_dual_sub_f32 v9, v10, v9
	v_subrev_co_ci_u32_e32 v8, vcc_lo, 0, v8, vcc_lo
	s_delay_alu instid0(VALU_DEP_1) | instskip(SKIP_1) | instid1(VALU_DEP_2)
	v_sub_nc_u32_e32 v13, 0, v8
	v_cvt_f32_i32_e32 v8, v8
	v_ldexp_f32 v12, v12, v13
	s_delay_alu instid0(VALU_DEP_1) | instskip(NEXT) | instid1(VALU_DEP_1)
	v_dual_add_f32 v14, 1.0, v14 :: v_dual_add_f32 v15, 1.0, v12
	v_add_f32_e32 v9, v9, v14
	s_delay_alu instid0(VALU_DEP_1) | instskip(NEXT) | instid1(VALU_DEP_3)
	v_ldexp_f32 v9, v9, v13
	v_dual_add_f32 v13, -1.0, v12 :: v_dual_add_f32 v14, -1.0, v15
	s_delay_alu instid0(VALU_DEP_1) | instskip(NEXT) | instid1(VALU_DEP_1)
	v_dual_add_f32 v17, 1.0, v13 :: v_dual_sub_f32 v14, v12, v14
	v_sub_f32_e32 v12, v12, v17
	s_delay_alu instid0(VALU_DEP_2) | instskip(NEXT) | instid1(VALU_DEP_2)
	v_add_f32_e32 v14, v9, v14
	v_add_f32_e32 v9, v9, v12
	s_delay_alu instid0(VALU_DEP_2) | instskip(SKIP_2) | instid1(VALU_DEP_3)
	v_add_f32_e32 v17, v15, v14
	v_cmp_eq_f32_e32 vcc_lo, 0x7f800000, v10
	v_cmp_gt_f32_e64 s28, 0x33800000, v10
	v_rcp_f32_e32 v12, v17
	v_sub_f32_e32 v15, v15, v17
	s_delay_alu instid0(VALU_DEP_2) | instskip(NEXT) | instid1(VALU_DEP_1)
	s_or_b32 vcc_lo, s28, vcc_lo
	v_add_f32_e32 v14, v14, v15
	v_add_f32_e32 v102, v13, v9
	s_waitcnt_depctr 0xfff
	v_mul_f32_e32 v103, v102, v12
	s_delay_alu instid0(VALU_DEP_1) | instskip(NEXT) | instid1(VALU_DEP_1)
	v_mul_f32_e32 v105, v17, v103
	v_fma_f32 v15, v103, v17, -v105
	s_delay_alu instid0(VALU_DEP_1) | instskip(SKIP_1) | instid1(VALU_DEP_2)
	v_fmac_f32_e32 v15, v103, v14
	v_sub_f32_e32 v13, v13, v102
	v_add_f32_e32 v106, v105, v15
	s_delay_alu instid0(VALU_DEP_2) | instskip(NEXT) | instid1(VALU_DEP_2)
	v_add_f32_e32 v9, v9, v13
	v_sub_f32_e32 v107, v102, v106
	v_sub_f32_e32 v13, v106, v105
	s_delay_alu instid0(VALU_DEP_2) | instskip(NEXT) | instid1(VALU_DEP_1)
	v_sub_f32_e32 v102, v102, v107
	v_dual_sub_f32 v13, v13, v15 :: v_dual_sub_f32 v102, v102, v106
	s_delay_alu instid0(VALU_DEP_1) | instskip(NEXT) | instid1(VALU_DEP_1)
	v_add_f32_e32 v9, v9, v102
	v_add_f32_e32 v9, v13, v9
	s_delay_alu instid0(VALU_DEP_1) | instskip(NEXT) | instid1(VALU_DEP_1)
	v_add_f32_e32 v13, v107, v9
	v_mul_f32_e32 v15, v12, v13
	v_sub_f32_e32 v106, v107, v13
	s_delay_alu instid0(VALU_DEP_2) | instskip(NEXT) | instid1(VALU_DEP_1)
	v_mul_f32_e32 v102, v17, v15
	v_fma_f32 v17, v15, v17, -v102
	s_delay_alu instid0(VALU_DEP_1) | instskip(NEXT) | instid1(VALU_DEP_1)
	v_fmac_f32_e32 v17, v15, v14
	v_add_f32_e32 v14, v102, v17
	s_delay_alu instid0(VALU_DEP_1) | instskip(SKIP_2) | instid1(VALU_DEP_3)
	v_sub_f32_e32 v105, v13, v14
	v_sub_f32_e32 v102, v14, v102
	v_add_f32_e32 v9, v9, v106
	v_sub_f32_e32 v13, v13, v105
	s_delay_alu instid0(VALU_DEP_1) | instskip(NEXT) | instid1(VALU_DEP_1)
	v_dual_sub_f32 v13, v13, v14 :: v_dual_sub_f32 v14, v102, v17
	v_add_f32_e32 v9, v9, v13
	v_add_f32_e32 v13, v103, v15
	s_delay_alu instid0(VALU_DEP_1) | instskip(NEXT) | instid1(VALU_DEP_1)
	v_dual_add_f32 v9, v14, v9 :: v_dual_sub_f32 v14, v13, v103
	v_dual_add_f32 v9, v105, v9 :: v_dual_sub_f32 v14, v15, v14
	s_delay_alu instid0(VALU_DEP_1) | instskip(NEXT) | instid1(VALU_DEP_1)
	v_mul_f32_e32 v9, v12, v9
	v_add_f32_e32 v9, v14, v9
	s_delay_alu instid0(VALU_DEP_1) | instskip(NEXT) | instid1(VALU_DEP_1)
	v_add_f32_e32 v12, v13, v9
	v_mul_f32_e32 v14, v12, v12
	s_delay_alu instid0(VALU_DEP_1) | instskip(NEXT) | instid1(VALU_DEP_1)
	v_fmaak_f32 v15, s83, v14, 0x3ecc95a3
	v_dual_mul_f32 v17, v12, v14 :: v_dual_fmaak_f32 v14, v14, v15, 0x3f2aaada
	v_ldexp_f32 v15, v12, 1
	s_delay_alu instid0(VALU_DEP_2) | instskip(SKIP_1) | instid1(VALU_DEP_2)
	v_mul_f32_e32 v14, v17, v14
	v_dual_sub_f32 v12, v12, v13 :: v_dual_mul_f32 v17, 0x3f317218, v8
	v_add_f32_e32 v13, v15, v14
	s_delay_alu instid0(VALU_DEP_2) | instskip(NEXT) | instid1(VALU_DEP_2)
	v_sub_f32_e32 v9, v9, v12
	v_sub_f32_e32 v12, v13, v15
	s_delay_alu instid0(VALU_DEP_4) | instskip(NEXT) | instid1(VALU_DEP_3)
	v_fma_f32 v15, 0x3f317218, v8, -v17
	v_ldexp_f32 v9, v9, 1
	s_delay_alu instid0(VALU_DEP_3) | instskip(NEXT) | instid1(VALU_DEP_3)
	v_sub_f32_e32 v12, v14, v12
	v_fmac_f32_e32 v15, 0xb102e308, v8
	s_delay_alu instid0(VALU_DEP_2) | instskip(NEXT) | instid1(VALU_DEP_1)
	v_add_f32_e32 v8, v9, v12
	v_add_f32_e32 v12, v13, v8
	s_delay_alu instid0(VALU_DEP_1) | instskip(NEXT) | instid1(VALU_DEP_1)
	v_sub_f32_e32 v13, v12, v13
	v_dual_sub_f32 v8, v8, v13 :: v_dual_add_f32 v9, v17, v15
	s_delay_alu instid0(VALU_DEP_1) | instskip(NEXT) | instid1(VALU_DEP_1)
	v_add_f32_e32 v14, v9, v12
	v_sub_f32_e32 v102, v14, v9
	s_delay_alu instid0(VALU_DEP_1) | instskip(NEXT) | instid1(VALU_DEP_1)
	v_dual_sub_f32 v17, v9, v17 :: v_dual_sub_f32 v12, v12, v102
	v_sub_f32_e32 v15, v15, v17
	s_delay_alu instid0(VALU_DEP_1) | instskip(SKIP_1) | instid1(VALU_DEP_1)
	v_add_f32_e32 v13, v15, v8
	v_sub_f32_e32 v103, v14, v102
	v_sub_f32_e32 v9, v9, v103
	s_delay_alu instid0(VALU_DEP_1) | instskip(NEXT) | instid1(VALU_DEP_1)
	v_dual_add_f32 v9, v12, v9 :: v_dual_sub_f32 v12, v13, v15
	v_add_f32_e32 v9, v13, v9
	s_delay_alu instid0(VALU_DEP_2) | instskip(NEXT) | instid1(VALU_DEP_2)
	v_sub_f32_e32 v13, v13, v12
	v_dual_sub_f32 v8, v8, v12 :: v_dual_add_f32 v17, v14, v9
	s_delay_alu instid0(VALU_DEP_1) | instskip(NEXT) | instid1(VALU_DEP_1)
	v_dual_sub_f32 v13, v15, v13 :: v_dual_sub_f32 v12, v17, v14
	v_dual_add_f32 v8, v8, v13 :: v_dual_sub_f32 v9, v9, v12
	s_delay_alu instid0(VALU_DEP_1) | instskip(NEXT) | instid1(VALU_DEP_1)
	v_add_f32_e32 v8, v8, v9
	v_add_f32_e32 v8, v17, v8
	s_delay_alu instid0(VALU_DEP_1)
	v_cndmask_b32_e32 v123, v8, v10, vcc_lo
.LBB80_102:                             ;   in Loop: Header=BB80_12 Depth=1
	s_or_b32 exec_lo, exec_lo, s29
	v_cvt_f32_f16_e32 v8, v11
	s_delay_alu instid0(VALU_DEP_1) | instskip(NEXT) | instid1(VALU_DEP_1)
	v_add_f32_e32 v124, s66, v8
	v_cmp_ge_f32_e32 vcc_lo, 0x41a00000, v124
	s_and_b32 s28, s79, vcc_lo
	s_delay_alu instid0(SALU_CYCLE_1)
	s_and_saveexec_b32 s29, s28
	s_cbranch_execz .LBB80_104
; %bb.103:                              ;   in Loop: Header=BB80_12 Depth=1
	v_mul_f32_e32 v8, 0x3fb8aa3b, v124
	v_cmp_ngt_f32_e32 vcc_lo, 0xc2ce8ed0, v124
	s_delay_alu instid0(VALU_DEP_2) | instskip(SKIP_1) | instid1(VALU_DEP_2)
	v_rndne_f32_e32 v9, v8
	v_fma_f32 v10, 0x3fb8aa3b, v124, -v8
	v_sub_f32_e32 v8, v8, v9
	s_delay_alu instid0(VALU_DEP_2) | instskip(SKIP_1) | instid1(VALU_DEP_2)
	v_fmac_f32_e32 v10, 0x32a5705f, v124
	v_cvt_i32_f32_e32 v9, v9
	v_add_f32_e32 v8, v8, v10
	s_delay_alu instid0(VALU_DEP_1) | instskip(SKIP_2) | instid1(VALU_DEP_1)
	v_exp_f32_e32 v8, v8
	s_waitcnt_depctr 0xfff
	v_ldexp_f32 v8, v8, v9
	v_cndmask_b32_e32 v8, 0, v8, vcc_lo
	v_cmp_nlt_f32_e32 vcc_lo, 0x42b17218, v124
	s_delay_alu instid0(VALU_DEP_2) | instskip(NEXT) | instid1(VALU_DEP_1)
	v_cndmask_b32_e32 v10, 0x7f800000, v8, vcc_lo
	v_add_f32_e32 v12, 1.0, v10
	s_delay_alu instid0(VALU_DEP_1) | instskip(NEXT) | instid1(VALU_DEP_1)
	v_cvt_f64_f32_e32 v[8:9], v12
	v_frexp_exp_i32_f64_e32 v8, v[8:9]
	v_frexp_mant_f32_e32 v9, v12
	s_delay_alu instid0(VALU_DEP_1) | instskip(SKIP_1) | instid1(VALU_DEP_1)
	v_cmp_gt_f32_e32 vcc_lo, 0x3f2aaaab, v9
	v_add_f32_e32 v9, -1.0, v12
	v_dual_sub_f32 v14, v9, v12 :: v_dual_sub_f32 v9, v10, v9
	v_subrev_co_ci_u32_e32 v8, vcc_lo, 0, v8, vcc_lo
	s_delay_alu instid0(VALU_DEP_1) | instskip(SKIP_1) | instid1(VALU_DEP_2)
	v_sub_nc_u32_e32 v13, 0, v8
	v_cvt_f32_i32_e32 v8, v8
	v_ldexp_f32 v12, v12, v13
	s_delay_alu instid0(VALU_DEP_1) | instskip(NEXT) | instid1(VALU_DEP_1)
	v_dual_add_f32 v14, 1.0, v14 :: v_dual_add_f32 v15, 1.0, v12
	v_add_f32_e32 v9, v9, v14
	s_delay_alu instid0(VALU_DEP_1) | instskip(NEXT) | instid1(VALU_DEP_3)
	v_ldexp_f32 v9, v9, v13
	v_dual_add_f32 v13, -1.0, v12 :: v_dual_add_f32 v14, -1.0, v15
	s_delay_alu instid0(VALU_DEP_1) | instskip(NEXT) | instid1(VALU_DEP_1)
	v_dual_add_f32 v17, 1.0, v13 :: v_dual_sub_f32 v14, v12, v14
	v_sub_f32_e32 v12, v12, v17
	s_delay_alu instid0(VALU_DEP_2) | instskip(NEXT) | instid1(VALU_DEP_2)
	v_add_f32_e32 v14, v9, v14
	v_add_f32_e32 v9, v9, v12
	s_delay_alu instid0(VALU_DEP_2) | instskip(SKIP_2) | instid1(VALU_DEP_3)
	v_add_f32_e32 v17, v15, v14
	v_cmp_eq_f32_e32 vcc_lo, 0x7f800000, v10
	v_cmp_gt_f32_e64 s28, 0x33800000, v10
	v_rcp_f32_e32 v12, v17
	v_sub_f32_e32 v15, v15, v17
	s_delay_alu instid0(VALU_DEP_2) | instskip(NEXT) | instid1(VALU_DEP_1)
	s_or_b32 vcc_lo, s28, vcc_lo
	v_add_f32_e32 v14, v14, v15
	v_add_f32_e32 v102, v13, v9
	s_waitcnt_depctr 0xfff
	v_mul_f32_e32 v103, v102, v12
	s_delay_alu instid0(VALU_DEP_1) | instskip(NEXT) | instid1(VALU_DEP_1)
	v_mul_f32_e32 v105, v17, v103
	v_fma_f32 v15, v103, v17, -v105
	s_delay_alu instid0(VALU_DEP_1) | instskip(SKIP_1) | instid1(VALU_DEP_2)
	v_fmac_f32_e32 v15, v103, v14
	v_sub_f32_e32 v13, v13, v102
	v_add_f32_e32 v106, v105, v15
	s_delay_alu instid0(VALU_DEP_2) | instskip(NEXT) | instid1(VALU_DEP_2)
	v_add_f32_e32 v9, v9, v13
	v_sub_f32_e32 v107, v102, v106
	v_sub_f32_e32 v13, v106, v105
	s_delay_alu instid0(VALU_DEP_2) | instskip(NEXT) | instid1(VALU_DEP_1)
	v_sub_f32_e32 v102, v102, v107
	v_dual_sub_f32 v13, v13, v15 :: v_dual_sub_f32 v102, v102, v106
	s_delay_alu instid0(VALU_DEP_1) | instskip(NEXT) | instid1(VALU_DEP_1)
	v_add_f32_e32 v9, v9, v102
	v_add_f32_e32 v9, v13, v9
	s_delay_alu instid0(VALU_DEP_1) | instskip(NEXT) | instid1(VALU_DEP_1)
	v_add_f32_e32 v13, v107, v9
	v_mul_f32_e32 v15, v12, v13
	v_sub_f32_e32 v106, v107, v13
	s_delay_alu instid0(VALU_DEP_2) | instskip(NEXT) | instid1(VALU_DEP_1)
	v_mul_f32_e32 v102, v17, v15
	v_fma_f32 v17, v15, v17, -v102
	s_delay_alu instid0(VALU_DEP_1) | instskip(NEXT) | instid1(VALU_DEP_1)
	v_fmac_f32_e32 v17, v15, v14
	v_add_f32_e32 v14, v102, v17
	s_delay_alu instid0(VALU_DEP_1) | instskip(SKIP_2) | instid1(VALU_DEP_3)
	v_sub_f32_e32 v105, v13, v14
	v_sub_f32_e32 v102, v14, v102
	v_add_f32_e32 v9, v9, v106
	v_sub_f32_e32 v13, v13, v105
	s_delay_alu instid0(VALU_DEP_1) | instskip(NEXT) | instid1(VALU_DEP_1)
	v_dual_sub_f32 v13, v13, v14 :: v_dual_sub_f32 v14, v102, v17
	v_add_f32_e32 v9, v9, v13
	v_add_f32_e32 v13, v103, v15
	s_delay_alu instid0(VALU_DEP_1) | instskip(NEXT) | instid1(VALU_DEP_1)
	v_dual_add_f32 v9, v14, v9 :: v_dual_sub_f32 v14, v13, v103
	v_dual_add_f32 v9, v105, v9 :: v_dual_sub_f32 v14, v15, v14
	s_delay_alu instid0(VALU_DEP_1) | instskip(NEXT) | instid1(VALU_DEP_1)
	v_mul_f32_e32 v9, v12, v9
	v_add_f32_e32 v9, v14, v9
	s_delay_alu instid0(VALU_DEP_1) | instskip(NEXT) | instid1(VALU_DEP_1)
	v_add_f32_e32 v12, v13, v9
	v_mul_f32_e32 v14, v12, v12
	s_delay_alu instid0(VALU_DEP_1) | instskip(NEXT) | instid1(VALU_DEP_1)
	v_fmaak_f32 v15, s83, v14, 0x3ecc95a3
	v_dual_mul_f32 v17, v12, v14 :: v_dual_fmaak_f32 v14, v14, v15, 0x3f2aaada
	v_ldexp_f32 v15, v12, 1
	s_delay_alu instid0(VALU_DEP_2) | instskip(SKIP_1) | instid1(VALU_DEP_2)
	v_mul_f32_e32 v14, v17, v14
	v_dual_sub_f32 v12, v12, v13 :: v_dual_mul_f32 v17, 0x3f317218, v8
	v_add_f32_e32 v13, v15, v14
	s_delay_alu instid0(VALU_DEP_2) | instskip(NEXT) | instid1(VALU_DEP_2)
	v_sub_f32_e32 v9, v9, v12
	v_sub_f32_e32 v12, v13, v15
	s_delay_alu instid0(VALU_DEP_4) | instskip(NEXT) | instid1(VALU_DEP_3)
	v_fma_f32 v15, 0x3f317218, v8, -v17
	v_ldexp_f32 v9, v9, 1
	s_delay_alu instid0(VALU_DEP_3) | instskip(NEXT) | instid1(VALU_DEP_3)
	v_sub_f32_e32 v12, v14, v12
	v_fmac_f32_e32 v15, 0xb102e308, v8
	s_delay_alu instid0(VALU_DEP_2) | instskip(NEXT) | instid1(VALU_DEP_1)
	v_add_f32_e32 v8, v9, v12
	v_add_f32_e32 v12, v13, v8
	s_delay_alu instid0(VALU_DEP_1) | instskip(NEXT) | instid1(VALU_DEP_1)
	v_sub_f32_e32 v13, v12, v13
	v_dual_sub_f32 v8, v8, v13 :: v_dual_add_f32 v9, v17, v15
	s_delay_alu instid0(VALU_DEP_1) | instskip(NEXT) | instid1(VALU_DEP_1)
	v_add_f32_e32 v14, v9, v12
	v_sub_f32_e32 v102, v14, v9
	s_delay_alu instid0(VALU_DEP_1) | instskip(NEXT) | instid1(VALU_DEP_1)
	v_dual_sub_f32 v17, v9, v17 :: v_dual_sub_f32 v12, v12, v102
	v_sub_f32_e32 v15, v15, v17
	s_delay_alu instid0(VALU_DEP_1) | instskip(SKIP_1) | instid1(VALU_DEP_1)
	v_add_f32_e32 v13, v15, v8
	v_sub_f32_e32 v103, v14, v102
	v_sub_f32_e32 v9, v9, v103
	s_delay_alu instid0(VALU_DEP_1) | instskip(NEXT) | instid1(VALU_DEP_1)
	v_dual_add_f32 v9, v12, v9 :: v_dual_sub_f32 v12, v13, v15
	v_add_f32_e32 v9, v13, v9
	s_delay_alu instid0(VALU_DEP_2) | instskip(NEXT) | instid1(VALU_DEP_2)
	v_sub_f32_e32 v13, v13, v12
	v_dual_sub_f32 v8, v8, v12 :: v_dual_add_f32 v17, v14, v9
	s_delay_alu instid0(VALU_DEP_1) | instskip(NEXT) | instid1(VALU_DEP_1)
	v_dual_sub_f32 v13, v15, v13 :: v_dual_sub_f32 v12, v17, v14
	v_dual_add_f32 v8, v8, v13 :: v_dual_sub_f32 v9, v9, v12
	s_delay_alu instid0(VALU_DEP_1) | instskip(NEXT) | instid1(VALU_DEP_1)
	v_add_f32_e32 v8, v8, v9
	v_add_f32_e32 v8, v17, v8
	s_delay_alu instid0(VALU_DEP_1)
	v_cndmask_b32_e32 v124, v8, v10, vcc_lo
.LBB80_104:                             ;   in Loop: Header=BB80_12 Depth=1
	s_or_b32 exec_lo, exec_lo, s29
	v_lshrrev_b32_e32 v8, 16, v11
	s_delay_alu instid0(VALU_DEP_1) | instskip(NEXT) | instid1(VALU_DEP_1)
	v_cvt_f32_f16_e32 v8, v8
	v_add_f32_e32 v125, s66, v8
	s_delay_alu instid0(VALU_DEP_1) | instskip(SKIP_1) | instid1(SALU_CYCLE_1)
	v_cmp_ge_f32_e32 vcc_lo, 0x41a00000, v125
	s_and_b32 s28, s79, vcc_lo
	s_and_saveexec_b32 s29, s28
	s_cbranch_execz .LBB80_106
; %bb.105:                              ;   in Loop: Header=BB80_12 Depth=1
	v_mul_f32_e32 v8, 0x3fb8aa3b, v125
	v_cmp_ngt_f32_e32 vcc_lo, 0xc2ce8ed0, v125
	s_delay_alu instid0(VALU_DEP_2) | instskip(SKIP_1) | instid1(VALU_DEP_2)
	v_rndne_f32_e32 v9, v8
	v_fma_f32 v10, 0x3fb8aa3b, v125, -v8
	v_sub_f32_e32 v8, v8, v9
	s_delay_alu instid0(VALU_DEP_2) | instskip(SKIP_1) | instid1(VALU_DEP_2)
	v_fmac_f32_e32 v10, 0x32a5705f, v125
	v_cvt_i32_f32_e32 v9, v9
	v_add_f32_e32 v8, v8, v10
	s_delay_alu instid0(VALU_DEP_1) | instskip(SKIP_2) | instid1(VALU_DEP_1)
	v_exp_f32_e32 v8, v8
	s_waitcnt_depctr 0xfff
	v_ldexp_f32 v8, v8, v9
	v_cndmask_b32_e32 v8, 0, v8, vcc_lo
	v_cmp_nlt_f32_e32 vcc_lo, 0x42b17218, v125
	s_delay_alu instid0(VALU_DEP_2) | instskip(NEXT) | instid1(VALU_DEP_1)
	v_cndmask_b32_e32 v10, 0x7f800000, v8, vcc_lo
	v_add_f32_e32 v11, 1.0, v10
	s_delay_alu instid0(VALU_DEP_1) | instskip(NEXT) | instid1(VALU_DEP_1)
	v_cvt_f64_f32_e32 v[8:9], v11
	v_frexp_exp_i32_f64_e32 v8, v[8:9]
	v_frexp_mant_f32_e32 v9, v11
	s_delay_alu instid0(VALU_DEP_1) | instskip(SKIP_1) | instid1(VALU_DEP_1)
	v_cmp_gt_f32_e32 vcc_lo, 0x3f2aaaab, v9
	v_add_f32_e32 v9, -1.0, v11
	v_sub_f32_e32 v13, v9, v11
	v_sub_f32_e32 v9, v10, v9
	s_delay_alu instid0(VALU_DEP_2) | instskip(NEXT) | instid1(VALU_DEP_1)
	v_add_f32_e32 v13, 1.0, v13
	v_add_f32_e32 v9, v9, v13
	v_cmp_gt_f32_e64 s28, 0x33800000, v10
	v_subrev_co_ci_u32_e32 v8, vcc_lo, 0, v8, vcc_lo
	v_cmp_eq_f32_e32 vcc_lo, 0x7f800000, v10
	s_delay_alu instid0(VALU_DEP_2) | instskip(SKIP_2) | instid1(VALU_DEP_2)
	v_sub_nc_u32_e32 v12, 0, v8
	v_cvt_f32_i32_e32 v8, v8
	s_or_b32 vcc_lo, s28, vcc_lo
	v_ldexp_f32 v11, v11, v12
	v_ldexp_f32 v9, v9, v12
	s_delay_alu instid0(VALU_DEP_2) | instskip(NEXT) | instid1(VALU_DEP_1)
	v_add_f32_e32 v14, 1.0, v11
	v_dual_add_f32 v12, -1.0, v11 :: v_dual_add_f32 v13, -1.0, v14
	s_delay_alu instid0(VALU_DEP_1) | instskip(NEXT) | instid1(VALU_DEP_2)
	v_add_f32_e32 v15, 1.0, v12
	v_sub_f32_e32 v13, v11, v13
	s_delay_alu instid0(VALU_DEP_2) | instskip(NEXT) | instid1(VALU_DEP_2)
	v_sub_f32_e32 v11, v11, v15
	v_add_f32_e32 v13, v9, v13
	s_delay_alu instid0(VALU_DEP_2) | instskip(NEXT) | instid1(VALU_DEP_2)
	v_add_f32_e32 v9, v9, v11
	v_add_f32_e32 v15, v14, v13
	s_delay_alu instid0(VALU_DEP_1) | instskip(NEXT) | instid1(VALU_DEP_2)
	v_rcp_f32_e32 v11, v15
	v_dual_add_f32 v17, v12, v9 :: v_dual_sub_f32 v14, v14, v15
	s_delay_alu instid0(VALU_DEP_1) | instskip(SKIP_2) | instid1(VALU_DEP_1)
	v_dual_sub_f32 v12, v12, v17 :: v_dual_add_f32 v13, v13, v14
	s_waitcnt_depctr 0xfff
	v_mul_f32_e32 v102, v17, v11
	v_mul_f32_e32 v103, v15, v102
	s_delay_alu instid0(VALU_DEP_1) | instskip(NEXT) | instid1(VALU_DEP_1)
	v_fma_f32 v14, v102, v15, -v103
	v_dual_fmac_f32 v14, v102, v13 :: v_dual_add_f32 v9, v9, v12
	s_delay_alu instid0(VALU_DEP_1) | instskip(NEXT) | instid1(VALU_DEP_1)
	v_add_f32_e32 v105, v103, v14
	v_sub_f32_e32 v106, v17, v105
	v_sub_f32_e32 v12, v105, v103
	s_delay_alu instid0(VALU_DEP_2) | instskip(NEXT) | instid1(VALU_DEP_1)
	v_sub_f32_e32 v17, v17, v106
	v_dual_sub_f32 v12, v12, v14 :: v_dual_sub_f32 v17, v17, v105
	s_delay_alu instid0(VALU_DEP_1) | instskip(NEXT) | instid1(VALU_DEP_1)
	v_add_f32_e32 v9, v9, v17
	v_add_f32_e32 v9, v12, v9
	s_delay_alu instid0(VALU_DEP_1) | instskip(NEXT) | instid1(VALU_DEP_1)
	v_add_f32_e32 v12, v106, v9
	v_mul_f32_e32 v14, v11, v12
	v_sub_f32_e32 v105, v106, v12
	s_delay_alu instid0(VALU_DEP_2) | instskip(NEXT) | instid1(VALU_DEP_2)
	v_mul_f32_e32 v17, v15, v14
	v_add_f32_e32 v9, v9, v105
	s_delay_alu instid0(VALU_DEP_2) | instskip(NEXT) | instid1(VALU_DEP_1)
	v_fma_f32 v15, v14, v15, -v17
	v_fmac_f32_e32 v15, v14, v13
	s_delay_alu instid0(VALU_DEP_1) | instskip(NEXT) | instid1(VALU_DEP_1)
	v_add_f32_e32 v13, v17, v15
	v_sub_f32_e32 v103, v12, v13
	s_delay_alu instid0(VALU_DEP_1) | instskip(NEXT) | instid1(VALU_DEP_1)
	v_dual_sub_f32 v17, v13, v17 :: v_dual_sub_f32 v12, v12, v103
	v_dual_sub_f32 v12, v12, v13 :: v_dual_sub_f32 v13, v17, v15
	s_delay_alu instid0(VALU_DEP_1) | instskip(NEXT) | instid1(VALU_DEP_1)
	v_dual_add_f32 v9, v9, v12 :: v_dual_add_f32 v12, v102, v14
	v_add_f32_e32 v9, v13, v9
	s_delay_alu instid0(VALU_DEP_2) | instskip(NEXT) | instid1(VALU_DEP_2)
	v_sub_f32_e32 v13, v12, v102
	v_add_f32_e32 v9, v103, v9
	s_delay_alu instid0(VALU_DEP_2) | instskip(NEXT) | instid1(VALU_DEP_2)
	v_sub_f32_e32 v13, v14, v13
	v_mul_f32_e32 v9, v11, v9
	s_delay_alu instid0(VALU_DEP_1) | instskip(NEXT) | instid1(VALU_DEP_1)
	v_add_f32_e32 v9, v13, v9
	v_add_f32_e32 v11, v12, v9
	s_delay_alu instid0(VALU_DEP_1) | instskip(NEXT) | instid1(VALU_DEP_1)
	v_mul_f32_e32 v13, v11, v11
	v_fmaak_f32 v14, s83, v13, 0x3ecc95a3
	v_mul_f32_e32 v15, v11, v13
	s_delay_alu instid0(VALU_DEP_2) | instskip(SKIP_2) | instid1(VALU_DEP_3)
	v_fmaak_f32 v13, v13, v14, 0x3f2aaada
	v_ldexp_f32 v14, v11, 1
	v_sub_f32_e32 v11, v11, v12
	v_mul_f32_e32 v13, v15, v13
	v_mul_f32_e32 v15, 0x3f317218, v8
	s_delay_alu instid0(VALU_DEP_2) | instskip(NEXT) | instid1(VALU_DEP_1)
	v_dual_sub_f32 v9, v9, v11 :: v_dual_add_f32 v12, v14, v13
	v_ldexp_f32 v9, v9, 1
	s_delay_alu instid0(VALU_DEP_2) | instskip(NEXT) | instid1(VALU_DEP_4)
	v_sub_f32_e32 v11, v12, v14
	v_fma_f32 v14, 0x3f317218, v8, -v15
	s_delay_alu instid0(VALU_DEP_1) | instskip(NEXT) | instid1(VALU_DEP_1)
	v_dual_sub_f32 v11, v13, v11 :: v_dual_fmac_f32 v14, 0xb102e308, v8
	v_dual_add_f32 v8, v9, v11 :: v_dual_add_f32 v9, v15, v14
	s_delay_alu instid0(VALU_DEP_1) | instskip(NEXT) | instid1(VALU_DEP_2)
	v_add_f32_e32 v11, v12, v8
	v_sub_f32_e32 v15, v9, v15
	s_delay_alu instid0(VALU_DEP_2) | instskip(NEXT) | instid1(VALU_DEP_1)
	v_dual_add_f32 v13, v9, v11 :: v_dual_sub_f32 v12, v11, v12
	v_dual_sub_f32 v14, v14, v15 :: v_dual_sub_f32 v17, v13, v9
	s_delay_alu instid0(VALU_DEP_2) | instskip(NEXT) | instid1(VALU_DEP_2)
	v_sub_f32_e32 v8, v8, v12
	v_sub_f32_e32 v102, v13, v17
	s_delay_alu instid0(VALU_DEP_2) | instskip(NEXT) | instid1(VALU_DEP_2)
	v_dual_sub_f32 v11, v11, v17 :: v_dual_add_f32 v12, v14, v8
	v_sub_f32_e32 v9, v9, v102
	s_delay_alu instid0(VALU_DEP_1) | instskip(NEXT) | instid1(VALU_DEP_3)
	v_add_f32_e32 v9, v11, v9
	v_sub_f32_e32 v11, v12, v14
	s_delay_alu instid0(VALU_DEP_2) | instskip(NEXT) | instid1(VALU_DEP_2)
	v_add_f32_e32 v9, v12, v9
	v_sub_f32_e32 v12, v12, v11
	s_delay_alu instid0(VALU_DEP_2) | instskip(NEXT) | instid1(VALU_DEP_1)
	v_dual_sub_f32 v8, v8, v11 :: v_dual_add_f32 v15, v13, v9
	v_dual_sub_f32 v12, v14, v12 :: v_dual_sub_f32 v11, v15, v13
	s_delay_alu instid0(VALU_DEP_1) | instskip(NEXT) | instid1(VALU_DEP_1)
	v_dual_add_f32 v8, v8, v12 :: v_dual_sub_f32 v9, v9, v11
	v_add_f32_e32 v8, v8, v9
	s_delay_alu instid0(VALU_DEP_1) | instskip(NEXT) | instid1(VALU_DEP_1)
	v_add_f32_e32 v8, v15, v8
	v_cndmask_b32_e32 v125, v8, v10, vcc_lo
.LBB80_106:                             ;   in Loop: Header=BB80_12 Depth=1
	s_or_b32 exec_lo, exec_lo, s29
	v_lshrrev_b32_e32 v9, 16, v6
	v_lshrrev_b32_e32 v10, 16, v7
	;; [unrolled: 1-line block ×6, first 2 shown]
	v_cvt_f32_f16_e32 v8, v7
	v_cvt_f32_f16_e32 v7, v9
	;; [unrolled: 1-line block ×7, first 2 shown]
	v_lshrrev_b32_e32 v14, 16, v1
	v_lshrrev_b32_e32 v15, 16, v0
	v_cvt_f32_f16_e32 v6, v6
	v_cvt_f32_f16_e32 v5, v5
	;; [unrolled: 1-line block ×9, first 2 shown]
	v_dual_mul_f32 v106, s67, v8 :: v_dual_mul_f32 v107, s67, v6
	v_dual_mul_f32 v102, s67, v7 :: v_dual_mul_f32 v103, s67, v9
	v_dual_mul_f32 v108, s67, v5 :: v_dual_mul_f32 v105, s67, v10
	v_dual_mul_f32 v111, s67, v4 :: v_dual_mul_f32 v116, s67, v3
	v_dual_mul_f32 v109, s67, v12 :: v_dual_mul_f32 v110, s67, v13
	v_dual_mul_f32 v117, s67, v2 :: v_dual_mul_f32 v120, s67, v0
	v_dual_mul_f32 v114, s67, v14 :: v_dual_mul_f32 v119, s67, v1
	v_mul_f32_e32 v113, s67, v15
	v_mul_f32_e32 v112, s67, v11
	s_and_b32 vcc_lo, exec_lo, s80
	s_barrier
	buffer_gl0_inv
	s_cbranch_vccz .LBB80_202
; %bb.107:                              ;   in Loop: Header=BB80_12 Depth=1
	v_dual_mul_f32 v126, v125, v11 :: v_dual_mul_f32 v131, v124, v8
	v_add_co_u32 v11, s28, s61, v16
	s_delay_alu instid0(VALU_DEP_1) | instskip(SKIP_1) | instid1(VALU_DEP_1)
	v_add_co_ci_u32_e64 v17, null, s62, 0, s28
	v_add_co_u32 v16, s28, s49, v16
	v_add_co_ci_u32_e64 v130, null, s73, 0, s28
	s_delay_alu instid0(VALU_DEP_4) | instskip(NEXT) | instid1(VALU_DEP_4)
	v_add_co_u32 v127, vcc_lo, v11, v93
	v_add_co_ci_u32_e32 v128, vcc_lo, 0, v17, vcc_lo
	s_delay_alu instid0(VALU_DEP_4) | instskip(NEXT) | instid1(VALU_DEP_4)
	v_add_co_u32 v129, vcc_lo, v16, v93
	v_add_co_ci_u32_e32 v130, vcc_lo, 0, v130, vcc_lo
	v_cmp_gt_u32_e32 vcc_lo, s40, v18
	s_cmp_lg_u32 s87, 0
	v_cmp_gt_u32_e64 s30, s40, v79
	s_cselect_b32 s51, -1, 0
	s_cmp_eq_u32 s87, s82
	v_cmp_gt_u32_e64 s31, s40, v80
	s_cselect_b32 s88, -1, 0
	s_or_b32 s28, s81, vcc_lo
	v_cmp_gt_u32_e32 vcc_lo, s40, v78
	v_cmp_gt_u32_e64 s33, s40, v81
	v_cmp_gt_u32_e64 s34, s40, v82
	;; [unrolled: 1-line block ×4, first 2 shown]
	s_or_b32 s29, s81, vcc_lo
	v_cmp_gt_u32_e32 vcc_lo, s40, v83
	v_cmp_gt_u32_e64 s38, s40, v86
	v_cmp_gt_u32_e64 s39, s40, v87
	;; [unrolled: 1-line block ×4, first 2 shown]
	s_or_b32 s35, s81, vcc_lo
	v_cmp_gt_u32_e32 vcc_lo, s40, v88
	v_cmp_gt_u32_e64 s43, s40, v91
	v_cmp_gt_u32_e64 s44, s40, v92
	v_dual_mul_f32 v132, v123, v7 :: v_dual_mul_f32 v133, v122, v6
	v_dual_mul_f32 v134, v121, v9 :: v_dual_mul_f32 v137, v104, v4
	;; [unrolled: 1-line block ×7, first 2 shown]
	s_mov_b32 s64, 0
	s_or_b32 s30, s81, s30
	s_or_b32 s31, s81, s31
	;; [unrolled: 1-line block ×8, first 2 shown]
	s_or_b32 s40, s81, vcc_lo
	s_or_b32 s41, s81, s41
	s_or_b32 s42, s81, s42
	;; [unrolled: 1-line block ×4, first 2 shown]
	s_mov_b32 s52, s64
	s_mov_b32 s54, s64
	;; [unrolled: 1-line block ×5, first 2 shown]
	s_branch .LBB80_109
.LBB80_108:                             ;   in Loop: Header=BB80_109 Depth=2
	s_or_b32 exec_lo, exec_lo, s45
	v_cndmask_b32_e64 v9, v175, v11, s11
	v_cndmask_b32_e64 v10, v174, v10, s11
	s_add_i32 s89, s89, -1
	s_add_i32 s90, s90, 8
	s_add_i32 s58, s58, s74
	v_fma_f32 v9, v9, v146, v15
	v_mul_f32_e32 v10, v10, v146
	s_add_i32 s54, s54, s48
	s_add_i32 s52, s52, s60
	;; [unrolled: 1-line block ×3, first 2 shown]
	v_cndmask_b32_e64 v9, v9, v15, s10
	v_cndmask_b32_e64 v10, v10, v146, s10
	s_cmp_eq_u32 s89, 0
	s_waitcnt lgkmcnt(0)
	s_delay_alu instid0(VALU_DEP_1) | instskip(NEXT) | instid1(VALU_DEP_1)
	v_fmac_f32_e32 v9, v8, v10
	v_fmac_f32_e32 v12, v9, v148
	s_delay_alu instid0(VALU_DEP_1) | instskip(NEXT) | instid1(VALU_DEP_1)
	v_fmac_f32_e32 v13, v12, v150
	v_fmac_f32_e32 v14, v13, v152
	v_fma_mix_f32 v120, v9, v4, v120 op_sel_hi:[0,1,0]
	s_delay_alu instid0(VALU_DEP_2) | instskip(SKIP_2) | instid1(VALU_DEP_3)
	v_fmac_f32_e32 v147, v14, v154
	v_fma_mix_f32 v113, v12, v4, v113 op_sel:[0,1,0] op_sel_hi:[0,1,0]
	v_fma_mix_f32 v114, v14, v5, v114 op_sel:[0,1,0] op_sel_hi:[0,1,0]
	v_fmac_f32_e32 v149, v147, v155
	v_fma_mix_f32 v117, v147, v6, v117 op_sel_hi:[0,1,0]
	s_delay_alu instid0(VALU_DEP_2) | instskip(SKIP_1) | instid1(VALU_DEP_2)
	v_fmac_f32_e32 v151, v149, v157
	v_fma_mix_f32 v110, v149, v6, v110 op_sel:[0,1,0] op_sel_hi:[0,1,0]
	v_fmac_f32_e32 v153, v151, v160
	s_delay_alu instid0(VALU_DEP_1) | instskip(SKIP_1) | instid1(VALU_DEP_2)
	v_fmac_f32_e32 v156, v153, v161
	v_fma_mix_f32 v119, v13, v5, v119 op_sel_hi:[0,1,0]
	v_fmac_f32_e32 v158, v156, v162
	v_fma_mix_f32 v116, v151, v7, v116 op_sel_hi:[0,1,0]
	v_fma_mix_f32 v111, v156, v0, v111 op_sel_hi:[0,1,0]
	s_delay_alu instid0(VALU_DEP_3) | instskip(SKIP_1) | instid1(VALU_DEP_2)
	v_fmac_f32_e32 v159, v158, v163
	v_fma_mix_f32 v105, v158, v0, v105 op_sel:[0,1,0] op_sel_hi:[0,1,0]
	v_fmac_f32_e32 v164, v159, v170
	v_fma_mix_f32 v108, v159, v1, v108 op_sel_hi:[0,1,0]
	s_delay_alu instid0(VALU_DEP_2) | instskip(NEXT) | instid1(VALU_DEP_1)
	v_fmac_f32_e32 v165, v164, v167
	v_fmac_f32_e32 v166, v165, v169
	v_fma_mix_f32 v109, v153, v7, v109 op_sel:[0,1,0] op_sel_hi:[0,1,0]
	s_delay_alu instid0(VALU_DEP_2) | instskip(SKIP_2) | instid1(VALU_DEP_3)
	v_fmac_f32_e32 v168, v166, v172
	v_fma_mix_f32 v107, v165, v2, v107 op_sel_hi:[0,1,0]
	v_fma_mix_f32 v102, v166, v2, v102 op_sel:[0,1,0] op_sel_hi:[0,1,0]
	v_fmac_f32_e32 v171, v168, v173
	v_fma_mix_f32 v103, v164, v1, v103 op_sel:[0,1,0] op_sel_hi:[0,1,0]
	v_fma_mix_f32 v106, v168, v3, v106 op_sel_hi:[0,1,0]
	s_delay_alu instid0(VALU_DEP_3)
	v_fma_mix_f32 v112, v171, v3, v112 op_sel:[0,1,0] op_sel_hi:[0,1,0]
	s_cbranch_scc1 .LBB80_202
.LBB80_109:                             ;   Parent Loop BB80_12 Depth=1
                                        ; =>  This Inner Loop Header: Depth=2
	s_lshl_b64 s[92:93], s[64:65], 2
	s_mov_b32 s53, s65
	s_add_u32 s92, s71, s92
	s_addc_u32 s93, s72, s93
	v_dual_mov_b32 v2, 0 :: v_dual_mov_b32 v3, 0
	global_load_b32 v146, v21, s[92:93]
	s_lshl_b64 s[92:93], s[52:53], 1
	s_delay_alu instid0(SALU_CYCLE_1)
	v_add_co_u32 v0, vcc_lo, v127, s92
	v_add_co_ci_u32_e32 v1, vcc_lo, s93, v128, vcc_lo
	s_and_saveexec_b32 s45, s12
	s_cbranch_execnz .LBB80_145
; %bb.110:                              ;   in Loop: Header=BB80_109 Depth=2
	s_or_b32 exec_lo, exec_lo, s45
	s_and_saveexec_b32 s45, s13
	s_cbranch_execnz .LBB80_146
.LBB80_111:                             ;   in Loop: Header=BB80_109 Depth=2
	s_or_b32 exec_lo, exec_lo, s45
	v_mov_b32_e32 v4, 0
	s_and_saveexec_b32 s45, s14
	s_cbranch_execnz .LBB80_147
.LBB80_112:                             ;   in Loop: Header=BB80_109 Depth=2
	s_or_b32 exec_lo, exec_lo, s45
	s_and_saveexec_b32 s45, s15
	s_cbranch_execnz .LBB80_148
.LBB80_113:                             ;   in Loop: Header=BB80_109 Depth=2
	s_or_b32 exec_lo, exec_lo, s45
	v_mov_b32_e32 v5, 0
	s_and_saveexec_b32 s45, s16
	s_cbranch_execnz .LBB80_149
.LBB80_114:                             ;   in Loop: Header=BB80_109 Depth=2
	s_or_b32 exec_lo, exec_lo, s45
	s_and_saveexec_b32 s45, s17
	s_cbranch_execnz .LBB80_150
.LBB80_115:                             ;   in Loop: Header=BB80_109 Depth=2
	s_or_b32 exec_lo, exec_lo, s45
	v_mov_b32_e32 v6, 0
	s_and_saveexec_b32 s45, s18
	s_cbranch_execnz .LBB80_151
.LBB80_116:                             ;   in Loop: Header=BB80_109 Depth=2
	s_or_b32 exec_lo, exec_lo, s45
	s_and_saveexec_b32 s45, s19
	s_cbranch_execnz .LBB80_152
.LBB80_117:                             ;   in Loop: Header=BB80_109 Depth=2
	s_or_b32 exec_lo, exec_lo, s45
	v_mov_b32_e32 v7, 0
	s_and_saveexec_b32 s45, s20
	s_cbranch_execnz .LBB80_153
.LBB80_118:                             ;   in Loop: Header=BB80_109 Depth=2
	s_or_b32 exec_lo, exec_lo, s45
	s_and_saveexec_b32 s45, s21
	s_cbranch_execnz .LBB80_154
.LBB80_119:                             ;   in Loop: Header=BB80_109 Depth=2
	s_or_b32 exec_lo, exec_lo, s45
	v_mov_b32_e32 v8, 0
	s_and_saveexec_b32 s45, s22
	s_cbranch_execnz .LBB80_155
.LBB80_120:                             ;   in Loop: Header=BB80_109 Depth=2
	s_or_b32 exec_lo, exec_lo, s45
	s_and_saveexec_b32 s45, s23
	s_cbranch_execnz .LBB80_156
.LBB80_121:                             ;   in Loop: Header=BB80_109 Depth=2
	s_or_b32 exec_lo, exec_lo, s45
	v_mov_b32_e32 v9, 0
	s_and_saveexec_b32 s45, s24
	s_cbranch_execnz .LBB80_157
.LBB80_122:                             ;   in Loop: Header=BB80_109 Depth=2
	s_or_b32 exec_lo, exec_lo, s45
	s_and_saveexec_b32 s45, s25
	s_cbranch_execnz .LBB80_158
.LBB80_123:                             ;   in Loop: Header=BB80_109 Depth=2
	s_or_b32 exec_lo, exec_lo, s45
	v_mov_b32_e32 v10, 0
	s_and_saveexec_b32 s45, s26
	s_cbranch_execnz .LBB80_159
.LBB80_124:                             ;   in Loop: Header=BB80_109 Depth=2
	s_or_b32 exec_lo, exec_lo, s45
	s_and_saveexec_b32 s45, s27
	s_cbranch_execz .LBB80_126
.LBB80_125:                             ;   in Loop: Header=BB80_109 Depth=2
	global_load_u16 v0, v[0:1], off offset:960
	s_waitcnt vmcnt(0)
	v_lshl_or_b32 v10, v0, 16, v10
.LBB80_126:                             ;   in Loop: Header=BB80_109 Depth=2
	s_or_b32 exec_lo, exec_lo, s45
	s_waitcnt vmcnt(0)
	ds_store_b16 v37, v3
	ds_store_b16 v37, v2 offset:64
	ds_store_b16 v38, v4 offset:128
	ds_store_b16_d16_hi v39, v4 offset:192
	ds_store_b16 v40, v5 offset:256
	ds_store_b16_d16_hi v41, v5 offset:320
	;; [unrolled: 2-line block ×7, first 2 shown]
	; wave barrier
	ds_load_b128 v[12:15], v52
	ds_load_b128 v[8:11], v52 offset:16
	s_mov_b32 s55, s65
	v_dual_mov_b32 v2, 0 :: v_dual_mov_b32 v3, 0
	s_lshl_b64 s[92:93], s[54:55], 1
	s_delay_alu instid0(SALU_CYCLE_1)
	v_add_co_u32 v0, vcc_lo, v129, s92
	v_add_co_ci_u32_e32 v1, vcc_lo, s93, v130, vcc_lo
	s_and_saveexec_b32 s45, s12
	s_cbranch_execnz .LBB80_160
; %bb.127:                              ;   in Loop: Header=BB80_109 Depth=2
	s_or_b32 exec_lo, exec_lo, s45
	s_and_saveexec_b32 s45, s13
	s_cbranch_execnz .LBB80_161
.LBB80_128:                             ;   in Loop: Header=BB80_109 Depth=2
	s_or_b32 exec_lo, exec_lo, s45
	v_mov_b32_e32 v4, 0
	s_and_saveexec_b32 s45, s14
	s_cbranch_execnz .LBB80_162
.LBB80_129:                             ;   in Loop: Header=BB80_109 Depth=2
	s_or_b32 exec_lo, exec_lo, s45
	s_and_saveexec_b32 s45, s15
	s_cbranch_execnz .LBB80_163
.LBB80_130:                             ;   in Loop: Header=BB80_109 Depth=2
	s_or_b32 exec_lo, exec_lo, s45
	v_mov_b32_e32 v5, 0
	s_and_saveexec_b32 s45, s16
	s_cbranch_execnz .LBB80_164
.LBB80_131:                             ;   in Loop: Header=BB80_109 Depth=2
	s_or_b32 exec_lo, exec_lo, s45
	s_and_saveexec_b32 s45, s17
	s_cbranch_execnz .LBB80_165
.LBB80_132:                             ;   in Loop: Header=BB80_109 Depth=2
	s_or_b32 exec_lo, exec_lo, s45
	v_mov_b32_e32 v6, 0
	s_and_saveexec_b32 s45, s18
	s_cbranch_execnz .LBB80_166
.LBB80_133:                             ;   in Loop: Header=BB80_109 Depth=2
	s_or_b32 exec_lo, exec_lo, s45
	s_and_saveexec_b32 s45, s19
	s_cbranch_execnz .LBB80_167
.LBB80_134:                             ;   in Loop: Header=BB80_109 Depth=2
	s_or_b32 exec_lo, exec_lo, s45
	v_mov_b32_e32 v7, 0
	s_and_saveexec_b32 s45, s20
	s_cbranch_execnz .LBB80_168
.LBB80_135:                             ;   in Loop: Header=BB80_109 Depth=2
	s_or_b32 exec_lo, exec_lo, s45
	s_and_saveexec_b32 s45, s21
	s_cbranch_execnz .LBB80_169
.LBB80_136:                             ;   in Loop: Header=BB80_109 Depth=2
	s_or_b32 exec_lo, exec_lo, s45
	v_mov_b32_e32 v16, 0
	s_and_saveexec_b32 s45, s22
	s_cbranch_execnz .LBB80_170
.LBB80_137:                             ;   in Loop: Header=BB80_109 Depth=2
	s_or_b32 exec_lo, exec_lo, s45
	s_and_saveexec_b32 s45, s23
	s_cbranch_execnz .LBB80_171
.LBB80_138:                             ;   in Loop: Header=BB80_109 Depth=2
	s_or_b32 exec_lo, exec_lo, s45
	v_mov_b32_e32 v17, 0
	s_and_saveexec_b32 s45, s24
	s_cbranch_execnz .LBB80_172
.LBB80_139:                             ;   in Loop: Header=BB80_109 Depth=2
	s_or_b32 exec_lo, exec_lo, s45
	s_and_saveexec_b32 s45, s25
	s_cbranch_execnz .LBB80_173
.LBB80_140:                             ;   in Loop: Header=BB80_109 Depth=2
	s_or_b32 exec_lo, exec_lo, s45
	v_mov_b32_e32 v147, 0
	s_and_saveexec_b32 s45, s26
	s_cbranch_execnz .LBB80_174
.LBB80_141:                             ;   in Loop: Header=BB80_109 Depth=2
	s_or_b32 exec_lo, exec_lo, s45
	s_and_saveexec_b32 s45, s27
	s_cbranch_execz .LBB80_143
.LBB80_142:                             ;   in Loop: Header=BB80_109 Depth=2
	global_load_u16 v0, v[0:1], off offset:960
	s_waitcnt vmcnt(0)
	v_lshl_or_b32 v147, v0, 16, v147
.LBB80_143:                             ;   in Loop: Header=BB80_109 Depth=2
	s_or_b32 exec_lo, exec_lo, s45
	s_waitcnt vmcnt(0)
	ds_store_b16 v37, v3 offset:2112
	ds_store_b16 v53, v2 offset:64
	;; [unrolled: 1-line block ×3, first 2 shown]
	ds_store_b16_d16_hi v55, v4 offset:192
	ds_store_b16 v56, v5 offset:256
	ds_store_b16_d16_hi v57, v5 offset:320
	ds_store_b16 v58, v6 offset:384
	;; [unrolled: 2-line block ×6, first 2 shown]
	ds_store_b16_d16_hi v67, v147 offset:960
	; wave barrier
	ds_load_b128 v[4:7], v52 offset:2112
	ds_load_b128 v[0:3], v68 offset:16
	s_and_not1_b32 vcc_lo, exec_lo, s51
	s_cbranch_vccnz .LBB80_175
; %bb.144:                              ;   in Loop: Header=BB80_109 Depth=2
	v_mov_b32_e32 v16, s90
	ds_load_b64 v[16:17], v16
	s_cbranch_execz .LBB80_176
	s_branch .LBB80_179
.LBB80_145:                             ;   in Loop: Header=BB80_109 Depth=2
	global_load_u16 v3, v[0:1], off
	s_or_b32 exec_lo, exec_lo, s45
	s_and_saveexec_b32 s45, s13
	s_cbranch_execz .LBB80_111
.LBB80_146:                             ;   in Loop: Header=BB80_109 Depth=2
	global_load_u16 v2, v[0:1], off offset:64
	s_or_b32 exec_lo, exec_lo, s45
	v_mov_b32_e32 v4, 0
	s_and_saveexec_b32 s45, s14
	s_cbranch_execz .LBB80_112
.LBB80_147:                             ;   in Loop: Header=BB80_109 Depth=2
	global_load_u16 v4, v[0:1], off offset:128
	s_or_b32 exec_lo, exec_lo, s45
	s_and_saveexec_b32 s45, s15
	s_cbranch_execz .LBB80_113
.LBB80_148:                             ;   in Loop: Header=BB80_109 Depth=2
	global_load_u16 v5, v[0:1], off offset:192
	s_waitcnt vmcnt(0)
	v_lshl_or_b32 v4, v5, 16, v4
	s_or_b32 exec_lo, exec_lo, s45
	v_mov_b32_e32 v5, 0
	s_and_saveexec_b32 s45, s16
	s_cbranch_execz .LBB80_114
.LBB80_149:                             ;   in Loop: Header=BB80_109 Depth=2
	global_load_u16 v5, v[0:1], off offset:256
	s_or_b32 exec_lo, exec_lo, s45
	s_and_saveexec_b32 s45, s17
	s_cbranch_execz .LBB80_115
.LBB80_150:                             ;   in Loop: Header=BB80_109 Depth=2
	global_load_u16 v6, v[0:1], off offset:320
	s_waitcnt vmcnt(0)
	v_lshl_or_b32 v5, v6, 16, v5
	s_or_b32 exec_lo, exec_lo, s45
	v_mov_b32_e32 v6, 0
	s_and_saveexec_b32 s45, s18
	s_cbranch_execz .LBB80_116
.LBB80_151:                             ;   in Loop: Header=BB80_109 Depth=2
	global_load_u16 v6, v[0:1], off offset:384
	s_or_b32 exec_lo, exec_lo, s45
	s_and_saveexec_b32 s45, s19
	s_cbranch_execz .LBB80_117
.LBB80_152:                             ;   in Loop: Header=BB80_109 Depth=2
	global_load_u16 v7, v[0:1], off offset:448
	s_waitcnt vmcnt(0)
	v_lshl_or_b32 v6, v7, 16, v6
	s_or_b32 exec_lo, exec_lo, s45
	v_mov_b32_e32 v7, 0
	s_and_saveexec_b32 s45, s20
	s_cbranch_execz .LBB80_118
.LBB80_153:                             ;   in Loop: Header=BB80_109 Depth=2
	global_load_u16 v7, v[0:1], off offset:512
	s_or_b32 exec_lo, exec_lo, s45
	s_and_saveexec_b32 s45, s21
	s_cbranch_execz .LBB80_119
.LBB80_154:                             ;   in Loop: Header=BB80_109 Depth=2
	global_load_u16 v8, v[0:1], off offset:576
	s_waitcnt vmcnt(0)
	v_lshl_or_b32 v7, v8, 16, v7
	s_or_b32 exec_lo, exec_lo, s45
	v_mov_b32_e32 v8, 0
	s_and_saveexec_b32 s45, s22
	s_cbranch_execz .LBB80_120
.LBB80_155:                             ;   in Loop: Header=BB80_109 Depth=2
	global_load_u16 v8, v[0:1], off offset:640
	s_or_b32 exec_lo, exec_lo, s45
	s_and_saveexec_b32 s45, s23
	s_cbranch_execz .LBB80_121
.LBB80_156:                             ;   in Loop: Header=BB80_109 Depth=2
	global_load_u16 v9, v[0:1], off offset:704
	s_waitcnt vmcnt(0)
	v_lshl_or_b32 v8, v9, 16, v8
	s_or_b32 exec_lo, exec_lo, s45
	v_mov_b32_e32 v9, 0
	s_and_saveexec_b32 s45, s24
	s_cbranch_execz .LBB80_122
.LBB80_157:                             ;   in Loop: Header=BB80_109 Depth=2
	global_load_u16 v9, v[0:1], off offset:768
	s_or_b32 exec_lo, exec_lo, s45
	s_and_saveexec_b32 s45, s25
	s_cbranch_execz .LBB80_123
.LBB80_158:                             ;   in Loop: Header=BB80_109 Depth=2
	global_load_u16 v10, v[0:1], off offset:832
	s_waitcnt vmcnt(0)
	v_lshl_or_b32 v9, v10, 16, v9
	s_or_b32 exec_lo, exec_lo, s45
	v_mov_b32_e32 v10, 0
	s_and_saveexec_b32 s45, s26
	s_cbranch_execz .LBB80_124
.LBB80_159:                             ;   in Loop: Header=BB80_109 Depth=2
	global_load_u16 v10, v[0:1], off offset:896
	s_or_b32 exec_lo, exec_lo, s45
	s_and_saveexec_b32 s45, s27
	s_cbranch_execnz .LBB80_125
	s_branch .LBB80_126
.LBB80_160:                             ;   in Loop: Header=BB80_109 Depth=2
	global_load_u16 v3, v[0:1], off
	s_or_b32 exec_lo, exec_lo, s45
	s_and_saveexec_b32 s45, s13
	s_cbranch_execz .LBB80_128
.LBB80_161:                             ;   in Loop: Header=BB80_109 Depth=2
	global_load_u16 v2, v[0:1], off offset:64
	s_or_b32 exec_lo, exec_lo, s45
	v_mov_b32_e32 v4, 0
	s_and_saveexec_b32 s45, s14
	s_cbranch_execz .LBB80_129
.LBB80_162:                             ;   in Loop: Header=BB80_109 Depth=2
	global_load_u16 v4, v[0:1], off offset:128
	s_or_b32 exec_lo, exec_lo, s45
	s_and_saveexec_b32 s45, s15
	s_cbranch_execz .LBB80_130
.LBB80_163:                             ;   in Loop: Header=BB80_109 Depth=2
	global_load_u16 v5, v[0:1], off offset:192
	s_waitcnt vmcnt(0)
	v_lshl_or_b32 v4, v5, 16, v4
	s_or_b32 exec_lo, exec_lo, s45
	v_mov_b32_e32 v5, 0
	s_and_saveexec_b32 s45, s16
	s_cbranch_execz .LBB80_131
.LBB80_164:                             ;   in Loop: Header=BB80_109 Depth=2
	global_load_u16 v5, v[0:1], off offset:256
	s_or_b32 exec_lo, exec_lo, s45
	s_and_saveexec_b32 s45, s17
	s_cbranch_execz .LBB80_132
.LBB80_165:                             ;   in Loop: Header=BB80_109 Depth=2
	global_load_u16 v6, v[0:1], off offset:320
	s_waitcnt vmcnt(0)
	v_lshl_or_b32 v5, v6, 16, v5
	s_or_b32 exec_lo, exec_lo, s45
	v_mov_b32_e32 v6, 0
	s_and_saveexec_b32 s45, s18
	s_cbranch_execz .LBB80_133
.LBB80_166:                             ;   in Loop: Header=BB80_109 Depth=2
	global_load_u16 v6, v[0:1], off offset:384
	s_or_b32 exec_lo, exec_lo, s45
	s_and_saveexec_b32 s45, s19
	s_cbranch_execz .LBB80_134
.LBB80_167:                             ;   in Loop: Header=BB80_109 Depth=2
	global_load_u16 v7, v[0:1], off offset:448
	s_waitcnt vmcnt(0)
	v_lshl_or_b32 v6, v7, 16, v6
	s_or_b32 exec_lo, exec_lo, s45
	v_mov_b32_e32 v7, 0
	s_and_saveexec_b32 s45, s20
	s_cbranch_execz .LBB80_135
.LBB80_168:                             ;   in Loop: Header=BB80_109 Depth=2
	global_load_u16 v7, v[0:1], off offset:512
	s_or_b32 exec_lo, exec_lo, s45
	s_and_saveexec_b32 s45, s21
	s_cbranch_execz .LBB80_136
.LBB80_169:                             ;   in Loop: Header=BB80_109 Depth=2
	global_load_u16 v16, v[0:1], off offset:576
	s_waitcnt vmcnt(0)
	v_lshl_or_b32 v7, v16, 16, v7
	s_or_b32 exec_lo, exec_lo, s45
	v_mov_b32_e32 v16, 0
	s_and_saveexec_b32 s45, s22
	s_cbranch_execz .LBB80_137
.LBB80_170:                             ;   in Loop: Header=BB80_109 Depth=2
	global_load_u16 v16, v[0:1], off offset:640
	s_or_b32 exec_lo, exec_lo, s45
	s_and_saveexec_b32 s45, s23
	s_cbranch_execz .LBB80_138
.LBB80_171:                             ;   in Loop: Header=BB80_109 Depth=2
	global_load_u16 v17, v[0:1], off offset:704
	s_waitcnt vmcnt(0)
	v_lshl_or_b32 v16, v17, 16, v16
	s_or_b32 exec_lo, exec_lo, s45
	v_mov_b32_e32 v17, 0
	s_and_saveexec_b32 s45, s24
	s_cbranch_execz .LBB80_139
.LBB80_172:                             ;   in Loop: Header=BB80_109 Depth=2
	global_load_u16 v17, v[0:1], off offset:768
	s_or_b32 exec_lo, exec_lo, s45
	s_and_saveexec_b32 s45, s25
	s_cbranch_execz .LBB80_140
.LBB80_173:                             ;   in Loop: Header=BB80_109 Depth=2
	global_load_u16 v147, v[0:1], off offset:832
	s_waitcnt vmcnt(0)
	v_lshl_or_b32 v17, v147, 16, v17
	s_or_b32 exec_lo, exec_lo, s45
	v_mov_b32_e32 v147, 0
	s_and_saveexec_b32 s45, s26
	s_cbranch_execz .LBB80_141
.LBB80_174:                             ;   in Loop: Header=BB80_109 Depth=2
	global_load_u16 v147, v[0:1], off offset:896
	s_or_b32 exec_lo, exec_lo, s45
	s_and_saveexec_b32 s45, s27
	s_cbranch_execnz .LBB80_142
	s_branch .LBB80_143
.LBB80_175:                             ;   in Loop: Header=BB80_109 Depth=2
                                        ; implicit-def: $vgpr16
.LBB80_176:                             ;   in Loop: Header=BB80_109 Depth=2
	s_waitcnt lgkmcnt(0)
	v_mov_b32_e32 v17, 0
	s_and_not1_b32 vcc_lo, exec_lo, s47
	s_cbranch_vccnz .LBB80_178
; %bb.177:                              ;   in Loop: Header=BB80_109 Depth=2
	s_mov_b32 s59, s65
	s_delay_alu instid0(SALU_CYCLE_1) | instskip(NEXT) | instid1(SALU_CYCLE_1)
	s_lshl_b64 s[92:93], s[58:59], 1
	s_add_u32 s92, s75, s92
	s_addc_u32 s93, s76, s93
	global_load_u16 v16, v21, s[92:93]
	s_waitcnt vmcnt(0)
	v_cvt_f32_f16_e32 v17, v16
.LBB80_178:                             ;   in Loop: Header=BB80_109 Depth=2
	v_mov_b32_e32 v16, 1.0
.LBB80_179:                             ;   in Loop: Header=BB80_109 Depth=2
	v_mul_f32_e32 v168, 0x3fb8aa3b, v146
	s_waitcnt lgkmcnt(19)
	v_lshrrev_b32_e32 v148, 16, v13
	v_lshrrev_b32_e32 v149, 16, v14
	v_cvt_f32_f16_e32 v13, v13
	v_cvt_f32_f16_e64 v156, v14
	v_mul_f32_e32 v14, v168, v94
	v_lshrrev_b32_e32 v147, 16, v12
	v_lshrrev_b32_e32 v150, 16, v15
	v_mul_f32_e32 v13, v143, v13
	v_cvt_f32_f16_e32 v12, v12
	v_cmp_gt_f32_e32 vcc_lo, 0xc2fc0000, v14
	v_cvt_f32_f16_e64 v157, v15
	v_mul_f32_e32 v15, v168, v95
	v_cvt_f32_f16_e64 v155, v148
	v_mul_f32_e32 v12, v145, v12
	v_cndmask_b32_e64 v14, 0, 0x42800000, vcc_lo
	v_mul_f32_e32 v146, v168, v96
	v_cmp_gt_f32_e64 s45, 0xc2fc0000, v15
	v_cndmask_b32_e64 v148, 1.0, 0x1f800000, vcc_lo
	s_waitcnt lgkmcnt(18)
	v_lshrrev_b32_e32 v151, 16, v8
	v_fmac_f32_e32 v14, v168, v94
	v_cvt_f32_f16_e64 v147, v147
	v_cndmask_b32_e64 v15, 0, 0x42800000, s45
	v_cvt_f32_f16_e64 v158, v150
	v_cmp_gt_f32_e32 vcc_lo, 0xc2fc0000, v146
	v_exp_f32_e32 v14, v14
	v_mul_f32_e32 v146, v168, v97
	v_fmac_f32_e32 v15, v168, v95
	v_cvt_f32_f16_e64 v159, v151
	v_cndmask_b32_e64 v151, 0, 0x42800000, vcc_lo
	v_lshrrev_b32_e32 v152, 16, v9
	v_lshrrev_b32_e32 v153, 16, v10
	;; [unrolled: 1-line block ×3, first 2 shown]
	v_cvt_f32_f16_e32 v9, v9
	v_cvt_f32_f16_e32 v8, v8
	v_mul_f32_e32 v14, v14, v148
	v_exp_f32_e32 v150, v15
	v_cndmask_b32_e64 v15, 0, v12, s28
	v_cndmask_b32_e64 v12, 1.0, 0x1f800000, s45
	v_cmp_gt_f32_e64 s45, 0xc2fc0000, v146
	v_cndmask_b32_e64 v146, 1.0, v14, s28
	v_mul_f32_e32 v14, v144, v147
	v_cvt_f32_f16_e64 v164, v152
	v_cvt_f32_f16_e64 v166, v153
	v_cndmask_b32_e64 v148, 0, 0x42800000, s45
	v_cvt_f32_f16_e64 v171, v154
	v_mul_f32_e32 v147, v150, v12
	v_cndmask_b32_e64 v12, 0, v14, s29
	v_cndmask_b32_e64 v14, 1.0, 0x1f800000, vcc_lo
	v_fmac_f32_e32 v151, v168, v96
	v_fmac_f32_e32 v148, v168, v97
	v_dual_mul_f32 v153, v168, v99 :: v_dual_mul_f32 v158, v138, v158
	v_dual_mul_f32 v154, v168, v100 :: v_dual_mul_f32 v9, v135, v9
	s_delay_alu instid0(VALU_DEP_4)
	v_exp_f32_e32 v150, v151
	v_mul_f32_e32 v151, v168, v98
	v_exp_f32_e32 v152, v148
	v_cndmask_b32_e64 v148, 1.0, v147, s29
	v_cndmask_b32_e64 v147, 1.0, 0x1f800000, s45
	v_cmp_gt_f32_e64 s45, 0xc2fc0000, v153
	v_cvt_f32_f16_e32 v10, v10
	v_cvt_f32_f16_e32 v11, v11
	v_mul_f32_e32 v169, v168, v122
	s_delay_alu instid0(TRANS32_DEP_2) | instskip(SKIP_1) | instid1(TRANS32_DEP_1)
	v_dual_mul_f32 v159, v136, v159 :: v_dual_mul_f32 v14, v150, v14
	v_cndmask_b32_e64 v153, 0, 0x42800000, s45
	v_dual_mul_f32 v147, v152, v147 :: v_dual_mul_f32 v10, v133, v10
	v_cndmask_b32_e64 v13, 0, v13, s30
	s_delay_alu instid0(VALU_DEP_4)
	v_cndmask_b32_e64 v150, 1.0, v14, s30
	v_mul_f32_e32 v14, v142, v155
	v_cmp_gt_f32_e32 vcc_lo, 0xc2fc0000, v151
	v_cndmask_b32_e64 v152, 1.0, v147, s31
	v_dual_fmac_f32 v153, v168, v99 :: v_dual_mul_f32 v8, v137, v8
	v_mul_f32_e32 v155, v168, v101
	v_cndmask_b32_e64 v151, 0, 0x42800000, vcc_lo
	v_cndmask_b32_e64 v147, 1.0, 0x1f800000, vcc_lo
	v_cmp_gt_f32_e32 vcc_lo, 0xc2fc0000, v154
	v_exp_f32_e32 v153, v153
	v_cmp_gt_f32_e64 s46, 0xc2fc0000, v155
	v_fmac_f32_e32 v151, v168, v98
	v_mul_f32_e32 v162, v168, v115
	v_cndmask_b32_e64 v154, 0, 0x42800000, vcc_lo
	v_cvt_f32_f16_e64 v149, v149
	v_cndmask_b32_e64 v155, 0, 0x42800000, s46
	v_exp_f32_e32 v151, v151
	v_cndmask_b32_e64 v14, 0, v14, s31
	v_dual_fmac_f32 v154, v168, v100 :: v_dual_mul_f32 v11, v131, v11
	s_delay_alu instid0(VALU_DEP_3) | instskip(SKIP_2) | instid1(VALU_DEP_4)
	v_fmac_f32_e32 v155, v168, v101
	v_mul_f32_e32 v170, v168, v123
	v_mul_f32_e32 v166, v132, v166
	v_exp_f32_e32 v160, v154
	s_delay_alu instid0(TRANS32_DEP_2)
	v_mul_f32_e32 v151, v151, v147
	v_mul_f32_e32 v147, v141, v156
	v_cndmask_b32_e64 v156, 1.0, 0x1f800000, s45
	v_cmp_gt_f32_e64 s45, 0xc2fc0000, v162
	v_mul_f32_e32 v162, v168, v121
	v_cndmask_b32_e64 v154, 1.0, v151, s33
	v_cndmask_b32_e64 v147, 0, v147, s33
	v_mul_f32_e32 v151, v153, v156
	v_cndmask_b32_e64 v153, 1.0, 0x1f800000, vcc_lo
	v_exp_f32_e32 v156, v155
	v_cndmask_b32_e64 v166, 0, v166, s42
	s_delay_alu instid0(VALU_DEP_3) | instskip(NEXT) | instid1(VALU_DEP_3)
	v_cndmask_b32_e64 v155, 1.0, v151, s34
	v_mul_f32_e32 v153, v160, v153
	v_mul_f32_e32 v151, v139, v157
	v_cndmask_b32_e64 v160, 1.0, 0x1f800000, s46
	s_delay_alu instid0(VALU_DEP_3)
	v_cndmask_b32_e64 v157, 1.0, v153, s35
	v_mul_f32_e32 v161, v168, v104
	v_cndmask_b32_e64 v153, 0, v158, s36
	v_mul_f32_e32 v158, v168, v118
	v_mul_f32_e32 v156, v156, v160
	v_cndmask_b32_e64 v151, 0, v151, s35
	v_cmp_gt_f32_e32 vcc_lo, 0xc2fc0000, v161
	s_delay_alu instid0(VALU_DEP_4) | instskip(NEXT) | instid1(VALU_DEP_4)
	v_cmp_gt_f32_e64 s46, 0xc2fc0000, v158
	v_cndmask_b32_e64 v160, 1.0, v156, s36
	v_cndmask_b32_e64 v161, 0, 0x42800000, vcc_lo
	v_cndmask_b32_e64 v163, 1.0, 0x1f800000, vcc_lo
	s_delay_alu instid0(VALU_DEP_4) | instskip(SKIP_1) | instid1(VALU_DEP_4)
	v_cndmask_b32_e64 v158, 0, 0x42800000, s46
	v_cmp_gt_f32_e32 vcc_lo, 0xc2fc0000, v162
	v_fmac_f32_e32 v161, v168, v104
	s_delay_alu instid0(VALU_DEP_3) | instskip(SKIP_1) | instid1(VALU_DEP_3)
	v_fmac_f32_e32 v158, v168, v118
	v_cndmask_b32_e64 v162, 0, 0x42800000, vcc_lo
	v_exp_f32_e32 v156, v161
	v_cndmask_b32_e64 v161, 0, 0x42800000, s45
	s_delay_alu instid0(VALU_DEP_2) | instskip(NEXT) | instid1(VALU_DEP_2)
	v_fmac_f32_e32 v162, v168, v121
	v_fmac_f32_e32 v161, v168, v115
	s_delay_alu instid0(VALU_DEP_2) | instskip(NEXT) | instid1(VALU_DEP_1)
	v_exp_f32_e32 v167, v162
	v_exp_f32_e32 v165, v161
	s_delay_alu instid0(TRANS32_DEP_3)
	v_mul_f32_e32 v161, v156, v163
	v_cndmask_b32_e64 v156, 0, v8, s37
	v_exp_f32_e32 v8, v158
	v_cndmask_b32_e64 v158, 1.0, 0x1f800000, s45
	v_cndmask_b32_e64 v163, 1.0, 0x1f800000, s46
	v_cmp_gt_f32_e64 s45, 0xc2fc0000, v170
	v_cndmask_b32_e64 v161, 1.0, v161, s37
	s_delay_alu instid0(TRANS32_DEP_2) | instid1(VALU_DEP_4)
	v_mul_f32_e32 v162, v165, v158
	v_cndmask_b32_e64 v165, 1.0, 0x1f800000, vcc_lo
	v_cmp_gt_f32_e32 vcc_lo, 0xc2fc0000, v169
	s_delay_alu instid0(TRANS32_DEP_1)
	v_mul_f32_e32 v8, v8, v163
	v_cndmask_b32_e64 v158, 0, v159, s38
	v_cndmask_b32_e64 v159, 0, v9, s39
	v_mul_f32_e32 v9, v134, v164
	v_fma_f32 v169, v148, v15, v12
	v_cndmask_b32_e64 v163, 1.0, v8, s39
	v_mul_f32_e32 v8, v167, v165
	v_cndmask_b32_e64 v165, 0, 0x42800000, vcc_lo
	v_mul_f32_e32 v167, v148, v146
	v_cndmask_b32_e64 v164, 0, v9, s40
	v_cndmask_b32_e64 v162, 1.0, v162, s38
	v_cndmask_b32_e64 v170, 1.0, v8, s40
	v_fmac_f32_e32 v165, v168, v122
	v_mul_f32_e32 v9, v167, v150
	v_fma_f32 v167, v169, v150, v13
	v_cndmask_b32_e64 v8, 1.0, 0x1f800000, vcc_lo
	v_cndmask_b32_e64 v169, 0, 0x42800000, s45
	v_exp_f32_e32 v165, v165
	v_mul_f32_e32 v149, v140, v149
	v_mul_f32_e32 v9, v9, v152
	v_fma_f32 v167, v167, v152, v14
	v_fmac_f32_e32 v169, v168, v123
	s_delay_alu instid0(VALU_DEP_3) | instskip(NEXT) | instid1(VALU_DEP_3)
	v_mul_f32_e32 v9, v9, v154
	v_fma_f32 v167, v167, v154, v147
	s_delay_alu instid0(VALU_DEP_3) | instskip(NEXT) | instid1(TRANS32_DEP_2)
	v_exp_f32_e32 v169, v169
	v_mul_f32_e32 v8, v165, v8
	v_cndmask_b32_e64 v149, 0, v149, s34
	v_mul_f32_e32 v9, v9, v155
	v_cndmask_b32_e64 v165, 0, v10, s41
	v_cndmask_b32_e64 v10, 1.0, 0x1f800000, s45
	s_delay_alu instid0(VALU_DEP_4)
	v_fma_f32 v172, v167, v155, v149
	v_cndmask_b32_e64 v167, 1.0, v8, s41
	v_mul_f32_e32 v8, v9, v157
	s_delay_alu instid0(TRANS32_DEP_1) | instid1(VALU_DEP_4)
	v_mul_f32_e32 v10, v169, v10
	s_delay_alu instid0(VALU_DEP_4) | instskip(SKIP_1) | instid1(VALU_DEP_4)
	v_fma_f32 v9, v172, v157, v151
	v_mul_f32_e32 v172, v168, v124
	v_mul_f32_e32 v8, v8, v160
	s_delay_alu instid0(VALU_DEP_3) | instskip(NEXT) | instid1(VALU_DEP_3)
	v_fma_f32 v9, v9, v160, v153
	v_cmp_gt_f32_e32 vcc_lo, 0xc2fc0000, v172
	v_mul_f32_e32 v172, v168, v125
	s_delay_alu instid0(VALU_DEP_4) | instskip(NEXT) | instid1(VALU_DEP_4)
	v_mul_f32_e32 v8, v8, v161
	v_fma_f32 v9, v9, v161, v156
	v_cndmask_b32_e64 v169, 0, 0x42800000, vcc_lo
	s_delay_alu instid0(VALU_DEP_4) | instskip(NEXT) | instid1(VALU_DEP_4)
	v_cmp_gt_f32_e64 s45, 0xc2fc0000, v172
	v_mul_f32_e32 v8, v8, v162
	s_delay_alu instid0(VALU_DEP_4) | instskip(NEXT) | instid1(VALU_DEP_4)
	v_fma_f32 v9, v9, v162, v158
	v_fmac_f32_e32 v169, v168, v124
	s_delay_alu instid0(VALU_DEP_4) | instskip(NEXT) | instid1(VALU_DEP_4)
	v_cndmask_b32_e64 v172, 0, 0x42800000, s45
	v_mul_f32_e32 v8, v8, v163
	s_delay_alu instid0(VALU_DEP_4) | instskip(NEXT) | instid1(VALU_DEP_4)
	v_fma_f32 v9, v9, v163, v159
	v_exp_f32_e32 v173, v169
	s_delay_alu instid0(VALU_DEP_3)
	v_fmac_f32_e32 v172, v168, v125
	v_cndmask_b32_e64 v169, 1.0, v10, s42
	v_cndmask_b32_e64 v10, 1.0, 0x1f800000, vcc_lo
	v_mul_f32_e32 v8, v8, v170
	v_fma_f32 v9, v9, v170, v164
	v_exp_f32_e32 v174, v172
	v_cndmask_b32_e64 v168, 0, v11, s43
	v_cndmask_b32_e64 v11, 1.0, 0x1f800000, s45
	v_mul_f32_e32 v8, v8, v167
	v_mul_f32_e32 v10, v173, v10
	v_fma_f32 v9, v9, v167, v165
	s_delay_alu instid0(VALU_DEP_3) | instskip(NEXT) | instid1(VALU_DEP_3)
	v_mul_f32_e32 v8, v8, v169
	v_cndmask_b32_e64 v172, 1.0, v10, s43
	v_mul_f32_e32 v10, v126, v171
	s_delay_alu instid0(TRANS32_DEP_1) | instskip(SKIP_1) | instid1(VALU_DEP_4)
	v_mul_f32_e32 v11, v174, v11
	v_fma_f32 v9, v9, v169, v166
	v_mul_f32_e32 v8, v8, v172
	s_delay_alu instid0(VALU_DEP_4) | instskip(NEXT) | instid1(VALU_DEP_4)
	v_cndmask_b32_e64 v171, 0, v10, s44
	v_cndmask_b32_e64 v173, 1.0, v11, s44
	s_delay_alu instid0(VALU_DEP_4) | instskip(NEXT) | instid1(VALU_DEP_2)
	v_fma_f32 v9, v9, v172, v168
	v_mul_f32_e32 v8, v8, v173
	s_delay_alu instid0(VALU_DEP_2) | instskip(NEXT) | instid1(VALU_DEP_2)
	v_fma_f32 v9, v9, v173, v171
	v_mov_b32_dpp v11, v8 row_shr:1 row_mask:0xf bank_mask:0xf
	s_delay_alu instid0(VALU_DEP_2)
	v_mov_b32_dpp v10, v9 row_shr:1 row_mask:0xf bank_mask:0xf
	s_and_saveexec_b32 s45, s0
; %bb.180:                              ;   in Loop: Header=BB80_109 Depth=2
	s_delay_alu instid0(VALU_DEP_2) | instskip(NEXT) | instid1(VALU_DEP_1)
	v_mul_f32_e32 v11, v8, v11
	v_dual_fmac_f32 v9, v8, v10 :: v_dual_mov_b32 v8, v11
; %bb.181:                              ;   in Loop: Header=BB80_109 Depth=2
	s_or_b32 exec_lo, exec_lo, s45
	s_delay_alu instid0(VALU_DEP_1) | instskip(NEXT) | instid1(VALU_DEP_2)
	v_mov_b32_dpp v10, v8 row_shr:2 row_mask:0xf bank_mask:0xf
	v_mov_b32_dpp v11, v9 row_shr:2 row_mask:0xf bank_mask:0xf
	s_and_saveexec_b32 s45, s1
; %bb.182:                              ;   in Loop: Header=BB80_109 Depth=2
	s_delay_alu instid0(VALU_DEP_1) | instskip(NEXT) | instid1(VALU_DEP_3)
	v_fmac_f32_e32 v9, v8, v11
	v_mul_f32_e32 v8, v8, v10
; %bb.183:                              ;   in Loop: Header=BB80_109 Depth=2
	s_or_b32 exec_lo, exec_lo, s45
	s_delay_alu instid0(VALU_DEP_1) | instskip(NEXT) | instid1(VALU_DEP_3)
	v_mov_b32_dpp v10, v8 row_shr:4 row_mask:0xf bank_mask:0xf
	v_mov_b32_dpp v11, v9 row_shr:4 row_mask:0xf bank_mask:0xf
	s_and_saveexec_b32 s45, s2
; %bb.184:                              ;   in Loop: Header=BB80_109 Depth=2
	s_delay_alu instid0(VALU_DEP_1) | instskip(NEXT) | instid1(VALU_DEP_3)
	v_fmac_f32_e32 v9, v8, v11
	v_mul_f32_e32 v8, v8, v10
; %bb.185:                              ;   in Loop: Header=BB80_109 Depth=2
	s_or_b32 exec_lo, exec_lo, s45
	s_delay_alu instid0(VALU_DEP_1) | instskip(NEXT) | instid1(VALU_DEP_3)
	v_mov_b32_dpp v10, v8 row_shr:8 row_mask:0xf bank_mask:0xf
	v_mov_b32_dpp v11, v9 row_shr:8 row_mask:0xf bank_mask:0xf
	s_and_saveexec_b32 s45, s3
; %bb.186:                              ;   in Loop: Header=BB80_109 Depth=2
	s_delay_alu instid0(VALU_DEP_1) | instskip(NEXT) | instid1(VALU_DEP_3)
	v_fmac_f32_e32 v9, v8, v11
	v_mul_f32_e32 v8, v8, v10
; %bb.187:                              ;   in Loop: Header=BB80_109 Depth=2
	s_or_b32 exec_lo, exec_lo, s45
	ds_swizzle_b32 v11, v8 offset:swizzle(BROADCAST,32,15)
	ds_swizzle_b32 v10, v9 offset:swizzle(BROADCAST,32,15)
	s_and_saveexec_b32 s45, s4
	s_cbranch_execz .LBB80_189
; %bb.188:                              ;   in Loop: Header=BB80_109 Depth=2
	s_waitcnt lgkmcnt(1)
	v_mul_f32_e32 v11, v8, v11
	s_waitcnt lgkmcnt(0)
	s_delay_alu instid0(VALU_DEP_1)
	v_dual_fmac_f32 v9, v8, v10 :: v_dual_mov_b32 v8, v11
.LBB80_189:                             ;   in Loop: Header=BB80_109 Depth=2
	s_or_b32 exec_lo, exec_lo, s45
	s_and_saveexec_b32 s45, s5
	s_cbranch_execz .LBB80_191
; %bb.190:                              ;   in Loop: Header=BB80_109 Depth=2
	ds_store_b64 v69, v[8:9] offset:4224
.LBB80_191:                             ;   in Loop: Header=BB80_109 Depth=2
	s_or_b32 exec_lo, exec_lo, s45
	s_waitcnt lgkmcnt(0)
	s_waitcnt_vscnt null, 0x0
	s_barrier
	buffer_gl0_inv
	s_and_saveexec_b32 s45, s6
	s_cbranch_execz .LBB80_193
; %bb.192:                              ;   in Loop: Header=BB80_109 Depth=2
	ds_load_b64 v[10:11], v70 offset:4224
	s_waitcnt lgkmcnt(0)
	v_mov_b32_dpp v174, v10 row_shr:1 row_mask:0xf bank_mask:0xf
	v_mov_b32_dpp v175, v11 row_shr:1 row_mask:0xf bank_mask:0xf
	s_delay_alu instid0(VALU_DEP_2) | instskip(NEXT) | instid1(VALU_DEP_2)
	v_mul_f32_e32 v174, v10, v174
	v_fma_f32 v175, v10, v175, v11
	s_delay_alu instid0(VALU_DEP_2) | instskip(NEXT) | instid1(VALU_DEP_2)
	v_cndmask_b32_e64 v10, v174, v10, s7
	v_cndmask_b32_e64 v11, v175, v11, s7
	ds_store_b64 v70, v[10:11] offset:4224
.LBB80_193:                             ;   in Loop: Header=BB80_109 Depth=2
	s_or_b32 exec_lo, exec_lo, s45
	s_waitcnt lgkmcnt(0)
	s_barrier
	buffer_gl0_inv
                                        ; implicit-def: $vgpr11
	s_and_saveexec_b32 s45, s9
	s_cbranch_execz .LBB80_195
; %bb.194:                              ;   in Loop: Header=BB80_109 Depth=2
	ds_load_b64 v[10:11], v69 offset:4216
	s_waitcnt lgkmcnt(0)
	v_mul_f32_e32 v174, v8, v10
	s_delay_alu instid0(VALU_DEP_1)
	v_dual_fmac_f32 v9, v8, v11 :: v_dual_mov_b32 v8, v174
.LBB80_195:                             ;   in Loop: Header=BB80_109 Depth=2
	s_or_b32 exec_lo, exec_lo, s45
	ds_bpermute_b32 v174, v71, v8
	ds_bpermute_b32 v175, v71, v9
	s_and_saveexec_b32 s45, s8
	s_cbranch_execz .LBB80_199
; %bb.196:                              ;   in Loop: Header=BB80_109 Depth=2
	ds_load_b64 v[8:9], v21 offset:4232
	s_and_saveexec_b32 s46, s10
	s_cbranch_execz .LBB80_198
; %bb.197:                              ;   in Loop: Header=BB80_109 Depth=2
	ds_store_b64 v21, v[16:17] offset:4232
.LBB80_198:                             ;   in Loop: Header=BB80_109 Depth=2
	s_or_b32 exec_lo, exec_lo, s46
	s_waitcnt lgkmcnt(0)
	v_fmac_f32_e32 v9, v17, v8
	s_delay_alu instid0(VALU_DEP_1)
	v_dual_mul_f32 v16, v16, v8 :: v_dual_mov_b32 v17, v9
.LBB80_199:                             ;   in Loop: Header=BB80_109 Depth=2
	s_or_b32 exec_lo, exec_lo, s45
	s_waitcnt lgkmcnt(0)
	s_barrier
	buffer_gl0_inv
	ds_load_b32 v8, v21 offset:4236
	s_and_saveexec_b32 s45, s10
	s_cbranch_execz .LBB80_108
; %bb.200:                              ;   in Loop: Header=BB80_109 Depth=2
	v_mov_b32_e32 v9, s90
	s_and_not1_b32 vcc_lo, exec_lo, s88
	ds_store_b64 v9, v[16:17]
	s_cbranch_vccnz .LBB80_108
; %bb.201:                              ;   in Loop: Header=BB80_109 Depth=2
	s_mov_b32 s59, s65
	v_cvt_f16_f32_e32 v9, v17
	s_lshl_b64 s[92:93], s[58:59], 1
	s_delay_alu instid0(SALU_CYCLE_1)
	s_add_u32 s92, s75, s92
	s_addc_u32 s93, s76, s93
	global_store_b16 v21, v9, s[92:93]
	s_branch .LBB80_108
.LBB80_202:                             ;   in Loop: Header=BB80_12 Depth=1
	v_cvt_f16_f32_e32 v0, v120
	v_cvt_f16_f32_e32 v4, v113
	;; [unrolled: 1-line block ×16, first 2 shown]
	v_pack_b32_f16 v3, v3, v7
	v_pack_b32_f16 v2, v2, v6
	;; [unrolled: 1-line block ×8, first 2 shown]
	s_waitcnt_vscnt null, 0x0
	s_barrier
	buffer_gl0_inv
	ds_store_b128 v52, v[0:3]
	ds_store_b128 v52, v[4:7] offset:16
	; wave barrier
	ds_load_u16 v16, v37 offset:64
	ds_load_u16 v15, v38 offset:128
	;; [unrolled: 1-line block ×15, first 2 shown]
	s_mov_b32 s51, s65
	s_delay_alu instid0(SALU_CYCLE_1) | instskip(NEXT) | instid1(SALU_CYCLE_1)
	s_lshl_b64 s[34:35], s[50:51], 1
	v_add_co_u32 v0, vcc_lo, v72, s34
	v_add_co_ci_u32_e32 v1, vcc_lo, s35, v73, vcc_lo
	s_and_saveexec_b32 s28, s12
	s_cbranch_execnz .LBB80_269
; %bb.203:                              ;   in Loop: Header=BB80_12 Depth=1
	s_or_b32 exec_lo, exec_lo, s28
	s_and_saveexec_b32 s28, s13
	s_cbranch_execnz .LBB80_270
.LBB80_204:                             ;   in Loop: Header=BB80_12 Depth=1
	s_or_b32 exec_lo, exec_lo, s28
	s_and_saveexec_b32 s28, s14
	s_cbranch_execnz .LBB80_271
.LBB80_205:                             ;   in Loop: Header=BB80_12 Depth=1
	s_or_b32 exec_lo, exec_lo, s28
	s_and_saveexec_b32 s28, s15
	s_cbranch_execnz .LBB80_272
.LBB80_206:                             ;   in Loop: Header=BB80_12 Depth=1
	s_or_b32 exec_lo, exec_lo, s28
	s_and_saveexec_b32 s28, s16
	s_cbranch_execnz .LBB80_273
.LBB80_207:                             ;   in Loop: Header=BB80_12 Depth=1
	s_or_b32 exec_lo, exec_lo, s28
	s_and_saveexec_b32 s28, s17
	s_cbranch_execnz .LBB80_274
.LBB80_208:                             ;   in Loop: Header=BB80_12 Depth=1
	s_or_b32 exec_lo, exec_lo, s28
	s_and_saveexec_b32 s28, s18
	s_cbranch_execnz .LBB80_275
.LBB80_209:                             ;   in Loop: Header=BB80_12 Depth=1
	s_or_b32 exec_lo, exec_lo, s28
	s_and_saveexec_b32 s28, s19
	s_cbranch_execnz .LBB80_276
.LBB80_210:                             ;   in Loop: Header=BB80_12 Depth=1
	s_or_b32 exec_lo, exec_lo, s28
	s_and_saveexec_b32 s28, s20
	s_cbranch_execnz .LBB80_277
.LBB80_211:                             ;   in Loop: Header=BB80_12 Depth=1
	s_or_b32 exec_lo, exec_lo, s28
	s_and_saveexec_b32 s28, s21
	s_cbranch_execnz .LBB80_278
.LBB80_212:                             ;   in Loop: Header=BB80_12 Depth=1
	s_or_b32 exec_lo, exec_lo, s28
	s_and_saveexec_b32 s28, s22
	s_cbranch_execnz .LBB80_279
.LBB80_213:                             ;   in Loop: Header=BB80_12 Depth=1
	s_or_b32 exec_lo, exec_lo, s28
	s_and_saveexec_b32 s28, s23
	s_cbranch_execnz .LBB80_280
.LBB80_214:                             ;   in Loop: Header=BB80_12 Depth=1
	s_or_b32 exec_lo, exec_lo, s28
	s_and_saveexec_b32 s28, s24
	s_cbranch_execnz .LBB80_281
.LBB80_215:                             ;   in Loop: Header=BB80_12 Depth=1
	s_or_b32 exec_lo, exec_lo, s28
	s_and_saveexec_b32 s28, s25
	s_cbranch_execnz .LBB80_282
.LBB80_216:                             ;   in Loop: Header=BB80_12 Depth=1
	s_or_b32 exec_lo, exec_lo, s28
	s_and_saveexec_b32 s28, s26
	s_cbranch_execnz .LBB80_283
.LBB80_217:                             ;   in Loop: Header=BB80_12 Depth=1
	s_or_b32 exec_lo, exec_lo, s28
	s_and_saveexec_b32 s28, s27
	s_cbranch_execz .LBB80_219
.LBB80_218:                             ;   in Loop: Header=BB80_12 Depth=1
	s_waitcnt lgkmcnt(0)
	global_store_b16 v[0:1], v2, off offset:960
.LBB80_219:                             ;   in Loop: Header=BB80_12 Depth=1
	s_or_b32 exec_lo, exec_lo, s28
	v_add_co_u32 v0, vcc_lo, v74, s34
	v_add_co_ci_u32_e32 v1, vcc_lo, s35, v75, vcc_lo
	s_waitcnt lgkmcnt(0)
	v_dual_mov_b32 v2, 0 :: v_dual_mov_b32 v3, 0
	s_waitcnt_vscnt null, 0x0
	s_barrier
	buffer_gl0_inv
	s_and_saveexec_b32 s28, s12
	s_cbranch_execz .LBB80_221
; %bb.220:                              ;   in Loop: Header=BB80_12 Depth=1
	global_load_u16 v3, v[0:1], off
.LBB80_221:                             ;   in Loop: Header=BB80_12 Depth=1
	s_or_b32 exec_lo, exec_lo, s28
	s_and_saveexec_b32 s28, s13
	s_cbranch_execz .LBB80_223
; %bb.222:                              ;   in Loop: Header=BB80_12 Depth=1
	global_load_u16 v2, v[0:1], off offset:64
.LBB80_223:                             ;   in Loop: Header=BB80_12 Depth=1
	s_or_b32 exec_lo, exec_lo, s28
	v_dual_mov_b32 v4, 0 :: v_dual_mov_b32 v5, 0
	s_and_saveexec_b32 s28, s14
	s_cbranch_execz .LBB80_225
; %bb.224:                              ;   in Loop: Header=BB80_12 Depth=1
	global_load_u16 v5, v[0:1], off offset:128
.LBB80_225:                             ;   in Loop: Header=BB80_12 Depth=1
	s_or_b32 exec_lo, exec_lo, s28
	s_and_saveexec_b32 s28, s15
	s_cbranch_execz .LBB80_227
; %bb.226:                              ;   in Loop: Header=BB80_12 Depth=1
	global_load_u16 v4, v[0:1], off offset:192
.LBB80_227:                             ;   in Loop: Header=BB80_12 Depth=1
	s_or_b32 exec_lo, exec_lo, s28
	v_dual_mov_b32 v6, 0 :: v_dual_mov_b32 v7, 0
	s_and_saveexec_b32 s28, s16
	s_cbranch_execz .LBB80_229
; %bb.228:                              ;   in Loop: Header=BB80_12 Depth=1
	global_load_u16 v7, v[0:1], off offset:256
.LBB80_229:                             ;   in Loop: Header=BB80_12 Depth=1
	;; [unrolled: 13-line block ×7, first 2 shown]
	s_or_b32 exec_lo, exec_lo, s28
	s_and_saveexec_b32 s28, s27
	s_cbranch_execz .LBB80_251
; %bb.250:                              ;   in Loop: Header=BB80_12 Depth=1
	global_load_u16 v16, v[0:1], off offset:960
.LBB80_251:                             ;   in Loop: Header=BB80_12 Depth=1
	s_or_b32 exec_lo, exec_lo, s28
	s_waitcnt vmcnt(0)
	ds_store_b16 v37, v3
	ds_store_b16 v37, v2 offset:64
	ds_store_b16 v38, v5 offset:128
	;; [unrolled: 1-line block ×15, first 2 shown]
	; wave barrier
	ds_load_b128 v[4:7], v52
	ds_load_b128 v[0:3], v52 offset:16
	s_waitcnt lgkmcnt(0)
	s_barrier
	buffer_gl0_inv
	v_lshrrev_b32_e32 v8, 16, v4
	v_lshrrev_b32_e32 v9, 16, v5
	v_cvt_f32_f16_e32 v10, v5
	v_cvt_f32_f16_e32 v11, v4
	v_lshrrev_b32_e32 v104, 16, v6
	v_cvt_f32_f16_e32 v8, v8
	v_cvt_f32_f16_e32 v9, v9
	v_mul_f32_e32 v12, 0xbfb8aa3b, v10
	v_mul_f32_e32 v14, 0xbfb8aa3b, v11
	v_cvt_f32_f16_e32 v104, v104
	v_mul_f32_e32 v13, 0xbfb8aa3b, v8
	v_mul_f32_e32 v15, 0xbfb8aa3b, v9
	v_rndne_f32_e32 v16, v12
	v_fma_mix_f32 v17, v5, s85, -v12 op_sel_hi:[1,0,0]
	v_cmp_nlt_f32_e32 vcc_lo, 0x42ce8ed0, v8
	v_rndne_f32_e32 v94, v13
	v_fma_mix_f32 v95, v4, s85, -v13 op_sel:[1,0,0] op_sel_hi:[1,0,0]
	v_fma_mix_f32 v97, v5, s85, -v15 op_sel:[1,0,0] op_sel_hi:[1,0,0]
	v_rndne_f32_e32 v96, v15
	s_delay_alu instid0(VALU_DEP_4) | instskip(NEXT) | instid1(VALU_DEP_4)
	v_dual_sub_f32 v12, v12, v16 :: v_dual_sub_f32 v13, v13, v94
	v_fma_mix_f32 v95, v4, s86, v95 op_sel:[1,0,0] op_sel_hi:[1,0,0]
	s_delay_alu instid0(VALU_DEP_4) | instskip(SKIP_4) | instid1(VALU_DEP_4)
	v_fma_mix_f32 v97, v5, s86, v97 op_sel:[1,0,0] op_sel_hi:[1,0,0]
	v_fma_mix_f32 v5, v5, s86, v17 op_sel_hi:[1,0,0]
	v_rndne_f32_e32 v17, v14
	v_sub_f32_e32 v15, v15, v96
	v_cvt_i32_f32_e32 v16, v16
	v_add_f32_e32 v5, v12, v5
	s_delay_alu instid0(VALU_DEP_4) | instskip(SKIP_2) | instid1(VALU_DEP_4)
	v_dual_sub_f32 v12, v14, v17 :: v_dual_add_f32 v13, v13, v95
	v_fma_mix_f32 v95, v4, s85, -v14 op_sel_hi:[1,0,0]
	v_add_f32_e32 v15, v15, v97
	v_exp_f32_e32 v5, v5
	v_cvt_i32_f32_e32 v17, v17
	s_delay_alu instid0(VALU_DEP_3) | instskip(NEXT) | instid1(VALU_DEP_3)
	v_fma_mix_f32 v4, v4, s86, v95 op_sel_hi:[1,0,0]
	v_exp_f32_e32 v14, v15
	v_cvt_i32_f32_e32 v15, v94
	s_delay_alu instid0(VALU_DEP_2) | instskip(SKIP_2) | instid1(TRANS32_DEP_3)
	v_add_f32_e32 v4, v12, v4
	v_exp_f32_e32 v13, v13
	v_cvt_i32_f32_e32 v12, v96
	v_ldexp_f32 v5, v5, v16
	s_delay_alu instid0(VALU_DEP_3)
	v_exp_f32_e32 v4, v4
	s_delay_alu instid0(TRANS32_DEP_3) | instid1(VALU_DEP_2)
	v_ldexp_f32 v12, v14, v12
	s_waitcnt_depctr 0xfff
	v_ldexp_f32 v13, v13, v15
	v_ldexp_f32 v4, v4, v17
	s_delay_alu instid0(VALU_DEP_2)
	v_cndmask_b32_e32 v13, 0, v13, vcc_lo
	v_cmp_nlt_f32_e32 vcc_lo, 0x42ce8ed0, v9
	v_cndmask_b32_e32 v12, 0, v12, vcc_lo
	v_cmp_nlt_f32_e32 vcc_lo, 0x42ce8ed0, v10
	v_cndmask_b32_e32 v5, 0, v5, vcc_lo
	v_cmp_ngt_f32_e32 vcc_lo, 0xc2b17218, v8
	v_cndmask_b32_e32 v13, 0x7f800000, v13, vcc_lo
	v_cmp_ngt_f32_e32 vcc_lo, 0xc2b17218, v9
	;; [unrolled: 2-line block ×3, first 2 shown]
	s_delay_alu instid0(VALU_DEP_2) | instskip(NEXT) | instid1(VALU_DEP_1)
	v_add_f32_e32 v12, 1.0, v12
	v_div_scale_f32 v15, null, v12, v12, v9
	v_div_scale_f32 v99, s28, v9, v12, v9
	s_delay_alu instid0(VALU_DEP_2) | instskip(SKIP_4) | instid1(VALU_DEP_3)
	v_rcp_f32_e32 v94, v15
	s_waitcnt_depctr 0xfff
	v_fma_f32 v98, -v15, v94, 1.0
	v_cndmask_b32_e32 v5, 0x7f800000, v5, vcc_lo
	v_cmp_nlt_f32_e32 vcc_lo, 0x42ce8ed0, v11
	v_fmac_f32_e32 v94, v98, v94
	s_delay_alu instid0(VALU_DEP_3) | instskip(SKIP_2) | instid1(VALU_DEP_3)
	v_add_f32_e32 v14, 1.0, v5
	v_cndmask_b32_e32 v4, 0, v4, vcc_lo
	v_cmp_ngt_f32_e32 vcc_lo, 0xc2b17218, v11
	v_div_scale_f32 v16, null, v14, v14, v10
	s_delay_alu instid0(VALU_DEP_3) | instskip(NEXT) | instid1(VALU_DEP_2)
	v_cndmask_b32_e32 v4, 0x7f800000, v4, vcc_lo
	v_rcp_f32_e32 v95, v16
	s_delay_alu instid0(VALU_DEP_1) | instskip(NEXT) | instid1(VALU_DEP_1)
	v_dual_add_f32 v96, 1.0, v4 :: v_dual_add_f32 v13, 1.0, v13
	v_div_scale_f32 v101, null, v96, v96, v11
	s_waitcnt_depctr 0xfff
	v_fma_f32 v100, -v16, v95, 1.0
	v_rcp_f32_e32 v122, v101
	s_delay_alu instid0(VALU_DEP_1) | instskip(SKIP_2) | instid1(VALU_DEP_3)
	v_dual_fmac_f32 v95, v100, v95 :: v_dual_mul_f32 v100, v99, v94
	v_div_scale_f32 v5, null, v13, v13, v8
	v_div_scale_f32 v4, vcc_lo, v8, v13, v8
	v_fma_f32 v121, -v15, v100, v99
	s_delay_alu instid0(VALU_DEP_3) | instskip(SKIP_2) | instid1(VALU_DEP_1)
	v_rcp_f32_e32 v17, v5
	s_waitcnt_depctr 0xfff
	v_fma_f32 v97, -v5, v17, 1.0
	v_fmac_f32_e32 v17, v97, v17
	v_div_scale_f32 v97, s29, v10, v14, v10
	s_delay_alu instid0(VALU_DEP_1) | instskip(NEXT) | instid1(VALU_DEP_1)
	v_dual_mul_f32 v98, v4, v17 :: v_dual_mul_f32 v115, v97, v95
	v_fma_f32 v118, -v5, v98, v4
	s_delay_alu instid0(VALU_DEP_2) | instskip(SKIP_1) | instid1(VALU_DEP_3)
	v_fma_f32 v123, -v16, v115, v97
	v_dual_fmac_f32 v100, v121, v94 :: v_dual_mul_f32 v121, 0xbfb8aa3b, v104
	v_fmac_f32_e32 v98, v118, v17
	v_lshrrev_b32_e32 v118, 16, v7
	s_delay_alu instid0(VALU_DEP_4) | instskip(NEXT) | instid1(VALU_DEP_3)
	v_fmac_f32_e32 v115, v123, v95
	v_fma_f32 v4, -v5, v98, v4
	v_fma_f32 v5, -v15, v100, v99
	v_fma_f32 v15, -v101, v122, 1.0
	v_cvt_f32_f16_e32 v99, v118
	v_rndne_f32_e32 v118, v121
	v_div_fmas_f32 v4, v4, v17, v98
	s_mov_b32 vcc_lo, s28
	v_fma_mix_f32 v17, v6, s85, -v121 op_sel:[1,0,0] op_sel_hi:[1,0,0]
	v_div_fmas_f32 v5, v5, v94, v100
	v_fmac_f32_e32 v122, v15, v122
	v_div_fixup_f32 v4, v4, v13, v8
	v_mul_f32_e32 v13, 0xbfb8aa3b, v99
	v_div_scale_f32 v8, s28, v11, v96, v11
	v_div_fixup_f32 v5, v5, v12, v9
	v_sub_f32_e32 v9, v121, v118
	v_fma_mix_f32 v12, v6, s86, v17 op_sel:[1,0,0] op_sel_hi:[1,0,0]
	v_fma_f32 v15, -v16, v115, v97
	v_mul_f32_e32 v16, v8, v122
	s_mov_b32 vcc_lo, s29
	v_rndne_f32_e32 v17, v13
	v_add_f32_e32 v9, v9, v12
	v_cvt_f32_f16_e32 v12, v7
	v_div_fmas_f32 v15, v15, v95, v115
	v_fma_mix_f32 v94, v7, s85, -v13 op_sel:[1,0,0] op_sel_hi:[1,0,0]
	v_fma_f32 v97, -v101, v16, v8
	v_sub_f32_e32 v13, v13, v17
	v_mul_f32_e32 v95, 0xbfb8aa3b, v12
	v_exp_f32_e32 v9, v9
	v_fma_mix_f32 v94, v7, s86, v94 op_sel:[1,0,0] op_sel_hi:[1,0,0]
	v_fmac_f32_e32 v16, v97, v122
	v_cvt_i32_f32_e32 v98, v118
	v_rndne_f32_e32 v100, v95
	v_fma_mix_f32 v115, v7, s85, -v95 op_sel_hi:[1,0,0]
	v_add_f32_e32 v13, v13, v94
	v_cmp_nlt_f32_e32 vcc_lo, 0x42ce8ed0, v104
	v_cvt_i32_f32_e32 v17, v17
	v_sub_f32_e32 v94, v95, v100
	v_fma_mix_f32 v7, v7, s86, v115 op_sel_hi:[1,0,0]
	v_cvt_f32_f16_e32 v95, v6
	v_ldexp_f32 v9, v9, v98
	v_fma_f32 v8, -v101, v16, v8
	v_div_fixup_f32 v10, v15, v14, v10
	v_add_f32_e32 v7, v94, v7
	v_mul_f32_e32 v94, 0xbfb8aa3b, v95
	s_delay_alu instid0(VALU_DEP_2) | instskip(NEXT) | instid1(VALU_DEP_1)
	v_exp_f32_e32 v7, v7
	v_rndne_f32_e32 v97, v94
	v_fma_mix_f32 v98, v6, s85, -v94 op_sel_hi:[1,0,0]
	s_delay_alu instid0(VALU_DEP_2) | instskip(SKIP_1) | instid1(VALU_DEP_2)
	v_sub_f32_e32 v94, v94, v97
	v_exp_f32_e32 v13, v13
	v_fma_mix_f32 v6, v6, s86, v98 op_sel_hi:[1,0,0]
	v_cndmask_b32_e32 v9, 0, v9, vcc_lo
	v_cmp_ngt_f32_e32 vcc_lo, 0xc2b17218, v104
	s_delay_alu instid0(VALU_DEP_3) | instskip(SKIP_1) | instid1(VALU_DEP_4)
	v_add_f32_e32 v6, v94, v6
	v_cvt_i32_f32_e32 v94, v97
	v_cndmask_b32_e32 v9, 0x7f800000, v9, vcc_lo
	v_cmp_nlt_f32_e32 vcc_lo, 0x42ce8ed0, v99
	s_delay_alu instid0(TRANS32_DEP_1) | instskip(SKIP_2) | instid1(VALU_DEP_2)
	v_ldexp_f32 v13, v13, v17
	v_cvt_i32_f32_e32 v17, v100
	v_exp_f32_e32 v6, v6
	v_cndmask_b32_e32 v13, 0, v13, vcc_lo
	v_cmp_ngt_f32_e32 vcc_lo, 0xc2b17218, v99
	s_delay_alu instid0(VALU_DEP_3) | instskip(NEXT) | instid1(VALU_DEP_3)
	v_ldexp_f32 v7, v7, v17
	v_cndmask_b32_e32 v13, 0x7f800000, v13, vcc_lo
	v_cmp_nlt_f32_e32 vcc_lo, 0x42ce8ed0, v12
	s_waitcnt_depctr 0xfff
	v_ldexp_f32 v6, v6, v94
	v_add_f32_e32 v13, 1.0, v13
	v_cndmask_b32_e32 v7, 0, v7, vcc_lo
	v_cmp_ngt_f32_e32 vcc_lo, 0xc2b17218, v12
	s_delay_alu instid0(VALU_DEP_3) | instskip(NEXT) | instid1(VALU_DEP_3)
	v_div_scale_f32 v100, null, v13, v13, v99
	v_cndmask_b32_e32 v7, 0x7f800000, v7, vcc_lo
	s_mov_b32 vcc_lo, s28
	v_cmp_nlt_f32_e64 s28, 0x42ce8ed0, v95
	v_div_fmas_f32 v8, v8, v122, v16
	v_rcp_f32_e32 v16, v100
	v_add_f32_e32 v94, 1.0, v7
	s_delay_alu instid0(VALU_DEP_3) | instskip(SKIP_2) | instid1(VALU_DEP_2)
	v_cndmask_b32_e64 v6, 0, v6, s28
	v_cmp_ngt_f32_e64 s28, 0xc2b17218, v95
	v_div_fixup_f32 v8, v8, v96, v11
	v_cndmask_b32_e64 v6, 0x7f800000, v6, s28
	s_waitcnt_depctr 0xfff
	v_fma_f32 v115, -v100, v16, 1.0
	s_delay_alu instid0(VALU_DEP_1) | instskip(SKIP_1) | instid1(VALU_DEP_1)
	v_dual_add_f32 v11, 1.0, v6 :: v_dual_fmac_f32 v16, v115, v16
	v_div_scale_f32 v115, s28, v99, v13, v99
	v_dual_add_f32 v9, 1.0, v9 :: v_dual_mul_f32 v14, v115, v16
	s_delay_alu instid0(VALU_DEP_1) | instskip(SKIP_1) | instid1(VALU_DEP_3)
	v_div_scale_f32 v98, null, v9, v9, v104
	v_div_scale_f32 v7, vcc_lo, v104, v9, v104
	v_fma_f32 v96, -v100, v14, v115
	s_delay_alu instid0(VALU_DEP_3) | instskip(NEXT) | instid1(VALU_DEP_1)
	v_rcp_f32_e32 v17, v98
	v_fmac_f32_e32 v14, v96, v16
	s_waitcnt_depctr 0xfff
	v_fma_f32 v97, -v98, v17, 1.0
	s_delay_alu instid0(VALU_DEP_1) | instskip(SKIP_1) | instid1(VALU_DEP_2)
	v_fmac_f32_e32 v17, v97, v17
	v_div_scale_f32 v97, null, v94, v94, v12
	v_mul_f32_e32 v101, v7, v17
	s_delay_alu instid0(VALU_DEP_2) | instskip(NEXT) | instid1(VALU_DEP_1)
	v_rcp_f32_e32 v118, v97
	v_fma_f32 v121, -v98, v101, v7
	s_delay_alu instid0(VALU_DEP_1) | instskip(SKIP_3) | instid1(VALU_DEP_2)
	v_fmac_f32_e32 v101, v121, v17
	s_waitcnt_depctr 0xfff
	v_fma_f32 v6, -v97, v118, 1.0
	v_fma_f32 v7, -v98, v101, v7
	v_fmac_f32_e32 v118, v6, v118
	v_div_scale_f32 v98, s29, v12, v94, v12
	v_fma_mixlo_f16 v6, v120, v8, 0
	s_delay_alu instid0(VALU_DEP_4) | instskip(SKIP_1) | instid1(VALU_DEP_4)
	v_div_fmas_f32 v17, v7, v17, v101
	v_fma_f32 v8, -v100, v14, v115
	v_mul_f32_e32 v96, v98, v118
	v_lshrrev_b32_e32 v101, 16, v0
	s_mov_b32 vcc_lo, s28
	v_fma_mixlo_f16 v7, v119, v10, 0
	v_div_fixup_f32 v10, v17, v9, v104
	v_fma_f32 v9, -v97, v96, v98
	v_div_fmas_f32 v8, v8, v16, v14
	v_cvt_f32_f16_e32 v14, v101
	v_lshrrev_b32_e32 v100, 16, v1
	s_mov_b32 vcc_lo, s29
	v_fmac_f32_e32 v96, v9, v118
	v_div_fixup_f32 v13, v8, v13, v99
	v_mul_f32_e32 v8, 0xbfb8aa3b, v14
	v_cvt_f32_f16_e32 v16, v100
	v_cvt_f32_f16_e32 v99, v1
	v_fma_mixhi_f16 v7, v114, v5, 0
	v_fma_mixhi_f16 v6, v113, v4, 0
	v_rndne_f32_e32 v100, v8
	v_fma_mix_f32 v101, v0, s85, -v8 op_sel:[1,0,0] op_sel_hi:[1,0,0]
	s_delay_alu instid0(VALU_DEP_2) | instskip(NEXT) | instid1(VALU_DEP_2)
	v_sub_f32_e32 v8, v8, v100
	v_fma_mix_f32 v101, v0, s86, v101 op_sel:[1,0,0] op_sel_hi:[1,0,0]
	v_cvt_i32_f32_e32 v100, v100
	s_delay_alu instid0(VALU_DEP_2) | instskip(SKIP_2) | instid1(VALU_DEP_3)
	v_add_f32_e32 v8, v8, v101
	v_div_scale_f32 v15, null, v11, v11, v95
	v_div_scale_f32 v9, s28, v95, v11, v95
	v_exp_f32_e32 v8, v8
	s_delay_alu instid0(VALU_DEP_2) | instskip(SKIP_3) | instid1(VALU_DEP_1)
	v_rcp_f32_e32 v121, v15
	s_waitcnt_depctr 0xfff
	v_ldexp_f32 v8, v8, v100
	v_fma_f32 v17, -v15, v121, 1.0
	v_fmac_f32_e32 v121, v17, v121
	v_fma_f32 v17, -v97, v96, v98
	v_mul_f32_e32 v97, 0xbfb8aa3b, v16
	s_delay_alu instid0(VALU_DEP_2) | instskip(NEXT) | instid1(VALU_DEP_2)
	v_div_fmas_f32 v17, v17, v118, v96
	v_rndne_f32_e32 v104, v97
	v_fma_mix_f32 v115, v1, s85, -v97 op_sel:[1,0,0] op_sel_hi:[1,0,0]
	v_cmp_nlt_f32_e32 vcc_lo, 0x42ce8ed0, v14
	s_delay_alu instid0(VALU_DEP_4) | instskip(NEXT) | instid1(VALU_DEP_4)
	v_div_fixup_f32 v12, v17, v94, v12
	v_sub_f32_e32 v97, v97, v104
	s_delay_alu instid0(VALU_DEP_4) | instskip(SKIP_3) | instid1(VALU_DEP_4)
	v_fma_mix_f32 v115, v1, s86, v115 op_sel:[1,0,0] op_sel_hi:[1,0,0]
	v_cndmask_b32_e32 v8, 0, v8, vcc_lo
	v_cvt_i32_f32_e32 v96, v104
	v_cmp_nlt_f32_e32 vcc_lo, 0x42ce8ed0, v16
	v_add_f32_e32 v97, v97, v115
	s_delay_alu instid0(VALU_DEP_1) | instskip(SKIP_2) | instid1(VALU_DEP_1)
	v_exp_f32_e32 v97, v97
	s_waitcnt_depctr 0xfff
	v_ldexp_f32 v96, v97, v96
	v_cndmask_b32_e32 v96, 0, v96, vcc_lo
	v_cmp_ngt_f32_e32 vcc_lo, 0xc2b17218, v14
	v_mul_f32_e32 v98, v9, v121
	v_cndmask_b32_e32 v8, 0x7f800000, v8, vcc_lo
	v_mul_f32_e32 v119, 0xbfb8aa3b, v99
	s_delay_alu instid0(VALU_DEP_3) | instskip(SKIP_1) | instid1(VALU_DEP_4)
	v_fma_f32 v101, -v15, v98, v9
	v_cmp_ngt_f32_e32 vcc_lo, 0xc2b17218, v16
	v_add_f32_e32 v100, 1.0, v8
	s_delay_alu instid0(VALU_DEP_4)
	v_rndne_f32_e32 v120, v119
	v_fma_mix_f32 v122, v1, s85, -v119 op_sel_hi:[1,0,0]
	v_fmac_f32_e32 v98, v101, v121
	v_cndmask_b32_e32 v96, 0x7f800000, v96, vcc_lo
	v_cmp_nlt_f32_e32 vcc_lo, 0x42ce8ed0, v99
	v_sub_f32_e32 v115, v119, v120
	v_fma_mix_f32 v1, v1, s86, v122 op_sel_hi:[1,0,0]
	v_fma_f32 v9, -v15, v98, v9
	v_cvt_f32_f16_e32 v15, v0
	v_cvt_i32_f32_e32 v97, v120
	s_delay_alu instid0(VALU_DEP_4) | instskip(SKIP_1) | instid1(VALU_DEP_4)
	v_dual_add_f32 v96, 1.0, v96 :: v_dual_add_f32 v1, v115, v1
	v_div_scale_f32 v101, null, v100, v100, v14
	v_cmp_nlt_f32_e64 s29, 0x42ce8ed0, v15
	v_cmp_ngt_f32_e64 s30, 0xc2b17218, v15
	s_delay_alu instid0(VALU_DEP_4) | instskip(NEXT) | instid1(VALU_DEP_3)
	v_exp_f32_e32 v1, v1
	v_rcp_f32_e32 v115, v101
	s_waitcnt_depctr 0xfff
	v_ldexp_f32 v1, v1, v97
	v_mul_f32_e32 v97, 0xbfb8aa3b, v15
	s_delay_alu instid0(VALU_DEP_1) | instskip(SKIP_1) | instid1(VALU_DEP_2)
	v_rndne_f32_e32 v8, v97
	v_fma_mix_f32 v104, v0, s85, -v97 op_sel_hi:[1,0,0]
	v_sub_f32_e32 v97, v97, v8
	s_delay_alu instid0(VALU_DEP_2) | instskip(SKIP_3) | instid1(VALU_DEP_4)
	v_fma_mix_f32 v0, v0, s86, v104 op_sel_hi:[1,0,0]
	v_cndmask_b32_e32 v1, 0, v1, vcc_lo
	v_cmp_ngt_f32_e32 vcc_lo, 0xc2b17218, v99
	v_div_scale_f32 v104, null, v96, v96, v16
	v_add_f32_e32 v0, v97, v0
	v_fma_f32 v97, -v101, v115, 1.0
	v_cndmask_b32_e32 v1, 0x7f800000, v1, vcc_lo
	s_mov_b32 vcc_lo, s28
	v_div_scale_f32 v17, s28, v16, v96, v16
	v_div_fmas_f32 v9, v9, v121, v98
	v_exp_f32_e32 v0, v0
	v_rcp_f32_e32 v98, v104
	v_fmac_f32_e32 v115, v97, v115
	v_div_scale_f32 v97, vcc_lo, v14, v100, v14
	v_div_fixup_f32 v9, v9, v11, v95
	v_cvt_i32_f32_e32 v11, v8
	s_delay_alu instid0(VALU_DEP_2)
	v_fma_mixlo_f16 v8, v117, v9, 0
	s_delay_alu instid0(TRANS32_DEP_2) | instid1(VALU_DEP_2)
	v_ldexp_f32 v0, v0, v11
	s_delay_alu instid0(TRANS32_DEP_1) | instskip(SKIP_1) | instid1(VALU_DEP_4)
	v_fma_f32 v119, -v104, v98, 1.0
	v_mul_f32_e32 v11, v97, v115
	v_fma_mixhi_f16 v8, v110, v10, 0
	s_delay_alu instid0(VALU_DEP_4) | instskip(NEXT) | instid1(VALU_DEP_4)
	v_cndmask_b32_e64 v0, 0, v0, s29
	v_fmac_f32_e32 v98, v119, v98
	s_delay_alu instid0(VALU_DEP_4) | instskip(NEXT) | instid1(VALU_DEP_3)
	v_fma_f32 v94, -v101, v11, v97
	v_cndmask_b32_e64 v0, 0x7f800000, v0, s30
	v_add_f32_e32 v1, 1.0, v1
	s_delay_alu instid0(VALU_DEP_4) | instskip(NEXT) | instid1(VALU_DEP_3)
	v_mul_f32_e32 v117, v17, v98
	v_dual_fmac_f32 v11, v94, v115 :: v_dual_add_f32 v0, 1.0, v0
	s_delay_alu instid0(VALU_DEP_3) | instskip(SKIP_1) | instid1(VALU_DEP_4)
	v_div_scale_f32 v118, null, v1, v1, v99
	v_div_scale_f32 v119, s29, v99, v1, v99
	v_fma_f32 v94, -v104, v117, v17
	s_delay_alu instid0(VALU_DEP_3) | instskip(NEXT) | instid1(VALU_DEP_1)
	v_rcp_f32_e32 v95, v118
	v_fmac_f32_e32 v117, v94, v98
	s_delay_alu instid0(VALU_DEP_1) | instskip(SKIP_3) | instid1(VALU_DEP_2)
	v_fma_f32 v17, -v104, v117, v17
	s_waitcnt_depctr 0xfff
	v_fma_f32 v9, -v118, v95, 1.0
	v_lshrrev_b32_e32 v104, 16, v3
	v_fmac_f32_e32 v95, v9, v95
	v_fma_mixlo_f16 v9, v116, v12, 0
	v_fma_f32 v12, -v101, v11, v97
	s_delay_alu instid0(VALU_DEP_4) | instskip(NEXT) | instid1(VALU_DEP_4)
	v_cvt_f32_f16_e32 v104, v104
	v_mul_f32_e32 v120, v119, v95
	s_delay_alu instid0(VALU_DEP_4) | instskip(NEXT) | instid1(VALU_DEP_4)
	v_fma_mixhi_f16 v9, v109, v13, 0
	v_div_fmas_f32 v11, v12, v115, v11
	v_lshrrev_b32_e32 v12, 16, v2
	s_mov_b32 vcc_lo, s28
	v_fma_f32 v94, -v118, v120, v119
	v_div_fmas_f32 v17, v17, v98, v117
	s_mov_b32 vcc_lo, s29
	v_cvt_f32_f16_e32 v12, v12
	v_cvt_f32_f16_e32 v117, v3
	v_fmac_f32_e32 v120, v94, v95
	v_div_scale_f32 v94, null, v0, v0, v15
	s_delay_alu instid0(VALU_DEP_4) | instskip(SKIP_1) | instid1(VALU_DEP_4)
	v_mul_f32_e32 v101, 0xbfb8aa3b, v12
	v_cmp_nlt_f32_e64 s28, 0x42ce8ed0, v12
	v_fma_f32 v98, -v118, v120, v119
	s_delay_alu instid0(VALU_DEP_4)
	v_rcp_f32_e32 v97, v94
	v_mul_f32_e32 v118, 0xbfb8aa3b, v104
	v_fma_mix_f32 v115, v2, s85, -v101 op_sel:[1,0,0] op_sel_hi:[1,0,0]
	v_cvt_f32_f16_e32 v119, v2
	v_div_fmas_f32 v95, v98, v95, v120
	v_rndne_f32_e32 v98, v101
	v_fma_mix_f32 v120, v3, s85, -v118 op_sel:[1,0,0] op_sel_hi:[1,0,0]
	v_fma_mix_f32 v115, v2, s86, v115 op_sel:[1,0,0] op_sel_hi:[1,0,0]
	v_div_scale_f32 v123, vcc_lo, v15, v0, v15
	s_delay_alu instid0(TRANS32_DEP_1)
	v_fma_f32 v116, -v94, v97, 1.0
	v_sub_f32_e32 v101, v101, v98
	v_fma_mix_f32 v120, v3, s86, v120 op_sel:[1,0,0] op_sel_hi:[1,0,0]
	v_cvt_i32_f32_e32 v98, v98
	v_div_fixup_f32 v1, v95, v1, v99
	v_fmac_f32_e32 v97, v116, v97
	v_dual_mul_f32 v116, 0xbfb8aa3b, v117 :: v_dual_add_f32 v101, v101, v115
	v_rndne_f32_e32 v115, v118
	v_div_fixup_f32 v11, v11, v100, v14
	v_div_fixup_f32 v14, v17, v96, v16
	s_delay_alu instid0(VALU_DEP_4)
	v_rndne_f32_e32 v121, v116
	v_fma_mix_f32 v122, v3, s85, -v116 op_sel_hi:[1,0,0]
	v_exp_f32_e32 v101, v101
	v_sub_f32_e32 v118, v118, v115
	v_cvt_i32_f32_e32 v115, v115
	v_sub_f32_e32 v116, v116, v121
	v_fma_mix_f32 v3, v3, s86, v122 op_sel_hi:[1,0,0]
	v_mul_f32_e32 v122, 0xbfb8aa3b, v119
	v_add_f32_e32 v118, v118, v120
	v_fma_mixlo_f16 v1, v108, v1, 0
	s_delay_alu instid0(VALU_DEP_4) | instskip(NEXT) | instid1(VALU_DEP_4)
	v_add_f32_e32 v3, v116, v3
	v_rndne_f32_e32 v116, v122
	v_fma_mix_f32 v120, v2, s85, -v122 op_sel_hi:[1,0,0]
	v_exp_f32_e32 v118, v118
	v_ldexp_f32 v98, v101, v98
	v_exp_f32_e32 v3, v3
	v_sub_f32_e32 v101, v122, v116
	v_fma_mix_f32 v2, v2, s86, v120 op_sel_hi:[1,0,0]
	v_cvt_i32_f32_e32 v120, v121
	v_cndmask_b32_e64 v98, 0, v98, s28
	v_cmp_ngt_f32_e64 s28, 0xc2b17218, v12
	v_fma_mixhi_f16 v1, v103, v14, 0
	v_add_f32_e32 v2, v101, v2
	v_ldexp_f32 v101, v118, v115
	v_cvt_i32_f32_e32 v115, v116
	v_cndmask_b32_e64 v98, 0x7f800000, v98, s28
	v_cmp_nlt_f32_e64 s28, 0x42ce8ed0, v104
	v_ldexp_f32 v3, v3, v120
	v_exp_f32_e32 v2, v2
	s_delay_alu instid0(VALU_DEP_3) | instskip(NEXT) | instid1(VALU_DEP_3)
	v_add_f32_e32 v98, 1.0, v98
	v_cndmask_b32_e64 v101, 0, v101, s28
	v_cmp_nlt_f32_e64 s28, 0x42ce8ed0, v117
	s_delay_alu instid0(VALU_DEP_1)
	v_cndmask_b32_e64 v3, 0, v3, s28
	v_cmp_ngt_f32_e64 s28, 0xc2b17218, v104
	s_waitcnt_depctr 0xfff
	v_ldexp_f32 v2, v2, v115
	v_div_scale_f32 v115, null, v98, v98, v12
	v_cndmask_b32_e64 v101, 0x7f800000, v101, s28
	v_cmp_ngt_f32_e64 s28, 0xc2b17218, v117
	s_delay_alu instid0(VALU_DEP_3) | instskip(NEXT) | instid1(VALU_DEP_2)
	v_rcp_f32_e32 v116, v115
	v_add_f32_e32 v101, 1.0, v101
	s_delay_alu instid0(VALU_DEP_2) | instskip(SKIP_1) | instid1(VALU_DEP_3)
	v_cndmask_b32_e64 v3, 0x7f800000, v3, s28
	v_cmp_nlt_f32_e64 s28, 0x42ce8ed0, v119
	v_div_scale_f32 v118, null, v101, v101, v104
	s_delay_alu instid0(VALU_DEP_2) | instskip(SKIP_1) | instid1(TRANS32_DEP_1)
	v_cndmask_b32_e64 v2, 0, v2, s28
	v_cmp_ngt_f32_e64 s28, 0xc2b17218, v119
	v_fma_f32 v124, -v115, v116, 1.0
	s_delay_alu instid0(VALU_DEP_4) | instskip(NEXT) | instid1(VALU_DEP_2)
	v_rcp_f32_e32 v122, v118
	v_cndmask_b32_e64 v2, 0x7f800000, v2, s28
	s_delay_alu instid0(VALU_DEP_2) | instskip(SKIP_1) | instid1(VALU_DEP_3)
	v_fmac_f32_e32 v116, v124, v116
	v_div_scale_f32 v124, s28, v12, v98, v12
	v_dual_add_f32 v2, 1.0, v2 :: v_dual_mul_f32 v121, v123, v97
	s_waitcnt_depctr 0xfff
	v_fma_f32 v128, -v118, v122, 1.0
	v_mul_f32_e32 v130, v124, v116
	v_div_scale_f32 v127, null, v2, v2, v119
	v_fma_f32 v126, -v94, v121, v123
	s_delay_alu instid0(VALU_DEP_4) | instskip(SKIP_1) | instid1(VALU_DEP_4)
	v_fmac_f32_e32 v122, v128, v122
	v_div_scale_f32 v128, s29, v104, v101, v104
	v_rcp_f32_e32 v129, v127
	s_delay_alu instid0(VALU_DEP_1) | instskip(NEXT) | instid1(VALU_DEP_1)
	v_dual_fmac_f32 v121, v126, v97 :: v_dual_mul_f32 v132, v128, v122
	v_fma_f32 v94, -v94, v121, v123
	v_fma_f32 v123, -v115, v130, v124
	s_waitcnt_depctr 0xfff
	v_fma_f32 v131, -v127, v129, 1.0
	v_div_fmas_f32 v94, v94, v97, v121
	v_fma_f32 v97, -v118, v132, v128
	v_dual_add_f32 v3, 1.0, v3 :: v_dual_fmac_f32 v130, v123, v116
	s_delay_alu instid0(VALU_DEP_4) | instskip(SKIP_1) | instid1(VALU_DEP_4)
	v_fmac_f32_e32 v129, v131, v129
	v_div_scale_f32 v131, s31, v119, v2, v119
	v_fmac_f32_e32 v132, v97, v122
	s_delay_alu instid0(VALU_DEP_4) | instskip(NEXT) | instid1(VALU_DEP_3)
	v_div_scale_f32 v120, null, v3, v3, v117
	v_mul_f32_e32 v123, v131, v129
	v_div_fixup_f32 v0, v94, v0, v15
	v_fma_f32 v15, -v115, v130, v124
	s_delay_alu instid0(VALU_DEP_4)
	v_rcp_f32_e32 v125, v120
	v_fma_f32 v97, -v118, v132, v128
	v_fma_f32 v94, -v127, v123, v131
	s_mov_b32 vcc_lo, s28
	v_fma_mixlo_f16 v0, v111, v0, 0
	v_div_fmas_f32 v15, v15, v116, v130
	s_mov_b32 vcc_lo, s29
	v_fmac_f32_e32 v123, v94, v129
	v_div_fmas_f32 v97, v97, v122, v132
	v_fma_mixhi_f16 v0, v105, v11, 0
	v_fma_f32 v126, -v120, v125, 1.0
	v_div_fixup_f32 v12, v15, v98, v12
	v_fma_f32 v115, -v127, v123, v131
	v_div_fixup_f32 v15, v97, v101, v104
	s_delay_alu instid0(VALU_DEP_4) | instskip(SKIP_1) | instid1(VALU_DEP_1)
	v_fmac_f32_e32 v125, v126, v125
	v_div_scale_f32 v126, s30, v117, v3, v117
	s_mov_b32 vcc_lo, s30
	s_delay_alu instid0(VALU_DEP_1) | instskip(NEXT) | instid1(VALU_DEP_1)
	v_mul_f32_e32 v133, v126, v125
	v_fma_f32 v121, -v120, v133, v126
	s_delay_alu instid0(VALU_DEP_1) | instskip(NEXT) | instid1(VALU_DEP_1)
	v_fmac_f32_e32 v133, v121, v125
	v_fma_f32 v94, -v120, v133, v126
	s_delay_alu instid0(VALU_DEP_1) | instskip(SKIP_2) | instid1(VALU_DEP_2)
	v_div_fmas_f32 v94, v94, v125, v133
	s_mov_b32 vcc_lo, s31
	v_div_fmas_f32 v115, v115, v129, v123
	v_div_fixup_f32 v3, v94, v3, v117
	s_delay_alu instid0(VALU_DEP_2) | instskip(NEXT) | instid1(VALU_DEP_2)
	v_div_fixup_f32 v2, v115, v2, v119
	v_fma_mixlo_f16 v3, v106, v3, 0
	s_delay_alu instid0(VALU_DEP_2) | instskip(NEXT) | instid1(VALU_DEP_2)
	v_fma_mixlo_f16 v2, v107, v2, 0
	v_fma_mixhi_f16 v3, v112, v15, 0
	s_delay_alu instid0(VALU_DEP_2)
	v_fma_mixhi_f16 v2, v102, v12, 0
	ds_store_b128 v52, v[6:9]
	ds_store_b128 v52, v[0:3] offset:16
	; wave barrier
	ds_load_u16 v16, v37 offset:64
	ds_load_u16 v15, v38 offset:128
	;; [unrolled: 1-line block ×15, first 2 shown]
	v_add_co_u32 v0, vcc_lo, v76, s34
	v_add_co_ci_u32_e32 v1, vcc_lo, s35, v77, vcc_lo
	s_and_saveexec_b32 s28, s12
	s_cbranch_execnz .LBB80_284
; %bb.252:                              ;   in Loop: Header=BB80_12 Depth=1
	s_or_b32 exec_lo, exec_lo, s28
	s_and_saveexec_b32 s12, s13
	s_cbranch_execnz .LBB80_285
.LBB80_253:                             ;   in Loop: Header=BB80_12 Depth=1
	s_or_b32 exec_lo, exec_lo, s12
	s_and_saveexec_b32 s12, s14
	s_cbranch_execnz .LBB80_286
.LBB80_254:                             ;   in Loop: Header=BB80_12 Depth=1
	s_or_b32 exec_lo, exec_lo, s12
	s_and_saveexec_b32 s12, s15
	s_cbranch_execnz .LBB80_287
.LBB80_255:                             ;   in Loop: Header=BB80_12 Depth=1
	s_or_b32 exec_lo, exec_lo, s12
	s_and_saveexec_b32 s12, s16
	s_cbranch_execnz .LBB80_288
.LBB80_256:                             ;   in Loop: Header=BB80_12 Depth=1
	s_or_b32 exec_lo, exec_lo, s12
	s_and_saveexec_b32 s12, s17
	s_cbranch_execnz .LBB80_289
.LBB80_257:                             ;   in Loop: Header=BB80_12 Depth=1
	s_or_b32 exec_lo, exec_lo, s12
	s_and_saveexec_b32 s12, s18
	s_cbranch_execnz .LBB80_290
.LBB80_258:                             ;   in Loop: Header=BB80_12 Depth=1
	s_or_b32 exec_lo, exec_lo, s12
	s_and_saveexec_b32 s12, s19
	s_cbranch_execnz .LBB80_291
.LBB80_259:                             ;   in Loop: Header=BB80_12 Depth=1
	s_or_b32 exec_lo, exec_lo, s12
	s_and_saveexec_b32 s12, s20
	s_cbranch_execnz .LBB80_292
.LBB80_260:                             ;   in Loop: Header=BB80_12 Depth=1
	s_or_b32 exec_lo, exec_lo, s12
	s_and_saveexec_b32 s12, s21
	s_cbranch_execnz .LBB80_293
.LBB80_261:                             ;   in Loop: Header=BB80_12 Depth=1
	s_or_b32 exec_lo, exec_lo, s12
	s_and_saveexec_b32 s12, s22
	s_cbranch_execnz .LBB80_294
.LBB80_262:                             ;   in Loop: Header=BB80_12 Depth=1
	s_or_b32 exec_lo, exec_lo, s12
	s_and_saveexec_b32 s12, s23
	s_cbranch_execnz .LBB80_295
.LBB80_263:                             ;   in Loop: Header=BB80_12 Depth=1
	s_or_b32 exec_lo, exec_lo, s12
	s_and_saveexec_b32 s12, s24
	s_cbranch_execnz .LBB80_296
.LBB80_264:                             ;   in Loop: Header=BB80_12 Depth=1
	s_or_b32 exec_lo, exec_lo, s12
	s_and_saveexec_b32 s12, s25
	s_cbranch_execnz .LBB80_297
.LBB80_265:                             ;   in Loop: Header=BB80_12 Depth=1
	s_or_b32 exec_lo, exec_lo, s12
	s_and_saveexec_b32 s12, s26
	s_cbranch_execnz .LBB80_298
.LBB80_266:                             ;   in Loop: Header=BB80_12 Depth=1
	s_or_b32 exec_lo, exec_lo, s12
	s_and_saveexec_b32 s12, s27
	s_cbranch_execz .LBB80_11
	s_branch .LBB80_299
.LBB80_267:                             ;   in Loop: Header=BB80_12 Depth=1
	global_load_u16 v101, v[8:9], off offset:832
	s_or_b32 exec_lo, exec_lo, s28
	s_and_saveexec_b32 s28, s26
	s_cbranch_execz .LBB80_72
.LBB80_268:                             ;   in Loop: Header=BB80_12 Depth=1
	global_load_u16 v100, v[8:9], off offset:896
	s_or_b32 exec_lo, exec_lo, s28
	v_mov_b32_e32 v102, 0
	s_and_saveexec_b32 s28, s27
	s_cbranch_execnz .LBB80_73
	s_branch .LBB80_74
.LBB80_269:                             ;   in Loop: Header=BB80_12 Depth=1
	ds_load_u16 v17, v37
	s_waitcnt lgkmcnt(0)
	global_store_b16 v[0:1], v17, off
	s_or_b32 exec_lo, exec_lo, s28
	s_and_saveexec_b32 s28, s13
	s_cbranch_execz .LBB80_204
.LBB80_270:                             ;   in Loop: Header=BB80_12 Depth=1
	s_waitcnt lgkmcnt(14)
	global_store_b16 v[0:1], v16, off offset:64
	s_or_b32 exec_lo, exec_lo, s28
	s_and_saveexec_b32 s28, s14
	s_cbranch_execz .LBB80_205
.LBB80_271:                             ;   in Loop: Header=BB80_12 Depth=1
	s_waitcnt lgkmcnt(13)
	global_store_b16 v[0:1], v15, off offset:128
	s_or_b32 exec_lo, exec_lo, s28
	s_and_saveexec_b32 s28, s15
	s_cbranch_execz .LBB80_206
.LBB80_272:                             ;   in Loop: Header=BB80_12 Depth=1
	s_waitcnt lgkmcnt(12)
	global_store_b16 v[0:1], v14, off offset:192
	s_or_b32 exec_lo, exec_lo, s28
	s_and_saveexec_b32 s28, s16
	s_cbranch_execz .LBB80_207
.LBB80_273:                             ;   in Loop: Header=BB80_12 Depth=1
	s_waitcnt lgkmcnt(11)
	global_store_b16 v[0:1], v13, off offset:256
	s_or_b32 exec_lo, exec_lo, s28
	s_and_saveexec_b32 s28, s17
	s_cbranch_execz .LBB80_208
.LBB80_274:                             ;   in Loop: Header=BB80_12 Depth=1
	s_waitcnt lgkmcnt(10)
	global_store_b16 v[0:1], v12, off offset:320
	s_or_b32 exec_lo, exec_lo, s28
	s_and_saveexec_b32 s28, s18
	s_cbranch_execz .LBB80_209
.LBB80_275:                             ;   in Loop: Header=BB80_12 Depth=1
	s_waitcnt lgkmcnt(9)
	global_store_b16 v[0:1], v11, off offset:384
	s_or_b32 exec_lo, exec_lo, s28
	s_and_saveexec_b32 s28, s19
	s_cbranch_execz .LBB80_210
.LBB80_276:                             ;   in Loop: Header=BB80_12 Depth=1
	s_waitcnt lgkmcnt(8)
	global_store_b16 v[0:1], v10, off offset:448
	s_or_b32 exec_lo, exec_lo, s28
	s_and_saveexec_b32 s28, s20
	s_cbranch_execz .LBB80_211
.LBB80_277:                             ;   in Loop: Header=BB80_12 Depth=1
	s_waitcnt lgkmcnt(7)
	global_store_b16 v[0:1], v9, off offset:512
	s_or_b32 exec_lo, exec_lo, s28
	s_and_saveexec_b32 s28, s21
	s_cbranch_execz .LBB80_212
.LBB80_278:                             ;   in Loop: Header=BB80_12 Depth=1
	s_waitcnt lgkmcnt(6)
	global_store_b16 v[0:1], v8, off offset:576
	s_or_b32 exec_lo, exec_lo, s28
	s_and_saveexec_b32 s28, s22
	s_cbranch_execz .LBB80_213
.LBB80_279:                             ;   in Loop: Header=BB80_12 Depth=1
	s_waitcnt lgkmcnt(5)
	global_store_b16 v[0:1], v7, off offset:640
	s_or_b32 exec_lo, exec_lo, s28
	s_and_saveexec_b32 s28, s23
	s_cbranch_execz .LBB80_214
.LBB80_280:                             ;   in Loop: Header=BB80_12 Depth=1
	s_waitcnt lgkmcnt(4)
	global_store_b16 v[0:1], v6, off offset:704
	s_or_b32 exec_lo, exec_lo, s28
	s_and_saveexec_b32 s28, s24
	s_cbranch_execz .LBB80_215
.LBB80_281:                             ;   in Loop: Header=BB80_12 Depth=1
	s_waitcnt lgkmcnt(3)
	global_store_b16 v[0:1], v5, off offset:768
	s_or_b32 exec_lo, exec_lo, s28
	s_and_saveexec_b32 s28, s25
	s_cbranch_execz .LBB80_216
.LBB80_282:                             ;   in Loop: Header=BB80_12 Depth=1
	s_waitcnt lgkmcnt(2)
	global_store_b16 v[0:1], v4, off offset:832
	s_or_b32 exec_lo, exec_lo, s28
	s_and_saveexec_b32 s28, s26
	s_cbranch_execz .LBB80_217
.LBB80_283:                             ;   in Loop: Header=BB80_12 Depth=1
	s_waitcnt lgkmcnt(1)
	global_store_b16 v[0:1], v3, off offset:896
	s_or_b32 exec_lo, exec_lo, s28
	s_and_saveexec_b32 s28, s27
	s_cbranch_execnz .LBB80_218
	s_branch .LBB80_219
.LBB80_284:                             ;   in Loop: Header=BB80_12 Depth=1
	ds_load_u16 v17, v37
	s_waitcnt lgkmcnt(0)
	global_store_b16 v[0:1], v17, off
	s_or_b32 exec_lo, exec_lo, s28
	s_and_saveexec_b32 s12, s13
	s_cbranch_execz .LBB80_253
.LBB80_285:                             ;   in Loop: Header=BB80_12 Depth=1
	s_waitcnt lgkmcnt(14)
	global_store_b16 v[0:1], v16, off offset:64
	s_or_b32 exec_lo, exec_lo, s12
	s_and_saveexec_b32 s12, s14
	s_cbranch_execz .LBB80_254
.LBB80_286:                             ;   in Loop: Header=BB80_12 Depth=1
	s_waitcnt lgkmcnt(13)
	global_store_b16 v[0:1], v15, off offset:128
	s_or_b32 exec_lo, exec_lo, s12
	s_and_saveexec_b32 s12, s15
	s_cbranch_execz .LBB80_255
.LBB80_287:                             ;   in Loop: Header=BB80_12 Depth=1
	s_waitcnt lgkmcnt(12)
	global_store_b16 v[0:1], v14, off offset:192
	s_or_b32 exec_lo, exec_lo, s12
	s_and_saveexec_b32 s12, s16
	s_cbranch_execz .LBB80_256
.LBB80_288:                             ;   in Loop: Header=BB80_12 Depth=1
	s_waitcnt lgkmcnt(11)
	global_store_b16 v[0:1], v13, off offset:256
	s_or_b32 exec_lo, exec_lo, s12
	s_and_saveexec_b32 s12, s17
	s_cbranch_execz .LBB80_257
.LBB80_289:                             ;   in Loop: Header=BB80_12 Depth=1
	s_waitcnt lgkmcnt(10)
	global_store_b16 v[0:1], v12, off offset:320
	s_or_b32 exec_lo, exec_lo, s12
	s_and_saveexec_b32 s12, s18
	s_cbranch_execz .LBB80_258
.LBB80_290:                             ;   in Loop: Header=BB80_12 Depth=1
	s_waitcnt lgkmcnt(9)
	global_store_b16 v[0:1], v11, off offset:384
	s_or_b32 exec_lo, exec_lo, s12
	s_and_saveexec_b32 s12, s19
	s_cbranch_execz .LBB80_259
.LBB80_291:                             ;   in Loop: Header=BB80_12 Depth=1
	s_waitcnt lgkmcnt(8)
	global_store_b16 v[0:1], v10, off offset:448
	s_or_b32 exec_lo, exec_lo, s12
	s_and_saveexec_b32 s12, s20
	s_cbranch_execz .LBB80_260
.LBB80_292:                             ;   in Loop: Header=BB80_12 Depth=1
	s_waitcnt lgkmcnt(7)
	global_store_b16 v[0:1], v9, off offset:512
	s_or_b32 exec_lo, exec_lo, s12
	s_and_saveexec_b32 s12, s21
	s_cbranch_execz .LBB80_261
.LBB80_293:                             ;   in Loop: Header=BB80_12 Depth=1
	s_waitcnt lgkmcnt(6)
	global_store_b16 v[0:1], v8, off offset:576
	s_or_b32 exec_lo, exec_lo, s12
	s_and_saveexec_b32 s12, s22
	s_cbranch_execz .LBB80_262
.LBB80_294:                             ;   in Loop: Header=BB80_12 Depth=1
	s_waitcnt lgkmcnt(5)
	global_store_b16 v[0:1], v7, off offset:640
	s_or_b32 exec_lo, exec_lo, s12
	s_and_saveexec_b32 s12, s23
	s_cbranch_execz .LBB80_263
.LBB80_295:                             ;   in Loop: Header=BB80_12 Depth=1
	s_waitcnt lgkmcnt(4)
	global_store_b16 v[0:1], v6, off offset:704
	s_or_b32 exec_lo, exec_lo, s12
	s_and_saveexec_b32 s12, s24
	s_cbranch_execz .LBB80_264
.LBB80_296:                             ;   in Loop: Header=BB80_12 Depth=1
	s_waitcnt lgkmcnt(3)
	global_store_b16 v[0:1], v5, off offset:768
	s_or_b32 exec_lo, exec_lo, s12
	s_and_saveexec_b32 s12, s25
	s_cbranch_execz .LBB80_265
.LBB80_297:                             ;   in Loop: Header=BB80_12 Depth=1
	s_waitcnt lgkmcnt(2)
	global_store_b16 v[0:1], v4, off offset:832
	s_or_b32 exec_lo, exec_lo, s12
	s_and_saveexec_b32 s12, s26
	s_cbranch_execz .LBB80_266
.LBB80_298:                             ;   in Loop: Header=BB80_12 Depth=1
	s_waitcnt lgkmcnt(1)
	global_store_b16 v[0:1], v3, off offset:896
	s_or_b32 exec_lo, exec_lo, s12
	s_and_saveexec_b32 s12, s27
	s_cbranch_execz .LBB80_11
.LBB80_299:                             ;   in Loop: Header=BB80_12 Depth=1
	s_waitcnt lgkmcnt(0)
	global_store_b16 v[0:1], v2, off offset:960
	s_branch .LBB80_11
.LBB80_300:
	s_nop 0
	s_sendmsg sendmsg(MSG_DEALLOC_VGPRS)
	s_endpgm
	.section	.rodata,"a",@progbits
	.p2align	6, 0x0
	.amdhsa_kernel _Z25selective_scan_fwd_kernelI32Selective_Scan_fwd_kernel_traitsILi64ELi16ELi1ELb1ELb1ELb1ELb1ELb1EN3c104HalfEfS2_EEv13SSMParamsBase
		.amdhsa_group_segment_fixed_size 0
		.amdhsa_private_segment_fixed_size 0
		.amdhsa_kernarg_size 248
		.amdhsa_user_sgpr_count 14
		.amdhsa_user_sgpr_dispatch_ptr 0
		.amdhsa_user_sgpr_queue_ptr 0
		.amdhsa_user_sgpr_kernarg_segment_ptr 1
		.amdhsa_user_sgpr_dispatch_id 0
		.amdhsa_user_sgpr_private_segment_size 0
		.amdhsa_wavefront_size32 1
		.amdhsa_uses_dynamic_stack 0
		.amdhsa_enable_private_segment 0
		.amdhsa_system_sgpr_workgroup_id_x 1
		.amdhsa_system_sgpr_workgroup_id_y 1
		.amdhsa_system_sgpr_workgroup_id_z 0
		.amdhsa_system_sgpr_workgroup_info 0
		.amdhsa_system_vgpr_workitem_id 0
		.amdhsa_next_free_vgpr 176
		.amdhsa_next_free_sgpr 94
		.amdhsa_reserve_vcc 1
		.amdhsa_float_round_mode_32 0
		.amdhsa_float_round_mode_16_64 0
		.amdhsa_float_denorm_mode_32 3
		.amdhsa_float_denorm_mode_16_64 3
		.amdhsa_dx10_clamp 1
		.amdhsa_ieee_mode 1
		.amdhsa_fp16_overflow 0
		.amdhsa_workgroup_processor_mode 1
		.amdhsa_memory_ordered 1
		.amdhsa_forward_progress 0
		.amdhsa_shared_vgpr_count 0
		.amdhsa_exception_fp_ieee_invalid_op 0
		.amdhsa_exception_fp_denorm_src 0
		.amdhsa_exception_fp_ieee_div_zero 0
		.amdhsa_exception_fp_ieee_overflow 0
		.amdhsa_exception_fp_ieee_underflow 0
		.amdhsa_exception_fp_ieee_inexact 0
		.amdhsa_exception_int_div_zero 0
	.end_amdhsa_kernel
	.section	.text._Z25selective_scan_fwd_kernelI32Selective_Scan_fwd_kernel_traitsILi64ELi16ELi1ELb1ELb1ELb1ELb1ELb1EN3c104HalfEfS2_EEv13SSMParamsBase,"axG",@progbits,_Z25selective_scan_fwd_kernelI32Selective_Scan_fwd_kernel_traitsILi64ELi16ELi1ELb1ELb1ELb1ELb1ELb1EN3c104HalfEfS2_EEv13SSMParamsBase,comdat
.Lfunc_end80:
	.size	_Z25selective_scan_fwd_kernelI32Selective_Scan_fwd_kernel_traitsILi64ELi16ELi1ELb1ELb1ELb1ELb1ELb1EN3c104HalfEfS2_EEv13SSMParamsBase, .Lfunc_end80-_Z25selective_scan_fwd_kernelI32Selective_Scan_fwd_kernel_traitsILi64ELi16ELi1ELb1ELb1ELb1ELb1ELb1EN3c104HalfEfS2_EEv13SSMParamsBase
                                        ; -- End function
	.section	.AMDGPU.csdata,"",@progbits
; Kernel info:
; codeLenInByte = 26072
; NumSgprs: 96
; NumVgprs: 176
; ScratchSize: 0
; MemoryBound: 0
; FloatMode: 240
; IeeeMode: 1
; LDSByteSize: 0 bytes/workgroup (compile time only)
; SGPRBlocks: 11
; VGPRBlocks: 21
; NumSGPRsForWavesPerEU: 96
; NumVGPRsForWavesPerEU: 176
; Occupancy: 8
; WaveLimiterHint : 1
; COMPUTE_PGM_RSRC2:SCRATCH_EN: 0
; COMPUTE_PGM_RSRC2:USER_SGPR: 14
; COMPUTE_PGM_RSRC2:TRAP_HANDLER: 0
; COMPUTE_PGM_RSRC2:TGID_X_EN: 1
; COMPUTE_PGM_RSRC2:TGID_Y_EN: 1
; COMPUTE_PGM_RSRC2:TGID_Z_EN: 0
; COMPUTE_PGM_RSRC2:TIDIG_COMP_CNT: 0
	.section	.text._Z25selective_scan_fwd_kernelI32Selective_Scan_fwd_kernel_traitsILi64ELi16ELi1ELb1ELb1ELb1ELb1ELb0EN3c104HalfEfS2_EEv13SSMParamsBase,"axG",@progbits,_Z25selective_scan_fwd_kernelI32Selective_Scan_fwd_kernel_traitsILi64ELi16ELi1ELb1ELb1ELb1ELb1ELb0EN3c104HalfEfS2_EEv13SSMParamsBase,comdat
	.protected	_Z25selective_scan_fwd_kernelI32Selective_Scan_fwd_kernel_traitsILi64ELi16ELi1ELb1ELb1ELb1ELb1ELb0EN3c104HalfEfS2_EEv13SSMParamsBase ; -- Begin function _Z25selective_scan_fwd_kernelI32Selective_Scan_fwd_kernel_traitsILi64ELi16ELi1ELb1ELb1ELb1ELb1ELb0EN3c104HalfEfS2_EEv13SSMParamsBase
	.globl	_Z25selective_scan_fwd_kernelI32Selective_Scan_fwd_kernel_traitsILi64ELi16ELi1ELb1ELb1ELb1ELb1ELb0EN3c104HalfEfS2_EEv13SSMParamsBase
	.p2align	8
	.type	_Z25selective_scan_fwd_kernelI32Selective_Scan_fwd_kernel_traitsILi64ELi16ELi1ELb1ELb1ELb1ELb1ELb0EN3c104HalfEfS2_EEv13SSMParamsBase,@function
_Z25selective_scan_fwd_kernelI32Selective_Scan_fwd_kernel_traitsILi64ELi16ELi1ELb1ELb1ELb1ELb1ELb0EN3c104HalfEfS2_EEv13SSMParamsBase: ; @_Z25selective_scan_fwd_kernelI32Selective_Scan_fwd_kernel_traitsILi64ELi16ELi1ELb1ELb1ELb1ELb1ELb0EN3c104HalfEfS2_EEv13SSMParamsBase
; %bb.0:
	s_clause 0x1
	s_load_b32 s9, s[0:1], 0x18
	s_load_b128 s[4:7], s[0:1], 0xe8
	s_mov_b32 s54, s15
	s_mov_b32 s33, 0
	s_waitcnt lgkmcnt(0)
	s_abs_i32 s8, s9
	s_cmp_eq_u64 s[6:7], 0
	v_cvt_f32_u32_e32 v1, s8
	s_delay_alu instid0(VALU_DEP_1) | instskip(SKIP_2) | instid1(VALU_DEP_1)
	v_rcp_iflag_f32_e32 v1, v1
	s_waitcnt_depctr 0xfff
	v_mul_f32_e32 v1, 0x4f7ffffe, v1
	v_cvt_u32_f32_e32 v1, v1
	s_delay_alu instid0(VALU_DEP_1)
	v_readfirstlane_b32 s10, v1
	s_cbranch_scc1 .LBB81_2
; %bb.1:
	v_mov_b32_e32 v1, 0
	s_ashr_i32 s3, s14, 31
	s_add_u32 s2, s6, s14
	s_addc_u32 s3, s7, s3
	global_load_u8 v1, v1, s[2:3]
	s_waitcnt vmcnt(0)
	v_and_b32_e32 v1, 1, v1
	s_delay_alu instid0(VALU_DEP_1)
	v_cmp_eq_u32_e64 s33, 1, v1
.LBB81_2:
	s_load_b64 s[6:7], s[0:1], 0x20
	s_cmp_eq_u64 s[4:5], 0
	s_cbranch_scc1 .LBB81_4
; %bb.3:
	s_ashr_i32 s15, s14, 31
	s_delay_alu instid0(SALU_CYCLE_1) | instskip(NEXT) | instid1(SALU_CYCLE_1)
	s_lshl_b64 s[2:3], s[14:15], 2
	s_add_u32 s2, s4, s2
	s_addc_u32 s3, s5, s3
	s_load_b32 s2, s[2:3], 0x0
	s_waitcnt lgkmcnt(0)
	s_ashr_i32 s3, s2, 31
	s_delay_alu instid0(SALU_CYCLE_1)
	s_cmp_eq_u64 s[6:7], s[2:3]
	s_cbranch_scc0 .LBB81_5
	s_branch .LBB81_88
.LBB81_4:
	s_mov_b32 s2, s14
	s_delay_alu instid0(SALU_CYCLE_1)
	s_ashr_i32 s3, s2, 31
	s_waitcnt lgkmcnt(0)
	s_cmp_eq_u64 s[6:7], s[2:3]
	s_cbranch_scc1 .LBB81_88
.LBB81_5:
	s_clause 0x1
	s_load_b512 s[16:31], s[0:1], 0x88
	s_load_b64 s[34:35], s[0:1], 0x8
	s_mov_b32 s56, 0
	s_mov_b32 s57, 0
	s_waitcnt lgkmcnt(0)
	s_cmp_eq_u64 s[22:23], 0
	s_cbranch_scc1 .LBB81_7
; %bb.6:
	s_ashr_i32 s55, s54, 31
	s_delay_alu instid0(SALU_CYCLE_1) | instskip(NEXT) | instid1(SALU_CYCLE_1)
	s_lshl_b64 s[4:5], s[54:55], 2
	s_add_u32 s4, s22, s4
	s_addc_u32 s5, s23, s5
	s_load_b32 s57, s[4:5], 0x0
.LBB81_7:
	s_cmp_eq_u64 s[28:29], 0
	s_cbranch_scc1 .LBB81_9
; %bb.8:
	s_ashr_i32 s55, s54, 31
	s_delay_alu instid0(SALU_CYCLE_1) | instskip(NEXT) | instid1(SALU_CYCLE_1)
	s_lshl_b64 s[4:5], s[54:55], 2
	s_add_u32 s4, s28, s4
	s_addc_u32 s5, s29, s5
	s_load_b32 s56, s[4:5], 0x0
.LBB81_9:
	s_cmp_lt_i32 s34, 1
	s_cbranch_scc1 .LBB81_88
; %bb.10:
	s_sub_i32 s3, 0, s8
	s_load_b256 s[36:43], s[0:1], 0x4c
	s_mul_i32 s3, s3, s10
	s_abs_i32 s4, s54
	s_mul_hi_u32 s3, s10, s3
	s_ashr_i32 s6, s9, 31
	s_add_i32 s10, s10, s3
	s_ashr_i32 s3, s54, 31
	s_mul_hi_u32 s5, s4, s10
	s_xor_b32 s3, s3, s6
	s_mul_i32 s7, s5, s8
	s_add_i32 s6, s5, 1
	s_sub_i32 s4, s4, s7
	s_load_b256 s[44:51], s[0:1], 0x2c
	s_sub_i32 s7, s4, s8
	s_cmp_ge_u32 s4, s8
	s_mov_b32 s53, 0
	s_cselect_b32 s5, s6, s5
	s_cselect_b32 s4, s7, s4
	s_add_i32 s6, s5, 1
	s_cmp_ge_u32 s4, s8
	s_waitcnt lgkmcnt(0)
	s_mul_i32 s52, s38, s14
	s_cselect_b32 s6, s6, s5
	s_lshl_b64 s[4:5], s[52:53], 1
	s_xor_b32 s6, s6, s3
	s_mul_i32 s52, s39, s54
	s_sub_i32 s3, s6, s3
	s_add_u32 s6, s24, s4
	s_addc_u32 s7, s25, s5
	s_lshl_b64 s[4:5], s[52:53], 1
	s_mul_i32 s52, s40, s14
	s_add_u32 s51, s6, s4
	s_addc_u32 s55, s7, s5
	s_lshl_b64 s[4:5], s[52:53], 1
	s_mul_i32 s52, s41, s54
	;; [unrolled: 4-line block ×3, first 2 shown]
	s_add_u32 s58, s6, s4
	s_addc_u32 s44, s7, s5
	s_clause 0x1
	s_load_b64 s[6:7], s[0:1], 0x7c
	s_load_b32 s62, s[0:1], 0x84
	s_lshl_b64 s[4:5], s[52:53], 2
	s_mul_i32 s52, s46, s14
	s_add_u32 s59, s16, s4
	s_addc_u32 s60, s17, s5
	s_lshl_b64 s[4:5], s[52:53], 1
	s_mul_i32 s52, s3, s49
	s_load_b128 s[24:27], s[0:1], 0xc8
	s_add_u32 s8, s18, s4
	s_addc_u32 s9, s19, s5
	s_lshl_b64 s[4:5], s[52:53], 1
	s_mul_i32 s52, s50, s14
	s_add_u32 s49, s8, s4
	v_dual_mov_b32 v42, 0 :: v_dual_lshlrev_b32 v1, 1, v0
	s_addc_u32 s50, s9, s5
	s_lshl_b64 s[4:5], s[52:53], 1
	s_mul_i32 s52, s3, s37
	s_add_u32 s8, s20, s4
	s_addc_u32 s3, s21, s5
	s_lshl_b64 s[4:5], s[52:53], 1
	s_load_b128 s[16:19], s[0:1], 0x6c
	s_waitcnt lgkmcnt(0)
	s_mul_i32 s52, s2, s6
	s_load_b32 s6, s[0:1], 0x28
	v_mbcnt_lo_u32_b32 v2, -1, 0
	v_and_b32_e32 v1, 64, v1
	s_add_u32 s37, s8, s4
	s_addc_u32 s61, s3, s5
	s_lshl_b64 s[2:3], s[52:53], 1
	v_and_b32_e32 v4, 32, v0
	v_or_b32_e32 v3, v2, v1
	s_mul_i32 s52, s7, s54
	s_load_b64 s[20:21], s[0:1], 0xd8
	s_add_u32 s4, s24, s2
	s_addc_u32 s5, s25, s3
	v_or_b32_e32 v6, 32, v3
	s_lshl_b64 s[2:3], s[52:53], 1
	v_lshrrev_b32_e32 v5, 5, v1
	s_add_u32 s63, s4, s2
	v_or_b32_e32 v7, v2, v4
	v_lshrrev_b32_e32 v8, 5, v6
	s_addc_u32 s64, s5, s3
	s_add_i32 s2, s34, 0x7ff
	v_cmp_gt_u32_e64 s0, 0x80, v3
	s_lshr_b32 s65, s2, 11
	s_waitcnt lgkmcnt(0)
	s_bitcmp1_b32 s6, 0
	v_add_nc_u32_e32 v5, v5, v3
	v_lshlrev_b32_e32 v9, 1, v7
	v_bfe_u32 v7, v7, 4, 27
	v_add_lshl_u32 v3, v8, v3, 4
	s_cselect_b32 s66, -1, 0
	s_cmp_gt_i32 s35, 0
	v_lshl_add_u32 v43, v5, 4, 0
	s_cselect_b32 s67, -1, 0
	s_add_i32 s2, 0, 0x840
	v_add_lshl_u32 v5, v7, v9, 4
	v_add_nc_u32_e32 v44, 0, v3
	v_add_nc_u32_e32 v46, s2, v3
	v_and_b32_e32 v3, 15, v2
	s_and_b32 s3, s34, 0x3ff
	v_add_nc_u32_e32 v47, s2, v5
	s_cmp_eq_u32 s3, 0
	s_mul_i32 s52, s16, s14
	v_cmp_ne_u32_e64 s2, 0, v3
	v_cmp_lt_u32_e64 s3, 1, v3
	v_cmp_lt_u32_e64 s4, 3, v3
	;; [unrolled: 1-line block ×3, first 2 shown]
	v_add_nc_u32_e32 v3, -1, v2
	s_cselect_b32 s68, -1, 0
	s_lshl_b64 s[22:23], s[52:53], 1
	v_add_nc_u32_e32 v45, 0, v5
	v_lshrrev_b32_e32 v5, 2, v0
	v_cmp_gt_i32_e32 vcc_lo, 0, v3
	s_add_i32 s69, s65, -1
	s_mul_i32 s52, s17, s54
	s_add_u32 s15, s30, s22
	s_addc_u32 s22, s31, s23
	v_cndmask_b32_e32 v3, v3, v2, vcc_lo
	v_or_b32_e32 v4, 31, v4
	s_lshl_b64 s[16:17], s[52:53], 1
	s_mul_i32 s52, s42, s14
	v_lshlrev_b32_e32 v48, 4, v0
	v_cmp_gt_u32_e64 s8, 2, v0
	v_cmp_eq_u32_e64 s7, v4, v0
	v_lshl_add_u32 v50, v0, 3, 0
	v_cmp_gt_u32_e64 s10, 32, v0
	v_cmp_lt_u32_e64 s11, 31, v0
	v_cmp_eq_u32_e64 s12, 0, v0
	s_add_u32 s15, s15, s16
	v_lshlrev_b32_e32 v0, 4, v2
	v_and_b32_e32 v5, 8, v5
	s_addc_u32 s22, s22, s17
	s_lshl_b64 s[16:17], s[52:53], 1
	v_and_b32_e32 v4, 1, v2
	s_mul_i32 s52, s43, s54
	s_add_u32 s23, s26, s16
	s_addc_u32 s24, s27, s17
	s_lshl_b64 s[16:17], s[52:53], 1
	v_lshlrev_b32_e32 v51, 2, v3
	v_add_co_u32 v3, s15, s15, v0
	s_mul_i32 s52, s18, s14
	v_add_nc_u32_e32 v49, 0, v5
	s_add_u32 s16, s23, s16
	v_lshlrev_b32_e32 v5, 4, v1
	v_cmp_eq_u32_e64 s9, 0, v4
	v_add_co_ci_u32_e64 v4, null, s22, 0, s15
	s_addc_u32 s17, s24, s17
	s_lshl_b64 s[14:15], s[52:53], 1
	s_mul_i32 s52, s19, s54
	s_add_u32 s18, s20, s14
	s_addc_u32 s19, s21, s15
	s_lshl_b64 s[14:15], s[52:53], 1
	v_cmp_gt_u32_e64 s1, 0x80, v6
	v_and_b32_e32 v6, 16, v2
	v_add_co_u32 v52, vcc_lo, v3, v5
	v_add_co_u32 v3, s16, s16, v0
	s_add_u32 s14, s18, s14
	v_add_co_ci_u32_e32 v53, vcc_lo, 0, v4, vcc_lo
	v_add_co_ci_u32_e64 v4, null, s17, 0, s16
	s_addc_u32 s15, s19, s15
	v_add_co_u32 v0, s14, s14, v0
	v_cmp_ne_u32_e64 s6, 0, v6
	v_add_co_ci_u32_e64 v6, null, s15, 0, s14
	v_add_co_u32 v54, vcc_lo, v3, v5
	v_add_co_ci_u32_e32 v55, vcc_lo, 0, v4, vcc_lo
	v_add_co_u32 v56, vcc_lo, v0, v5
	v_cmp_eq_u32_e64 s13, 0, v2
	v_add_co_ci_u32_e32 v57, vcc_lo, 0, v6, vcc_lo
	v_or_b32_e32 v58, 1, v48
	v_or_b32_e32 v59, 2, v48
	;; [unrolled: 1-line block ×15, first 2 shown]
	v_lshlrev_b32_e32 v73, 4, v2
	v_lshlrev_b32_e32 v74, 4, v1
	s_mov_b32 s54, 0x3e9b6dac
	s_add_i32 s70, 0, 0x1090
	s_mov_b32 s71, 0xbfb8aa3b
	s_mov_b32 s72, 0xb2a5705f
	;; [unrolled: 1-line block ×3, first 2 shown]
                                        ; implicit-def: $vgpr0
                                        ; implicit-def: $vgpr4
                                        ; implicit-def: $vgpr12
                                        ; implicit-def: $vgpr8
                                        ; implicit-def: $vgpr20
                                        ; implicit-def: $vgpr16
	s_branch .LBB81_12
.LBB81_11:                              ;   in Loop: Header=BB81_12 Depth=1
	s_or_b32 exec_lo, exec_lo, s14
	s_waitcnt vmcnt(0)
	ds_store_2addr_b32 v43, v0, v1 offset1:1
	ds_store_2addr_b32 v43, v2, v3 offset0:2 offset1:3
	ds_store_b128 v44, v[4:7] offset:512
	; wave barrier
	ds_load_b128 v[0:3], v45
	ds_load_b128 v[4:7], v45 offset:16
	s_waitcnt lgkmcnt(0)
	s_barrier
	buffer_gl0_inv
	s_add_u32 s58, s58, 0x800
	s_addc_u32 s44, s44, 0
	s_add_u32 s51, s51, 0x800
	s_addc_u32 s55, s55, 0
	s_add_u32 s49, s49, 0x800
	s_addc_u32 s50, s50, 0
	s_add_u32 s37, s37, 0x800
	s_addc_u32 s61, s61, 0
	s_add_i32 s73, s73, 1
	s_delay_alu instid0(SALU_CYCLE_1)
	s_cmp_eq_u32 s73, s65
	v_cvt_f32_f16_e32 v25, v0
	v_lshrrev_b32_e32 v28, 16, v2
	v_cvt_f32_f16_e32 v30, v2
	v_lshrrev_b32_e32 v26, 16, v1
	v_cvt_f32_f16_e32 v27, v1
	v_mul_f32_e32 v29, 0xbfb8aa3b, v25
	v_cvt_f32_f16_e32 v32, v28
	v_mul_f32_e32 v28, 0xbfb8aa3b, v30
	v_lshrrev_b32_e32 v24, 16, v0
	v_cvt_f32_f16_e32 v26, v26
	v_mul_f32_e32 v31, 0xbfb8aa3b, v27
	v_rndne_f32_e32 v34, v29
	v_rndne_f32_e32 v40, v28
	v_fma_mix_f32 v41, v2, s71, -v28 op_sel_hi:[1,0,0]
	v_mul_f32_e32 v36, 0xbfb8aa3b, v26
	v_cvt_f32_f16_e32 v24, v24
	v_fma_mix_f32 v35, v0, s71, -v29 op_sel_hi:[1,0,0]
	v_rndne_f32_e32 v37, v31
	v_fma_mix_f32 v38, v1, s71, -v31 op_sel_hi:[1,0,0]
	v_dual_sub_f32 v29, v29, v34 :: v_dual_sub_f32 v28, v28, v40
	v_fma_mix_f32 v41, v2, s72, v41 op_sel_hi:[1,0,0]
	v_mul_f32_e32 v39, 0xbfb8aa3b, v32
	v_sub_f32_e32 v31, v31, v37
	v_fma_mix_f32 v38, v1, s72, v38 op_sel_hi:[1,0,0]
	v_fma_mix_f32 v35, v0, s72, v35 op_sel_hi:[1,0,0]
	v_add_f32_e32 v28, v28, v41
	v_rndne_f32_e32 v79, v39
	v_mul_f32_e32 v33, 0xbfb8aa3b, v24
	v_add_f32_e32 v31, v31, v38
	v_cmp_nlt_f32_e32 vcc_lo, 0x42ce8ed0, v24
	v_rndne_f32_e32 v77, v36
	v_sub_f32_e32 v38, v39, v79
	v_rndne_f32_e32 v75, v33
	v_fma_mix_f32 v76, v0, s71, -v33 op_sel:[1,0,0] op_sel_hi:[1,0,0]
	v_fma_mix_f32 v78, v1, s71, -v36 op_sel:[1,0,0] op_sel_hi:[1,0,0]
	v_cvt_i32_f32_e32 v34, v34
	v_fma_mix_f32 v80, v2, s71, -v39 op_sel:[1,0,0] op_sel_hi:[1,0,0]
	v_sub_f32_e32 v33, v33, v75
	v_fma_mix_f32 v76, v0, s72, v76 op_sel:[1,0,0] op_sel_hi:[1,0,0]
	v_cvt_i32_f32_e32 v75, v75
	v_exp_f32_e32 v31, v31
	v_fma_mix_f32 v39, v2, s72, v80 op_sel:[1,0,0] op_sel_hi:[1,0,0]
	v_cvt_i32_f32_e32 v37, v37
	v_add_f32_e32 v33, v33, v76
	v_cvt_i32_f32_e32 v76, v77
	v_cmp_nlt_f32_e64 s16, 0x42ce8ed0, v32
	v_add_f32_e32 v38, v38, v39
	s_delay_alu instid0(VALU_DEP_4) | instskip(NEXT) | instid1(TRANS32_DEP_2)
	v_exp_f32_e32 v33, v33
	v_ldexp_f32 v31, v31, v37
	s_waitcnt_depctr 0xfff
	v_ldexp_f32 v33, v33, v75
	s_delay_alu instid0(VALU_DEP_1) | instskip(SKIP_4) | instid1(VALU_DEP_3)
	v_cndmask_b32_e32 v33, 0, v33, vcc_lo
	v_cmp_ngt_f32_e32 vcc_lo, 0xc2b17218, v24
	v_add_f32_e32 v29, v29, v35
	v_sub_f32_e32 v35, v36, v77
	v_fma_mix_f32 v36, v1, s72, v78 op_sel:[1,0,0] op_sel_hi:[1,0,0]
	v_exp_f32_e32 v29, v29
	s_delay_alu instid0(VALU_DEP_1) | instskip(SKIP_1) | instid1(VALU_DEP_2)
	v_add_f32_e32 v35, v35, v36
	v_cvt_i32_f32_e32 v36, v79
	v_exp_f32_e32 v35, v35
	s_waitcnt_depctr 0xfff
	v_ldexp_f32 v29, v29, v34
	v_exp_f32_e32 v34, v28
	v_cndmask_b32_e32 v28, 0x7f800000, v33, vcc_lo
	v_cmp_nlt_f32_e32 vcc_lo, 0x42ce8ed0, v25
	v_exp_f32_e32 v33, v38
	s_delay_alu instid0(VALU_DEP_2) | instskip(SKIP_2) | instid1(VALU_DEP_3)
	v_dual_add_f32 v28, 1.0, v28 :: v_dual_cndmask_b32 v29, 0, v29
	v_cmp_ngt_f32_e32 vcc_lo, 0xc2b17218, v25
	v_ldexp_f32 v35, v35, v76
	v_div_scale_f32 v38, null, v28, v28, v24
	s_delay_alu instid0(VALU_DEP_4) | instskip(SKIP_1) | instid1(TRANS32_DEP_1)
	v_cndmask_b32_e32 v29, 0x7f800000, v29, vcc_lo
	v_cmp_nlt_f32_e32 vcc_lo, 0x42ce8ed0, v26
	v_ldexp_f32 v33, v33, v36
	s_delay_alu instid0(VALU_DEP_4) | instskip(NEXT) | instid1(VALU_DEP_3)
	v_rcp_f32_e32 v37, v38
	v_add_f32_e32 v29, 1.0, v29
	v_cndmask_b32_e32 v35, 0, v35, vcc_lo
	v_cmp_ngt_f32_e32 vcc_lo, 0xc2b17218, v26
	v_cndmask_b32_e64 v33, 0, v33, s16
	s_delay_alu instid0(VALU_DEP_4) | instskip(NEXT) | instid1(VALU_DEP_4)
	v_div_scale_f32 v39, null, v29, v29, v25
	v_cndmask_b32_e32 v35, 0x7f800000, v35, vcc_lo
	v_cmp_nlt_f32_e32 vcc_lo, 0x42ce8ed0, v27
	s_delay_alu instid0(TRANS32_DEP_1) | instskip(NEXT) | instid1(VALU_DEP_4)
	v_fma_f32 v75, -v38, v37, 1.0
	v_rcp_f32_e32 v36, v39
	v_div_scale_f32 v78, s14, v25, v29, v25
	v_add_f32_e32 v35, 1.0, v35
	v_cndmask_b32_e32 v31, 0, v31, vcc_lo
	v_cmp_ngt_f32_e32 vcc_lo, 0xc2b17218, v27
	v_fmac_f32_e32 v37, v75, v37
	s_delay_alu instid0(VALU_DEP_4) | instskip(NEXT) | instid1(VALU_DEP_4)
	v_div_scale_f32 v41, null, v35, v35, v26
	v_cndmask_b32_e32 v31, 0x7f800000, v31, vcc_lo
	v_div_scale_f32 v76, vcc_lo, v24, v28, v24
	s_delay_alu instid0(VALU_DEP_3) | instskip(SKIP_1) | instid1(VALU_DEP_3)
	v_rcp_f32_e32 v77, v41
	v_fma_f32 v75, -v39, v36, 1.0
	v_add_f32_e32 v31, 1.0, v31
	s_delay_alu instid0(VALU_DEP_3) | instskip(SKIP_1) | instid1(VALU_DEP_4)
	v_mul_f32_e32 v79, v76, v37
	v_div_scale_f32 v83, s15, v26, v35, v26
	v_fmac_f32_e32 v36, v75, v36
	s_delay_alu instid0(VALU_DEP_4) | instskip(NEXT) | instid1(VALU_DEP_4)
	v_div_scale_f32 v75, null, v31, v31, v27
	v_fma_f32 v81, -v38, v79, v76
	s_delay_alu instid0(TRANS32_DEP_1) | instskip(NEXT) | instid1(VALU_DEP_4)
	v_fma_f32 v80, -v41, v77, 1.0
	v_mul_f32_e32 v82, v78, v36
	s_delay_alu instid0(VALU_DEP_4) | instskip(NEXT) | instid1(VALU_DEP_3)
	v_rcp_f32_e32 v84, v75
	v_fmac_f32_e32 v79, v81, v37
	s_delay_alu instid0(VALU_DEP_3) | instskip(NEXT) | instid1(VALU_DEP_3)
	v_fmac_f32_e32 v77, v80, v77
	v_fma_f32 v80, -v39, v82, v78
	s_delay_alu instid0(VALU_DEP_3) | instskip(NEXT) | instid1(VALU_DEP_3)
	v_fma_f32 v38, -v38, v79, v76
	v_mul_f32_e32 v76, v83, v77
	s_delay_alu instid0(VALU_DEP_3) | instskip(NEXT) | instid1(VALU_DEP_3)
	v_fmac_f32_e32 v82, v80, v36
	v_div_fmas_f32 v37, v38, v37, v79
	v_cmp_ngt_f32_e32 vcc_lo, 0xc2b17218, v32
	s_delay_alu instid0(VALU_DEP_3)
	v_fma_f32 v39, -v39, v82, v78
	v_fma_f32 v78, -v41, v76, v83
	v_fma_f32 v38, -v75, v84, 1.0
	v_div_fixup_f32 v28, v37, v28, v24
	v_cndmask_b32_e32 v33, 0x7f800000, v33, vcc_lo
	s_mov_b32 vcc_lo, s14
	v_fmac_f32_e32 v76, v78, v77
	v_div_fmas_f32 v24, v39, v36, v82
	v_cvt_i32_f32_e32 v36, v40
	v_cmp_nlt_f32_e32 vcc_lo, 0x42ce8ed0, v30
	v_dual_add_f32 v33, 1.0, v33 :: v_dual_fmac_f32 v84, v38, v84
	v_div_scale_f32 v37, s14, v27, v31, v27
	s_delay_alu instid0(VALU_DEP_4) | instskip(SKIP_1) | instid1(VALU_DEP_4)
	v_ldexp_f32 v34, v34, v36
	v_lshrrev_b32_e32 v36, 16, v3
	v_div_scale_f32 v38, null, v33, v33, v32
	s_delay_alu instid0(VALU_DEP_3) | instskip(NEXT) | instid1(VALU_DEP_3)
	v_dual_mul_f32 v39, v37, v84 :: v_dual_cndmask_b32 v34, 0, v34
	v_cvt_f32_f16_e32 v36, v36
	v_cmp_ngt_f32_e32 vcc_lo, 0xc2b17218, v30
	s_delay_alu instid0(VALU_DEP_4) | instskip(NEXT) | instid1(VALU_DEP_2)
	v_rcp_f32_e32 v40, v38
	v_mul_f32_e32 v78, 0xbfb8aa3b, v36
	v_cndmask_b32_e32 v34, 0x7f800000, v34, vcc_lo
	v_div_fixup_f32 v24, v24, v29, v25
	v_fma_f32 v25, -v41, v76, v83
	s_mov_b32 vcc_lo, s15
	v_rndne_f32_e32 v41, v78
	v_fma_mix_f32 v79, v3, s71, -v78 op_sel:[1,0,0] op_sel_hi:[1,0,0]
	v_add_f32_e32 v34, 1.0, v34
	v_fma_f32 v29, -v75, v39, v37
	v_div_fmas_f32 v25, v25, v77, v76
	v_sub_f32_e32 v78, v78, v41
	v_fma_mix_f32 v79, v3, s72, v79 op_sel:[1,0,0] op_sel_hi:[1,0,0]
	v_div_scale_f32 v81, null, v34, v34, v30
	v_fma_f32 v80, -v38, v40, 1.0
	v_fmac_f32_e32 v39, v29, v84
	s_delay_alu instid0(VALU_DEP_4) | instskip(NEXT) | instid1(VALU_DEP_4)
	v_add_f32_e32 v77, v78, v79
	v_rcp_f32_e32 v76, v81
	v_div_fixup_f32 v29, v25, v35, v26
	v_fmac_f32_e32 v40, v80, v40
	v_div_scale_f32 v78, s15, v32, v33, v32
	v_exp_f32_e32 v26, v77
	v_fma_f32 v25, -v75, v39, v37
	v_cvt_i32_f32_e32 v41, v41
	s_mov_b32 vcc_lo, s14
	v_mul_f32_e32 v35, v78, v40
	s_delay_alu instid0(TRANS32_DEP_2)
	v_fma_f32 v37, -v81, v76, 1.0
	v_div_fmas_f32 v25, v25, v84, v39
	v_cvt_f32_f16_e32 v75, v3
	v_cmp_nlt_f32_e32 vcc_lo, 0x42ce8ed0, v36
	v_fma_f32 v39, -v38, v35, v78
	v_ldexp_f32 v26, v26, v41
	v_fmac_f32_e32 v76, v37, v76
	v_div_scale_f32 v37, s14, v30, v34, v30
	s_delay_alu instid0(VALU_DEP_3) | instskip(SKIP_2) | instid1(VALU_DEP_4)
	v_dual_mul_f32 v41, 0xbfb8aa3b, v75 :: v_dual_cndmask_b32 v26, 0, v26
	v_cmp_ngt_f32_e32 vcc_lo, 0xc2b17218, v36
	v_fmac_f32_e32 v35, v39, v40
	v_mul_f32_e32 v39, v37, v76
	s_delay_alu instid0(VALU_DEP_4)
	v_rndne_f32_e32 v77, v41
	v_fma_mix_f32 v79, v3, s71, -v41 op_sel_hi:[1,0,0]
	v_cndmask_b32_e32 v26, 0x7f800000, v26, vcc_lo
	v_div_fixup_f32 v25, v25, v31, v27
	v_fma_f32 v80, -v81, v39, v37
	v_sub_f32_e32 v41, v41, v77
	v_fma_mix_f32 v79, v3, s72, v79 op_sel_hi:[1,0,0]
	v_add_f32_e32 v27, 1.0, v26
	v_fma_f32 v26, -v38, v35, v78
	v_fmac_f32_e32 v39, v80, v76
	s_mov_b32 vcc_lo, s15
	v_add_f32_e32 v31, v41, v79
	v_div_scale_f32 v38, null, v27, v27, v36
	v_lshrrev_b32_e32 v41, 16, v4
	v_div_fmas_f32 v26, v26, v40, v35
	v_fma_f32 v35, -v81, v39, v37
	v_exp_f32_e32 v31, v31
	v_rcp_f32_e32 v37, v38
	v_cvt_f32_f16_e32 v40, v41
	s_mov_b32 vcc_lo, s14
	v_cmp_ngt_f32_e64 s14, 0xc2b17218, v75
	v_div_fmas_f32 v35, v35, v76, v39
	v_cvt_i32_f32_e32 v39, v77
	v_mul_f32_e32 v41, 0xbfb8aa3b, v40
	v_div_fixup_f32 v76, v26, v33, v32
	v_cmp_nlt_f32_e32 vcc_lo, 0x42ce8ed0, v75
	v_div_fixup_f32 v26, v35, v34, v30
	v_ldexp_f32 v30, v31, v39
	v_fma_f32 v31, -v38, v37, 1.0
	v_rndne_f32_e32 v32, v41
	v_fma_mix_f32 v33, v4, s71, -v41 op_sel:[1,0,0] op_sel_hi:[1,0,0]
	v_lshrrev_b32_e32 v80, 16, v5
	s_delay_alu instid0(VALU_DEP_4) | instskip(NEXT) | instid1(VALU_DEP_4)
	v_dual_cndmask_b32 v30, 0, v30 :: v_dual_fmac_f32 v37, v31, v37
	v_sub_f32_e32 v31, v41, v32
	s_delay_alu instid0(VALU_DEP_4) | instskip(SKIP_1) | instid1(VALU_DEP_4)
	v_fma_mix_f32 v33, v4, s72, v33 op_sel:[1,0,0] op_sel_hi:[1,0,0]
	v_div_scale_f32 v34, vcc_lo, v36, v27, v36
	v_cndmask_b32_e64 v30, 0x7f800000, v30, s14
	v_cvt_i32_f32_e32 v32, v32
	s_delay_alu instid0(VALU_DEP_4) | instskip(SKIP_1) | instid1(VALU_DEP_4)
	v_add_f32_e32 v31, v31, v33
	v_cvt_f32_f16_e32 v33, v4
	v_dual_mul_f32 v35, v34, v37 :: v_dual_add_f32 v30, 1.0, v30
	v_cmp_nlt_f32_e64 s14, 0x42ce8ed0, v40
	s_delay_alu instid0(VALU_DEP_4) | instskip(NEXT) | instid1(VALU_DEP_3)
	v_exp_f32_e32 v31, v31
	v_mul_f32_e32 v39, 0xbfb8aa3b, v33
	s_delay_alu instid0(VALU_DEP_3) | instskip(SKIP_2) | instid1(VALU_DEP_4)
	v_fma_f32 v41, -v38, v35, v34
	v_div_scale_f32 v77, null, v30, v30, v75
	v_cmp_nlt_f32_e64 s15, 0x42ce8ed0, v33
	v_rndne_f32_e32 v78, v39
	v_fma_mix_f32 v79, v4, s71, -v39 op_sel_hi:[1,0,0]
	s_delay_alu instid0(VALU_DEP_4) | instskip(SKIP_1) | instid1(TRANS32_DEP_2)
	v_rcp_f32_e32 v81, v77
	v_fmac_f32_e32 v35, v41, v37
	v_ldexp_f32 v31, v31, v32
	v_sub_f32_e32 v32, v39, v78
	v_fma_mix_f32 v39, v4, s72, v79 op_sel_hi:[1,0,0]
	v_cvt_f32_f16_e32 v79, v80
	v_fma_f32 v34, -v38, v35, v34
	v_cndmask_b32_e64 v31, 0, v31, s14
	v_cmp_ngt_f32_e64 s14, 0xc2b17218, v40
	v_add_f32_e32 v32, v32, v39
	v_mul_f32_e32 v39, 0xbfb8aa3b, v79
	v_fma_f32 v41, -v77, v81, 1.0
	v_fma_mixlo_f16 v26, v100, v26, 0
	v_cndmask_b32_e64 v31, 0x7f800000, v31, s14
	v_exp_f32_e32 v32, v32
	v_rndne_f32_e32 v80, v39
	v_fma_mix_f32 v82, v5, s71, -v39 op_sel:[1,0,0] op_sel_hi:[1,0,0]
	v_fmac_f32_e32 v81, v41, v81
	v_cvt_i32_f32_e32 v41, v78
	v_add_f32_e32 v31, 1.0, v31
	v_sub_f32_e32 v39, v39, v80
	v_fma_mix_f32 v78, v5, s72, v82 op_sel:[1,0,0] op_sel_hi:[1,0,0]
	v_cvt_i32_f32_e32 v38, v80
	v_cvt_f32_f16_e32 v80, v5
	v_ldexp_f32 v32, v32, v41
	v_div_scale_f32 v82, s14, v75, v30, v75
	v_add_f32_e32 v39, v39, v78
	v_div_scale_f32 v41, null, v31, v31, v40
	s_delay_alu instid0(VALU_DEP_4) | instskip(SKIP_1) | instid1(VALU_DEP_4)
	v_cndmask_b32_e64 v32, 0, v32, s15
	v_cmp_ngt_f32_e64 s15, 0xc2b17218, v33
	v_exp_f32_e32 v39, v39
	v_mul_f32_e32 v78, v82, v81
	v_fma_mixlo_f16 v25, v101, v25, 0
	v_rcp_f32_e32 v83, v41
	v_cndmask_b32_e64 v32, 0x7f800000, v32, s15
	v_cmp_nlt_f32_e64 s15, 0x42ce8ed0, v79
	v_fma_f32 v84, -v77, v78, v82
	v_div_fmas_f32 v34, v34, v37, v35
	s_mov_b32 vcc_lo, s14
	v_add_f32_e32 v32, 1.0, v32
	v_ldexp_f32 v38, v39, v38
	v_dual_mul_f32 v39, 0xbfb8aa3b, v80 :: v_dual_fmac_f32 v78, v84, v81
	s_delay_alu instid0(TRANS32_DEP_1) | instskip(NEXT) | instid1(VALU_DEP_4)
	v_fma_f32 v84, -v41, v83, 1.0
	v_div_scale_f32 v97, null, v32, v32, v33
	s_delay_alu instid0(VALU_DEP_3) | instskip(SKIP_2) | instid1(VALU_DEP_4)
	v_rndne_f32_e32 v99, v39
	v_fma_mix_f32 v100, v5, s71, -v39 op_sel_hi:[1,0,0]
	v_cndmask_b32_e64 v38, 0, v38, s15
	v_rcp_f32_e32 v101, v97
	v_cmp_ngt_f32_e64 s15, 0xc2b17218, v79
	v_sub_f32_e32 v39, v39, v99
	v_fma_mix_f32 v100, v5, s72, v100 op_sel_hi:[1,0,0]
	v_fma_f32 v35, -v77, v78, v82
	v_fmac_f32_e32 v83, v84, v83
	v_cndmask_b32_e64 v38, 0x7f800000, v38, s15
	v_div_scale_f32 v84, s14, v33, v32, v33
	v_add_f32_e32 v37, v39, v100
	s_delay_alu instid0(TRANS32_DEP_1) | instskip(NEXT) | instid1(VALU_DEP_4)
	v_fma_f32 v77, -v97, v101, 1.0
	v_add_f32_e32 v38, 1.0, v38
	v_div_scale_f32 v39, s15, v40, v31, v40
	s_delay_alu instid0(VALU_DEP_4) | instskip(NEXT) | instid1(VALU_DEP_3)
	v_exp_f32_e32 v37, v37
	v_fmac_f32_e32 v101, v77, v101
	s_delay_alu instid0(VALU_DEP_3) | instskip(SKIP_3) | instid1(VALU_DEP_4)
	v_div_scale_f32 v82, null, v38, v38, v79
	v_cvt_i32_f32_e32 v77, v99
	v_div_fmas_f32 v35, v35, v81, v78
	v_mul_f32_e32 v78, v39, v83
	v_rcp_f32_e32 v81, v82
	v_div_fixup_f32 v34, v34, v27, v36
	v_cmp_nlt_f32_e32 vcc_lo, 0x42ce8ed0, v80
	s_delay_alu instid0(TRANS32_DEP_2)
	v_ldexp_f32 v27, v37, v77
	v_div_fixup_f32 v30, v35, v30, v75
	v_fma_f32 v35, -v41, v78, v39
	v_mul_f32_e32 v36, v84, v101
	v_fma_mixlo_f16 v24, v103, v24, 0
	v_cndmask_b32_e32 v27, 0, v27, vcc_lo
	v_cmp_ngt_f32_e32 vcc_lo, 0xc2b17218, v80
	v_fma_f32 v37, -v82, v81, 1.0
	v_fmac_f32_e32 v78, v35, v83
	v_fma_f32 v35, -v97, v36, v84
	v_fma_mixhi_f16 v26, v92, v76, 0
	v_cndmask_b32_e32 v75, 0x7f800000, v27, vcc_lo
	v_fmac_f32_e32 v81, v37, v81
	v_div_scale_f32 v37, s16, v79, v38, v79
	v_fma_mixlo_f16 v27, v98, v30, 0
	s_delay_alu instid0(VALU_DEP_4)
	v_add_f32_e32 v30, 1.0, v75
	v_fma_f32 v39, -v41, v78, v39
	v_fmac_f32_e32 v36, v35, v101
	v_lshrrev_b32_e32 v75, 16, v6
	s_mov_b32 vcc_lo, s15
	v_mul_f32_e32 v35, v37, v81
	v_div_fmas_f32 v39, v39, v83, v78
	v_fma_f32 v77, -v97, v36, v84
	v_cvt_f32_f16_e32 v75, v75
	s_mov_b32 vcc_lo, s14
	v_fma_f32 v78, -v82, v35, v37
	v_div_fixup_f32 v39, v39, v31, v40
	v_div_fmas_f32 v36, v77, v101, v36
	v_cvt_f32_f16_e32 v77, v6
	v_mul_f32_e32 v31, 0xbfb8aa3b, v75
	v_div_scale_f32 v41, null, v30, v30, v80
	v_fmac_f32_e32 v35, v78, v81
	v_div_fixup_f32 v32, v36, v32, v33
	v_mul_f32_e32 v33, 0xbfb8aa3b, v77
	v_rndne_f32_e32 v40, v31
	v_fma_mix_f32 v78, v6, s71, -v31 op_sel:[1,0,0] op_sel_hi:[1,0,0]
	v_rcp_f32_e32 v83, v41
	v_fma_f32 v36, -v82, v35, v37
	v_rndne_f32_e32 v82, v33
	v_lshrrev_b32_e32 v84, 16, v7
	v_fma_mix_f32 v97, v6, s71, -v33 op_sel_hi:[1,0,0]
	v_sub_f32_e32 v31, v31, v40
	v_fma_mix_f32 v78, v6, s72, v78 op_sel:[1,0,0] op_sel_hi:[1,0,0]
	v_sub_f32_e32 v33, v33, v82
	v_cvt_f32_f16_e32 v84, v84
	v_fma_mix_f32 v97, v6, s72, v97 op_sel_hi:[1,0,0]
	s_mov_b32 vcc_lo, s16
	v_add_f32_e32 v31, v31, v78
	v_fma_f32 v37, -v41, v83, 1.0
	v_div_fmas_f32 v35, v36, v81, v35
	v_dual_mul_f32 v36, 0xbfb8aa3b, v84 :: v_dual_add_f32 v33, v33, v97
	s_delay_alu instid0(VALU_DEP_4) | instskip(NEXT) | instid1(VALU_DEP_3)
	v_exp_f32_e32 v31, v31
	v_fmac_f32_e32 v83, v37, v83
	v_cvt_f32_f16_e32 v37, v7
	s_delay_alu instid0(VALU_DEP_3) | instskip(SKIP_3) | instid1(VALU_DEP_3)
	v_rndne_f32_e32 v78, v36
	v_fma_mix_f32 v81, v7, s71, -v36 op_sel:[1,0,0] op_sel_hi:[1,0,0]
	v_exp_f32_e32 v33, v33
	v_cvt_i32_f32_e32 v40, v40
	v_dual_mul_f32 v97, 0xbfb8aa3b, v37 :: v_dual_sub_f32 v36, v36, v78
	s_delay_alu instid0(VALU_DEP_3) | instskip(SKIP_1) | instid1(VALU_DEP_4)
	v_fma_mix_f32 v81, v7, s72, v81 op_sel:[1,0,0] op_sel_hi:[1,0,0]
	v_cvt_i32_f32_e32 v82, v82
	v_ldexp_f32 v31, v31, v40
	v_cmp_nlt_f32_e32 vcc_lo, 0x42ce8ed0, v75
	v_rndne_f32_e32 v98, v97
	v_fma_mix_f32 v99, v7, s71, -v97 op_sel_hi:[1,0,0]
	v_add_f32_e32 v36, v36, v81
	v_ldexp_f32 v33, v33, v82
	v_cndmask_b32_e32 v31, 0, v31, vcc_lo
	v_cmp_nlt_f32_e32 vcc_lo, 0x42ce8ed0, v77
	v_sub_f32_e32 v40, v97, v98
	v_fma_mix_f32 v81, v7, s72, v99 op_sel_hi:[1,0,0]
	v_exp_f32_e32 v36, v36
	v_cvt_i32_f32_e32 v78, v78
	v_cndmask_b32_e32 v33, 0, v33, vcc_lo
	v_cmp_ngt_f32_e32 vcc_lo, 0xc2b17218, v75
	v_add_f32_e32 v40, v40, v81
	v_div_fixup_f32 v35, v35, v38, v79
	v_fma_mixhi_f16 v27, v91, v34, 0
	v_fma_mixhi_f16 v25, v96, v29, 0
	v_cndmask_b32_e32 v31, 0x7f800000, v31, vcc_lo
	v_cmp_ngt_f32_e32 vcc_lo, 0xc2b17218, v77
	v_exp_f32_e32 v40, v40
	v_ldexp_f32 v36, v36, v78
	v_fma_mixhi_f16 v24, v95, v28, 0
	v_dual_add_f32 v78, 1.0, v31 :: v_dual_cndmask_b32 v33, 0x7f800000, v33
	v_cmp_nlt_f32_e32 vcc_lo, 0x42ce8ed0, v84
	v_cvt_i32_f32_e32 v31, v98
	s_delay_alu instid0(VALU_DEP_3)
	v_div_scale_f32 v81, null, v78, v78, v75
	v_cndmask_b32_e32 v36, 0, v36, vcc_lo
	v_cmp_ngt_f32_e32 vcc_lo, 0xc2b17218, v84
	s_delay_alu instid0(TRANS32_DEP_1) | instid1(VALU_DEP_4)
	v_ldexp_f32 v31, v40, v31
	v_add_f32_e32 v33, 1.0, v33
	v_rcp_f32_e32 v40, v81
	v_cndmask_b32_e32 v36, 0x7f800000, v36, vcc_lo
	v_cmp_nlt_f32_e32 vcc_lo, 0x42ce8ed0, v37
	s_delay_alu instid0(VALU_DEP_3) | instskip(NEXT) | instid1(VALU_DEP_3)
	v_div_scale_f32 v82, null, v33, v33, v77
	v_dual_add_f32 v36, 1.0, v36 :: v_dual_cndmask_b32 v31, 0, v31
	v_cmp_ngt_f32_e32 vcc_lo, 0xc2b17218, v37
	s_delay_alu instid0(VALU_DEP_3) | instskip(NEXT) | instid1(TRANS32_DEP_2)
	v_rcp_f32_e32 v99, v82
	v_fma_f32 v100, -v81, v40, 1.0
	s_delay_alu instid0(VALU_DEP_3) | instskip(SKIP_2) | instid1(VALU_DEP_3)
	v_div_scale_f32 v97, null, v36, v36, v84
	v_cndmask_b32_e32 v31, 0x7f800000, v31, vcc_lo
	v_div_scale_f32 v98, vcc_lo, v80, v30, v80
	v_rcp_f32_e32 v101, v97
	s_delay_alu instid0(VALU_DEP_2) | instskip(NEXT) | instid1(VALU_DEP_2)
	v_dual_fmac_f32 v40, v100, v40 :: v_dual_add_f32 v31, 1.0, v31
	v_mul_f32_e32 v102, v98, v83
	v_div_scale_f32 v100, s14, v75, v78, v75
	s_delay_alu instid0(TRANS32_DEP_2) | instskip(NEXT) | instid1(VALU_DEP_4)
	v_fma_f32 v104, -v82, v99, 1.0
	v_div_scale_f32 v103, null, v31, v31, v37
	s_delay_alu instid0(VALU_DEP_4) | instskip(NEXT) | instid1(TRANS32_DEP_1)
	v_fma_f32 v106, -v41, v102, v98
	v_fma_f32 v107, -v97, v101, 1.0
	v_mul_f32_e32 v108, v100, v40
	s_delay_alu instid0(VALU_DEP_4)
	v_rcp_f32_e32 v105, v103
	v_fmac_f32_e32 v99, v104, v99
	v_div_scale_f32 v104, s15, v77, v33, v77
	v_fmac_f32_e32 v101, v107, v101
	v_div_scale_f32 v107, s16, v84, v36, v84
	v_fmac_f32_e32 v102, v106, v83
	v_fma_f32 v106, -v81, v108, v100
	v_mul_f32_e32 v110, v104, v99
	s_delay_alu instid0(TRANS32_DEP_1)
	v_fma_f32 v109, -v103, v105, 1.0
	v_mul_f32_e32 v111, v107, v101
	v_fma_f32 v41, -v41, v102, v98
	v_fmac_f32_e32 v108, v106, v40
	v_fma_f32 v98, -v82, v110, v104
	v_fmac_f32_e32 v105, v109, v105
	v_div_scale_f32 v109, s17, v37, v31, v37
	v_fma_f32 v106, -v97, v111, v107
	v_div_fmas_f32 v41, v41, v83, v102
	v_fma_f32 v81, -v81, v108, v100
	s_delay_alu instid0(VALU_DEP_4)
	v_mul_f32_e32 v112, v109, v105
	v_fmac_f32_e32 v110, v98, v99
	v_fmac_f32_e32 v111, v106, v101
	s_mov_b32 vcc_lo, s14
	v_div_fixup_f32 v41, v41, v30, v80
	v_fma_f32 v83, -v103, v112, v109
	v_div_fmas_f32 v40, v81, v40, v108
	v_fma_f32 v81, -v82, v110, v104
	v_fma_f32 v82, -v97, v111, v107
	s_mov_b32 vcc_lo, s15
	v_fmac_f32_e32 v112, v83, v105
	v_fma_mixlo_f16 v30, v93, v32, 0
	v_div_fmas_f32 v81, v81, v99, v110
	s_mov_b32 vcc_lo, s16
	s_delay_alu instid0(VALU_DEP_3)
	v_fma_f32 v83, -v103, v112, v109
	v_div_fmas_f32 v82, v82, v101, v111
	s_mov_b32 vcc_lo, s17
	v_div_fixup_f32 v32, v81, v33, v77
	v_fma_mixhi_f16 v30, v88, v39, 0
	v_div_fmas_f32 v83, v83, v105, v112
	v_div_fixup_f32 v36, v82, v36, v84
	s_delay_alu instid0(VALU_DEP_4) | instskip(NEXT) | instid1(VALU_DEP_3)
	v_fma_mixlo_f16 v32, v89, v32, 0
	v_div_fixup_f32 v33, v83, v31, v37
	v_fma_mixlo_f16 v31, v90, v41, 0
	v_div_fixup_f32 v37, v40, v78, v75
	s_delay_alu instid0(VALU_DEP_3) | instskip(NEXT) | instid1(VALU_DEP_3)
	v_fma_mixlo_f16 v33, v87, v33, 0
	v_fma_mixhi_f16 v31, v86, v35, 0
	s_delay_alu instid0(VALU_DEP_3) | instskip(NEXT) | instid1(VALU_DEP_3)
	v_fma_mixhi_f16 v32, v85, v37, 0
	v_fma_mixhi_f16 v33, v94, v36, 0
	ds_store_b128 v45, v[24:27]
	ds_store_b128 v45, v[30:33] offset:16
	; wave barrier
	ds_load_b128 v[24:27], v43
	ds_load_b128 v[28:31], v44 offset:512
	v_add_co_u32 v32, vcc_lo, v56, s18
	v_add_co_ci_u32_e32 v33, vcc_lo, s19, v57, vcc_lo
	s_waitcnt lgkmcnt(1)
	v_lshrrev_b32_e32 v36, 16, v27
	v_alignbit_b32 v35, v26, v25, 16
	v_alignbit_b32 v34, v25, v24, 16
	;; [unrolled: 1-line block ×3, first 2 shown]
	s_clause 0x3
	global_store_b16 v[32:33], v24, off
	global_store_b16 v[32:33], v36, off offset:14
	global_store_b32 v[32:33], v25, off offset:10
	global_store_b64 v[32:33], v[34:35], off offset:2
	s_waitcnt lgkmcnt(0)
	global_store_b128 v[32:33], v[28:31], off offset:512
	s_cbranch_scc1 .LBB81_88
.LBB81_12:                              ; =>This Loop Header: Depth=1
                                        ;     Child Loop BB81_55 Depth 2
	v_add_co_u32 v24, s14, s51, v73
	s_delay_alu instid0(VALU_DEP_1) | instskip(NEXT) | instid1(VALU_DEP_2)
	v_add_co_ci_u32_e64 v25, null, s55, 0, s14
	v_add_co_u32 v24, vcc_lo, v24, v74
	s_delay_alu instid0(VALU_DEP_2)
	v_add_co_ci_u32_e32 v25, vcc_lo, 0, v25, vcc_lo
	s_waitcnt_vscnt null, 0x0
	s_barrier
	buffer_gl0_inv
	s_and_saveexec_b32 s14, s0
	s_cbranch_execz .LBB81_14
; %bb.13:                               ;   in Loop: Header=BB81_12 Depth=1
	global_load_b128 v[20:23], v[24:25], off
.LBB81_14:                              ;   in Loop: Header=BB81_12 Depth=1
	s_or_b32 exec_lo, exec_lo, s14
	s_and_saveexec_b32 s14, s1
	s_cbranch_execz .LBB81_16
; %bb.15:                               ;   in Loop: Header=BB81_12 Depth=1
	global_load_b128 v[16:19], v[24:25], off offset:512
.LBB81_16:                              ;   in Loop: Header=BB81_12 Depth=1
	s_or_b32 exec_lo, exec_lo, s14
	s_waitcnt vmcnt(0)
	ds_store_b128 v43, v[20:23]
	ds_store_b128 v44, v[16:19] offset:512
	; wave barrier
	ds_load_b128 v[20:23], v45
	ds_load_b128 v[16:19], v45 offset:16
	v_add_co_u32 v24, s14, s58, v73
	s_delay_alu instid0(VALU_DEP_1) | instskip(SKIP_1) | instid1(VALU_DEP_2)
	v_add_co_ci_u32_e64 v25, null, s44, 0, s14
	s_waitcnt lgkmcnt(0)
	v_add_co_u32 v24, vcc_lo, v24, v74
	s_delay_alu instid0(VALU_DEP_2)
	v_add_co_ci_u32_e32 v25, vcc_lo, 0, v25, vcc_lo
	s_barrier
	buffer_gl0_inv
	s_and_saveexec_b32 s14, s0
	s_cbranch_execz .LBB81_18
; %bb.17:                               ;   in Loop: Header=BB81_12 Depth=1
	global_load_b128 v[12:15], v[24:25], off
.LBB81_18:                              ;   in Loop: Header=BB81_12 Depth=1
	s_or_b32 exec_lo, exec_lo, s14
	s_and_saveexec_b32 s14, s1
	s_cbranch_execz .LBB81_20
; %bb.19:                               ;   in Loop: Header=BB81_12 Depth=1
	global_load_b128 v[8:11], v[24:25], off offset:512
.LBB81_20:                              ;   in Loop: Header=BB81_12 Depth=1
	s_or_b32 exec_lo, exec_lo, s14
	s_waitcnt vmcnt(0)
	ds_store_b128 v43, v[12:15]
	ds_store_b128 v44, v[8:11] offset:512
	; wave barrier
	ds_load_b128 v[12:15], v45
	ds_load_b128 v[8:11], v45 offset:16
	s_waitcnt lgkmcnt(1)
	v_cvt_f32_f16_e32 v24, v12
	s_delay_alu instid0(VALU_DEP_1) | instskip(NEXT) | instid1(VALU_DEP_1)
	v_add_f32_e32 v75, s56, v24
	v_cmp_ge_f32_e32 vcc_lo, 0x41a00000, v75
	s_and_b32 s14, s66, vcc_lo
	s_delay_alu instid0(SALU_CYCLE_1)
	s_and_saveexec_b32 s15, s14
	s_cbranch_execz .LBB81_22
; %bb.21:                               ;   in Loop: Header=BB81_12 Depth=1
	v_mul_f32_e32 v24, 0x3fb8aa3b, v75
	v_cmp_ngt_f32_e32 vcc_lo, 0xc2ce8ed0, v75
	s_delay_alu instid0(VALU_DEP_2) | instskip(SKIP_1) | instid1(VALU_DEP_2)
	v_rndne_f32_e32 v25, v24
	v_fma_f32 v26, 0x3fb8aa3b, v75, -v24
	v_sub_f32_e32 v24, v24, v25
	s_delay_alu instid0(VALU_DEP_2) | instskip(SKIP_1) | instid1(VALU_DEP_2)
	v_fmac_f32_e32 v26, 0x32a5705f, v75
	v_cvt_i32_f32_e32 v25, v25
	v_add_f32_e32 v24, v24, v26
	s_delay_alu instid0(VALU_DEP_1) | instskip(SKIP_2) | instid1(VALU_DEP_1)
	v_exp_f32_e32 v24, v24
	s_waitcnt_depctr 0xfff
	v_ldexp_f32 v24, v24, v25
	v_cndmask_b32_e32 v24, 0, v24, vcc_lo
	v_cmp_nlt_f32_e32 vcc_lo, 0x42b17218, v75
	s_delay_alu instid0(VALU_DEP_2) | instskip(NEXT) | instid1(VALU_DEP_1)
	v_cndmask_b32_e32 v26, 0x7f800000, v24, vcc_lo
	v_add_f32_e32 v27, 1.0, v26
	s_delay_alu instid0(VALU_DEP_1) | instskip(NEXT) | instid1(VALU_DEP_1)
	v_cvt_f64_f32_e32 v[24:25], v27
	v_frexp_exp_i32_f64_e32 v24, v[24:25]
	v_frexp_mant_f32_e32 v25, v27
	s_delay_alu instid0(VALU_DEP_1) | instskip(SKIP_1) | instid1(VALU_DEP_1)
	v_cmp_gt_f32_e32 vcc_lo, 0x3f2aaaab, v25
	v_add_f32_e32 v25, -1.0, v27
	v_sub_f32_e32 v29, v25, v27
	v_sub_f32_e32 v25, v26, v25
	s_delay_alu instid0(VALU_DEP_2) | instskip(NEXT) | instid1(VALU_DEP_1)
	v_add_f32_e32 v29, 1.0, v29
	v_add_f32_e32 v25, v25, v29
	v_cmp_gt_f32_e64 s14, 0x33800000, v26
	v_subrev_co_ci_u32_e32 v24, vcc_lo, 0, v24, vcc_lo
	v_cmp_eq_f32_e32 vcc_lo, 0x7f800000, v26
	s_delay_alu instid0(VALU_DEP_2) | instskip(SKIP_2) | instid1(VALU_DEP_2)
	v_sub_nc_u32_e32 v28, 0, v24
	v_cvt_f32_i32_e32 v24, v24
	s_or_b32 vcc_lo, s14, vcc_lo
	v_ldexp_f32 v27, v27, v28
	v_ldexp_f32 v25, v25, v28
	s_delay_alu instid0(VALU_DEP_2) | instskip(NEXT) | instid1(VALU_DEP_1)
	v_add_f32_e32 v30, 1.0, v27
	v_dual_add_f32 v28, -1.0, v27 :: v_dual_add_f32 v29, -1.0, v30
	s_delay_alu instid0(VALU_DEP_1) | instskip(NEXT) | instid1(VALU_DEP_2)
	v_add_f32_e32 v31, 1.0, v28
	v_sub_f32_e32 v29, v27, v29
	s_delay_alu instid0(VALU_DEP_2) | instskip(NEXT) | instid1(VALU_DEP_2)
	v_sub_f32_e32 v27, v27, v31
	v_add_f32_e32 v29, v25, v29
	s_delay_alu instid0(VALU_DEP_2) | instskip(NEXT) | instid1(VALU_DEP_1)
	v_add_f32_e32 v25, v25, v27
	v_add_f32_e32 v32, v28, v25
	s_delay_alu instid0(VALU_DEP_1) | instskip(NEXT) | instid1(VALU_DEP_1)
	v_dual_add_f32 v31, v30, v29 :: v_dual_sub_f32 v28, v28, v32
	v_rcp_f32_e32 v27, v31
	v_sub_f32_e32 v30, v30, v31
	s_delay_alu instid0(VALU_DEP_1) | instskip(SKIP_2) | instid1(VALU_DEP_1)
	v_add_f32_e32 v29, v29, v30
	s_waitcnt_depctr 0xfff
	v_mul_f32_e32 v33, v32, v27
	v_mul_f32_e32 v34, v31, v33
	s_delay_alu instid0(VALU_DEP_1) | instskip(NEXT) | instid1(VALU_DEP_1)
	v_fma_f32 v30, v33, v31, -v34
	v_fmac_f32_e32 v30, v33, v29
	s_delay_alu instid0(VALU_DEP_1) | instskip(NEXT) | instid1(VALU_DEP_1)
	v_add_f32_e32 v35, v34, v30
	v_sub_f32_e32 v36, v32, v35
	s_delay_alu instid0(VALU_DEP_1) | instskip(SKIP_1) | instid1(VALU_DEP_2)
	v_sub_f32_e32 v32, v32, v36
	v_dual_add_f32 v25, v25, v28 :: v_dual_sub_f32 v28, v35, v34
	v_sub_f32_e32 v32, v32, v35
	s_delay_alu instid0(VALU_DEP_1) | instskip(NEXT) | instid1(VALU_DEP_1)
	v_dual_sub_f32 v28, v28, v30 :: v_dual_add_f32 v25, v25, v32
	v_add_f32_e32 v25, v28, v25
	s_delay_alu instid0(VALU_DEP_1) | instskip(NEXT) | instid1(VALU_DEP_1)
	v_add_f32_e32 v28, v36, v25
	v_mul_f32_e32 v30, v27, v28
	s_delay_alu instid0(VALU_DEP_1) | instskip(NEXT) | instid1(VALU_DEP_1)
	v_dual_sub_f32 v35, v36, v28 :: v_dual_mul_f32 v32, v31, v30
	v_add_f32_e32 v25, v25, v35
	s_delay_alu instid0(VALU_DEP_2) | instskip(NEXT) | instid1(VALU_DEP_1)
	v_fma_f32 v31, v30, v31, -v32
	v_fmac_f32_e32 v31, v30, v29
	s_delay_alu instid0(VALU_DEP_1) | instskip(NEXT) | instid1(VALU_DEP_1)
	v_add_f32_e32 v29, v32, v31
	v_sub_f32_e32 v34, v28, v29
	s_delay_alu instid0(VALU_DEP_1) | instskip(NEXT) | instid1(VALU_DEP_1)
	v_sub_f32_e32 v28, v28, v34
	v_sub_f32_e32 v28, v28, v29
	s_delay_alu instid0(VALU_DEP_1) | instskip(SKIP_2) | instid1(VALU_DEP_1)
	v_add_f32_e32 v25, v25, v28
	v_add_f32_e32 v28, v33, v30
	v_sub_f32_e32 v32, v29, v32
	v_sub_f32_e32 v29, v32, v31
	s_delay_alu instid0(VALU_DEP_1) | instskip(NEXT) | instid1(VALU_DEP_4)
	v_add_f32_e32 v25, v29, v25
	v_sub_f32_e32 v29, v28, v33
	s_delay_alu instid0(VALU_DEP_2) | instskip(NEXT) | instid1(VALU_DEP_2)
	v_add_f32_e32 v25, v34, v25
	v_sub_f32_e32 v29, v30, v29
	s_delay_alu instid0(VALU_DEP_2) | instskip(NEXT) | instid1(VALU_DEP_1)
	v_mul_f32_e32 v25, v27, v25
	v_add_f32_e32 v25, v29, v25
	s_delay_alu instid0(VALU_DEP_1) | instskip(NEXT) | instid1(VALU_DEP_1)
	v_add_f32_e32 v27, v28, v25
	v_mul_f32_e32 v29, v27, v27
	s_delay_alu instid0(VALU_DEP_1) | instskip(SKIP_1) | instid1(VALU_DEP_2)
	v_fmaak_f32 v30, s54, v29, 0x3ecc95a3
	v_mul_f32_e32 v31, v27, v29
	v_fmaak_f32 v29, v29, v30, 0x3f2aaada
	v_ldexp_f32 v30, v27, 1
	s_delay_alu instid0(VALU_DEP_2) | instskip(SKIP_1) | instid1(VALU_DEP_2)
	v_mul_f32_e32 v29, v31, v29
	v_sub_f32_e32 v27, v27, v28
	v_dual_mul_f32 v31, 0x3f317218, v24 :: v_dual_add_f32 v28, v30, v29
	s_delay_alu instid0(VALU_DEP_2) | instskip(NEXT) | instid1(VALU_DEP_2)
	v_sub_f32_e32 v25, v25, v27
	v_sub_f32_e32 v27, v28, v30
	s_delay_alu instid0(VALU_DEP_3) | instskip(NEXT) | instid1(VALU_DEP_3)
	v_fma_f32 v30, 0x3f317218, v24, -v31
	v_ldexp_f32 v25, v25, 1
	s_delay_alu instid0(VALU_DEP_2) | instskip(NEXT) | instid1(VALU_DEP_1)
	v_dual_sub_f32 v27, v29, v27 :: v_dual_fmac_f32 v30, 0xb102e308, v24
	v_dual_add_f32 v24, v25, v27 :: v_dual_add_f32 v25, v31, v30
	s_delay_alu instid0(VALU_DEP_1) | instskip(NEXT) | instid1(VALU_DEP_1)
	v_add_f32_e32 v27, v28, v24
	v_dual_add_f32 v29, v25, v27 :: v_dual_sub_f32 v28, v27, v28
	s_delay_alu instid0(VALU_DEP_1) | instskip(NEXT) | instid1(VALU_DEP_2)
	v_sub_f32_e32 v32, v29, v25
	v_dual_sub_f32 v31, v25, v31 :: v_dual_sub_f32 v24, v24, v28
	s_delay_alu instid0(VALU_DEP_1) | instskip(SKIP_1) | instid1(VALU_DEP_2)
	v_dual_sub_f32 v33, v29, v32 :: v_dual_sub_f32 v30, v30, v31
	v_sub_f32_e32 v27, v27, v32
	v_dual_sub_f32 v25, v25, v33 :: v_dual_add_f32 v28, v30, v24
	s_delay_alu instid0(VALU_DEP_1) | instskip(NEXT) | instid1(VALU_DEP_2)
	v_add_f32_e32 v25, v27, v25
	v_sub_f32_e32 v27, v28, v30
	s_delay_alu instid0(VALU_DEP_2) | instskip(NEXT) | instid1(VALU_DEP_2)
	v_add_f32_e32 v25, v28, v25
	v_sub_f32_e32 v28, v28, v27
	s_delay_alu instid0(VALU_DEP_2) | instskip(NEXT) | instid1(VALU_DEP_1)
	v_dual_sub_f32 v24, v24, v27 :: v_dual_add_f32 v31, v29, v25
	v_dual_sub_f32 v28, v30, v28 :: v_dual_sub_f32 v27, v31, v29
	s_delay_alu instid0(VALU_DEP_1) | instskip(NEXT) | instid1(VALU_DEP_1)
	v_dual_add_f32 v24, v24, v28 :: v_dual_sub_f32 v25, v25, v27
	v_add_f32_e32 v24, v24, v25
	s_delay_alu instid0(VALU_DEP_1) | instskip(NEXT) | instid1(VALU_DEP_1)
	v_add_f32_e32 v24, v31, v24
	v_cndmask_b32_e32 v75, v24, v26, vcc_lo
.LBB81_22:                              ;   in Loop: Header=BB81_12 Depth=1
	s_or_b32 exec_lo, exec_lo, s15
	v_lshrrev_b32_e32 v24, 16, v12
	s_delay_alu instid0(VALU_DEP_1) | instskip(NEXT) | instid1(VALU_DEP_1)
	v_cvt_f32_f16_e32 v24, v24
	v_add_f32_e32 v76, s56, v24
	s_delay_alu instid0(VALU_DEP_1) | instskip(SKIP_1) | instid1(SALU_CYCLE_1)
	v_cmp_ge_f32_e32 vcc_lo, 0x41a00000, v76
	s_and_b32 s14, s66, vcc_lo
	s_and_saveexec_b32 s15, s14
	s_cbranch_execz .LBB81_24
; %bb.23:                               ;   in Loop: Header=BB81_12 Depth=1
	v_mul_f32_e32 v24, 0x3fb8aa3b, v76
	v_cmp_ngt_f32_e32 vcc_lo, 0xc2ce8ed0, v76
	s_delay_alu instid0(VALU_DEP_2) | instskip(SKIP_1) | instid1(VALU_DEP_2)
	v_rndne_f32_e32 v25, v24
	v_fma_f32 v26, 0x3fb8aa3b, v76, -v24
	v_sub_f32_e32 v24, v24, v25
	s_delay_alu instid0(VALU_DEP_2) | instskip(SKIP_1) | instid1(VALU_DEP_2)
	v_fmac_f32_e32 v26, 0x32a5705f, v76
	v_cvt_i32_f32_e32 v25, v25
	v_add_f32_e32 v24, v24, v26
	s_delay_alu instid0(VALU_DEP_1) | instskip(SKIP_2) | instid1(VALU_DEP_1)
	v_exp_f32_e32 v24, v24
	s_waitcnt_depctr 0xfff
	v_ldexp_f32 v24, v24, v25
	v_cndmask_b32_e32 v24, 0, v24, vcc_lo
	v_cmp_nlt_f32_e32 vcc_lo, 0x42b17218, v76
	s_delay_alu instid0(VALU_DEP_2) | instskip(NEXT) | instid1(VALU_DEP_1)
	v_cndmask_b32_e32 v26, 0x7f800000, v24, vcc_lo
	v_add_f32_e32 v27, 1.0, v26
	s_delay_alu instid0(VALU_DEP_1) | instskip(NEXT) | instid1(VALU_DEP_1)
	v_cvt_f64_f32_e32 v[24:25], v27
	v_frexp_exp_i32_f64_e32 v24, v[24:25]
	v_frexp_mant_f32_e32 v25, v27
	s_delay_alu instid0(VALU_DEP_1) | instskip(SKIP_1) | instid1(VALU_DEP_1)
	v_cmp_gt_f32_e32 vcc_lo, 0x3f2aaaab, v25
	v_add_f32_e32 v25, -1.0, v27
	v_sub_f32_e32 v29, v25, v27
	v_sub_f32_e32 v25, v26, v25
	s_delay_alu instid0(VALU_DEP_2) | instskip(NEXT) | instid1(VALU_DEP_1)
	v_add_f32_e32 v29, 1.0, v29
	v_add_f32_e32 v25, v25, v29
	v_cmp_gt_f32_e64 s14, 0x33800000, v26
	v_subrev_co_ci_u32_e32 v24, vcc_lo, 0, v24, vcc_lo
	v_cmp_eq_f32_e32 vcc_lo, 0x7f800000, v26
	s_delay_alu instid0(VALU_DEP_2) | instskip(SKIP_2) | instid1(VALU_DEP_2)
	v_sub_nc_u32_e32 v28, 0, v24
	v_cvt_f32_i32_e32 v24, v24
	s_or_b32 vcc_lo, s14, vcc_lo
	v_ldexp_f32 v27, v27, v28
	v_ldexp_f32 v25, v25, v28
	s_delay_alu instid0(VALU_DEP_2) | instskip(NEXT) | instid1(VALU_DEP_1)
	v_add_f32_e32 v30, 1.0, v27
	v_dual_add_f32 v28, -1.0, v27 :: v_dual_add_f32 v29, -1.0, v30
	s_delay_alu instid0(VALU_DEP_1) | instskip(NEXT) | instid1(VALU_DEP_2)
	v_add_f32_e32 v31, 1.0, v28
	v_sub_f32_e32 v29, v27, v29
	s_delay_alu instid0(VALU_DEP_2) | instskip(NEXT) | instid1(VALU_DEP_2)
	v_sub_f32_e32 v27, v27, v31
	v_add_f32_e32 v29, v25, v29
	s_delay_alu instid0(VALU_DEP_2) | instskip(NEXT) | instid1(VALU_DEP_1)
	v_add_f32_e32 v25, v25, v27
	v_add_f32_e32 v32, v28, v25
	s_delay_alu instid0(VALU_DEP_1) | instskip(NEXT) | instid1(VALU_DEP_1)
	v_dual_add_f32 v31, v30, v29 :: v_dual_sub_f32 v28, v28, v32
	v_rcp_f32_e32 v27, v31
	v_sub_f32_e32 v30, v30, v31
	s_delay_alu instid0(VALU_DEP_1) | instskip(SKIP_2) | instid1(VALU_DEP_1)
	v_add_f32_e32 v29, v29, v30
	s_waitcnt_depctr 0xfff
	v_mul_f32_e32 v33, v32, v27
	v_mul_f32_e32 v34, v31, v33
	s_delay_alu instid0(VALU_DEP_1) | instskip(NEXT) | instid1(VALU_DEP_1)
	v_fma_f32 v30, v33, v31, -v34
	v_fmac_f32_e32 v30, v33, v29
	s_delay_alu instid0(VALU_DEP_1) | instskip(NEXT) | instid1(VALU_DEP_1)
	v_add_f32_e32 v35, v34, v30
	v_sub_f32_e32 v36, v32, v35
	s_delay_alu instid0(VALU_DEP_1) | instskip(SKIP_1) | instid1(VALU_DEP_2)
	v_sub_f32_e32 v32, v32, v36
	v_dual_add_f32 v25, v25, v28 :: v_dual_sub_f32 v28, v35, v34
	v_sub_f32_e32 v32, v32, v35
	s_delay_alu instid0(VALU_DEP_1) | instskip(NEXT) | instid1(VALU_DEP_1)
	v_dual_sub_f32 v28, v28, v30 :: v_dual_add_f32 v25, v25, v32
	v_add_f32_e32 v25, v28, v25
	s_delay_alu instid0(VALU_DEP_1) | instskip(NEXT) | instid1(VALU_DEP_1)
	v_add_f32_e32 v28, v36, v25
	v_mul_f32_e32 v30, v27, v28
	s_delay_alu instid0(VALU_DEP_1) | instskip(NEXT) | instid1(VALU_DEP_1)
	v_dual_sub_f32 v35, v36, v28 :: v_dual_mul_f32 v32, v31, v30
	v_add_f32_e32 v25, v25, v35
	s_delay_alu instid0(VALU_DEP_2) | instskip(NEXT) | instid1(VALU_DEP_1)
	v_fma_f32 v31, v30, v31, -v32
	v_fmac_f32_e32 v31, v30, v29
	s_delay_alu instid0(VALU_DEP_1) | instskip(NEXT) | instid1(VALU_DEP_1)
	v_add_f32_e32 v29, v32, v31
	v_sub_f32_e32 v34, v28, v29
	s_delay_alu instid0(VALU_DEP_1) | instskip(NEXT) | instid1(VALU_DEP_1)
	v_sub_f32_e32 v28, v28, v34
	v_sub_f32_e32 v28, v28, v29
	s_delay_alu instid0(VALU_DEP_1) | instskip(SKIP_2) | instid1(VALU_DEP_1)
	v_add_f32_e32 v25, v25, v28
	v_add_f32_e32 v28, v33, v30
	v_sub_f32_e32 v32, v29, v32
	v_sub_f32_e32 v29, v32, v31
	s_delay_alu instid0(VALU_DEP_1) | instskip(NEXT) | instid1(VALU_DEP_4)
	v_add_f32_e32 v25, v29, v25
	v_sub_f32_e32 v29, v28, v33
	s_delay_alu instid0(VALU_DEP_2) | instskip(NEXT) | instid1(VALU_DEP_2)
	v_add_f32_e32 v25, v34, v25
	v_sub_f32_e32 v29, v30, v29
	s_delay_alu instid0(VALU_DEP_2) | instskip(NEXT) | instid1(VALU_DEP_1)
	v_mul_f32_e32 v25, v27, v25
	v_add_f32_e32 v25, v29, v25
	s_delay_alu instid0(VALU_DEP_1) | instskip(NEXT) | instid1(VALU_DEP_1)
	v_add_f32_e32 v27, v28, v25
	v_mul_f32_e32 v29, v27, v27
	s_delay_alu instid0(VALU_DEP_1) | instskip(SKIP_1) | instid1(VALU_DEP_2)
	v_fmaak_f32 v30, s54, v29, 0x3ecc95a3
	v_mul_f32_e32 v31, v27, v29
	v_fmaak_f32 v29, v29, v30, 0x3f2aaada
	v_ldexp_f32 v30, v27, 1
	s_delay_alu instid0(VALU_DEP_2) | instskip(SKIP_1) | instid1(VALU_DEP_2)
	v_mul_f32_e32 v29, v31, v29
	v_sub_f32_e32 v27, v27, v28
	v_dual_mul_f32 v31, 0x3f317218, v24 :: v_dual_add_f32 v28, v30, v29
	s_delay_alu instid0(VALU_DEP_2) | instskip(NEXT) | instid1(VALU_DEP_2)
	v_sub_f32_e32 v25, v25, v27
	v_sub_f32_e32 v27, v28, v30
	s_delay_alu instid0(VALU_DEP_3) | instskip(NEXT) | instid1(VALU_DEP_3)
	v_fma_f32 v30, 0x3f317218, v24, -v31
	v_ldexp_f32 v25, v25, 1
	s_delay_alu instid0(VALU_DEP_2) | instskip(NEXT) | instid1(VALU_DEP_1)
	v_dual_sub_f32 v27, v29, v27 :: v_dual_fmac_f32 v30, 0xb102e308, v24
	v_dual_add_f32 v24, v25, v27 :: v_dual_add_f32 v25, v31, v30
	s_delay_alu instid0(VALU_DEP_1) | instskip(NEXT) | instid1(VALU_DEP_1)
	v_add_f32_e32 v27, v28, v24
	v_dual_add_f32 v29, v25, v27 :: v_dual_sub_f32 v28, v27, v28
	s_delay_alu instid0(VALU_DEP_1) | instskip(NEXT) | instid1(VALU_DEP_2)
	v_sub_f32_e32 v32, v29, v25
	v_dual_sub_f32 v31, v25, v31 :: v_dual_sub_f32 v24, v24, v28
	s_delay_alu instid0(VALU_DEP_1) | instskip(SKIP_1) | instid1(VALU_DEP_2)
	v_dual_sub_f32 v33, v29, v32 :: v_dual_sub_f32 v30, v30, v31
	v_sub_f32_e32 v27, v27, v32
	v_dual_sub_f32 v25, v25, v33 :: v_dual_add_f32 v28, v30, v24
	s_delay_alu instid0(VALU_DEP_1) | instskip(NEXT) | instid1(VALU_DEP_2)
	v_add_f32_e32 v25, v27, v25
	v_sub_f32_e32 v27, v28, v30
	s_delay_alu instid0(VALU_DEP_2) | instskip(NEXT) | instid1(VALU_DEP_2)
	v_add_f32_e32 v25, v28, v25
	v_sub_f32_e32 v28, v28, v27
	s_delay_alu instid0(VALU_DEP_2) | instskip(NEXT) | instid1(VALU_DEP_1)
	v_dual_sub_f32 v24, v24, v27 :: v_dual_add_f32 v31, v29, v25
	v_dual_sub_f32 v28, v30, v28 :: v_dual_sub_f32 v27, v31, v29
	s_delay_alu instid0(VALU_DEP_1) | instskip(NEXT) | instid1(VALU_DEP_1)
	v_dual_add_f32 v24, v24, v28 :: v_dual_sub_f32 v25, v25, v27
	v_add_f32_e32 v24, v24, v25
	s_delay_alu instid0(VALU_DEP_1) | instskip(NEXT) | instid1(VALU_DEP_1)
	v_add_f32_e32 v24, v31, v24
	v_cndmask_b32_e32 v76, v24, v26, vcc_lo
.LBB81_24:                              ;   in Loop: Header=BB81_12 Depth=1
	s_or_b32 exec_lo, exec_lo, s15
	v_cvt_f32_f16_e32 v24, v13
	s_delay_alu instid0(VALU_DEP_1) | instskip(NEXT) | instid1(VALU_DEP_1)
	v_add_f32_e32 v77, s56, v24
	v_cmp_ge_f32_e32 vcc_lo, 0x41a00000, v77
	s_and_b32 s14, s66, vcc_lo
	s_delay_alu instid0(SALU_CYCLE_1)
	s_and_saveexec_b32 s15, s14
	s_cbranch_execz .LBB81_26
; %bb.25:                               ;   in Loop: Header=BB81_12 Depth=1
	v_mul_f32_e32 v24, 0x3fb8aa3b, v77
	v_cmp_ngt_f32_e32 vcc_lo, 0xc2ce8ed0, v77
	s_delay_alu instid0(VALU_DEP_2) | instskip(SKIP_1) | instid1(VALU_DEP_2)
	v_rndne_f32_e32 v25, v24
	v_fma_f32 v26, 0x3fb8aa3b, v77, -v24
	v_sub_f32_e32 v24, v24, v25
	s_delay_alu instid0(VALU_DEP_2) | instskip(SKIP_1) | instid1(VALU_DEP_2)
	v_fmac_f32_e32 v26, 0x32a5705f, v77
	v_cvt_i32_f32_e32 v25, v25
	v_add_f32_e32 v24, v24, v26
	s_delay_alu instid0(VALU_DEP_1) | instskip(SKIP_2) | instid1(VALU_DEP_1)
	v_exp_f32_e32 v24, v24
	s_waitcnt_depctr 0xfff
	v_ldexp_f32 v24, v24, v25
	v_cndmask_b32_e32 v24, 0, v24, vcc_lo
	v_cmp_nlt_f32_e32 vcc_lo, 0x42b17218, v77
	s_delay_alu instid0(VALU_DEP_2) | instskip(NEXT) | instid1(VALU_DEP_1)
	v_cndmask_b32_e32 v26, 0x7f800000, v24, vcc_lo
	v_add_f32_e32 v27, 1.0, v26
	s_delay_alu instid0(VALU_DEP_1) | instskip(NEXT) | instid1(VALU_DEP_1)
	v_cvt_f64_f32_e32 v[24:25], v27
	v_frexp_exp_i32_f64_e32 v24, v[24:25]
	v_frexp_mant_f32_e32 v25, v27
	s_delay_alu instid0(VALU_DEP_1) | instskip(SKIP_1) | instid1(VALU_DEP_1)
	v_cmp_gt_f32_e32 vcc_lo, 0x3f2aaaab, v25
	v_add_f32_e32 v25, -1.0, v27
	v_sub_f32_e32 v29, v25, v27
	v_sub_f32_e32 v25, v26, v25
	s_delay_alu instid0(VALU_DEP_2) | instskip(NEXT) | instid1(VALU_DEP_1)
	v_add_f32_e32 v29, 1.0, v29
	v_add_f32_e32 v25, v25, v29
	v_cmp_gt_f32_e64 s14, 0x33800000, v26
	v_subrev_co_ci_u32_e32 v24, vcc_lo, 0, v24, vcc_lo
	v_cmp_eq_f32_e32 vcc_lo, 0x7f800000, v26
	s_delay_alu instid0(VALU_DEP_2) | instskip(SKIP_2) | instid1(VALU_DEP_2)
	v_sub_nc_u32_e32 v28, 0, v24
	v_cvt_f32_i32_e32 v24, v24
	s_or_b32 vcc_lo, s14, vcc_lo
	v_ldexp_f32 v27, v27, v28
	v_ldexp_f32 v25, v25, v28
	s_delay_alu instid0(VALU_DEP_2) | instskip(NEXT) | instid1(VALU_DEP_1)
	v_add_f32_e32 v30, 1.0, v27
	v_dual_add_f32 v28, -1.0, v27 :: v_dual_add_f32 v29, -1.0, v30
	s_delay_alu instid0(VALU_DEP_1) | instskip(NEXT) | instid1(VALU_DEP_2)
	v_add_f32_e32 v31, 1.0, v28
	v_sub_f32_e32 v29, v27, v29
	s_delay_alu instid0(VALU_DEP_2) | instskip(NEXT) | instid1(VALU_DEP_2)
	v_sub_f32_e32 v27, v27, v31
	v_add_f32_e32 v29, v25, v29
	s_delay_alu instid0(VALU_DEP_2) | instskip(NEXT) | instid1(VALU_DEP_1)
	v_add_f32_e32 v25, v25, v27
	v_add_f32_e32 v32, v28, v25
	s_delay_alu instid0(VALU_DEP_1) | instskip(NEXT) | instid1(VALU_DEP_1)
	v_dual_add_f32 v31, v30, v29 :: v_dual_sub_f32 v28, v28, v32
	v_rcp_f32_e32 v27, v31
	v_sub_f32_e32 v30, v30, v31
	s_delay_alu instid0(VALU_DEP_1) | instskip(SKIP_2) | instid1(VALU_DEP_1)
	v_add_f32_e32 v29, v29, v30
	s_waitcnt_depctr 0xfff
	v_mul_f32_e32 v33, v32, v27
	v_mul_f32_e32 v34, v31, v33
	s_delay_alu instid0(VALU_DEP_1) | instskip(NEXT) | instid1(VALU_DEP_1)
	v_fma_f32 v30, v33, v31, -v34
	v_fmac_f32_e32 v30, v33, v29
	s_delay_alu instid0(VALU_DEP_1) | instskip(NEXT) | instid1(VALU_DEP_1)
	v_add_f32_e32 v35, v34, v30
	v_sub_f32_e32 v36, v32, v35
	s_delay_alu instid0(VALU_DEP_1) | instskip(SKIP_1) | instid1(VALU_DEP_2)
	v_sub_f32_e32 v32, v32, v36
	v_dual_add_f32 v25, v25, v28 :: v_dual_sub_f32 v28, v35, v34
	v_sub_f32_e32 v32, v32, v35
	s_delay_alu instid0(VALU_DEP_1) | instskip(NEXT) | instid1(VALU_DEP_1)
	v_dual_sub_f32 v28, v28, v30 :: v_dual_add_f32 v25, v25, v32
	v_add_f32_e32 v25, v28, v25
	s_delay_alu instid0(VALU_DEP_1) | instskip(NEXT) | instid1(VALU_DEP_1)
	v_add_f32_e32 v28, v36, v25
	v_mul_f32_e32 v30, v27, v28
	s_delay_alu instid0(VALU_DEP_1) | instskip(NEXT) | instid1(VALU_DEP_1)
	v_dual_sub_f32 v35, v36, v28 :: v_dual_mul_f32 v32, v31, v30
	v_add_f32_e32 v25, v25, v35
	s_delay_alu instid0(VALU_DEP_2) | instskip(NEXT) | instid1(VALU_DEP_1)
	v_fma_f32 v31, v30, v31, -v32
	v_fmac_f32_e32 v31, v30, v29
	s_delay_alu instid0(VALU_DEP_1) | instskip(NEXT) | instid1(VALU_DEP_1)
	v_add_f32_e32 v29, v32, v31
	v_sub_f32_e32 v34, v28, v29
	s_delay_alu instid0(VALU_DEP_1) | instskip(NEXT) | instid1(VALU_DEP_1)
	v_sub_f32_e32 v28, v28, v34
	v_sub_f32_e32 v28, v28, v29
	s_delay_alu instid0(VALU_DEP_1) | instskip(SKIP_2) | instid1(VALU_DEP_1)
	v_add_f32_e32 v25, v25, v28
	v_add_f32_e32 v28, v33, v30
	v_sub_f32_e32 v32, v29, v32
	v_sub_f32_e32 v29, v32, v31
	s_delay_alu instid0(VALU_DEP_1) | instskip(NEXT) | instid1(VALU_DEP_4)
	v_add_f32_e32 v25, v29, v25
	v_sub_f32_e32 v29, v28, v33
	s_delay_alu instid0(VALU_DEP_2) | instskip(NEXT) | instid1(VALU_DEP_2)
	v_add_f32_e32 v25, v34, v25
	v_sub_f32_e32 v29, v30, v29
	s_delay_alu instid0(VALU_DEP_2) | instskip(NEXT) | instid1(VALU_DEP_1)
	v_mul_f32_e32 v25, v27, v25
	v_add_f32_e32 v25, v29, v25
	s_delay_alu instid0(VALU_DEP_1) | instskip(NEXT) | instid1(VALU_DEP_1)
	v_add_f32_e32 v27, v28, v25
	v_mul_f32_e32 v29, v27, v27
	s_delay_alu instid0(VALU_DEP_1) | instskip(SKIP_1) | instid1(VALU_DEP_2)
	v_fmaak_f32 v30, s54, v29, 0x3ecc95a3
	v_mul_f32_e32 v31, v27, v29
	v_fmaak_f32 v29, v29, v30, 0x3f2aaada
	v_ldexp_f32 v30, v27, 1
	s_delay_alu instid0(VALU_DEP_2) | instskip(SKIP_1) | instid1(VALU_DEP_2)
	v_mul_f32_e32 v29, v31, v29
	v_sub_f32_e32 v27, v27, v28
	v_dual_mul_f32 v31, 0x3f317218, v24 :: v_dual_add_f32 v28, v30, v29
	s_delay_alu instid0(VALU_DEP_2) | instskip(NEXT) | instid1(VALU_DEP_2)
	v_sub_f32_e32 v25, v25, v27
	v_sub_f32_e32 v27, v28, v30
	s_delay_alu instid0(VALU_DEP_3) | instskip(NEXT) | instid1(VALU_DEP_3)
	v_fma_f32 v30, 0x3f317218, v24, -v31
	v_ldexp_f32 v25, v25, 1
	s_delay_alu instid0(VALU_DEP_2) | instskip(NEXT) | instid1(VALU_DEP_1)
	v_dual_sub_f32 v27, v29, v27 :: v_dual_fmac_f32 v30, 0xb102e308, v24
	v_dual_add_f32 v24, v25, v27 :: v_dual_add_f32 v25, v31, v30
	s_delay_alu instid0(VALU_DEP_1) | instskip(NEXT) | instid1(VALU_DEP_1)
	v_add_f32_e32 v27, v28, v24
	v_dual_add_f32 v29, v25, v27 :: v_dual_sub_f32 v28, v27, v28
	s_delay_alu instid0(VALU_DEP_1) | instskip(NEXT) | instid1(VALU_DEP_2)
	v_sub_f32_e32 v32, v29, v25
	v_dual_sub_f32 v31, v25, v31 :: v_dual_sub_f32 v24, v24, v28
	s_delay_alu instid0(VALU_DEP_1) | instskip(SKIP_1) | instid1(VALU_DEP_2)
	v_dual_sub_f32 v33, v29, v32 :: v_dual_sub_f32 v30, v30, v31
	v_sub_f32_e32 v27, v27, v32
	v_dual_sub_f32 v25, v25, v33 :: v_dual_add_f32 v28, v30, v24
	s_delay_alu instid0(VALU_DEP_1) | instskip(NEXT) | instid1(VALU_DEP_2)
	v_add_f32_e32 v25, v27, v25
	v_sub_f32_e32 v27, v28, v30
	s_delay_alu instid0(VALU_DEP_2) | instskip(NEXT) | instid1(VALU_DEP_2)
	v_add_f32_e32 v25, v28, v25
	v_sub_f32_e32 v28, v28, v27
	s_delay_alu instid0(VALU_DEP_2) | instskip(NEXT) | instid1(VALU_DEP_1)
	v_dual_sub_f32 v24, v24, v27 :: v_dual_add_f32 v31, v29, v25
	v_dual_sub_f32 v28, v30, v28 :: v_dual_sub_f32 v27, v31, v29
	s_delay_alu instid0(VALU_DEP_1) | instskip(NEXT) | instid1(VALU_DEP_1)
	v_dual_add_f32 v24, v24, v28 :: v_dual_sub_f32 v25, v25, v27
	v_add_f32_e32 v24, v24, v25
	s_delay_alu instid0(VALU_DEP_1) | instskip(NEXT) | instid1(VALU_DEP_1)
	v_add_f32_e32 v24, v31, v24
	v_cndmask_b32_e32 v77, v24, v26, vcc_lo
.LBB81_26:                              ;   in Loop: Header=BB81_12 Depth=1
	s_or_b32 exec_lo, exec_lo, s15
	v_lshrrev_b32_e32 v24, 16, v13
	s_delay_alu instid0(VALU_DEP_1) | instskip(NEXT) | instid1(VALU_DEP_1)
	v_cvt_f32_f16_e32 v24, v24
	v_add_f32_e32 v78, s56, v24
	s_delay_alu instid0(VALU_DEP_1) | instskip(SKIP_1) | instid1(SALU_CYCLE_1)
	v_cmp_ge_f32_e32 vcc_lo, 0x41a00000, v78
	s_and_b32 s14, s66, vcc_lo
	s_and_saveexec_b32 s15, s14
	s_cbranch_execz .LBB81_28
; %bb.27:                               ;   in Loop: Header=BB81_12 Depth=1
	v_mul_f32_e32 v24, 0x3fb8aa3b, v78
	v_cmp_ngt_f32_e32 vcc_lo, 0xc2ce8ed0, v78
	s_delay_alu instid0(VALU_DEP_2) | instskip(SKIP_1) | instid1(VALU_DEP_2)
	v_rndne_f32_e32 v25, v24
	v_fma_f32 v26, 0x3fb8aa3b, v78, -v24
	v_sub_f32_e32 v24, v24, v25
	s_delay_alu instid0(VALU_DEP_2) | instskip(SKIP_1) | instid1(VALU_DEP_2)
	v_fmac_f32_e32 v26, 0x32a5705f, v78
	v_cvt_i32_f32_e32 v25, v25
	v_add_f32_e32 v24, v24, v26
	s_delay_alu instid0(VALU_DEP_1) | instskip(SKIP_2) | instid1(VALU_DEP_1)
	v_exp_f32_e32 v24, v24
	s_waitcnt_depctr 0xfff
	v_ldexp_f32 v24, v24, v25
	v_cndmask_b32_e32 v24, 0, v24, vcc_lo
	v_cmp_nlt_f32_e32 vcc_lo, 0x42b17218, v78
	s_delay_alu instid0(VALU_DEP_2) | instskip(NEXT) | instid1(VALU_DEP_1)
	v_cndmask_b32_e32 v26, 0x7f800000, v24, vcc_lo
	v_add_f32_e32 v27, 1.0, v26
	s_delay_alu instid0(VALU_DEP_1) | instskip(NEXT) | instid1(VALU_DEP_1)
	v_cvt_f64_f32_e32 v[24:25], v27
	v_frexp_exp_i32_f64_e32 v24, v[24:25]
	v_frexp_mant_f32_e32 v25, v27
	s_delay_alu instid0(VALU_DEP_1) | instskip(SKIP_1) | instid1(VALU_DEP_1)
	v_cmp_gt_f32_e32 vcc_lo, 0x3f2aaaab, v25
	v_add_f32_e32 v25, -1.0, v27
	v_sub_f32_e32 v29, v25, v27
	v_sub_f32_e32 v25, v26, v25
	s_delay_alu instid0(VALU_DEP_2) | instskip(NEXT) | instid1(VALU_DEP_1)
	v_add_f32_e32 v29, 1.0, v29
	v_add_f32_e32 v25, v25, v29
	v_cmp_gt_f32_e64 s14, 0x33800000, v26
	v_subrev_co_ci_u32_e32 v24, vcc_lo, 0, v24, vcc_lo
	v_cmp_eq_f32_e32 vcc_lo, 0x7f800000, v26
	s_delay_alu instid0(VALU_DEP_2) | instskip(SKIP_2) | instid1(VALU_DEP_2)
	v_sub_nc_u32_e32 v28, 0, v24
	v_cvt_f32_i32_e32 v24, v24
	s_or_b32 vcc_lo, s14, vcc_lo
	v_ldexp_f32 v27, v27, v28
	v_ldexp_f32 v25, v25, v28
	s_delay_alu instid0(VALU_DEP_2) | instskip(NEXT) | instid1(VALU_DEP_1)
	v_add_f32_e32 v30, 1.0, v27
	v_dual_add_f32 v28, -1.0, v27 :: v_dual_add_f32 v29, -1.0, v30
	s_delay_alu instid0(VALU_DEP_1) | instskip(NEXT) | instid1(VALU_DEP_2)
	v_add_f32_e32 v31, 1.0, v28
	v_sub_f32_e32 v29, v27, v29
	s_delay_alu instid0(VALU_DEP_2) | instskip(NEXT) | instid1(VALU_DEP_2)
	v_sub_f32_e32 v27, v27, v31
	v_add_f32_e32 v29, v25, v29
	s_delay_alu instid0(VALU_DEP_2) | instskip(NEXT) | instid1(VALU_DEP_1)
	v_add_f32_e32 v25, v25, v27
	v_add_f32_e32 v32, v28, v25
	s_delay_alu instid0(VALU_DEP_1) | instskip(NEXT) | instid1(VALU_DEP_1)
	v_dual_add_f32 v31, v30, v29 :: v_dual_sub_f32 v28, v28, v32
	v_rcp_f32_e32 v27, v31
	v_sub_f32_e32 v30, v30, v31
	s_delay_alu instid0(VALU_DEP_1) | instskip(SKIP_2) | instid1(VALU_DEP_1)
	v_add_f32_e32 v29, v29, v30
	s_waitcnt_depctr 0xfff
	v_mul_f32_e32 v33, v32, v27
	v_mul_f32_e32 v34, v31, v33
	s_delay_alu instid0(VALU_DEP_1) | instskip(NEXT) | instid1(VALU_DEP_1)
	v_fma_f32 v30, v33, v31, -v34
	v_fmac_f32_e32 v30, v33, v29
	s_delay_alu instid0(VALU_DEP_1) | instskip(NEXT) | instid1(VALU_DEP_1)
	v_add_f32_e32 v35, v34, v30
	v_sub_f32_e32 v36, v32, v35
	s_delay_alu instid0(VALU_DEP_1) | instskip(SKIP_1) | instid1(VALU_DEP_2)
	v_sub_f32_e32 v32, v32, v36
	v_dual_add_f32 v25, v25, v28 :: v_dual_sub_f32 v28, v35, v34
	v_sub_f32_e32 v32, v32, v35
	s_delay_alu instid0(VALU_DEP_1) | instskip(NEXT) | instid1(VALU_DEP_1)
	v_dual_sub_f32 v28, v28, v30 :: v_dual_add_f32 v25, v25, v32
	v_add_f32_e32 v25, v28, v25
	s_delay_alu instid0(VALU_DEP_1) | instskip(NEXT) | instid1(VALU_DEP_1)
	v_add_f32_e32 v28, v36, v25
	v_mul_f32_e32 v30, v27, v28
	s_delay_alu instid0(VALU_DEP_1) | instskip(NEXT) | instid1(VALU_DEP_1)
	v_dual_sub_f32 v35, v36, v28 :: v_dual_mul_f32 v32, v31, v30
	v_add_f32_e32 v25, v25, v35
	s_delay_alu instid0(VALU_DEP_2) | instskip(NEXT) | instid1(VALU_DEP_1)
	v_fma_f32 v31, v30, v31, -v32
	v_fmac_f32_e32 v31, v30, v29
	s_delay_alu instid0(VALU_DEP_1) | instskip(NEXT) | instid1(VALU_DEP_1)
	v_add_f32_e32 v29, v32, v31
	v_sub_f32_e32 v34, v28, v29
	s_delay_alu instid0(VALU_DEP_1) | instskip(NEXT) | instid1(VALU_DEP_1)
	v_sub_f32_e32 v28, v28, v34
	v_sub_f32_e32 v28, v28, v29
	s_delay_alu instid0(VALU_DEP_1) | instskip(SKIP_2) | instid1(VALU_DEP_1)
	v_add_f32_e32 v25, v25, v28
	v_add_f32_e32 v28, v33, v30
	v_sub_f32_e32 v32, v29, v32
	v_sub_f32_e32 v29, v32, v31
	s_delay_alu instid0(VALU_DEP_1) | instskip(NEXT) | instid1(VALU_DEP_4)
	v_add_f32_e32 v25, v29, v25
	v_sub_f32_e32 v29, v28, v33
	s_delay_alu instid0(VALU_DEP_2) | instskip(NEXT) | instid1(VALU_DEP_2)
	v_add_f32_e32 v25, v34, v25
	v_sub_f32_e32 v29, v30, v29
	s_delay_alu instid0(VALU_DEP_2) | instskip(NEXT) | instid1(VALU_DEP_1)
	v_mul_f32_e32 v25, v27, v25
	v_add_f32_e32 v25, v29, v25
	s_delay_alu instid0(VALU_DEP_1) | instskip(NEXT) | instid1(VALU_DEP_1)
	v_add_f32_e32 v27, v28, v25
	v_mul_f32_e32 v29, v27, v27
	s_delay_alu instid0(VALU_DEP_1) | instskip(SKIP_1) | instid1(VALU_DEP_2)
	v_fmaak_f32 v30, s54, v29, 0x3ecc95a3
	v_mul_f32_e32 v31, v27, v29
	v_fmaak_f32 v29, v29, v30, 0x3f2aaada
	v_ldexp_f32 v30, v27, 1
	s_delay_alu instid0(VALU_DEP_2) | instskip(SKIP_1) | instid1(VALU_DEP_2)
	v_mul_f32_e32 v29, v31, v29
	v_sub_f32_e32 v27, v27, v28
	v_dual_mul_f32 v31, 0x3f317218, v24 :: v_dual_add_f32 v28, v30, v29
	s_delay_alu instid0(VALU_DEP_2) | instskip(NEXT) | instid1(VALU_DEP_2)
	v_sub_f32_e32 v25, v25, v27
	v_sub_f32_e32 v27, v28, v30
	s_delay_alu instid0(VALU_DEP_3) | instskip(NEXT) | instid1(VALU_DEP_3)
	v_fma_f32 v30, 0x3f317218, v24, -v31
	v_ldexp_f32 v25, v25, 1
	s_delay_alu instid0(VALU_DEP_2) | instskip(NEXT) | instid1(VALU_DEP_1)
	v_dual_sub_f32 v27, v29, v27 :: v_dual_fmac_f32 v30, 0xb102e308, v24
	v_dual_add_f32 v24, v25, v27 :: v_dual_add_f32 v25, v31, v30
	s_delay_alu instid0(VALU_DEP_1) | instskip(NEXT) | instid1(VALU_DEP_1)
	v_add_f32_e32 v27, v28, v24
	v_dual_add_f32 v29, v25, v27 :: v_dual_sub_f32 v28, v27, v28
	s_delay_alu instid0(VALU_DEP_1) | instskip(NEXT) | instid1(VALU_DEP_2)
	v_sub_f32_e32 v32, v29, v25
	v_dual_sub_f32 v31, v25, v31 :: v_dual_sub_f32 v24, v24, v28
	s_delay_alu instid0(VALU_DEP_1) | instskip(SKIP_1) | instid1(VALU_DEP_2)
	v_dual_sub_f32 v33, v29, v32 :: v_dual_sub_f32 v30, v30, v31
	v_sub_f32_e32 v27, v27, v32
	v_dual_sub_f32 v25, v25, v33 :: v_dual_add_f32 v28, v30, v24
	s_delay_alu instid0(VALU_DEP_1) | instskip(NEXT) | instid1(VALU_DEP_2)
	v_add_f32_e32 v25, v27, v25
	v_sub_f32_e32 v27, v28, v30
	s_delay_alu instid0(VALU_DEP_2) | instskip(NEXT) | instid1(VALU_DEP_2)
	v_add_f32_e32 v25, v28, v25
	v_sub_f32_e32 v28, v28, v27
	s_delay_alu instid0(VALU_DEP_2) | instskip(NEXT) | instid1(VALU_DEP_1)
	v_dual_sub_f32 v24, v24, v27 :: v_dual_add_f32 v31, v29, v25
	v_dual_sub_f32 v28, v30, v28 :: v_dual_sub_f32 v27, v31, v29
	s_delay_alu instid0(VALU_DEP_1) | instskip(NEXT) | instid1(VALU_DEP_1)
	v_dual_add_f32 v24, v24, v28 :: v_dual_sub_f32 v25, v25, v27
	v_add_f32_e32 v24, v24, v25
	s_delay_alu instid0(VALU_DEP_1) | instskip(NEXT) | instid1(VALU_DEP_1)
	v_add_f32_e32 v24, v31, v24
	v_cndmask_b32_e32 v78, v24, v26, vcc_lo
.LBB81_28:                              ;   in Loop: Header=BB81_12 Depth=1
	s_or_b32 exec_lo, exec_lo, s15
	v_cvt_f32_f16_e32 v24, v14
	s_delay_alu instid0(VALU_DEP_1) | instskip(NEXT) | instid1(VALU_DEP_1)
	v_add_f32_e32 v79, s56, v24
	v_cmp_ge_f32_e32 vcc_lo, 0x41a00000, v79
	s_and_b32 s14, s66, vcc_lo
	s_delay_alu instid0(SALU_CYCLE_1)
	s_and_saveexec_b32 s15, s14
	s_cbranch_execz .LBB81_30
; %bb.29:                               ;   in Loop: Header=BB81_12 Depth=1
	v_mul_f32_e32 v24, 0x3fb8aa3b, v79
	v_cmp_ngt_f32_e32 vcc_lo, 0xc2ce8ed0, v79
	s_delay_alu instid0(VALU_DEP_2) | instskip(SKIP_1) | instid1(VALU_DEP_2)
	v_rndne_f32_e32 v25, v24
	v_fma_f32 v26, 0x3fb8aa3b, v79, -v24
	v_sub_f32_e32 v24, v24, v25
	s_delay_alu instid0(VALU_DEP_2) | instskip(SKIP_1) | instid1(VALU_DEP_2)
	v_fmac_f32_e32 v26, 0x32a5705f, v79
	v_cvt_i32_f32_e32 v25, v25
	v_add_f32_e32 v24, v24, v26
	s_delay_alu instid0(VALU_DEP_1) | instskip(SKIP_2) | instid1(VALU_DEP_1)
	v_exp_f32_e32 v24, v24
	s_waitcnt_depctr 0xfff
	v_ldexp_f32 v24, v24, v25
	v_cndmask_b32_e32 v24, 0, v24, vcc_lo
	v_cmp_nlt_f32_e32 vcc_lo, 0x42b17218, v79
	s_delay_alu instid0(VALU_DEP_2) | instskip(NEXT) | instid1(VALU_DEP_1)
	v_cndmask_b32_e32 v26, 0x7f800000, v24, vcc_lo
	v_add_f32_e32 v27, 1.0, v26
	s_delay_alu instid0(VALU_DEP_1) | instskip(NEXT) | instid1(VALU_DEP_1)
	v_cvt_f64_f32_e32 v[24:25], v27
	v_frexp_exp_i32_f64_e32 v24, v[24:25]
	v_frexp_mant_f32_e32 v25, v27
	s_delay_alu instid0(VALU_DEP_1) | instskip(SKIP_1) | instid1(VALU_DEP_1)
	v_cmp_gt_f32_e32 vcc_lo, 0x3f2aaaab, v25
	v_add_f32_e32 v25, -1.0, v27
	v_sub_f32_e32 v29, v25, v27
	v_sub_f32_e32 v25, v26, v25
	s_delay_alu instid0(VALU_DEP_2) | instskip(NEXT) | instid1(VALU_DEP_1)
	v_add_f32_e32 v29, 1.0, v29
	v_add_f32_e32 v25, v25, v29
	v_cmp_gt_f32_e64 s14, 0x33800000, v26
	v_subrev_co_ci_u32_e32 v24, vcc_lo, 0, v24, vcc_lo
	v_cmp_eq_f32_e32 vcc_lo, 0x7f800000, v26
	s_delay_alu instid0(VALU_DEP_2) | instskip(SKIP_2) | instid1(VALU_DEP_2)
	v_sub_nc_u32_e32 v28, 0, v24
	v_cvt_f32_i32_e32 v24, v24
	s_or_b32 vcc_lo, s14, vcc_lo
	v_ldexp_f32 v27, v27, v28
	v_ldexp_f32 v25, v25, v28
	s_delay_alu instid0(VALU_DEP_2) | instskip(NEXT) | instid1(VALU_DEP_1)
	v_add_f32_e32 v30, 1.0, v27
	v_dual_add_f32 v28, -1.0, v27 :: v_dual_add_f32 v29, -1.0, v30
	s_delay_alu instid0(VALU_DEP_1) | instskip(NEXT) | instid1(VALU_DEP_2)
	v_add_f32_e32 v31, 1.0, v28
	v_sub_f32_e32 v29, v27, v29
	s_delay_alu instid0(VALU_DEP_2) | instskip(NEXT) | instid1(VALU_DEP_2)
	v_sub_f32_e32 v27, v27, v31
	v_add_f32_e32 v29, v25, v29
	s_delay_alu instid0(VALU_DEP_2) | instskip(NEXT) | instid1(VALU_DEP_1)
	v_add_f32_e32 v25, v25, v27
	v_add_f32_e32 v32, v28, v25
	s_delay_alu instid0(VALU_DEP_1) | instskip(NEXT) | instid1(VALU_DEP_1)
	v_dual_add_f32 v31, v30, v29 :: v_dual_sub_f32 v28, v28, v32
	v_rcp_f32_e32 v27, v31
	v_sub_f32_e32 v30, v30, v31
	s_delay_alu instid0(VALU_DEP_1) | instskip(SKIP_2) | instid1(VALU_DEP_1)
	v_add_f32_e32 v29, v29, v30
	s_waitcnt_depctr 0xfff
	v_mul_f32_e32 v33, v32, v27
	v_mul_f32_e32 v34, v31, v33
	s_delay_alu instid0(VALU_DEP_1) | instskip(NEXT) | instid1(VALU_DEP_1)
	v_fma_f32 v30, v33, v31, -v34
	v_fmac_f32_e32 v30, v33, v29
	s_delay_alu instid0(VALU_DEP_1) | instskip(NEXT) | instid1(VALU_DEP_1)
	v_add_f32_e32 v35, v34, v30
	v_sub_f32_e32 v36, v32, v35
	s_delay_alu instid0(VALU_DEP_1) | instskip(SKIP_1) | instid1(VALU_DEP_2)
	v_sub_f32_e32 v32, v32, v36
	v_dual_add_f32 v25, v25, v28 :: v_dual_sub_f32 v28, v35, v34
	v_sub_f32_e32 v32, v32, v35
	s_delay_alu instid0(VALU_DEP_1) | instskip(NEXT) | instid1(VALU_DEP_1)
	v_dual_sub_f32 v28, v28, v30 :: v_dual_add_f32 v25, v25, v32
	v_add_f32_e32 v25, v28, v25
	s_delay_alu instid0(VALU_DEP_1) | instskip(NEXT) | instid1(VALU_DEP_1)
	v_add_f32_e32 v28, v36, v25
	v_mul_f32_e32 v30, v27, v28
	s_delay_alu instid0(VALU_DEP_1) | instskip(NEXT) | instid1(VALU_DEP_1)
	v_dual_sub_f32 v35, v36, v28 :: v_dual_mul_f32 v32, v31, v30
	v_add_f32_e32 v25, v25, v35
	s_delay_alu instid0(VALU_DEP_2) | instskip(NEXT) | instid1(VALU_DEP_1)
	v_fma_f32 v31, v30, v31, -v32
	v_fmac_f32_e32 v31, v30, v29
	s_delay_alu instid0(VALU_DEP_1) | instskip(NEXT) | instid1(VALU_DEP_1)
	v_add_f32_e32 v29, v32, v31
	v_sub_f32_e32 v34, v28, v29
	s_delay_alu instid0(VALU_DEP_1) | instskip(NEXT) | instid1(VALU_DEP_1)
	v_sub_f32_e32 v28, v28, v34
	v_sub_f32_e32 v28, v28, v29
	s_delay_alu instid0(VALU_DEP_1) | instskip(SKIP_2) | instid1(VALU_DEP_1)
	v_add_f32_e32 v25, v25, v28
	v_add_f32_e32 v28, v33, v30
	v_sub_f32_e32 v32, v29, v32
	v_sub_f32_e32 v29, v32, v31
	s_delay_alu instid0(VALU_DEP_1) | instskip(NEXT) | instid1(VALU_DEP_4)
	v_add_f32_e32 v25, v29, v25
	v_sub_f32_e32 v29, v28, v33
	s_delay_alu instid0(VALU_DEP_2) | instskip(NEXT) | instid1(VALU_DEP_2)
	v_add_f32_e32 v25, v34, v25
	v_sub_f32_e32 v29, v30, v29
	s_delay_alu instid0(VALU_DEP_2) | instskip(NEXT) | instid1(VALU_DEP_1)
	v_mul_f32_e32 v25, v27, v25
	v_add_f32_e32 v25, v29, v25
	s_delay_alu instid0(VALU_DEP_1) | instskip(NEXT) | instid1(VALU_DEP_1)
	v_add_f32_e32 v27, v28, v25
	v_mul_f32_e32 v29, v27, v27
	s_delay_alu instid0(VALU_DEP_1) | instskip(SKIP_1) | instid1(VALU_DEP_2)
	v_fmaak_f32 v30, s54, v29, 0x3ecc95a3
	v_mul_f32_e32 v31, v27, v29
	v_fmaak_f32 v29, v29, v30, 0x3f2aaada
	v_ldexp_f32 v30, v27, 1
	s_delay_alu instid0(VALU_DEP_2) | instskip(SKIP_1) | instid1(VALU_DEP_2)
	v_mul_f32_e32 v29, v31, v29
	v_sub_f32_e32 v27, v27, v28
	v_dual_mul_f32 v31, 0x3f317218, v24 :: v_dual_add_f32 v28, v30, v29
	s_delay_alu instid0(VALU_DEP_2) | instskip(NEXT) | instid1(VALU_DEP_2)
	v_sub_f32_e32 v25, v25, v27
	v_sub_f32_e32 v27, v28, v30
	s_delay_alu instid0(VALU_DEP_3) | instskip(NEXT) | instid1(VALU_DEP_3)
	v_fma_f32 v30, 0x3f317218, v24, -v31
	v_ldexp_f32 v25, v25, 1
	s_delay_alu instid0(VALU_DEP_2) | instskip(NEXT) | instid1(VALU_DEP_1)
	v_dual_sub_f32 v27, v29, v27 :: v_dual_fmac_f32 v30, 0xb102e308, v24
	v_dual_add_f32 v24, v25, v27 :: v_dual_add_f32 v25, v31, v30
	s_delay_alu instid0(VALU_DEP_1) | instskip(NEXT) | instid1(VALU_DEP_1)
	v_add_f32_e32 v27, v28, v24
	v_dual_add_f32 v29, v25, v27 :: v_dual_sub_f32 v28, v27, v28
	s_delay_alu instid0(VALU_DEP_1) | instskip(NEXT) | instid1(VALU_DEP_2)
	v_sub_f32_e32 v32, v29, v25
	v_dual_sub_f32 v31, v25, v31 :: v_dual_sub_f32 v24, v24, v28
	s_delay_alu instid0(VALU_DEP_1) | instskip(SKIP_1) | instid1(VALU_DEP_2)
	v_dual_sub_f32 v33, v29, v32 :: v_dual_sub_f32 v30, v30, v31
	v_sub_f32_e32 v27, v27, v32
	v_dual_sub_f32 v25, v25, v33 :: v_dual_add_f32 v28, v30, v24
	s_delay_alu instid0(VALU_DEP_1) | instskip(NEXT) | instid1(VALU_DEP_2)
	v_add_f32_e32 v25, v27, v25
	v_sub_f32_e32 v27, v28, v30
	s_delay_alu instid0(VALU_DEP_2) | instskip(NEXT) | instid1(VALU_DEP_2)
	v_add_f32_e32 v25, v28, v25
	v_sub_f32_e32 v28, v28, v27
	s_delay_alu instid0(VALU_DEP_2) | instskip(NEXT) | instid1(VALU_DEP_1)
	v_dual_sub_f32 v24, v24, v27 :: v_dual_add_f32 v31, v29, v25
	v_dual_sub_f32 v28, v30, v28 :: v_dual_sub_f32 v27, v31, v29
	s_delay_alu instid0(VALU_DEP_1) | instskip(NEXT) | instid1(VALU_DEP_1)
	v_dual_add_f32 v24, v24, v28 :: v_dual_sub_f32 v25, v25, v27
	v_add_f32_e32 v24, v24, v25
	s_delay_alu instid0(VALU_DEP_1) | instskip(NEXT) | instid1(VALU_DEP_1)
	v_add_f32_e32 v24, v31, v24
	v_cndmask_b32_e32 v79, v24, v26, vcc_lo
.LBB81_30:                              ;   in Loop: Header=BB81_12 Depth=1
	s_or_b32 exec_lo, exec_lo, s15
	v_lshrrev_b32_e32 v24, 16, v14
	s_delay_alu instid0(VALU_DEP_1) | instskip(NEXT) | instid1(VALU_DEP_1)
	v_cvt_f32_f16_e32 v24, v24
	v_add_f32_e32 v80, s56, v24
	s_delay_alu instid0(VALU_DEP_1) | instskip(SKIP_1) | instid1(SALU_CYCLE_1)
	v_cmp_ge_f32_e32 vcc_lo, 0x41a00000, v80
	s_and_b32 s14, s66, vcc_lo
	s_and_saveexec_b32 s15, s14
	s_cbranch_execz .LBB81_32
; %bb.31:                               ;   in Loop: Header=BB81_12 Depth=1
	v_mul_f32_e32 v24, 0x3fb8aa3b, v80
	v_cmp_ngt_f32_e32 vcc_lo, 0xc2ce8ed0, v80
	s_delay_alu instid0(VALU_DEP_2) | instskip(SKIP_1) | instid1(VALU_DEP_2)
	v_rndne_f32_e32 v25, v24
	v_fma_f32 v26, 0x3fb8aa3b, v80, -v24
	v_sub_f32_e32 v24, v24, v25
	s_delay_alu instid0(VALU_DEP_2) | instskip(SKIP_1) | instid1(VALU_DEP_2)
	v_fmac_f32_e32 v26, 0x32a5705f, v80
	v_cvt_i32_f32_e32 v25, v25
	v_add_f32_e32 v24, v24, v26
	s_delay_alu instid0(VALU_DEP_1) | instskip(SKIP_2) | instid1(VALU_DEP_1)
	v_exp_f32_e32 v24, v24
	s_waitcnt_depctr 0xfff
	v_ldexp_f32 v24, v24, v25
	v_cndmask_b32_e32 v24, 0, v24, vcc_lo
	v_cmp_nlt_f32_e32 vcc_lo, 0x42b17218, v80
	s_delay_alu instid0(VALU_DEP_2) | instskip(NEXT) | instid1(VALU_DEP_1)
	v_cndmask_b32_e32 v26, 0x7f800000, v24, vcc_lo
	v_add_f32_e32 v27, 1.0, v26
	s_delay_alu instid0(VALU_DEP_1) | instskip(NEXT) | instid1(VALU_DEP_1)
	v_cvt_f64_f32_e32 v[24:25], v27
	v_frexp_exp_i32_f64_e32 v24, v[24:25]
	v_frexp_mant_f32_e32 v25, v27
	s_delay_alu instid0(VALU_DEP_1) | instskip(SKIP_1) | instid1(VALU_DEP_1)
	v_cmp_gt_f32_e32 vcc_lo, 0x3f2aaaab, v25
	v_add_f32_e32 v25, -1.0, v27
	v_sub_f32_e32 v29, v25, v27
	v_sub_f32_e32 v25, v26, v25
	s_delay_alu instid0(VALU_DEP_2) | instskip(NEXT) | instid1(VALU_DEP_1)
	v_add_f32_e32 v29, 1.0, v29
	v_add_f32_e32 v25, v25, v29
	v_cmp_gt_f32_e64 s14, 0x33800000, v26
	v_subrev_co_ci_u32_e32 v24, vcc_lo, 0, v24, vcc_lo
	v_cmp_eq_f32_e32 vcc_lo, 0x7f800000, v26
	s_delay_alu instid0(VALU_DEP_2) | instskip(SKIP_2) | instid1(VALU_DEP_2)
	v_sub_nc_u32_e32 v28, 0, v24
	v_cvt_f32_i32_e32 v24, v24
	s_or_b32 vcc_lo, s14, vcc_lo
	v_ldexp_f32 v27, v27, v28
	v_ldexp_f32 v25, v25, v28
	s_delay_alu instid0(VALU_DEP_2) | instskip(NEXT) | instid1(VALU_DEP_1)
	v_add_f32_e32 v30, 1.0, v27
	v_dual_add_f32 v28, -1.0, v27 :: v_dual_add_f32 v29, -1.0, v30
	s_delay_alu instid0(VALU_DEP_1) | instskip(NEXT) | instid1(VALU_DEP_2)
	v_add_f32_e32 v31, 1.0, v28
	v_sub_f32_e32 v29, v27, v29
	s_delay_alu instid0(VALU_DEP_2) | instskip(NEXT) | instid1(VALU_DEP_2)
	v_sub_f32_e32 v27, v27, v31
	v_add_f32_e32 v29, v25, v29
	s_delay_alu instid0(VALU_DEP_2) | instskip(NEXT) | instid1(VALU_DEP_1)
	v_add_f32_e32 v25, v25, v27
	v_add_f32_e32 v32, v28, v25
	s_delay_alu instid0(VALU_DEP_1) | instskip(NEXT) | instid1(VALU_DEP_1)
	v_dual_add_f32 v31, v30, v29 :: v_dual_sub_f32 v28, v28, v32
	v_rcp_f32_e32 v27, v31
	v_sub_f32_e32 v30, v30, v31
	s_delay_alu instid0(VALU_DEP_1) | instskip(SKIP_2) | instid1(VALU_DEP_1)
	v_add_f32_e32 v29, v29, v30
	s_waitcnt_depctr 0xfff
	v_mul_f32_e32 v33, v32, v27
	v_mul_f32_e32 v34, v31, v33
	s_delay_alu instid0(VALU_DEP_1) | instskip(NEXT) | instid1(VALU_DEP_1)
	v_fma_f32 v30, v33, v31, -v34
	v_fmac_f32_e32 v30, v33, v29
	s_delay_alu instid0(VALU_DEP_1) | instskip(NEXT) | instid1(VALU_DEP_1)
	v_add_f32_e32 v35, v34, v30
	v_sub_f32_e32 v36, v32, v35
	s_delay_alu instid0(VALU_DEP_1) | instskip(SKIP_1) | instid1(VALU_DEP_2)
	v_sub_f32_e32 v32, v32, v36
	v_dual_add_f32 v25, v25, v28 :: v_dual_sub_f32 v28, v35, v34
	v_sub_f32_e32 v32, v32, v35
	s_delay_alu instid0(VALU_DEP_1) | instskip(NEXT) | instid1(VALU_DEP_1)
	v_dual_sub_f32 v28, v28, v30 :: v_dual_add_f32 v25, v25, v32
	v_add_f32_e32 v25, v28, v25
	s_delay_alu instid0(VALU_DEP_1) | instskip(NEXT) | instid1(VALU_DEP_1)
	v_add_f32_e32 v28, v36, v25
	v_mul_f32_e32 v30, v27, v28
	s_delay_alu instid0(VALU_DEP_1) | instskip(NEXT) | instid1(VALU_DEP_1)
	v_dual_sub_f32 v35, v36, v28 :: v_dual_mul_f32 v32, v31, v30
	v_add_f32_e32 v25, v25, v35
	s_delay_alu instid0(VALU_DEP_2) | instskip(NEXT) | instid1(VALU_DEP_1)
	v_fma_f32 v31, v30, v31, -v32
	v_fmac_f32_e32 v31, v30, v29
	s_delay_alu instid0(VALU_DEP_1) | instskip(NEXT) | instid1(VALU_DEP_1)
	v_add_f32_e32 v29, v32, v31
	v_sub_f32_e32 v34, v28, v29
	s_delay_alu instid0(VALU_DEP_1) | instskip(NEXT) | instid1(VALU_DEP_1)
	v_sub_f32_e32 v28, v28, v34
	v_sub_f32_e32 v28, v28, v29
	s_delay_alu instid0(VALU_DEP_1) | instskip(SKIP_2) | instid1(VALU_DEP_1)
	v_add_f32_e32 v25, v25, v28
	v_add_f32_e32 v28, v33, v30
	v_sub_f32_e32 v32, v29, v32
	v_sub_f32_e32 v29, v32, v31
	s_delay_alu instid0(VALU_DEP_1) | instskip(NEXT) | instid1(VALU_DEP_4)
	v_add_f32_e32 v25, v29, v25
	v_sub_f32_e32 v29, v28, v33
	s_delay_alu instid0(VALU_DEP_2) | instskip(NEXT) | instid1(VALU_DEP_2)
	v_add_f32_e32 v25, v34, v25
	v_sub_f32_e32 v29, v30, v29
	s_delay_alu instid0(VALU_DEP_2) | instskip(NEXT) | instid1(VALU_DEP_1)
	v_mul_f32_e32 v25, v27, v25
	v_add_f32_e32 v25, v29, v25
	s_delay_alu instid0(VALU_DEP_1) | instskip(NEXT) | instid1(VALU_DEP_1)
	v_add_f32_e32 v27, v28, v25
	v_mul_f32_e32 v29, v27, v27
	s_delay_alu instid0(VALU_DEP_1) | instskip(SKIP_1) | instid1(VALU_DEP_2)
	v_fmaak_f32 v30, s54, v29, 0x3ecc95a3
	v_mul_f32_e32 v31, v27, v29
	v_fmaak_f32 v29, v29, v30, 0x3f2aaada
	v_ldexp_f32 v30, v27, 1
	s_delay_alu instid0(VALU_DEP_2) | instskip(SKIP_1) | instid1(VALU_DEP_2)
	v_mul_f32_e32 v29, v31, v29
	v_sub_f32_e32 v27, v27, v28
	v_dual_mul_f32 v31, 0x3f317218, v24 :: v_dual_add_f32 v28, v30, v29
	s_delay_alu instid0(VALU_DEP_2) | instskip(NEXT) | instid1(VALU_DEP_2)
	v_sub_f32_e32 v25, v25, v27
	v_sub_f32_e32 v27, v28, v30
	s_delay_alu instid0(VALU_DEP_3) | instskip(NEXT) | instid1(VALU_DEP_3)
	v_fma_f32 v30, 0x3f317218, v24, -v31
	v_ldexp_f32 v25, v25, 1
	s_delay_alu instid0(VALU_DEP_2) | instskip(NEXT) | instid1(VALU_DEP_1)
	v_dual_sub_f32 v27, v29, v27 :: v_dual_fmac_f32 v30, 0xb102e308, v24
	v_dual_add_f32 v24, v25, v27 :: v_dual_add_f32 v25, v31, v30
	s_delay_alu instid0(VALU_DEP_1) | instskip(NEXT) | instid1(VALU_DEP_1)
	v_add_f32_e32 v27, v28, v24
	v_dual_add_f32 v29, v25, v27 :: v_dual_sub_f32 v28, v27, v28
	s_delay_alu instid0(VALU_DEP_1) | instskip(NEXT) | instid1(VALU_DEP_2)
	v_sub_f32_e32 v32, v29, v25
	v_dual_sub_f32 v31, v25, v31 :: v_dual_sub_f32 v24, v24, v28
	s_delay_alu instid0(VALU_DEP_1) | instskip(SKIP_1) | instid1(VALU_DEP_2)
	v_dual_sub_f32 v33, v29, v32 :: v_dual_sub_f32 v30, v30, v31
	v_sub_f32_e32 v27, v27, v32
	v_dual_sub_f32 v25, v25, v33 :: v_dual_add_f32 v28, v30, v24
	s_delay_alu instid0(VALU_DEP_1) | instskip(NEXT) | instid1(VALU_DEP_2)
	v_add_f32_e32 v25, v27, v25
	v_sub_f32_e32 v27, v28, v30
	s_delay_alu instid0(VALU_DEP_2) | instskip(NEXT) | instid1(VALU_DEP_2)
	v_add_f32_e32 v25, v28, v25
	v_sub_f32_e32 v28, v28, v27
	s_delay_alu instid0(VALU_DEP_2) | instskip(NEXT) | instid1(VALU_DEP_1)
	v_dual_sub_f32 v24, v24, v27 :: v_dual_add_f32 v31, v29, v25
	v_dual_sub_f32 v28, v30, v28 :: v_dual_sub_f32 v27, v31, v29
	s_delay_alu instid0(VALU_DEP_1) | instskip(NEXT) | instid1(VALU_DEP_1)
	v_dual_add_f32 v24, v24, v28 :: v_dual_sub_f32 v25, v25, v27
	v_add_f32_e32 v24, v24, v25
	s_delay_alu instid0(VALU_DEP_1) | instskip(NEXT) | instid1(VALU_DEP_1)
	v_add_f32_e32 v24, v31, v24
	v_cndmask_b32_e32 v80, v24, v26, vcc_lo
.LBB81_32:                              ;   in Loop: Header=BB81_12 Depth=1
	s_or_b32 exec_lo, exec_lo, s15
	v_cvt_f32_f16_e32 v24, v15
	s_delay_alu instid0(VALU_DEP_1) | instskip(NEXT) | instid1(VALU_DEP_1)
	v_add_f32_e32 v81, s56, v24
	v_cmp_ge_f32_e32 vcc_lo, 0x41a00000, v81
	s_and_b32 s14, s66, vcc_lo
	s_delay_alu instid0(SALU_CYCLE_1)
	s_and_saveexec_b32 s15, s14
	s_cbranch_execz .LBB81_34
; %bb.33:                               ;   in Loop: Header=BB81_12 Depth=1
	v_mul_f32_e32 v24, 0x3fb8aa3b, v81
	v_cmp_ngt_f32_e32 vcc_lo, 0xc2ce8ed0, v81
	s_delay_alu instid0(VALU_DEP_2) | instskip(SKIP_1) | instid1(VALU_DEP_2)
	v_rndne_f32_e32 v25, v24
	v_fma_f32 v26, 0x3fb8aa3b, v81, -v24
	v_sub_f32_e32 v24, v24, v25
	s_delay_alu instid0(VALU_DEP_2) | instskip(SKIP_1) | instid1(VALU_DEP_2)
	v_fmac_f32_e32 v26, 0x32a5705f, v81
	v_cvt_i32_f32_e32 v25, v25
	v_add_f32_e32 v24, v24, v26
	s_delay_alu instid0(VALU_DEP_1) | instskip(SKIP_2) | instid1(VALU_DEP_1)
	v_exp_f32_e32 v24, v24
	s_waitcnt_depctr 0xfff
	v_ldexp_f32 v24, v24, v25
	v_cndmask_b32_e32 v24, 0, v24, vcc_lo
	v_cmp_nlt_f32_e32 vcc_lo, 0x42b17218, v81
	s_delay_alu instid0(VALU_DEP_2) | instskip(NEXT) | instid1(VALU_DEP_1)
	v_cndmask_b32_e32 v26, 0x7f800000, v24, vcc_lo
	v_add_f32_e32 v27, 1.0, v26
	s_delay_alu instid0(VALU_DEP_1) | instskip(NEXT) | instid1(VALU_DEP_1)
	v_cvt_f64_f32_e32 v[24:25], v27
	v_frexp_exp_i32_f64_e32 v24, v[24:25]
	v_frexp_mant_f32_e32 v25, v27
	s_delay_alu instid0(VALU_DEP_1) | instskip(SKIP_1) | instid1(VALU_DEP_1)
	v_cmp_gt_f32_e32 vcc_lo, 0x3f2aaaab, v25
	v_add_f32_e32 v25, -1.0, v27
	v_sub_f32_e32 v29, v25, v27
	v_sub_f32_e32 v25, v26, v25
	s_delay_alu instid0(VALU_DEP_2) | instskip(NEXT) | instid1(VALU_DEP_1)
	v_add_f32_e32 v29, 1.0, v29
	v_add_f32_e32 v25, v25, v29
	v_cmp_gt_f32_e64 s14, 0x33800000, v26
	v_subrev_co_ci_u32_e32 v24, vcc_lo, 0, v24, vcc_lo
	v_cmp_eq_f32_e32 vcc_lo, 0x7f800000, v26
	s_delay_alu instid0(VALU_DEP_2) | instskip(SKIP_2) | instid1(VALU_DEP_2)
	v_sub_nc_u32_e32 v28, 0, v24
	v_cvt_f32_i32_e32 v24, v24
	s_or_b32 vcc_lo, s14, vcc_lo
	v_ldexp_f32 v27, v27, v28
	v_ldexp_f32 v25, v25, v28
	s_delay_alu instid0(VALU_DEP_2) | instskip(NEXT) | instid1(VALU_DEP_1)
	v_add_f32_e32 v30, 1.0, v27
	v_dual_add_f32 v28, -1.0, v27 :: v_dual_add_f32 v29, -1.0, v30
	s_delay_alu instid0(VALU_DEP_1) | instskip(NEXT) | instid1(VALU_DEP_2)
	v_add_f32_e32 v31, 1.0, v28
	v_sub_f32_e32 v29, v27, v29
	s_delay_alu instid0(VALU_DEP_2) | instskip(NEXT) | instid1(VALU_DEP_2)
	v_sub_f32_e32 v27, v27, v31
	v_add_f32_e32 v29, v25, v29
	s_delay_alu instid0(VALU_DEP_2) | instskip(NEXT) | instid1(VALU_DEP_1)
	v_add_f32_e32 v25, v25, v27
	v_add_f32_e32 v32, v28, v25
	s_delay_alu instid0(VALU_DEP_1) | instskip(NEXT) | instid1(VALU_DEP_1)
	v_dual_add_f32 v31, v30, v29 :: v_dual_sub_f32 v28, v28, v32
	v_rcp_f32_e32 v27, v31
	v_sub_f32_e32 v30, v30, v31
	s_delay_alu instid0(VALU_DEP_1) | instskip(SKIP_2) | instid1(VALU_DEP_1)
	v_add_f32_e32 v29, v29, v30
	s_waitcnt_depctr 0xfff
	v_mul_f32_e32 v33, v32, v27
	v_mul_f32_e32 v34, v31, v33
	s_delay_alu instid0(VALU_DEP_1) | instskip(NEXT) | instid1(VALU_DEP_1)
	v_fma_f32 v30, v33, v31, -v34
	v_fmac_f32_e32 v30, v33, v29
	s_delay_alu instid0(VALU_DEP_1) | instskip(NEXT) | instid1(VALU_DEP_1)
	v_add_f32_e32 v35, v34, v30
	v_sub_f32_e32 v36, v32, v35
	s_delay_alu instid0(VALU_DEP_1) | instskip(SKIP_1) | instid1(VALU_DEP_2)
	v_sub_f32_e32 v32, v32, v36
	v_dual_add_f32 v25, v25, v28 :: v_dual_sub_f32 v28, v35, v34
	v_sub_f32_e32 v32, v32, v35
	s_delay_alu instid0(VALU_DEP_1) | instskip(NEXT) | instid1(VALU_DEP_1)
	v_dual_sub_f32 v28, v28, v30 :: v_dual_add_f32 v25, v25, v32
	v_add_f32_e32 v25, v28, v25
	s_delay_alu instid0(VALU_DEP_1) | instskip(NEXT) | instid1(VALU_DEP_1)
	v_add_f32_e32 v28, v36, v25
	v_mul_f32_e32 v30, v27, v28
	s_delay_alu instid0(VALU_DEP_1) | instskip(NEXT) | instid1(VALU_DEP_1)
	v_dual_sub_f32 v35, v36, v28 :: v_dual_mul_f32 v32, v31, v30
	v_add_f32_e32 v25, v25, v35
	s_delay_alu instid0(VALU_DEP_2) | instskip(NEXT) | instid1(VALU_DEP_1)
	v_fma_f32 v31, v30, v31, -v32
	v_fmac_f32_e32 v31, v30, v29
	s_delay_alu instid0(VALU_DEP_1) | instskip(NEXT) | instid1(VALU_DEP_1)
	v_add_f32_e32 v29, v32, v31
	v_sub_f32_e32 v34, v28, v29
	s_delay_alu instid0(VALU_DEP_1) | instskip(NEXT) | instid1(VALU_DEP_1)
	v_sub_f32_e32 v28, v28, v34
	v_sub_f32_e32 v28, v28, v29
	s_delay_alu instid0(VALU_DEP_1) | instskip(SKIP_2) | instid1(VALU_DEP_1)
	v_add_f32_e32 v25, v25, v28
	v_add_f32_e32 v28, v33, v30
	v_sub_f32_e32 v32, v29, v32
	v_sub_f32_e32 v29, v32, v31
	s_delay_alu instid0(VALU_DEP_1) | instskip(NEXT) | instid1(VALU_DEP_4)
	v_add_f32_e32 v25, v29, v25
	v_sub_f32_e32 v29, v28, v33
	s_delay_alu instid0(VALU_DEP_2) | instskip(NEXT) | instid1(VALU_DEP_2)
	v_add_f32_e32 v25, v34, v25
	v_sub_f32_e32 v29, v30, v29
	s_delay_alu instid0(VALU_DEP_2) | instskip(NEXT) | instid1(VALU_DEP_1)
	v_mul_f32_e32 v25, v27, v25
	v_add_f32_e32 v25, v29, v25
	s_delay_alu instid0(VALU_DEP_1) | instskip(NEXT) | instid1(VALU_DEP_1)
	v_add_f32_e32 v27, v28, v25
	v_mul_f32_e32 v29, v27, v27
	s_delay_alu instid0(VALU_DEP_1) | instskip(SKIP_1) | instid1(VALU_DEP_2)
	v_fmaak_f32 v30, s54, v29, 0x3ecc95a3
	v_mul_f32_e32 v31, v27, v29
	v_fmaak_f32 v29, v29, v30, 0x3f2aaada
	v_ldexp_f32 v30, v27, 1
	s_delay_alu instid0(VALU_DEP_2) | instskip(SKIP_1) | instid1(VALU_DEP_2)
	v_mul_f32_e32 v29, v31, v29
	v_sub_f32_e32 v27, v27, v28
	v_dual_mul_f32 v31, 0x3f317218, v24 :: v_dual_add_f32 v28, v30, v29
	s_delay_alu instid0(VALU_DEP_2) | instskip(NEXT) | instid1(VALU_DEP_2)
	v_sub_f32_e32 v25, v25, v27
	v_sub_f32_e32 v27, v28, v30
	s_delay_alu instid0(VALU_DEP_3) | instskip(NEXT) | instid1(VALU_DEP_3)
	v_fma_f32 v30, 0x3f317218, v24, -v31
	v_ldexp_f32 v25, v25, 1
	s_delay_alu instid0(VALU_DEP_2) | instskip(NEXT) | instid1(VALU_DEP_1)
	v_dual_sub_f32 v27, v29, v27 :: v_dual_fmac_f32 v30, 0xb102e308, v24
	v_dual_add_f32 v24, v25, v27 :: v_dual_add_f32 v25, v31, v30
	s_delay_alu instid0(VALU_DEP_1) | instskip(NEXT) | instid1(VALU_DEP_1)
	v_add_f32_e32 v27, v28, v24
	v_dual_add_f32 v29, v25, v27 :: v_dual_sub_f32 v28, v27, v28
	s_delay_alu instid0(VALU_DEP_1) | instskip(NEXT) | instid1(VALU_DEP_2)
	v_sub_f32_e32 v32, v29, v25
	v_dual_sub_f32 v31, v25, v31 :: v_dual_sub_f32 v24, v24, v28
	s_delay_alu instid0(VALU_DEP_1) | instskip(SKIP_1) | instid1(VALU_DEP_2)
	v_dual_sub_f32 v33, v29, v32 :: v_dual_sub_f32 v30, v30, v31
	v_sub_f32_e32 v27, v27, v32
	v_dual_sub_f32 v25, v25, v33 :: v_dual_add_f32 v28, v30, v24
	s_delay_alu instid0(VALU_DEP_1) | instskip(NEXT) | instid1(VALU_DEP_2)
	v_add_f32_e32 v25, v27, v25
	v_sub_f32_e32 v27, v28, v30
	s_delay_alu instid0(VALU_DEP_2) | instskip(NEXT) | instid1(VALU_DEP_2)
	v_add_f32_e32 v25, v28, v25
	v_sub_f32_e32 v28, v28, v27
	s_delay_alu instid0(VALU_DEP_2) | instskip(NEXT) | instid1(VALU_DEP_1)
	v_dual_sub_f32 v24, v24, v27 :: v_dual_add_f32 v31, v29, v25
	v_dual_sub_f32 v28, v30, v28 :: v_dual_sub_f32 v27, v31, v29
	s_delay_alu instid0(VALU_DEP_1) | instskip(NEXT) | instid1(VALU_DEP_1)
	v_dual_add_f32 v24, v24, v28 :: v_dual_sub_f32 v25, v25, v27
	v_add_f32_e32 v24, v24, v25
	s_delay_alu instid0(VALU_DEP_1) | instskip(NEXT) | instid1(VALU_DEP_1)
	v_add_f32_e32 v24, v31, v24
	v_cndmask_b32_e32 v81, v24, v26, vcc_lo
.LBB81_34:                              ;   in Loop: Header=BB81_12 Depth=1
	s_or_b32 exec_lo, exec_lo, s15
	v_lshrrev_b32_e32 v24, 16, v15
	s_delay_alu instid0(VALU_DEP_1) | instskip(NEXT) | instid1(VALU_DEP_1)
	v_cvt_f32_f16_e32 v24, v24
	v_add_f32_e32 v82, s56, v24
	s_delay_alu instid0(VALU_DEP_1) | instskip(SKIP_1) | instid1(SALU_CYCLE_1)
	v_cmp_ge_f32_e32 vcc_lo, 0x41a00000, v82
	s_and_b32 s14, s66, vcc_lo
	s_and_saveexec_b32 s15, s14
	s_cbranch_execz .LBB81_36
; %bb.35:                               ;   in Loop: Header=BB81_12 Depth=1
	v_mul_f32_e32 v24, 0x3fb8aa3b, v82
	v_cmp_ngt_f32_e32 vcc_lo, 0xc2ce8ed0, v82
	s_delay_alu instid0(VALU_DEP_2) | instskip(SKIP_1) | instid1(VALU_DEP_2)
	v_rndne_f32_e32 v25, v24
	v_fma_f32 v26, 0x3fb8aa3b, v82, -v24
	v_sub_f32_e32 v24, v24, v25
	s_delay_alu instid0(VALU_DEP_2) | instskip(SKIP_1) | instid1(VALU_DEP_2)
	v_fmac_f32_e32 v26, 0x32a5705f, v82
	v_cvt_i32_f32_e32 v25, v25
	v_add_f32_e32 v24, v24, v26
	s_delay_alu instid0(VALU_DEP_1) | instskip(SKIP_2) | instid1(VALU_DEP_1)
	v_exp_f32_e32 v24, v24
	s_waitcnt_depctr 0xfff
	v_ldexp_f32 v24, v24, v25
	v_cndmask_b32_e32 v24, 0, v24, vcc_lo
	v_cmp_nlt_f32_e32 vcc_lo, 0x42b17218, v82
	s_delay_alu instid0(VALU_DEP_2) | instskip(NEXT) | instid1(VALU_DEP_1)
	v_cndmask_b32_e32 v26, 0x7f800000, v24, vcc_lo
	v_add_f32_e32 v27, 1.0, v26
	s_delay_alu instid0(VALU_DEP_1) | instskip(NEXT) | instid1(VALU_DEP_1)
	v_cvt_f64_f32_e32 v[24:25], v27
	v_frexp_exp_i32_f64_e32 v24, v[24:25]
	v_frexp_mant_f32_e32 v25, v27
	s_delay_alu instid0(VALU_DEP_1) | instskip(SKIP_1) | instid1(VALU_DEP_1)
	v_cmp_gt_f32_e32 vcc_lo, 0x3f2aaaab, v25
	v_add_f32_e32 v25, -1.0, v27
	v_sub_f32_e32 v29, v25, v27
	v_sub_f32_e32 v25, v26, v25
	s_delay_alu instid0(VALU_DEP_2) | instskip(NEXT) | instid1(VALU_DEP_1)
	v_add_f32_e32 v29, 1.0, v29
	v_add_f32_e32 v25, v25, v29
	v_cmp_gt_f32_e64 s14, 0x33800000, v26
	v_subrev_co_ci_u32_e32 v24, vcc_lo, 0, v24, vcc_lo
	v_cmp_eq_f32_e32 vcc_lo, 0x7f800000, v26
	s_delay_alu instid0(VALU_DEP_2) | instskip(SKIP_2) | instid1(VALU_DEP_2)
	v_sub_nc_u32_e32 v28, 0, v24
	v_cvt_f32_i32_e32 v24, v24
	s_or_b32 vcc_lo, s14, vcc_lo
	v_ldexp_f32 v27, v27, v28
	v_ldexp_f32 v25, v25, v28
	s_delay_alu instid0(VALU_DEP_2) | instskip(NEXT) | instid1(VALU_DEP_1)
	v_add_f32_e32 v30, 1.0, v27
	v_dual_add_f32 v28, -1.0, v27 :: v_dual_add_f32 v29, -1.0, v30
	s_delay_alu instid0(VALU_DEP_1) | instskip(NEXT) | instid1(VALU_DEP_2)
	v_add_f32_e32 v31, 1.0, v28
	v_sub_f32_e32 v29, v27, v29
	s_delay_alu instid0(VALU_DEP_2) | instskip(NEXT) | instid1(VALU_DEP_2)
	v_sub_f32_e32 v27, v27, v31
	v_add_f32_e32 v29, v25, v29
	s_delay_alu instid0(VALU_DEP_2) | instskip(NEXT) | instid1(VALU_DEP_1)
	v_add_f32_e32 v25, v25, v27
	v_add_f32_e32 v32, v28, v25
	s_delay_alu instid0(VALU_DEP_1) | instskip(NEXT) | instid1(VALU_DEP_1)
	v_dual_add_f32 v31, v30, v29 :: v_dual_sub_f32 v28, v28, v32
	v_rcp_f32_e32 v27, v31
	v_sub_f32_e32 v30, v30, v31
	s_delay_alu instid0(VALU_DEP_1) | instskip(SKIP_2) | instid1(VALU_DEP_1)
	v_add_f32_e32 v29, v29, v30
	s_waitcnt_depctr 0xfff
	v_mul_f32_e32 v33, v32, v27
	v_mul_f32_e32 v34, v31, v33
	s_delay_alu instid0(VALU_DEP_1) | instskip(NEXT) | instid1(VALU_DEP_1)
	v_fma_f32 v30, v33, v31, -v34
	v_fmac_f32_e32 v30, v33, v29
	s_delay_alu instid0(VALU_DEP_1) | instskip(NEXT) | instid1(VALU_DEP_1)
	v_add_f32_e32 v35, v34, v30
	v_sub_f32_e32 v36, v32, v35
	s_delay_alu instid0(VALU_DEP_1) | instskip(SKIP_1) | instid1(VALU_DEP_2)
	v_sub_f32_e32 v32, v32, v36
	v_dual_add_f32 v25, v25, v28 :: v_dual_sub_f32 v28, v35, v34
	v_sub_f32_e32 v32, v32, v35
	s_delay_alu instid0(VALU_DEP_1) | instskip(NEXT) | instid1(VALU_DEP_1)
	v_dual_sub_f32 v28, v28, v30 :: v_dual_add_f32 v25, v25, v32
	v_add_f32_e32 v25, v28, v25
	s_delay_alu instid0(VALU_DEP_1) | instskip(NEXT) | instid1(VALU_DEP_1)
	v_add_f32_e32 v28, v36, v25
	v_mul_f32_e32 v30, v27, v28
	s_delay_alu instid0(VALU_DEP_1) | instskip(NEXT) | instid1(VALU_DEP_1)
	v_dual_sub_f32 v35, v36, v28 :: v_dual_mul_f32 v32, v31, v30
	v_add_f32_e32 v25, v25, v35
	s_delay_alu instid0(VALU_DEP_2) | instskip(NEXT) | instid1(VALU_DEP_1)
	v_fma_f32 v31, v30, v31, -v32
	v_fmac_f32_e32 v31, v30, v29
	s_delay_alu instid0(VALU_DEP_1) | instskip(NEXT) | instid1(VALU_DEP_1)
	v_add_f32_e32 v29, v32, v31
	v_sub_f32_e32 v34, v28, v29
	s_delay_alu instid0(VALU_DEP_1) | instskip(NEXT) | instid1(VALU_DEP_1)
	v_sub_f32_e32 v28, v28, v34
	v_sub_f32_e32 v28, v28, v29
	s_delay_alu instid0(VALU_DEP_1) | instskip(SKIP_2) | instid1(VALU_DEP_1)
	v_add_f32_e32 v25, v25, v28
	v_add_f32_e32 v28, v33, v30
	v_sub_f32_e32 v32, v29, v32
	v_sub_f32_e32 v29, v32, v31
	s_delay_alu instid0(VALU_DEP_1) | instskip(NEXT) | instid1(VALU_DEP_4)
	v_add_f32_e32 v25, v29, v25
	v_sub_f32_e32 v29, v28, v33
	s_delay_alu instid0(VALU_DEP_2) | instskip(NEXT) | instid1(VALU_DEP_2)
	v_add_f32_e32 v25, v34, v25
	v_sub_f32_e32 v29, v30, v29
	s_delay_alu instid0(VALU_DEP_2) | instskip(NEXT) | instid1(VALU_DEP_1)
	v_mul_f32_e32 v25, v27, v25
	v_add_f32_e32 v25, v29, v25
	s_delay_alu instid0(VALU_DEP_1) | instskip(NEXT) | instid1(VALU_DEP_1)
	v_add_f32_e32 v27, v28, v25
	v_mul_f32_e32 v29, v27, v27
	s_delay_alu instid0(VALU_DEP_1) | instskip(SKIP_1) | instid1(VALU_DEP_2)
	v_fmaak_f32 v30, s54, v29, 0x3ecc95a3
	v_mul_f32_e32 v31, v27, v29
	v_fmaak_f32 v29, v29, v30, 0x3f2aaada
	v_ldexp_f32 v30, v27, 1
	s_delay_alu instid0(VALU_DEP_2) | instskip(SKIP_1) | instid1(VALU_DEP_2)
	v_mul_f32_e32 v29, v31, v29
	v_sub_f32_e32 v27, v27, v28
	v_dual_mul_f32 v31, 0x3f317218, v24 :: v_dual_add_f32 v28, v30, v29
	s_delay_alu instid0(VALU_DEP_2) | instskip(NEXT) | instid1(VALU_DEP_2)
	v_sub_f32_e32 v25, v25, v27
	v_sub_f32_e32 v27, v28, v30
	s_delay_alu instid0(VALU_DEP_3) | instskip(NEXT) | instid1(VALU_DEP_3)
	v_fma_f32 v30, 0x3f317218, v24, -v31
	v_ldexp_f32 v25, v25, 1
	s_delay_alu instid0(VALU_DEP_2) | instskip(NEXT) | instid1(VALU_DEP_1)
	v_dual_sub_f32 v27, v29, v27 :: v_dual_fmac_f32 v30, 0xb102e308, v24
	v_dual_add_f32 v24, v25, v27 :: v_dual_add_f32 v25, v31, v30
	s_delay_alu instid0(VALU_DEP_1) | instskip(NEXT) | instid1(VALU_DEP_1)
	v_add_f32_e32 v27, v28, v24
	v_dual_add_f32 v29, v25, v27 :: v_dual_sub_f32 v28, v27, v28
	s_delay_alu instid0(VALU_DEP_1) | instskip(NEXT) | instid1(VALU_DEP_2)
	v_sub_f32_e32 v32, v29, v25
	v_dual_sub_f32 v31, v25, v31 :: v_dual_sub_f32 v24, v24, v28
	s_delay_alu instid0(VALU_DEP_1) | instskip(SKIP_1) | instid1(VALU_DEP_2)
	v_dual_sub_f32 v33, v29, v32 :: v_dual_sub_f32 v30, v30, v31
	v_sub_f32_e32 v27, v27, v32
	v_dual_sub_f32 v25, v25, v33 :: v_dual_add_f32 v28, v30, v24
	s_delay_alu instid0(VALU_DEP_1) | instskip(NEXT) | instid1(VALU_DEP_2)
	v_add_f32_e32 v25, v27, v25
	v_sub_f32_e32 v27, v28, v30
	s_delay_alu instid0(VALU_DEP_2) | instskip(NEXT) | instid1(VALU_DEP_2)
	v_add_f32_e32 v25, v28, v25
	v_sub_f32_e32 v28, v28, v27
	s_delay_alu instid0(VALU_DEP_2) | instskip(NEXT) | instid1(VALU_DEP_1)
	v_dual_sub_f32 v24, v24, v27 :: v_dual_add_f32 v31, v29, v25
	v_dual_sub_f32 v28, v30, v28 :: v_dual_sub_f32 v27, v31, v29
	s_delay_alu instid0(VALU_DEP_1) | instskip(NEXT) | instid1(VALU_DEP_1)
	v_dual_add_f32 v24, v24, v28 :: v_dual_sub_f32 v25, v25, v27
	v_add_f32_e32 v24, v24, v25
	s_delay_alu instid0(VALU_DEP_1) | instskip(NEXT) | instid1(VALU_DEP_1)
	v_add_f32_e32 v24, v31, v24
	v_cndmask_b32_e32 v82, v24, v26, vcc_lo
.LBB81_36:                              ;   in Loop: Header=BB81_12 Depth=1
	s_or_b32 exec_lo, exec_lo, s15
	s_waitcnt lgkmcnt(0)
	v_cvt_f32_f16_e32 v24, v8
	s_delay_alu instid0(VALU_DEP_1) | instskip(NEXT) | instid1(VALU_DEP_1)
	v_add_f32_e32 v83, s56, v24
	v_cmp_ge_f32_e32 vcc_lo, 0x41a00000, v83
	s_and_b32 s14, s66, vcc_lo
	s_delay_alu instid0(SALU_CYCLE_1)
	s_and_saveexec_b32 s15, s14
	s_cbranch_execz .LBB81_38
; %bb.37:                               ;   in Loop: Header=BB81_12 Depth=1
	v_mul_f32_e32 v24, 0x3fb8aa3b, v83
	v_cmp_ngt_f32_e32 vcc_lo, 0xc2ce8ed0, v83
	s_delay_alu instid0(VALU_DEP_2) | instskip(SKIP_1) | instid1(VALU_DEP_2)
	v_rndne_f32_e32 v25, v24
	v_fma_f32 v26, 0x3fb8aa3b, v83, -v24
	v_sub_f32_e32 v24, v24, v25
	s_delay_alu instid0(VALU_DEP_2) | instskip(SKIP_1) | instid1(VALU_DEP_2)
	v_fmac_f32_e32 v26, 0x32a5705f, v83
	v_cvt_i32_f32_e32 v25, v25
	v_add_f32_e32 v24, v24, v26
	s_delay_alu instid0(VALU_DEP_1) | instskip(SKIP_2) | instid1(VALU_DEP_1)
	v_exp_f32_e32 v24, v24
	s_waitcnt_depctr 0xfff
	v_ldexp_f32 v24, v24, v25
	v_cndmask_b32_e32 v24, 0, v24, vcc_lo
	v_cmp_nlt_f32_e32 vcc_lo, 0x42b17218, v83
	s_delay_alu instid0(VALU_DEP_2) | instskip(NEXT) | instid1(VALU_DEP_1)
	v_cndmask_b32_e32 v26, 0x7f800000, v24, vcc_lo
	v_add_f32_e32 v27, 1.0, v26
	s_delay_alu instid0(VALU_DEP_1) | instskip(NEXT) | instid1(VALU_DEP_1)
	v_cvt_f64_f32_e32 v[24:25], v27
	v_frexp_exp_i32_f64_e32 v24, v[24:25]
	v_frexp_mant_f32_e32 v25, v27
	s_delay_alu instid0(VALU_DEP_1) | instskip(SKIP_1) | instid1(VALU_DEP_1)
	v_cmp_gt_f32_e32 vcc_lo, 0x3f2aaaab, v25
	v_add_f32_e32 v25, -1.0, v27
	v_sub_f32_e32 v29, v25, v27
	v_sub_f32_e32 v25, v26, v25
	s_delay_alu instid0(VALU_DEP_2) | instskip(NEXT) | instid1(VALU_DEP_1)
	v_add_f32_e32 v29, 1.0, v29
	v_add_f32_e32 v25, v25, v29
	v_cmp_gt_f32_e64 s14, 0x33800000, v26
	v_subrev_co_ci_u32_e32 v24, vcc_lo, 0, v24, vcc_lo
	v_cmp_eq_f32_e32 vcc_lo, 0x7f800000, v26
	s_delay_alu instid0(VALU_DEP_2) | instskip(SKIP_2) | instid1(VALU_DEP_2)
	v_sub_nc_u32_e32 v28, 0, v24
	v_cvt_f32_i32_e32 v24, v24
	s_or_b32 vcc_lo, s14, vcc_lo
	v_ldexp_f32 v27, v27, v28
	v_ldexp_f32 v25, v25, v28
	s_delay_alu instid0(VALU_DEP_2) | instskip(NEXT) | instid1(VALU_DEP_1)
	v_add_f32_e32 v30, 1.0, v27
	v_dual_add_f32 v28, -1.0, v27 :: v_dual_add_f32 v29, -1.0, v30
	s_delay_alu instid0(VALU_DEP_1) | instskip(NEXT) | instid1(VALU_DEP_2)
	v_add_f32_e32 v31, 1.0, v28
	v_sub_f32_e32 v29, v27, v29
	s_delay_alu instid0(VALU_DEP_2) | instskip(NEXT) | instid1(VALU_DEP_2)
	v_sub_f32_e32 v27, v27, v31
	v_add_f32_e32 v29, v25, v29
	s_delay_alu instid0(VALU_DEP_2) | instskip(NEXT) | instid1(VALU_DEP_1)
	v_add_f32_e32 v25, v25, v27
	v_add_f32_e32 v32, v28, v25
	s_delay_alu instid0(VALU_DEP_1) | instskip(NEXT) | instid1(VALU_DEP_1)
	v_dual_add_f32 v31, v30, v29 :: v_dual_sub_f32 v28, v28, v32
	v_rcp_f32_e32 v27, v31
	v_sub_f32_e32 v30, v30, v31
	s_delay_alu instid0(VALU_DEP_1) | instskip(SKIP_2) | instid1(VALU_DEP_1)
	v_add_f32_e32 v29, v29, v30
	s_waitcnt_depctr 0xfff
	v_mul_f32_e32 v33, v32, v27
	v_mul_f32_e32 v34, v31, v33
	s_delay_alu instid0(VALU_DEP_1) | instskip(NEXT) | instid1(VALU_DEP_1)
	v_fma_f32 v30, v33, v31, -v34
	v_fmac_f32_e32 v30, v33, v29
	s_delay_alu instid0(VALU_DEP_1) | instskip(NEXT) | instid1(VALU_DEP_1)
	v_add_f32_e32 v35, v34, v30
	v_sub_f32_e32 v36, v32, v35
	s_delay_alu instid0(VALU_DEP_1) | instskip(SKIP_1) | instid1(VALU_DEP_2)
	v_sub_f32_e32 v32, v32, v36
	v_dual_add_f32 v25, v25, v28 :: v_dual_sub_f32 v28, v35, v34
	v_sub_f32_e32 v32, v32, v35
	s_delay_alu instid0(VALU_DEP_1) | instskip(NEXT) | instid1(VALU_DEP_1)
	v_dual_sub_f32 v28, v28, v30 :: v_dual_add_f32 v25, v25, v32
	v_add_f32_e32 v25, v28, v25
	s_delay_alu instid0(VALU_DEP_1) | instskip(NEXT) | instid1(VALU_DEP_1)
	v_add_f32_e32 v28, v36, v25
	v_mul_f32_e32 v30, v27, v28
	s_delay_alu instid0(VALU_DEP_1) | instskip(NEXT) | instid1(VALU_DEP_1)
	v_dual_sub_f32 v35, v36, v28 :: v_dual_mul_f32 v32, v31, v30
	v_add_f32_e32 v25, v25, v35
	s_delay_alu instid0(VALU_DEP_2) | instskip(NEXT) | instid1(VALU_DEP_1)
	v_fma_f32 v31, v30, v31, -v32
	v_fmac_f32_e32 v31, v30, v29
	s_delay_alu instid0(VALU_DEP_1) | instskip(NEXT) | instid1(VALU_DEP_1)
	v_add_f32_e32 v29, v32, v31
	v_sub_f32_e32 v34, v28, v29
	s_delay_alu instid0(VALU_DEP_1) | instskip(NEXT) | instid1(VALU_DEP_1)
	v_sub_f32_e32 v28, v28, v34
	v_sub_f32_e32 v28, v28, v29
	s_delay_alu instid0(VALU_DEP_1) | instskip(SKIP_2) | instid1(VALU_DEP_1)
	v_add_f32_e32 v25, v25, v28
	v_add_f32_e32 v28, v33, v30
	v_sub_f32_e32 v32, v29, v32
	v_sub_f32_e32 v29, v32, v31
	s_delay_alu instid0(VALU_DEP_1) | instskip(NEXT) | instid1(VALU_DEP_4)
	v_add_f32_e32 v25, v29, v25
	v_sub_f32_e32 v29, v28, v33
	s_delay_alu instid0(VALU_DEP_2) | instskip(NEXT) | instid1(VALU_DEP_2)
	v_add_f32_e32 v25, v34, v25
	v_sub_f32_e32 v29, v30, v29
	s_delay_alu instid0(VALU_DEP_2) | instskip(NEXT) | instid1(VALU_DEP_1)
	v_mul_f32_e32 v25, v27, v25
	v_add_f32_e32 v25, v29, v25
	s_delay_alu instid0(VALU_DEP_1) | instskip(NEXT) | instid1(VALU_DEP_1)
	v_add_f32_e32 v27, v28, v25
	v_mul_f32_e32 v29, v27, v27
	s_delay_alu instid0(VALU_DEP_1) | instskip(SKIP_1) | instid1(VALU_DEP_2)
	v_fmaak_f32 v30, s54, v29, 0x3ecc95a3
	v_mul_f32_e32 v31, v27, v29
	v_fmaak_f32 v29, v29, v30, 0x3f2aaada
	v_ldexp_f32 v30, v27, 1
	s_delay_alu instid0(VALU_DEP_2) | instskip(SKIP_1) | instid1(VALU_DEP_2)
	v_mul_f32_e32 v29, v31, v29
	v_sub_f32_e32 v27, v27, v28
	v_dual_mul_f32 v31, 0x3f317218, v24 :: v_dual_add_f32 v28, v30, v29
	s_delay_alu instid0(VALU_DEP_2) | instskip(NEXT) | instid1(VALU_DEP_2)
	v_sub_f32_e32 v25, v25, v27
	v_sub_f32_e32 v27, v28, v30
	s_delay_alu instid0(VALU_DEP_3) | instskip(NEXT) | instid1(VALU_DEP_3)
	v_fma_f32 v30, 0x3f317218, v24, -v31
	v_ldexp_f32 v25, v25, 1
	s_delay_alu instid0(VALU_DEP_2) | instskip(NEXT) | instid1(VALU_DEP_1)
	v_dual_sub_f32 v27, v29, v27 :: v_dual_fmac_f32 v30, 0xb102e308, v24
	v_dual_add_f32 v24, v25, v27 :: v_dual_add_f32 v25, v31, v30
	s_delay_alu instid0(VALU_DEP_1) | instskip(NEXT) | instid1(VALU_DEP_1)
	v_add_f32_e32 v27, v28, v24
	v_dual_add_f32 v29, v25, v27 :: v_dual_sub_f32 v28, v27, v28
	s_delay_alu instid0(VALU_DEP_1) | instskip(NEXT) | instid1(VALU_DEP_2)
	v_sub_f32_e32 v32, v29, v25
	v_dual_sub_f32 v31, v25, v31 :: v_dual_sub_f32 v24, v24, v28
	s_delay_alu instid0(VALU_DEP_1) | instskip(SKIP_1) | instid1(VALU_DEP_2)
	v_dual_sub_f32 v33, v29, v32 :: v_dual_sub_f32 v30, v30, v31
	v_sub_f32_e32 v27, v27, v32
	v_dual_sub_f32 v25, v25, v33 :: v_dual_add_f32 v28, v30, v24
	s_delay_alu instid0(VALU_DEP_1) | instskip(NEXT) | instid1(VALU_DEP_2)
	v_add_f32_e32 v25, v27, v25
	v_sub_f32_e32 v27, v28, v30
	s_delay_alu instid0(VALU_DEP_2) | instskip(NEXT) | instid1(VALU_DEP_2)
	v_add_f32_e32 v25, v28, v25
	v_sub_f32_e32 v28, v28, v27
	s_delay_alu instid0(VALU_DEP_2) | instskip(NEXT) | instid1(VALU_DEP_1)
	v_dual_sub_f32 v24, v24, v27 :: v_dual_add_f32 v31, v29, v25
	v_dual_sub_f32 v28, v30, v28 :: v_dual_sub_f32 v27, v31, v29
	s_delay_alu instid0(VALU_DEP_1) | instskip(NEXT) | instid1(VALU_DEP_1)
	v_dual_add_f32 v24, v24, v28 :: v_dual_sub_f32 v25, v25, v27
	v_add_f32_e32 v24, v24, v25
	s_delay_alu instid0(VALU_DEP_1) | instskip(NEXT) | instid1(VALU_DEP_1)
	v_add_f32_e32 v24, v31, v24
	v_cndmask_b32_e32 v83, v24, v26, vcc_lo
.LBB81_38:                              ;   in Loop: Header=BB81_12 Depth=1
	s_or_b32 exec_lo, exec_lo, s15
	v_lshrrev_b32_e32 v24, 16, v8
	s_delay_alu instid0(VALU_DEP_1) | instskip(NEXT) | instid1(VALU_DEP_1)
	v_cvt_f32_f16_e32 v24, v24
	v_add_f32_e32 v84, s56, v24
	s_delay_alu instid0(VALU_DEP_1) | instskip(SKIP_1) | instid1(SALU_CYCLE_1)
	v_cmp_ge_f32_e32 vcc_lo, 0x41a00000, v84
	s_and_b32 s14, s66, vcc_lo
	s_and_saveexec_b32 s15, s14
	s_cbranch_execz .LBB81_40
; %bb.39:                               ;   in Loop: Header=BB81_12 Depth=1
	v_mul_f32_e32 v24, 0x3fb8aa3b, v84
	v_cmp_ngt_f32_e32 vcc_lo, 0xc2ce8ed0, v84
	s_delay_alu instid0(VALU_DEP_2) | instskip(SKIP_1) | instid1(VALU_DEP_2)
	v_rndne_f32_e32 v25, v24
	v_fma_f32 v26, 0x3fb8aa3b, v84, -v24
	v_sub_f32_e32 v24, v24, v25
	s_delay_alu instid0(VALU_DEP_2) | instskip(SKIP_1) | instid1(VALU_DEP_2)
	v_fmac_f32_e32 v26, 0x32a5705f, v84
	v_cvt_i32_f32_e32 v25, v25
	v_add_f32_e32 v24, v24, v26
	s_delay_alu instid0(VALU_DEP_1) | instskip(SKIP_2) | instid1(VALU_DEP_1)
	v_exp_f32_e32 v24, v24
	s_waitcnt_depctr 0xfff
	v_ldexp_f32 v24, v24, v25
	v_cndmask_b32_e32 v24, 0, v24, vcc_lo
	v_cmp_nlt_f32_e32 vcc_lo, 0x42b17218, v84
	s_delay_alu instid0(VALU_DEP_2) | instskip(NEXT) | instid1(VALU_DEP_1)
	v_cndmask_b32_e32 v26, 0x7f800000, v24, vcc_lo
	v_add_f32_e32 v27, 1.0, v26
	s_delay_alu instid0(VALU_DEP_1) | instskip(NEXT) | instid1(VALU_DEP_1)
	v_cvt_f64_f32_e32 v[24:25], v27
	v_frexp_exp_i32_f64_e32 v24, v[24:25]
	v_frexp_mant_f32_e32 v25, v27
	s_delay_alu instid0(VALU_DEP_1) | instskip(SKIP_1) | instid1(VALU_DEP_1)
	v_cmp_gt_f32_e32 vcc_lo, 0x3f2aaaab, v25
	v_add_f32_e32 v25, -1.0, v27
	v_sub_f32_e32 v29, v25, v27
	v_sub_f32_e32 v25, v26, v25
	s_delay_alu instid0(VALU_DEP_2) | instskip(NEXT) | instid1(VALU_DEP_1)
	v_add_f32_e32 v29, 1.0, v29
	v_add_f32_e32 v25, v25, v29
	v_cmp_gt_f32_e64 s14, 0x33800000, v26
	v_subrev_co_ci_u32_e32 v24, vcc_lo, 0, v24, vcc_lo
	v_cmp_eq_f32_e32 vcc_lo, 0x7f800000, v26
	s_delay_alu instid0(VALU_DEP_2) | instskip(SKIP_2) | instid1(VALU_DEP_2)
	v_sub_nc_u32_e32 v28, 0, v24
	v_cvt_f32_i32_e32 v24, v24
	s_or_b32 vcc_lo, s14, vcc_lo
	v_ldexp_f32 v27, v27, v28
	v_ldexp_f32 v25, v25, v28
	s_delay_alu instid0(VALU_DEP_2) | instskip(NEXT) | instid1(VALU_DEP_1)
	v_add_f32_e32 v30, 1.0, v27
	v_dual_add_f32 v28, -1.0, v27 :: v_dual_add_f32 v29, -1.0, v30
	s_delay_alu instid0(VALU_DEP_1) | instskip(NEXT) | instid1(VALU_DEP_2)
	v_add_f32_e32 v31, 1.0, v28
	v_sub_f32_e32 v29, v27, v29
	s_delay_alu instid0(VALU_DEP_2) | instskip(NEXT) | instid1(VALU_DEP_2)
	v_sub_f32_e32 v27, v27, v31
	v_add_f32_e32 v29, v25, v29
	s_delay_alu instid0(VALU_DEP_2) | instskip(NEXT) | instid1(VALU_DEP_1)
	v_add_f32_e32 v25, v25, v27
	v_add_f32_e32 v32, v28, v25
	s_delay_alu instid0(VALU_DEP_1) | instskip(NEXT) | instid1(VALU_DEP_1)
	v_dual_add_f32 v31, v30, v29 :: v_dual_sub_f32 v28, v28, v32
	v_rcp_f32_e32 v27, v31
	v_sub_f32_e32 v30, v30, v31
	s_delay_alu instid0(VALU_DEP_1) | instskip(SKIP_2) | instid1(VALU_DEP_1)
	v_add_f32_e32 v29, v29, v30
	s_waitcnt_depctr 0xfff
	v_mul_f32_e32 v33, v32, v27
	v_mul_f32_e32 v34, v31, v33
	s_delay_alu instid0(VALU_DEP_1) | instskip(NEXT) | instid1(VALU_DEP_1)
	v_fma_f32 v30, v33, v31, -v34
	v_fmac_f32_e32 v30, v33, v29
	s_delay_alu instid0(VALU_DEP_1) | instskip(NEXT) | instid1(VALU_DEP_1)
	v_add_f32_e32 v35, v34, v30
	v_sub_f32_e32 v36, v32, v35
	s_delay_alu instid0(VALU_DEP_1) | instskip(SKIP_1) | instid1(VALU_DEP_2)
	v_sub_f32_e32 v32, v32, v36
	v_dual_add_f32 v25, v25, v28 :: v_dual_sub_f32 v28, v35, v34
	v_sub_f32_e32 v32, v32, v35
	s_delay_alu instid0(VALU_DEP_1) | instskip(NEXT) | instid1(VALU_DEP_1)
	v_dual_sub_f32 v28, v28, v30 :: v_dual_add_f32 v25, v25, v32
	v_add_f32_e32 v25, v28, v25
	s_delay_alu instid0(VALU_DEP_1) | instskip(NEXT) | instid1(VALU_DEP_1)
	v_add_f32_e32 v28, v36, v25
	v_mul_f32_e32 v30, v27, v28
	s_delay_alu instid0(VALU_DEP_1) | instskip(NEXT) | instid1(VALU_DEP_1)
	v_dual_sub_f32 v35, v36, v28 :: v_dual_mul_f32 v32, v31, v30
	v_add_f32_e32 v25, v25, v35
	s_delay_alu instid0(VALU_DEP_2) | instskip(NEXT) | instid1(VALU_DEP_1)
	v_fma_f32 v31, v30, v31, -v32
	v_fmac_f32_e32 v31, v30, v29
	s_delay_alu instid0(VALU_DEP_1) | instskip(NEXT) | instid1(VALU_DEP_1)
	v_add_f32_e32 v29, v32, v31
	v_sub_f32_e32 v34, v28, v29
	s_delay_alu instid0(VALU_DEP_1) | instskip(NEXT) | instid1(VALU_DEP_1)
	v_sub_f32_e32 v28, v28, v34
	v_sub_f32_e32 v28, v28, v29
	s_delay_alu instid0(VALU_DEP_1) | instskip(SKIP_2) | instid1(VALU_DEP_1)
	v_add_f32_e32 v25, v25, v28
	v_add_f32_e32 v28, v33, v30
	v_sub_f32_e32 v32, v29, v32
	v_sub_f32_e32 v29, v32, v31
	s_delay_alu instid0(VALU_DEP_1) | instskip(NEXT) | instid1(VALU_DEP_4)
	v_add_f32_e32 v25, v29, v25
	v_sub_f32_e32 v29, v28, v33
	s_delay_alu instid0(VALU_DEP_2) | instskip(NEXT) | instid1(VALU_DEP_2)
	v_add_f32_e32 v25, v34, v25
	v_sub_f32_e32 v29, v30, v29
	s_delay_alu instid0(VALU_DEP_2) | instskip(NEXT) | instid1(VALU_DEP_1)
	v_mul_f32_e32 v25, v27, v25
	v_add_f32_e32 v25, v29, v25
	s_delay_alu instid0(VALU_DEP_1) | instskip(NEXT) | instid1(VALU_DEP_1)
	v_add_f32_e32 v27, v28, v25
	v_mul_f32_e32 v29, v27, v27
	s_delay_alu instid0(VALU_DEP_1) | instskip(SKIP_1) | instid1(VALU_DEP_2)
	v_fmaak_f32 v30, s54, v29, 0x3ecc95a3
	v_mul_f32_e32 v31, v27, v29
	v_fmaak_f32 v29, v29, v30, 0x3f2aaada
	v_ldexp_f32 v30, v27, 1
	s_delay_alu instid0(VALU_DEP_2) | instskip(SKIP_1) | instid1(VALU_DEP_2)
	v_mul_f32_e32 v29, v31, v29
	v_sub_f32_e32 v27, v27, v28
	v_dual_mul_f32 v31, 0x3f317218, v24 :: v_dual_add_f32 v28, v30, v29
	s_delay_alu instid0(VALU_DEP_2) | instskip(NEXT) | instid1(VALU_DEP_2)
	v_sub_f32_e32 v25, v25, v27
	v_sub_f32_e32 v27, v28, v30
	s_delay_alu instid0(VALU_DEP_3) | instskip(NEXT) | instid1(VALU_DEP_3)
	v_fma_f32 v30, 0x3f317218, v24, -v31
	v_ldexp_f32 v25, v25, 1
	s_delay_alu instid0(VALU_DEP_2) | instskip(NEXT) | instid1(VALU_DEP_1)
	v_dual_sub_f32 v27, v29, v27 :: v_dual_fmac_f32 v30, 0xb102e308, v24
	v_dual_add_f32 v24, v25, v27 :: v_dual_add_f32 v25, v31, v30
	s_delay_alu instid0(VALU_DEP_1) | instskip(NEXT) | instid1(VALU_DEP_1)
	v_add_f32_e32 v27, v28, v24
	v_dual_add_f32 v29, v25, v27 :: v_dual_sub_f32 v28, v27, v28
	s_delay_alu instid0(VALU_DEP_1) | instskip(NEXT) | instid1(VALU_DEP_2)
	v_sub_f32_e32 v32, v29, v25
	v_dual_sub_f32 v31, v25, v31 :: v_dual_sub_f32 v24, v24, v28
	s_delay_alu instid0(VALU_DEP_1) | instskip(SKIP_1) | instid1(VALU_DEP_2)
	v_dual_sub_f32 v33, v29, v32 :: v_dual_sub_f32 v30, v30, v31
	v_sub_f32_e32 v27, v27, v32
	v_dual_sub_f32 v25, v25, v33 :: v_dual_add_f32 v28, v30, v24
	s_delay_alu instid0(VALU_DEP_1) | instskip(NEXT) | instid1(VALU_DEP_2)
	v_add_f32_e32 v25, v27, v25
	v_sub_f32_e32 v27, v28, v30
	s_delay_alu instid0(VALU_DEP_2) | instskip(NEXT) | instid1(VALU_DEP_2)
	v_add_f32_e32 v25, v28, v25
	v_sub_f32_e32 v28, v28, v27
	s_delay_alu instid0(VALU_DEP_2) | instskip(NEXT) | instid1(VALU_DEP_1)
	v_dual_sub_f32 v24, v24, v27 :: v_dual_add_f32 v31, v29, v25
	v_dual_sub_f32 v28, v30, v28 :: v_dual_sub_f32 v27, v31, v29
	s_delay_alu instid0(VALU_DEP_1) | instskip(NEXT) | instid1(VALU_DEP_1)
	v_dual_add_f32 v24, v24, v28 :: v_dual_sub_f32 v25, v25, v27
	v_add_f32_e32 v24, v24, v25
	s_delay_alu instid0(VALU_DEP_1) | instskip(NEXT) | instid1(VALU_DEP_1)
	v_add_f32_e32 v24, v31, v24
	v_cndmask_b32_e32 v84, v24, v26, vcc_lo
.LBB81_40:                              ;   in Loop: Header=BB81_12 Depth=1
	s_or_b32 exec_lo, exec_lo, s15
	v_cvt_f32_f16_e32 v24, v9
	s_delay_alu instid0(VALU_DEP_1) | instskip(NEXT) | instid1(VALU_DEP_1)
	v_add_f32_e32 v97, s56, v24
	v_cmp_ge_f32_e32 vcc_lo, 0x41a00000, v97
	s_and_b32 s14, s66, vcc_lo
	s_delay_alu instid0(SALU_CYCLE_1)
	s_and_saveexec_b32 s15, s14
	s_cbranch_execz .LBB81_42
; %bb.41:                               ;   in Loop: Header=BB81_12 Depth=1
	v_mul_f32_e32 v24, 0x3fb8aa3b, v97
	v_cmp_ngt_f32_e32 vcc_lo, 0xc2ce8ed0, v97
	s_delay_alu instid0(VALU_DEP_2) | instskip(SKIP_1) | instid1(VALU_DEP_2)
	v_rndne_f32_e32 v25, v24
	v_fma_f32 v26, 0x3fb8aa3b, v97, -v24
	v_sub_f32_e32 v24, v24, v25
	s_delay_alu instid0(VALU_DEP_2) | instskip(SKIP_1) | instid1(VALU_DEP_2)
	v_fmac_f32_e32 v26, 0x32a5705f, v97
	v_cvt_i32_f32_e32 v25, v25
	v_add_f32_e32 v24, v24, v26
	s_delay_alu instid0(VALU_DEP_1) | instskip(SKIP_2) | instid1(VALU_DEP_1)
	v_exp_f32_e32 v24, v24
	s_waitcnt_depctr 0xfff
	v_ldexp_f32 v24, v24, v25
	v_cndmask_b32_e32 v24, 0, v24, vcc_lo
	v_cmp_nlt_f32_e32 vcc_lo, 0x42b17218, v97
	s_delay_alu instid0(VALU_DEP_2) | instskip(NEXT) | instid1(VALU_DEP_1)
	v_cndmask_b32_e32 v26, 0x7f800000, v24, vcc_lo
	v_add_f32_e32 v27, 1.0, v26
	s_delay_alu instid0(VALU_DEP_1) | instskip(NEXT) | instid1(VALU_DEP_1)
	v_cvt_f64_f32_e32 v[24:25], v27
	v_frexp_exp_i32_f64_e32 v24, v[24:25]
	v_frexp_mant_f32_e32 v25, v27
	s_delay_alu instid0(VALU_DEP_1) | instskip(SKIP_1) | instid1(VALU_DEP_1)
	v_cmp_gt_f32_e32 vcc_lo, 0x3f2aaaab, v25
	v_add_f32_e32 v25, -1.0, v27
	v_sub_f32_e32 v29, v25, v27
	v_sub_f32_e32 v25, v26, v25
	s_delay_alu instid0(VALU_DEP_2) | instskip(NEXT) | instid1(VALU_DEP_1)
	v_add_f32_e32 v29, 1.0, v29
	v_add_f32_e32 v25, v25, v29
	v_cmp_gt_f32_e64 s14, 0x33800000, v26
	v_subrev_co_ci_u32_e32 v24, vcc_lo, 0, v24, vcc_lo
	v_cmp_eq_f32_e32 vcc_lo, 0x7f800000, v26
	s_delay_alu instid0(VALU_DEP_2) | instskip(SKIP_2) | instid1(VALU_DEP_2)
	v_sub_nc_u32_e32 v28, 0, v24
	v_cvt_f32_i32_e32 v24, v24
	s_or_b32 vcc_lo, s14, vcc_lo
	v_ldexp_f32 v27, v27, v28
	v_ldexp_f32 v25, v25, v28
	s_delay_alu instid0(VALU_DEP_2) | instskip(NEXT) | instid1(VALU_DEP_1)
	v_add_f32_e32 v30, 1.0, v27
	v_dual_add_f32 v28, -1.0, v27 :: v_dual_add_f32 v29, -1.0, v30
	s_delay_alu instid0(VALU_DEP_1) | instskip(NEXT) | instid1(VALU_DEP_2)
	v_add_f32_e32 v31, 1.0, v28
	v_sub_f32_e32 v29, v27, v29
	s_delay_alu instid0(VALU_DEP_2) | instskip(NEXT) | instid1(VALU_DEP_2)
	v_sub_f32_e32 v27, v27, v31
	v_add_f32_e32 v29, v25, v29
	s_delay_alu instid0(VALU_DEP_2) | instskip(NEXT) | instid1(VALU_DEP_1)
	v_add_f32_e32 v25, v25, v27
	v_add_f32_e32 v32, v28, v25
	s_delay_alu instid0(VALU_DEP_1) | instskip(NEXT) | instid1(VALU_DEP_1)
	v_dual_add_f32 v31, v30, v29 :: v_dual_sub_f32 v28, v28, v32
	v_rcp_f32_e32 v27, v31
	v_sub_f32_e32 v30, v30, v31
	s_delay_alu instid0(VALU_DEP_1) | instskip(SKIP_2) | instid1(VALU_DEP_1)
	v_add_f32_e32 v29, v29, v30
	s_waitcnt_depctr 0xfff
	v_mul_f32_e32 v33, v32, v27
	v_mul_f32_e32 v34, v31, v33
	s_delay_alu instid0(VALU_DEP_1) | instskip(NEXT) | instid1(VALU_DEP_1)
	v_fma_f32 v30, v33, v31, -v34
	v_fmac_f32_e32 v30, v33, v29
	s_delay_alu instid0(VALU_DEP_1) | instskip(NEXT) | instid1(VALU_DEP_1)
	v_add_f32_e32 v35, v34, v30
	v_sub_f32_e32 v36, v32, v35
	s_delay_alu instid0(VALU_DEP_1) | instskip(SKIP_1) | instid1(VALU_DEP_2)
	v_sub_f32_e32 v32, v32, v36
	v_dual_add_f32 v25, v25, v28 :: v_dual_sub_f32 v28, v35, v34
	v_sub_f32_e32 v32, v32, v35
	s_delay_alu instid0(VALU_DEP_1) | instskip(NEXT) | instid1(VALU_DEP_1)
	v_dual_sub_f32 v28, v28, v30 :: v_dual_add_f32 v25, v25, v32
	v_add_f32_e32 v25, v28, v25
	s_delay_alu instid0(VALU_DEP_1) | instskip(NEXT) | instid1(VALU_DEP_1)
	v_add_f32_e32 v28, v36, v25
	v_mul_f32_e32 v30, v27, v28
	s_delay_alu instid0(VALU_DEP_1) | instskip(NEXT) | instid1(VALU_DEP_1)
	v_dual_sub_f32 v35, v36, v28 :: v_dual_mul_f32 v32, v31, v30
	v_add_f32_e32 v25, v25, v35
	s_delay_alu instid0(VALU_DEP_2) | instskip(NEXT) | instid1(VALU_DEP_1)
	v_fma_f32 v31, v30, v31, -v32
	v_fmac_f32_e32 v31, v30, v29
	s_delay_alu instid0(VALU_DEP_1) | instskip(NEXT) | instid1(VALU_DEP_1)
	v_add_f32_e32 v29, v32, v31
	v_sub_f32_e32 v34, v28, v29
	s_delay_alu instid0(VALU_DEP_1) | instskip(NEXT) | instid1(VALU_DEP_1)
	v_sub_f32_e32 v28, v28, v34
	v_sub_f32_e32 v28, v28, v29
	s_delay_alu instid0(VALU_DEP_1) | instskip(SKIP_2) | instid1(VALU_DEP_1)
	v_add_f32_e32 v25, v25, v28
	v_add_f32_e32 v28, v33, v30
	v_sub_f32_e32 v32, v29, v32
	v_sub_f32_e32 v29, v32, v31
	s_delay_alu instid0(VALU_DEP_1) | instskip(NEXT) | instid1(VALU_DEP_4)
	v_add_f32_e32 v25, v29, v25
	v_sub_f32_e32 v29, v28, v33
	s_delay_alu instid0(VALU_DEP_2) | instskip(NEXT) | instid1(VALU_DEP_2)
	v_add_f32_e32 v25, v34, v25
	v_sub_f32_e32 v29, v30, v29
	s_delay_alu instid0(VALU_DEP_2) | instskip(NEXT) | instid1(VALU_DEP_1)
	v_mul_f32_e32 v25, v27, v25
	v_add_f32_e32 v25, v29, v25
	s_delay_alu instid0(VALU_DEP_1) | instskip(NEXT) | instid1(VALU_DEP_1)
	v_add_f32_e32 v27, v28, v25
	v_mul_f32_e32 v29, v27, v27
	s_delay_alu instid0(VALU_DEP_1) | instskip(SKIP_1) | instid1(VALU_DEP_2)
	v_fmaak_f32 v30, s54, v29, 0x3ecc95a3
	v_mul_f32_e32 v31, v27, v29
	v_fmaak_f32 v29, v29, v30, 0x3f2aaada
	v_ldexp_f32 v30, v27, 1
	s_delay_alu instid0(VALU_DEP_2) | instskip(SKIP_1) | instid1(VALU_DEP_2)
	v_mul_f32_e32 v29, v31, v29
	v_sub_f32_e32 v27, v27, v28
	v_dual_mul_f32 v31, 0x3f317218, v24 :: v_dual_add_f32 v28, v30, v29
	s_delay_alu instid0(VALU_DEP_2) | instskip(NEXT) | instid1(VALU_DEP_2)
	v_sub_f32_e32 v25, v25, v27
	v_sub_f32_e32 v27, v28, v30
	s_delay_alu instid0(VALU_DEP_3) | instskip(NEXT) | instid1(VALU_DEP_3)
	v_fma_f32 v30, 0x3f317218, v24, -v31
	v_ldexp_f32 v25, v25, 1
	s_delay_alu instid0(VALU_DEP_2) | instskip(NEXT) | instid1(VALU_DEP_1)
	v_dual_sub_f32 v27, v29, v27 :: v_dual_fmac_f32 v30, 0xb102e308, v24
	v_dual_add_f32 v24, v25, v27 :: v_dual_add_f32 v25, v31, v30
	s_delay_alu instid0(VALU_DEP_1) | instskip(NEXT) | instid1(VALU_DEP_1)
	v_add_f32_e32 v27, v28, v24
	v_dual_add_f32 v29, v25, v27 :: v_dual_sub_f32 v28, v27, v28
	s_delay_alu instid0(VALU_DEP_1) | instskip(NEXT) | instid1(VALU_DEP_2)
	v_sub_f32_e32 v32, v29, v25
	v_dual_sub_f32 v31, v25, v31 :: v_dual_sub_f32 v24, v24, v28
	s_delay_alu instid0(VALU_DEP_1) | instskip(SKIP_1) | instid1(VALU_DEP_2)
	v_dual_sub_f32 v33, v29, v32 :: v_dual_sub_f32 v30, v30, v31
	v_sub_f32_e32 v27, v27, v32
	v_dual_sub_f32 v25, v25, v33 :: v_dual_add_f32 v28, v30, v24
	s_delay_alu instid0(VALU_DEP_1) | instskip(NEXT) | instid1(VALU_DEP_2)
	v_add_f32_e32 v25, v27, v25
	v_sub_f32_e32 v27, v28, v30
	s_delay_alu instid0(VALU_DEP_2) | instskip(NEXT) | instid1(VALU_DEP_2)
	v_add_f32_e32 v25, v28, v25
	v_sub_f32_e32 v28, v28, v27
	s_delay_alu instid0(VALU_DEP_2) | instskip(NEXT) | instid1(VALU_DEP_1)
	v_dual_sub_f32 v24, v24, v27 :: v_dual_add_f32 v31, v29, v25
	v_dual_sub_f32 v28, v30, v28 :: v_dual_sub_f32 v27, v31, v29
	s_delay_alu instid0(VALU_DEP_1) | instskip(NEXT) | instid1(VALU_DEP_1)
	v_dual_add_f32 v24, v24, v28 :: v_dual_sub_f32 v25, v25, v27
	v_add_f32_e32 v24, v24, v25
	s_delay_alu instid0(VALU_DEP_1) | instskip(NEXT) | instid1(VALU_DEP_1)
	v_add_f32_e32 v24, v31, v24
	v_cndmask_b32_e32 v97, v24, v26, vcc_lo
.LBB81_42:                              ;   in Loop: Header=BB81_12 Depth=1
	s_or_b32 exec_lo, exec_lo, s15
	v_lshrrev_b32_e32 v24, 16, v9
	s_delay_alu instid0(VALU_DEP_1) | instskip(NEXT) | instid1(VALU_DEP_1)
	v_cvt_f32_f16_e32 v24, v24
	v_add_f32_e32 v99, s56, v24
	s_delay_alu instid0(VALU_DEP_1) | instskip(SKIP_1) | instid1(SALU_CYCLE_1)
	v_cmp_ge_f32_e32 vcc_lo, 0x41a00000, v99
	s_and_b32 s14, s66, vcc_lo
	s_and_saveexec_b32 s15, s14
	s_cbranch_execz .LBB81_44
; %bb.43:                               ;   in Loop: Header=BB81_12 Depth=1
	v_mul_f32_e32 v24, 0x3fb8aa3b, v99
	v_cmp_ngt_f32_e32 vcc_lo, 0xc2ce8ed0, v99
	s_delay_alu instid0(VALU_DEP_2) | instskip(SKIP_1) | instid1(VALU_DEP_2)
	v_rndne_f32_e32 v25, v24
	v_fma_f32 v26, 0x3fb8aa3b, v99, -v24
	v_sub_f32_e32 v24, v24, v25
	s_delay_alu instid0(VALU_DEP_2) | instskip(SKIP_1) | instid1(VALU_DEP_2)
	v_fmac_f32_e32 v26, 0x32a5705f, v99
	v_cvt_i32_f32_e32 v25, v25
	v_add_f32_e32 v24, v24, v26
	s_delay_alu instid0(VALU_DEP_1) | instskip(SKIP_2) | instid1(VALU_DEP_1)
	v_exp_f32_e32 v24, v24
	s_waitcnt_depctr 0xfff
	v_ldexp_f32 v24, v24, v25
	v_cndmask_b32_e32 v24, 0, v24, vcc_lo
	v_cmp_nlt_f32_e32 vcc_lo, 0x42b17218, v99
	s_delay_alu instid0(VALU_DEP_2) | instskip(NEXT) | instid1(VALU_DEP_1)
	v_cndmask_b32_e32 v26, 0x7f800000, v24, vcc_lo
	v_add_f32_e32 v27, 1.0, v26
	s_delay_alu instid0(VALU_DEP_1) | instskip(NEXT) | instid1(VALU_DEP_1)
	v_cvt_f64_f32_e32 v[24:25], v27
	v_frexp_exp_i32_f64_e32 v24, v[24:25]
	v_frexp_mant_f32_e32 v25, v27
	s_delay_alu instid0(VALU_DEP_1) | instskip(SKIP_1) | instid1(VALU_DEP_1)
	v_cmp_gt_f32_e32 vcc_lo, 0x3f2aaaab, v25
	v_add_f32_e32 v25, -1.0, v27
	v_sub_f32_e32 v29, v25, v27
	v_sub_f32_e32 v25, v26, v25
	s_delay_alu instid0(VALU_DEP_2) | instskip(NEXT) | instid1(VALU_DEP_1)
	v_add_f32_e32 v29, 1.0, v29
	v_add_f32_e32 v25, v25, v29
	v_cmp_gt_f32_e64 s14, 0x33800000, v26
	v_subrev_co_ci_u32_e32 v24, vcc_lo, 0, v24, vcc_lo
	v_cmp_eq_f32_e32 vcc_lo, 0x7f800000, v26
	s_delay_alu instid0(VALU_DEP_2) | instskip(SKIP_2) | instid1(VALU_DEP_2)
	v_sub_nc_u32_e32 v28, 0, v24
	v_cvt_f32_i32_e32 v24, v24
	s_or_b32 vcc_lo, s14, vcc_lo
	v_ldexp_f32 v27, v27, v28
	v_ldexp_f32 v25, v25, v28
	s_delay_alu instid0(VALU_DEP_2) | instskip(NEXT) | instid1(VALU_DEP_1)
	v_add_f32_e32 v30, 1.0, v27
	v_dual_add_f32 v28, -1.0, v27 :: v_dual_add_f32 v29, -1.0, v30
	s_delay_alu instid0(VALU_DEP_1) | instskip(NEXT) | instid1(VALU_DEP_2)
	v_add_f32_e32 v31, 1.0, v28
	v_sub_f32_e32 v29, v27, v29
	s_delay_alu instid0(VALU_DEP_2) | instskip(NEXT) | instid1(VALU_DEP_2)
	v_sub_f32_e32 v27, v27, v31
	v_add_f32_e32 v29, v25, v29
	s_delay_alu instid0(VALU_DEP_2) | instskip(NEXT) | instid1(VALU_DEP_1)
	v_add_f32_e32 v25, v25, v27
	v_add_f32_e32 v32, v28, v25
	s_delay_alu instid0(VALU_DEP_1) | instskip(NEXT) | instid1(VALU_DEP_1)
	v_dual_add_f32 v31, v30, v29 :: v_dual_sub_f32 v28, v28, v32
	v_rcp_f32_e32 v27, v31
	v_sub_f32_e32 v30, v30, v31
	s_delay_alu instid0(VALU_DEP_1) | instskip(SKIP_2) | instid1(VALU_DEP_1)
	v_add_f32_e32 v29, v29, v30
	s_waitcnt_depctr 0xfff
	v_mul_f32_e32 v33, v32, v27
	v_mul_f32_e32 v34, v31, v33
	s_delay_alu instid0(VALU_DEP_1) | instskip(NEXT) | instid1(VALU_DEP_1)
	v_fma_f32 v30, v33, v31, -v34
	v_fmac_f32_e32 v30, v33, v29
	s_delay_alu instid0(VALU_DEP_1) | instskip(NEXT) | instid1(VALU_DEP_1)
	v_add_f32_e32 v35, v34, v30
	v_sub_f32_e32 v36, v32, v35
	s_delay_alu instid0(VALU_DEP_1) | instskip(SKIP_1) | instid1(VALU_DEP_2)
	v_sub_f32_e32 v32, v32, v36
	v_dual_add_f32 v25, v25, v28 :: v_dual_sub_f32 v28, v35, v34
	v_sub_f32_e32 v32, v32, v35
	s_delay_alu instid0(VALU_DEP_1) | instskip(NEXT) | instid1(VALU_DEP_1)
	v_dual_sub_f32 v28, v28, v30 :: v_dual_add_f32 v25, v25, v32
	v_add_f32_e32 v25, v28, v25
	s_delay_alu instid0(VALU_DEP_1) | instskip(NEXT) | instid1(VALU_DEP_1)
	v_add_f32_e32 v28, v36, v25
	v_mul_f32_e32 v30, v27, v28
	s_delay_alu instid0(VALU_DEP_1) | instskip(NEXT) | instid1(VALU_DEP_1)
	v_dual_sub_f32 v35, v36, v28 :: v_dual_mul_f32 v32, v31, v30
	v_add_f32_e32 v25, v25, v35
	s_delay_alu instid0(VALU_DEP_2) | instskip(NEXT) | instid1(VALU_DEP_1)
	v_fma_f32 v31, v30, v31, -v32
	v_fmac_f32_e32 v31, v30, v29
	s_delay_alu instid0(VALU_DEP_1) | instskip(NEXT) | instid1(VALU_DEP_1)
	v_add_f32_e32 v29, v32, v31
	v_sub_f32_e32 v34, v28, v29
	s_delay_alu instid0(VALU_DEP_1) | instskip(NEXT) | instid1(VALU_DEP_1)
	v_sub_f32_e32 v28, v28, v34
	v_sub_f32_e32 v28, v28, v29
	s_delay_alu instid0(VALU_DEP_1) | instskip(SKIP_2) | instid1(VALU_DEP_1)
	v_add_f32_e32 v25, v25, v28
	v_add_f32_e32 v28, v33, v30
	v_sub_f32_e32 v32, v29, v32
	v_sub_f32_e32 v29, v32, v31
	s_delay_alu instid0(VALU_DEP_1) | instskip(NEXT) | instid1(VALU_DEP_4)
	v_add_f32_e32 v25, v29, v25
	v_sub_f32_e32 v29, v28, v33
	s_delay_alu instid0(VALU_DEP_2) | instskip(NEXT) | instid1(VALU_DEP_2)
	v_add_f32_e32 v25, v34, v25
	v_sub_f32_e32 v29, v30, v29
	s_delay_alu instid0(VALU_DEP_2) | instskip(NEXT) | instid1(VALU_DEP_1)
	v_mul_f32_e32 v25, v27, v25
	v_add_f32_e32 v25, v29, v25
	s_delay_alu instid0(VALU_DEP_1) | instskip(NEXT) | instid1(VALU_DEP_1)
	v_add_f32_e32 v27, v28, v25
	v_mul_f32_e32 v29, v27, v27
	s_delay_alu instid0(VALU_DEP_1) | instskip(SKIP_1) | instid1(VALU_DEP_2)
	v_fmaak_f32 v30, s54, v29, 0x3ecc95a3
	v_mul_f32_e32 v31, v27, v29
	v_fmaak_f32 v29, v29, v30, 0x3f2aaada
	v_ldexp_f32 v30, v27, 1
	s_delay_alu instid0(VALU_DEP_2) | instskip(SKIP_1) | instid1(VALU_DEP_2)
	v_mul_f32_e32 v29, v31, v29
	v_sub_f32_e32 v27, v27, v28
	v_dual_mul_f32 v31, 0x3f317218, v24 :: v_dual_add_f32 v28, v30, v29
	s_delay_alu instid0(VALU_DEP_2) | instskip(NEXT) | instid1(VALU_DEP_2)
	v_sub_f32_e32 v25, v25, v27
	v_sub_f32_e32 v27, v28, v30
	s_delay_alu instid0(VALU_DEP_3) | instskip(NEXT) | instid1(VALU_DEP_3)
	v_fma_f32 v30, 0x3f317218, v24, -v31
	v_ldexp_f32 v25, v25, 1
	s_delay_alu instid0(VALU_DEP_2) | instskip(NEXT) | instid1(VALU_DEP_1)
	v_dual_sub_f32 v27, v29, v27 :: v_dual_fmac_f32 v30, 0xb102e308, v24
	v_dual_add_f32 v24, v25, v27 :: v_dual_add_f32 v25, v31, v30
	s_delay_alu instid0(VALU_DEP_1) | instskip(NEXT) | instid1(VALU_DEP_1)
	v_add_f32_e32 v27, v28, v24
	v_dual_add_f32 v29, v25, v27 :: v_dual_sub_f32 v28, v27, v28
	s_delay_alu instid0(VALU_DEP_1) | instskip(NEXT) | instid1(VALU_DEP_2)
	v_sub_f32_e32 v32, v29, v25
	v_dual_sub_f32 v31, v25, v31 :: v_dual_sub_f32 v24, v24, v28
	s_delay_alu instid0(VALU_DEP_1) | instskip(SKIP_1) | instid1(VALU_DEP_2)
	v_dual_sub_f32 v33, v29, v32 :: v_dual_sub_f32 v30, v30, v31
	v_sub_f32_e32 v27, v27, v32
	v_dual_sub_f32 v25, v25, v33 :: v_dual_add_f32 v28, v30, v24
	s_delay_alu instid0(VALU_DEP_1) | instskip(NEXT) | instid1(VALU_DEP_2)
	v_add_f32_e32 v25, v27, v25
	v_sub_f32_e32 v27, v28, v30
	s_delay_alu instid0(VALU_DEP_2) | instskip(NEXT) | instid1(VALU_DEP_2)
	v_add_f32_e32 v25, v28, v25
	v_sub_f32_e32 v28, v28, v27
	s_delay_alu instid0(VALU_DEP_2) | instskip(NEXT) | instid1(VALU_DEP_1)
	v_dual_sub_f32 v24, v24, v27 :: v_dual_add_f32 v31, v29, v25
	v_dual_sub_f32 v28, v30, v28 :: v_dual_sub_f32 v27, v31, v29
	s_delay_alu instid0(VALU_DEP_1) | instskip(NEXT) | instid1(VALU_DEP_1)
	v_dual_add_f32 v24, v24, v28 :: v_dual_sub_f32 v25, v25, v27
	v_add_f32_e32 v24, v24, v25
	s_delay_alu instid0(VALU_DEP_1) | instskip(NEXT) | instid1(VALU_DEP_1)
	v_add_f32_e32 v24, v31, v24
	v_cndmask_b32_e32 v99, v24, v26, vcc_lo
.LBB81_44:                              ;   in Loop: Header=BB81_12 Depth=1
	s_or_b32 exec_lo, exec_lo, s15
	v_cvt_f32_f16_e32 v24, v10
	s_delay_alu instid0(VALU_DEP_1) | instskip(NEXT) | instid1(VALU_DEP_1)
	v_add_f32_e32 v102, s56, v24
	v_cmp_ge_f32_e32 vcc_lo, 0x41a00000, v102
	s_and_b32 s14, s66, vcc_lo
	s_delay_alu instid0(SALU_CYCLE_1)
	s_and_saveexec_b32 s15, s14
	s_cbranch_execz .LBB81_46
; %bb.45:                               ;   in Loop: Header=BB81_12 Depth=1
	v_mul_f32_e32 v24, 0x3fb8aa3b, v102
	v_cmp_ngt_f32_e32 vcc_lo, 0xc2ce8ed0, v102
	s_delay_alu instid0(VALU_DEP_2) | instskip(SKIP_1) | instid1(VALU_DEP_2)
	v_rndne_f32_e32 v25, v24
	v_fma_f32 v26, 0x3fb8aa3b, v102, -v24
	v_sub_f32_e32 v24, v24, v25
	s_delay_alu instid0(VALU_DEP_2) | instskip(SKIP_1) | instid1(VALU_DEP_2)
	v_fmac_f32_e32 v26, 0x32a5705f, v102
	v_cvt_i32_f32_e32 v25, v25
	v_add_f32_e32 v24, v24, v26
	s_delay_alu instid0(VALU_DEP_1) | instskip(SKIP_2) | instid1(VALU_DEP_1)
	v_exp_f32_e32 v24, v24
	s_waitcnt_depctr 0xfff
	v_ldexp_f32 v24, v24, v25
	v_cndmask_b32_e32 v24, 0, v24, vcc_lo
	v_cmp_nlt_f32_e32 vcc_lo, 0x42b17218, v102
	s_delay_alu instid0(VALU_DEP_2) | instskip(NEXT) | instid1(VALU_DEP_1)
	v_cndmask_b32_e32 v26, 0x7f800000, v24, vcc_lo
	v_add_f32_e32 v27, 1.0, v26
	s_delay_alu instid0(VALU_DEP_1) | instskip(NEXT) | instid1(VALU_DEP_1)
	v_cvt_f64_f32_e32 v[24:25], v27
	v_frexp_exp_i32_f64_e32 v24, v[24:25]
	v_frexp_mant_f32_e32 v25, v27
	s_delay_alu instid0(VALU_DEP_1) | instskip(SKIP_1) | instid1(VALU_DEP_1)
	v_cmp_gt_f32_e32 vcc_lo, 0x3f2aaaab, v25
	v_add_f32_e32 v25, -1.0, v27
	v_sub_f32_e32 v29, v25, v27
	v_sub_f32_e32 v25, v26, v25
	s_delay_alu instid0(VALU_DEP_2) | instskip(NEXT) | instid1(VALU_DEP_1)
	v_add_f32_e32 v29, 1.0, v29
	v_add_f32_e32 v25, v25, v29
	v_cmp_gt_f32_e64 s14, 0x33800000, v26
	v_subrev_co_ci_u32_e32 v24, vcc_lo, 0, v24, vcc_lo
	v_cmp_eq_f32_e32 vcc_lo, 0x7f800000, v26
	s_delay_alu instid0(VALU_DEP_2) | instskip(SKIP_2) | instid1(VALU_DEP_2)
	v_sub_nc_u32_e32 v28, 0, v24
	v_cvt_f32_i32_e32 v24, v24
	s_or_b32 vcc_lo, s14, vcc_lo
	v_ldexp_f32 v27, v27, v28
	v_ldexp_f32 v25, v25, v28
	s_delay_alu instid0(VALU_DEP_2) | instskip(NEXT) | instid1(VALU_DEP_1)
	v_add_f32_e32 v30, 1.0, v27
	v_dual_add_f32 v28, -1.0, v27 :: v_dual_add_f32 v29, -1.0, v30
	s_delay_alu instid0(VALU_DEP_1) | instskip(NEXT) | instid1(VALU_DEP_2)
	v_add_f32_e32 v31, 1.0, v28
	v_sub_f32_e32 v29, v27, v29
	s_delay_alu instid0(VALU_DEP_2) | instskip(NEXT) | instid1(VALU_DEP_2)
	v_sub_f32_e32 v27, v27, v31
	v_add_f32_e32 v29, v25, v29
	s_delay_alu instid0(VALU_DEP_2) | instskip(NEXT) | instid1(VALU_DEP_1)
	v_add_f32_e32 v25, v25, v27
	v_add_f32_e32 v32, v28, v25
	s_delay_alu instid0(VALU_DEP_1) | instskip(NEXT) | instid1(VALU_DEP_1)
	v_dual_add_f32 v31, v30, v29 :: v_dual_sub_f32 v28, v28, v32
	v_rcp_f32_e32 v27, v31
	v_sub_f32_e32 v30, v30, v31
	s_delay_alu instid0(VALU_DEP_1) | instskip(SKIP_2) | instid1(VALU_DEP_1)
	v_add_f32_e32 v29, v29, v30
	s_waitcnt_depctr 0xfff
	v_mul_f32_e32 v33, v32, v27
	v_mul_f32_e32 v34, v31, v33
	s_delay_alu instid0(VALU_DEP_1) | instskip(NEXT) | instid1(VALU_DEP_1)
	v_fma_f32 v30, v33, v31, -v34
	v_fmac_f32_e32 v30, v33, v29
	s_delay_alu instid0(VALU_DEP_1) | instskip(NEXT) | instid1(VALU_DEP_1)
	v_add_f32_e32 v35, v34, v30
	v_sub_f32_e32 v36, v32, v35
	s_delay_alu instid0(VALU_DEP_1) | instskip(SKIP_1) | instid1(VALU_DEP_2)
	v_sub_f32_e32 v32, v32, v36
	v_dual_add_f32 v25, v25, v28 :: v_dual_sub_f32 v28, v35, v34
	v_sub_f32_e32 v32, v32, v35
	s_delay_alu instid0(VALU_DEP_1) | instskip(NEXT) | instid1(VALU_DEP_1)
	v_dual_sub_f32 v28, v28, v30 :: v_dual_add_f32 v25, v25, v32
	v_add_f32_e32 v25, v28, v25
	s_delay_alu instid0(VALU_DEP_1) | instskip(NEXT) | instid1(VALU_DEP_1)
	v_add_f32_e32 v28, v36, v25
	v_mul_f32_e32 v30, v27, v28
	s_delay_alu instid0(VALU_DEP_1) | instskip(NEXT) | instid1(VALU_DEP_1)
	v_dual_sub_f32 v35, v36, v28 :: v_dual_mul_f32 v32, v31, v30
	v_add_f32_e32 v25, v25, v35
	s_delay_alu instid0(VALU_DEP_2) | instskip(NEXT) | instid1(VALU_DEP_1)
	v_fma_f32 v31, v30, v31, -v32
	v_fmac_f32_e32 v31, v30, v29
	s_delay_alu instid0(VALU_DEP_1) | instskip(NEXT) | instid1(VALU_DEP_1)
	v_add_f32_e32 v29, v32, v31
	v_sub_f32_e32 v34, v28, v29
	s_delay_alu instid0(VALU_DEP_1) | instskip(NEXT) | instid1(VALU_DEP_1)
	v_sub_f32_e32 v28, v28, v34
	v_sub_f32_e32 v28, v28, v29
	s_delay_alu instid0(VALU_DEP_1) | instskip(SKIP_2) | instid1(VALU_DEP_1)
	v_add_f32_e32 v25, v25, v28
	v_add_f32_e32 v28, v33, v30
	v_sub_f32_e32 v32, v29, v32
	v_sub_f32_e32 v29, v32, v31
	s_delay_alu instid0(VALU_DEP_1) | instskip(NEXT) | instid1(VALU_DEP_4)
	v_add_f32_e32 v25, v29, v25
	v_sub_f32_e32 v29, v28, v33
	s_delay_alu instid0(VALU_DEP_2) | instskip(NEXT) | instid1(VALU_DEP_2)
	v_add_f32_e32 v25, v34, v25
	v_sub_f32_e32 v29, v30, v29
	s_delay_alu instid0(VALU_DEP_2) | instskip(NEXT) | instid1(VALU_DEP_1)
	v_mul_f32_e32 v25, v27, v25
	v_add_f32_e32 v25, v29, v25
	s_delay_alu instid0(VALU_DEP_1) | instskip(NEXT) | instid1(VALU_DEP_1)
	v_add_f32_e32 v27, v28, v25
	v_mul_f32_e32 v29, v27, v27
	s_delay_alu instid0(VALU_DEP_1) | instskip(SKIP_1) | instid1(VALU_DEP_2)
	v_fmaak_f32 v30, s54, v29, 0x3ecc95a3
	v_mul_f32_e32 v31, v27, v29
	v_fmaak_f32 v29, v29, v30, 0x3f2aaada
	v_ldexp_f32 v30, v27, 1
	s_delay_alu instid0(VALU_DEP_2) | instskip(SKIP_1) | instid1(VALU_DEP_2)
	v_mul_f32_e32 v29, v31, v29
	v_sub_f32_e32 v27, v27, v28
	v_dual_mul_f32 v31, 0x3f317218, v24 :: v_dual_add_f32 v28, v30, v29
	s_delay_alu instid0(VALU_DEP_2) | instskip(NEXT) | instid1(VALU_DEP_2)
	v_sub_f32_e32 v25, v25, v27
	v_sub_f32_e32 v27, v28, v30
	s_delay_alu instid0(VALU_DEP_3) | instskip(NEXT) | instid1(VALU_DEP_3)
	v_fma_f32 v30, 0x3f317218, v24, -v31
	v_ldexp_f32 v25, v25, 1
	s_delay_alu instid0(VALU_DEP_2) | instskip(NEXT) | instid1(VALU_DEP_1)
	v_dual_sub_f32 v27, v29, v27 :: v_dual_fmac_f32 v30, 0xb102e308, v24
	v_dual_add_f32 v24, v25, v27 :: v_dual_add_f32 v25, v31, v30
	s_delay_alu instid0(VALU_DEP_1) | instskip(NEXT) | instid1(VALU_DEP_1)
	v_add_f32_e32 v27, v28, v24
	v_dual_add_f32 v29, v25, v27 :: v_dual_sub_f32 v28, v27, v28
	s_delay_alu instid0(VALU_DEP_1) | instskip(NEXT) | instid1(VALU_DEP_2)
	v_sub_f32_e32 v32, v29, v25
	v_dual_sub_f32 v31, v25, v31 :: v_dual_sub_f32 v24, v24, v28
	s_delay_alu instid0(VALU_DEP_1) | instskip(SKIP_1) | instid1(VALU_DEP_2)
	v_dual_sub_f32 v33, v29, v32 :: v_dual_sub_f32 v30, v30, v31
	v_sub_f32_e32 v27, v27, v32
	v_dual_sub_f32 v25, v25, v33 :: v_dual_add_f32 v28, v30, v24
	s_delay_alu instid0(VALU_DEP_1) | instskip(NEXT) | instid1(VALU_DEP_2)
	v_add_f32_e32 v25, v27, v25
	v_sub_f32_e32 v27, v28, v30
	s_delay_alu instid0(VALU_DEP_2) | instskip(NEXT) | instid1(VALU_DEP_2)
	v_add_f32_e32 v25, v28, v25
	v_sub_f32_e32 v28, v28, v27
	s_delay_alu instid0(VALU_DEP_2) | instskip(NEXT) | instid1(VALU_DEP_1)
	v_dual_sub_f32 v24, v24, v27 :: v_dual_add_f32 v31, v29, v25
	v_dual_sub_f32 v28, v30, v28 :: v_dual_sub_f32 v27, v31, v29
	s_delay_alu instid0(VALU_DEP_1) | instskip(NEXT) | instid1(VALU_DEP_1)
	v_dual_add_f32 v24, v24, v28 :: v_dual_sub_f32 v25, v25, v27
	v_add_f32_e32 v24, v24, v25
	s_delay_alu instid0(VALU_DEP_1) | instskip(NEXT) | instid1(VALU_DEP_1)
	v_add_f32_e32 v24, v31, v24
	v_cndmask_b32_e32 v102, v24, v26, vcc_lo
.LBB81_46:                              ;   in Loop: Header=BB81_12 Depth=1
	s_or_b32 exec_lo, exec_lo, s15
	v_lshrrev_b32_e32 v24, 16, v10
	s_delay_alu instid0(VALU_DEP_1) | instskip(NEXT) | instid1(VALU_DEP_1)
	v_cvt_f32_f16_e32 v24, v24
	v_add_f32_e32 v104, s56, v24
	s_delay_alu instid0(VALU_DEP_1) | instskip(SKIP_1) | instid1(SALU_CYCLE_1)
	v_cmp_ge_f32_e32 vcc_lo, 0x41a00000, v104
	s_and_b32 s14, s66, vcc_lo
	s_and_saveexec_b32 s15, s14
	s_cbranch_execz .LBB81_48
; %bb.47:                               ;   in Loop: Header=BB81_12 Depth=1
	v_mul_f32_e32 v24, 0x3fb8aa3b, v104
	v_cmp_ngt_f32_e32 vcc_lo, 0xc2ce8ed0, v104
	s_delay_alu instid0(VALU_DEP_2) | instskip(SKIP_1) | instid1(VALU_DEP_2)
	v_rndne_f32_e32 v25, v24
	v_fma_f32 v26, 0x3fb8aa3b, v104, -v24
	v_sub_f32_e32 v24, v24, v25
	s_delay_alu instid0(VALU_DEP_2) | instskip(SKIP_1) | instid1(VALU_DEP_2)
	v_fmac_f32_e32 v26, 0x32a5705f, v104
	v_cvt_i32_f32_e32 v25, v25
	v_add_f32_e32 v24, v24, v26
	s_delay_alu instid0(VALU_DEP_1) | instskip(SKIP_2) | instid1(VALU_DEP_1)
	v_exp_f32_e32 v24, v24
	s_waitcnt_depctr 0xfff
	v_ldexp_f32 v24, v24, v25
	v_cndmask_b32_e32 v24, 0, v24, vcc_lo
	v_cmp_nlt_f32_e32 vcc_lo, 0x42b17218, v104
	s_delay_alu instid0(VALU_DEP_2) | instskip(NEXT) | instid1(VALU_DEP_1)
	v_cndmask_b32_e32 v26, 0x7f800000, v24, vcc_lo
	v_add_f32_e32 v27, 1.0, v26
	s_delay_alu instid0(VALU_DEP_1) | instskip(NEXT) | instid1(VALU_DEP_1)
	v_cvt_f64_f32_e32 v[24:25], v27
	v_frexp_exp_i32_f64_e32 v24, v[24:25]
	v_frexp_mant_f32_e32 v25, v27
	s_delay_alu instid0(VALU_DEP_1) | instskip(SKIP_1) | instid1(VALU_DEP_1)
	v_cmp_gt_f32_e32 vcc_lo, 0x3f2aaaab, v25
	v_add_f32_e32 v25, -1.0, v27
	v_sub_f32_e32 v29, v25, v27
	v_sub_f32_e32 v25, v26, v25
	s_delay_alu instid0(VALU_DEP_2) | instskip(NEXT) | instid1(VALU_DEP_1)
	v_add_f32_e32 v29, 1.0, v29
	v_add_f32_e32 v25, v25, v29
	v_cmp_gt_f32_e64 s14, 0x33800000, v26
	v_subrev_co_ci_u32_e32 v24, vcc_lo, 0, v24, vcc_lo
	v_cmp_eq_f32_e32 vcc_lo, 0x7f800000, v26
	s_delay_alu instid0(VALU_DEP_2) | instskip(SKIP_2) | instid1(VALU_DEP_2)
	v_sub_nc_u32_e32 v28, 0, v24
	v_cvt_f32_i32_e32 v24, v24
	s_or_b32 vcc_lo, s14, vcc_lo
	v_ldexp_f32 v27, v27, v28
	v_ldexp_f32 v25, v25, v28
	s_delay_alu instid0(VALU_DEP_2) | instskip(NEXT) | instid1(VALU_DEP_1)
	v_add_f32_e32 v30, 1.0, v27
	v_dual_add_f32 v28, -1.0, v27 :: v_dual_add_f32 v29, -1.0, v30
	s_delay_alu instid0(VALU_DEP_1) | instskip(NEXT) | instid1(VALU_DEP_2)
	v_add_f32_e32 v31, 1.0, v28
	v_sub_f32_e32 v29, v27, v29
	s_delay_alu instid0(VALU_DEP_2) | instskip(NEXT) | instid1(VALU_DEP_2)
	v_sub_f32_e32 v27, v27, v31
	v_add_f32_e32 v29, v25, v29
	s_delay_alu instid0(VALU_DEP_2) | instskip(NEXT) | instid1(VALU_DEP_1)
	v_add_f32_e32 v25, v25, v27
	v_add_f32_e32 v32, v28, v25
	s_delay_alu instid0(VALU_DEP_1) | instskip(NEXT) | instid1(VALU_DEP_1)
	v_dual_add_f32 v31, v30, v29 :: v_dual_sub_f32 v28, v28, v32
	v_rcp_f32_e32 v27, v31
	v_sub_f32_e32 v30, v30, v31
	s_delay_alu instid0(VALU_DEP_1) | instskip(SKIP_2) | instid1(VALU_DEP_1)
	v_add_f32_e32 v29, v29, v30
	s_waitcnt_depctr 0xfff
	v_mul_f32_e32 v33, v32, v27
	v_mul_f32_e32 v34, v31, v33
	s_delay_alu instid0(VALU_DEP_1) | instskip(NEXT) | instid1(VALU_DEP_1)
	v_fma_f32 v30, v33, v31, -v34
	v_fmac_f32_e32 v30, v33, v29
	s_delay_alu instid0(VALU_DEP_1) | instskip(NEXT) | instid1(VALU_DEP_1)
	v_add_f32_e32 v35, v34, v30
	v_sub_f32_e32 v36, v32, v35
	s_delay_alu instid0(VALU_DEP_1) | instskip(SKIP_1) | instid1(VALU_DEP_2)
	v_sub_f32_e32 v32, v32, v36
	v_dual_add_f32 v25, v25, v28 :: v_dual_sub_f32 v28, v35, v34
	v_sub_f32_e32 v32, v32, v35
	s_delay_alu instid0(VALU_DEP_1) | instskip(NEXT) | instid1(VALU_DEP_1)
	v_dual_sub_f32 v28, v28, v30 :: v_dual_add_f32 v25, v25, v32
	v_add_f32_e32 v25, v28, v25
	s_delay_alu instid0(VALU_DEP_1) | instskip(NEXT) | instid1(VALU_DEP_1)
	v_add_f32_e32 v28, v36, v25
	v_mul_f32_e32 v30, v27, v28
	s_delay_alu instid0(VALU_DEP_1) | instskip(NEXT) | instid1(VALU_DEP_1)
	v_dual_sub_f32 v35, v36, v28 :: v_dual_mul_f32 v32, v31, v30
	v_add_f32_e32 v25, v25, v35
	s_delay_alu instid0(VALU_DEP_2) | instskip(NEXT) | instid1(VALU_DEP_1)
	v_fma_f32 v31, v30, v31, -v32
	v_fmac_f32_e32 v31, v30, v29
	s_delay_alu instid0(VALU_DEP_1) | instskip(NEXT) | instid1(VALU_DEP_1)
	v_add_f32_e32 v29, v32, v31
	v_sub_f32_e32 v34, v28, v29
	s_delay_alu instid0(VALU_DEP_1) | instskip(NEXT) | instid1(VALU_DEP_1)
	v_sub_f32_e32 v28, v28, v34
	v_sub_f32_e32 v28, v28, v29
	s_delay_alu instid0(VALU_DEP_1) | instskip(SKIP_2) | instid1(VALU_DEP_1)
	v_add_f32_e32 v25, v25, v28
	v_add_f32_e32 v28, v33, v30
	v_sub_f32_e32 v32, v29, v32
	v_sub_f32_e32 v29, v32, v31
	s_delay_alu instid0(VALU_DEP_1) | instskip(NEXT) | instid1(VALU_DEP_4)
	v_add_f32_e32 v25, v29, v25
	v_sub_f32_e32 v29, v28, v33
	s_delay_alu instid0(VALU_DEP_2) | instskip(NEXT) | instid1(VALU_DEP_2)
	v_add_f32_e32 v25, v34, v25
	v_sub_f32_e32 v29, v30, v29
	s_delay_alu instid0(VALU_DEP_2) | instskip(NEXT) | instid1(VALU_DEP_1)
	v_mul_f32_e32 v25, v27, v25
	v_add_f32_e32 v25, v29, v25
	s_delay_alu instid0(VALU_DEP_1) | instskip(NEXT) | instid1(VALU_DEP_1)
	v_add_f32_e32 v27, v28, v25
	v_mul_f32_e32 v29, v27, v27
	s_delay_alu instid0(VALU_DEP_1) | instskip(SKIP_1) | instid1(VALU_DEP_2)
	v_fmaak_f32 v30, s54, v29, 0x3ecc95a3
	v_mul_f32_e32 v31, v27, v29
	v_fmaak_f32 v29, v29, v30, 0x3f2aaada
	v_ldexp_f32 v30, v27, 1
	s_delay_alu instid0(VALU_DEP_2) | instskip(SKIP_1) | instid1(VALU_DEP_2)
	v_mul_f32_e32 v29, v31, v29
	v_sub_f32_e32 v27, v27, v28
	v_dual_mul_f32 v31, 0x3f317218, v24 :: v_dual_add_f32 v28, v30, v29
	s_delay_alu instid0(VALU_DEP_2) | instskip(NEXT) | instid1(VALU_DEP_2)
	v_sub_f32_e32 v25, v25, v27
	v_sub_f32_e32 v27, v28, v30
	s_delay_alu instid0(VALU_DEP_3) | instskip(NEXT) | instid1(VALU_DEP_3)
	v_fma_f32 v30, 0x3f317218, v24, -v31
	v_ldexp_f32 v25, v25, 1
	s_delay_alu instid0(VALU_DEP_2) | instskip(NEXT) | instid1(VALU_DEP_1)
	v_dual_sub_f32 v27, v29, v27 :: v_dual_fmac_f32 v30, 0xb102e308, v24
	v_dual_add_f32 v24, v25, v27 :: v_dual_add_f32 v25, v31, v30
	s_delay_alu instid0(VALU_DEP_1) | instskip(NEXT) | instid1(VALU_DEP_1)
	v_add_f32_e32 v27, v28, v24
	v_dual_add_f32 v29, v25, v27 :: v_dual_sub_f32 v28, v27, v28
	s_delay_alu instid0(VALU_DEP_1) | instskip(NEXT) | instid1(VALU_DEP_2)
	v_sub_f32_e32 v32, v29, v25
	v_dual_sub_f32 v31, v25, v31 :: v_dual_sub_f32 v24, v24, v28
	s_delay_alu instid0(VALU_DEP_1) | instskip(SKIP_1) | instid1(VALU_DEP_2)
	v_dual_sub_f32 v33, v29, v32 :: v_dual_sub_f32 v30, v30, v31
	v_sub_f32_e32 v27, v27, v32
	v_dual_sub_f32 v25, v25, v33 :: v_dual_add_f32 v28, v30, v24
	s_delay_alu instid0(VALU_DEP_1) | instskip(NEXT) | instid1(VALU_DEP_2)
	v_add_f32_e32 v25, v27, v25
	v_sub_f32_e32 v27, v28, v30
	s_delay_alu instid0(VALU_DEP_2) | instskip(NEXT) | instid1(VALU_DEP_2)
	v_add_f32_e32 v25, v28, v25
	v_sub_f32_e32 v28, v28, v27
	s_delay_alu instid0(VALU_DEP_2) | instskip(NEXT) | instid1(VALU_DEP_1)
	v_dual_sub_f32 v24, v24, v27 :: v_dual_add_f32 v31, v29, v25
	v_dual_sub_f32 v28, v30, v28 :: v_dual_sub_f32 v27, v31, v29
	s_delay_alu instid0(VALU_DEP_1) | instskip(NEXT) | instid1(VALU_DEP_1)
	v_dual_add_f32 v24, v24, v28 :: v_dual_sub_f32 v25, v25, v27
	v_add_f32_e32 v24, v24, v25
	s_delay_alu instid0(VALU_DEP_1) | instskip(NEXT) | instid1(VALU_DEP_1)
	v_add_f32_e32 v24, v31, v24
	v_cndmask_b32_e32 v104, v24, v26, vcc_lo
.LBB81_48:                              ;   in Loop: Header=BB81_12 Depth=1
	s_or_b32 exec_lo, exec_lo, s15
	v_cvt_f32_f16_e32 v24, v11
	s_delay_alu instid0(VALU_DEP_1) | instskip(NEXT) | instid1(VALU_DEP_1)
	v_add_f32_e32 v105, s56, v24
	v_cmp_ge_f32_e32 vcc_lo, 0x41a00000, v105
	s_and_b32 s14, s66, vcc_lo
	s_delay_alu instid0(SALU_CYCLE_1)
	s_and_saveexec_b32 s15, s14
	s_cbranch_execz .LBB81_50
; %bb.49:                               ;   in Loop: Header=BB81_12 Depth=1
	v_mul_f32_e32 v24, 0x3fb8aa3b, v105
	v_cmp_ngt_f32_e32 vcc_lo, 0xc2ce8ed0, v105
	s_delay_alu instid0(VALU_DEP_2) | instskip(SKIP_1) | instid1(VALU_DEP_2)
	v_rndne_f32_e32 v25, v24
	v_fma_f32 v26, 0x3fb8aa3b, v105, -v24
	v_sub_f32_e32 v24, v24, v25
	s_delay_alu instid0(VALU_DEP_2) | instskip(SKIP_1) | instid1(VALU_DEP_2)
	v_fmac_f32_e32 v26, 0x32a5705f, v105
	v_cvt_i32_f32_e32 v25, v25
	v_add_f32_e32 v24, v24, v26
	s_delay_alu instid0(VALU_DEP_1) | instskip(SKIP_2) | instid1(VALU_DEP_1)
	v_exp_f32_e32 v24, v24
	s_waitcnt_depctr 0xfff
	v_ldexp_f32 v24, v24, v25
	v_cndmask_b32_e32 v24, 0, v24, vcc_lo
	v_cmp_nlt_f32_e32 vcc_lo, 0x42b17218, v105
	s_delay_alu instid0(VALU_DEP_2) | instskip(NEXT) | instid1(VALU_DEP_1)
	v_cndmask_b32_e32 v26, 0x7f800000, v24, vcc_lo
	v_add_f32_e32 v27, 1.0, v26
	s_delay_alu instid0(VALU_DEP_1) | instskip(NEXT) | instid1(VALU_DEP_1)
	v_cvt_f64_f32_e32 v[24:25], v27
	v_frexp_exp_i32_f64_e32 v24, v[24:25]
	v_frexp_mant_f32_e32 v25, v27
	s_delay_alu instid0(VALU_DEP_1) | instskip(SKIP_1) | instid1(VALU_DEP_1)
	v_cmp_gt_f32_e32 vcc_lo, 0x3f2aaaab, v25
	v_add_f32_e32 v25, -1.0, v27
	v_sub_f32_e32 v29, v25, v27
	v_sub_f32_e32 v25, v26, v25
	s_delay_alu instid0(VALU_DEP_2) | instskip(NEXT) | instid1(VALU_DEP_1)
	v_add_f32_e32 v29, 1.0, v29
	v_add_f32_e32 v25, v25, v29
	v_cmp_gt_f32_e64 s14, 0x33800000, v26
	v_subrev_co_ci_u32_e32 v24, vcc_lo, 0, v24, vcc_lo
	v_cmp_eq_f32_e32 vcc_lo, 0x7f800000, v26
	s_delay_alu instid0(VALU_DEP_2) | instskip(SKIP_2) | instid1(VALU_DEP_2)
	v_sub_nc_u32_e32 v28, 0, v24
	v_cvt_f32_i32_e32 v24, v24
	s_or_b32 vcc_lo, s14, vcc_lo
	v_ldexp_f32 v27, v27, v28
	v_ldexp_f32 v25, v25, v28
	s_delay_alu instid0(VALU_DEP_2) | instskip(NEXT) | instid1(VALU_DEP_1)
	v_add_f32_e32 v30, 1.0, v27
	v_dual_add_f32 v28, -1.0, v27 :: v_dual_add_f32 v29, -1.0, v30
	s_delay_alu instid0(VALU_DEP_1) | instskip(NEXT) | instid1(VALU_DEP_2)
	v_add_f32_e32 v31, 1.0, v28
	v_sub_f32_e32 v29, v27, v29
	s_delay_alu instid0(VALU_DEP_2) | instskip(NEXT) | instid1(VALU_DEP_2)
	v_sub_f32_e32 v27, v27, v31
	v_add_f32_e32 v29, v25, v29
	s_delay_alu instid0(VALU_DEP_2) | instskip(NEXT) | instid1(VALU_DEP_1)
	v_add_f32_e32 v25, v25, v27
	v_add_f32_e32 v32, v28, v25
	s_delay_alu instid0(VALU_DEP_1) | instskip(NEXT) | instid1(VALU_DEP_1)
	v_dual_add_f32 v31, v30, v29 :: v_dual_sub_f32 v28, v28, v32
	v_rcp_f32_e32 v27, v31
	v_sub_f32_e32 v30, v30, v31
	s_delay_alu instid0(VALU_DEP_1) | instskip(SKIP_2) | instid1(VALU_DEP_1)
	v_add_f32_e32 v29, v29, v30
	s_waitcnt_depctr 0xfff
	v_mul_f32_e32 v33, v32, v27
	v_mul_f32_e32 v34, v31, v33
	s_delay_alu instid0(VALU_DEP_1) | instskip(NEXT) | instid1(VALU_DEP_1)
	v_fma_f32 v30, v33, v31, -v34
	v_fmac_f32_e32 v30, v33, v29
	s_delay_alu instid0(VALU_DEP_1) | instskip(NEXT) | instid1(VALU_DEP_1)
	v_add_f32_e32 v35, v34, v30
	v_sub_f32_e32 v36, v32, v35
	s_delay_alu instid0(VALU_DEP_1) | instskip(SKIP_1) | instid1(VALU_DEP_2)
	v_sub_f32_e32 v32, v32, v36
	v_dual_add_f32 v25, v25, v28 :: v_dual_sub_f32 v28, v35, v34
	v_sub_f32_e32 v32, v32, v35
	s_delay_alu instid0(VALU_DEP_1) | instskip(NEXT) | instid1(VALU_DEP_1)
	v_dual_sub_f32 v28, v28, v30 :: v_dual_add_f32 v25, v25, v32
	v_add_f32_e32 v25, v28, v25
	s_delay_alu instid0(VALU_DEP_1) | instskip(NEXT) | instid1(VALU_DEP_1)
	v_add_f32_e32 v28, v36, v25
	v_mul_f32_e32 v30, v27, v28
	s_delay_alu instid0(VALU_DEP_1) | instskip(NEXT) | instid1(VALU_DEP_1)
	v_dual_sub_f32 v35, v36, v28 :: v_dual_mul_f32 v32, v31, v30
	v_add_f32_e32 v25, v25, v35
	s_delay_alu instid0(VALU_DEP_2) | instskip(NEXT) | instid1(VALU_DEP_1)
	v_fma_f32 v31, v30, v31, -v32
	v_fmac_f32_e32 v31, v30, v29
	s_delay_alu instid0(VALU_DEP_1) | instskip(NEXT) | instid1(VALU_DEP_1)
	v_add_f32_e32 v29, v32, v31
	v_sub_f32_e32 v34, v28, v29
	s_delay_alu instid0(VALU_DEP_1) | instskip(NEXT) | instid1(VALU_DEP_1)
	v_sub_f32_e32 v28, v28, v34
	v_sub_f32_e32 v28, v28, v29
	s_delay_alu instid0(VALU_DEP_1) | instskip(SKIP_2) | instid1(VALU_DEP_1)
	v_add_f32_e32 v25, v25, v28
	v_add_f32_e32 v28, v33, v30
	v_sub_f32_e32 v32, v29, v32
	v_sub_f32_e32 v29, v32, v31
	s_delay_alu instid0(VALU_DEP_1) | instskip(NEXT) | instid1(VALU_DEP_4)
	v_add_f32_e32 v25, v29, v25
	v_sub_f32_e32 v29, v28, v33
	s_delay_alu instid0(VALU_DEP_2) | instskip(NEXT) | instid1(VALU_DEP_2)
	v_add_f32_e32 v25, v34, v25
	v_sub_f32_e32 v29, v30, v29
	s_delay_alu instid0(VALU_DEP_2) | instskip(NEXT) | instid1(VALU_DEP_1)
	v_mul_f32_e32 v25, v27, v25
	v_add_f32_e32 v25, v29, v25
	s_delay_alu instid0(VALU_DEP_1) | instskip(NEXT) | instid1(VALU_DEP_1)
	v_add_f32_e32 v27, v28, v25
	v_mul_f32_e32 v29, v27, v27
	s_delay_alu instid0(VALU_DEP_1) | instskip(SKIP_1) | instid1(VALU_DEP_2)
	v_fmaak_f32 v30, s54, v29, 0x3ecc95a3
	v_mul_f32_e32 v31, v27, v29
	v_fmaak_f32 v29, v29, v30, 0x3f2aaada
	v_ldexp_f32 v30, v27, 1
	s_delay_alu instid0(VALU_DEP_2) | instskip(SKIP_1) | instid1(VALU_DEP_2)
	v_mul_f32_e32 v29, v31, v29
	v_sub_f32_e32 v27, v27, v28
	v_dual_mul_f32 v31, 0x3f317218, v24 :: v_dual_add_f32 v28, v30, v29
	s_delay_alu instid0(VALU_DEP_2) | instskip(NEXT) | instid1(VALU_DEP_2)
	v_sub_f32_e32 v25, v25, v27
	v_sub_f32_e32 v27, v28, v30
	s_delay_alu instid0(VALU_DEP_3) | instskip(NEXT) | instid1(VALU_DEP_3)
	v_fma_f32 v30, 0x3f317218, v24, -v31
	v_ldexp_f32 v25, v25, 1
	s_delay_alu instid0(VALU_DEP_2) | instskip(NEXT) | instid1(VALU_DEP_1)
	v_dual_sub_f32 v27, v29, v27 :: v_dual_fmac_f32 v30, 0xb102e308, v24
	v_dual_add_f32 v24, v25, v27 :: v_dual_add_f32 v25, v31, v30
	s_delay_alu instid0(VALU_DEP_1) | instskip(NEXT) | instid1(VALU_DEP_1)
	v_add_f32_e32 v27, v28, v24
	v_dual_add_f32 v29, v25, v27 :: v_dual_sub_f32 v28, v27, v28
	s_delay_alu instid0(VALU_DEP_1) | instskip(NEXT) | instid1(VALU_DEP_2)
	v_sub_f32_e32 v32, v29, v25
	v_dual_sub_f32 v31, v25, v31 :: v_dual_sub_f32 v24, v24, v28
	s_delay_alu instid0(VALU_DEP_1) | instskip(SKIP_1) | instid1(VALU_DEP_2)
	v_dual_sub_f32 v33, v29, v32 :: v_dual_sub_f32 v30, v30, v31
	v_sub_f32_e32 v27, v27, v32
	v_dual_sub_f32 v25, v25, v33 :: v_dual_add_f32 v28, v30, v24
	s_delay_alu instid0(VALU_DEP_1) | instskip(NEXT) | instid1(VALU_DEP_2)
	v_add_f32_e32 v25, v27, v25
	v_sub_f32_e32 v27, v28, v30
	s_delay_alu instid0(VALU_DEP_2) | instskip(NEXT) | instid1(VALU_DEP_2)
	v_add_f32_e32 v25, v28, v25
	v_sub_f32_e32 v28, v28, v27
	s_delay_alu instid0(VALU_DEP_2) | instskip(NEXT) | instid1(VALU_DEP_1)
	v_dual_sub_f32 v24, v24, v27 :: v_dual_add_f32 v31, v29, v25
	v_dual_sub_f32 v28, v30, v28 :: v_dual_sub_f32 v27, v31, v29
	s_delay_alu instid0(VALU_DEP_1) | instskip(NEXT) | instid1(VALU_DEP_1)
	v_dual_add_f32 v24, v24, v28 :: v_dual_sub_f32 v25, v25, v27
	v_add_f32_e32 v24, v24, v25
	s_delay_alu instid0(VALU_DEP_1) | instskip(NEXT) | instid1(VALU_DEP_1)
	v_add_f32_e32 v24, v31, v24
	v_cndmask_b32_e32 v105, v24, v26, vcc_lo
.LBB81_50:                              ;   in Loop: Header=BB81_12 Depth=1
	s_or_b32 exec_lo, exec_lo, s15
	v_lshrrev_b32_e32 v24, 16, v11
	s_delay_alu instid0(VALU_DEP_1) | instskip(NEXT) | instid1(VALU_DEP_1)
	v_cvt_f32_f16_e32 v24, v24
	v_add_f32_e32 v106, s56, v24
	s_delay_alu instid0(VALU_DEP_1) | instskip(SKIP_1) | instid1(SALU_CYCLE_1)
	v_cmp_ge_f32_e32 vcc_lo, 0x41a00000, v106
	s_and_b32 s14, s66, vcc_lo
	s_and_saveexec_b32 s15, s14
	s_cbranch_execz .LBB81_52
; %bb.51:                               ;   in Loop: Header=BB81_12 Depth=1
	v_mul_f32_e32 v24, 0x3fb8aa3b, v106
	v_cmp_ngt_f32_e32 vcc_lo, 0xc2ce8ed0, v106
	s_delay_alu instid0(VALU_DEP_2) | instskip(SKIP_1) | instid1(VALU_DEP_2)
	v_rndne_f32_e32 v25, v24
	v_fma_f32 v26, 0x3fb8aa3b, v106, -v24
	v_sub_f32_e32 v24, v24, v25
	s_delay_alu instid0(VALU_DEP_2) | instskip(SKIP_1) | instid1(VALU_DEP_2)
	v_fmac_f32_e32 v26, 0x32a5705f, v106
	v_cvt_i32_f32_e32 v25, v25
	v_add_f32_e32 v24, v24, v26
	s_delay_alu instid0(VALU_DEP_1) | instskip(SKIP_2) | instid1(VALU_DEP_1)
	v_exp_f32_e32 v24, v24
	s_waitcnt_depctr 0xfff
	v_ldexp_f32 v24, v24, v25
	v_cndmask_b32_e32 v24, 0, v24, vcc_lo
	v_cmp_nlt_f32_e32 vcc_lo, 0x42b17218, v106
	s_delay_alu instid0(VALU_DEP_2) | instskip(NEXT) | instid1(VALU_DEP_1)
	v_cndmask_b32_e32 v26, 0x7f800000, v24, vcc_lo
	v_add_f32_e32 v27, 1.0, v26
	s_delay_alu instid0(VALU_DEP_1) | instskip(NEXT) | instid1(VALU_DEP_1)
	v_cvt_f64_f32_e32 v[24:25], v27
	v_frexp_exp_i32_f64_e32 v24, v[24:25]
	v_frexp_mant_f32_e32 v25, v27
	s_delay_alu instid0(VALU_DEP_1) | instskip(SKIP_1) | instid1(VALU_DEP_1)
	v_cmp_gt_f32_e32 vcc_lo, 0x3f2aaaab, v25
	v_add_f32_e32 v25, -1.0, v27
	v_sub_f32_e32 v29, v25, v27
	v_sub_f32_e32 v25, v26, v25
	s_delay_alu instid0(VALU_DEP_2) | instskip(NEXT) | instid1(VALU_DEP_1)
	v_add_f32_e32 v29, 1.0, v29
	v_add_f32_e32 v25, v25, v29
	v_cmp_gt_f32_e64 s14, 0x33800000, v26
	v_subrev_co_ci_u32_e32 v24, vcc_lo, 0, v24, vcc_lo
	v_cmp_eq_f32_e32 vcc_lo, 0x7f800000, v26
	s_delay_alu instid0(VALU_DEP_2) | instskip(SKIP_2) | instid1(VALU_DEP_2)
	v_sub_nc_u32_e32 v28, 0, v24
	v_cvt_f32_i32_e32 v24, v24
	s_or_b32 vcc_lo, s14, vcc_lo
	v_ldexp_f32 v27, v27, v28
	v_ldexp_f32 v25, v25, v28
	s_delay_alu instid0(VALU_DEP_2) | instskip(NEXT) | instid1(VALU_DEP_1)
	v_add_f32_e32 v30, 1.0, v27
	v_dual_add_f32 v28, -1.0, v27 :: v_dual_add_f32 v29, -1.0, v30
	s_delay_alu instid0(VALU_DEP_1) | instskip(NEXT) | instid1(VALU_DEP_2)
	v_add_f32_e32 v31, 1.0, v28
	v_sub_f32_e32 v29, v27, v29
	s_delay_alu instid0(VALU_DEP_2) | instskip(NEXT) | instid1(VALU_DEP_2)
	v_sub_f32_e32 v27, v27, v31
	v_add_f32_e32 v29, v25, v29
	s_delay_alu instid0(VALU_DEP_2) | instskip(NEXT) | instid1(VALU_DEP_1)
	v_add_f32_e32 v25, v25, v27
	v_add_f32_e32 v32, v28, v25
	s_delay_alu instid0(VALU_DEP_1) | instskip(NEXT) | instid1(VALU_DEP_1)
	v_dual_add_f32 v31, v30, v29 :: v_dual_sub_f32 v28, v28, v32
	v_rcp_f32_e32 v27, v31
	v_sub_f32_e32 v30, v30, v31
	s_delay_alu instid0(VALU_DEP_1) | instskip(SKIP_2) | instid1(VALU_DEP_1)
	v_add_f32_e32 v29, v29, v30
	s_waitcnt_depctr 0xfff
	v_mul_f32_e32 v33, v32, v27
	v_mul_f32_e32 v34, v31, v33
	s_delay_alu instid0(VALU_DEP_1) | instskip(NEXT) | instid1(VALU_DEP_1)
	v_fma_f32 v30, v33, v31, -v34
	v_fmac_f32_e32 v30, v33, v29
	s_delay_alu instid0(VALU_DEP_1) | instskip(NEXT) | instid1(VALU_DEP_1)
	v_add_f32_e32 v35, v34, v30
	v_sub_f32_e32 v36, v32, v35
	s_delay_alu instid0(VALU_DEP_1) | instskip(SKIP_1) | instid1(VALU_DEP_2)
	v_sub_f32_e32 v32, v32, v36
	v_dual_add_f32 v25, v25, v28 :: v_dual_sub_f32 v28, v35, v34
	v_sub_f32_e32 v32, v32, v35
	s_delay_alu instid0(VALU_DEP_1) | instskip(NEXT) | instid1(VALU_DEP_1)
	v_dual_sub_f32 v28, v28, v30 :: v_dual_add_f32 v25, v25, v32
	v_add_f32_e32 v25, v28, v25
	s_delay_alu instid0(VALU_DEP_1) | instskip(NEXT) | instid1(VALU_DEP_1)
	v_add_f32_e32 v28, v36, v25
	v_mul_f32_e32 v30, v27, v28
	s_delay_alu instid0(VALU_DEP_1) | instskip(NEXT) | instid1(VALU_DEP_1)
	v_dual_sub_f32 v35, v36, v28 :: v_dual_mul_f32 v32, v31, v30
	v_add_f32_e32 v25, v25, v35
	s_delay_alu instid0(VALU_DEP_2) | instskip(NEXT) | instid1(VALU_DEP_1)
	v_fma_f32 v31, v30, v31, -v32
	v_fmac_f32_e32 v31, v30, v29
	s_delay_alu instid0(VALU_DEP_1) | instskip(NEXT) | instid1(VALU_DEP_1)
	v_add_f32_e32 v29, v32, v31
	v_sub_f32_e32 v34, v28, v29
	s_delay_alu instid0(VALU_DEP_1) | instskip(NEXT) | instid1(VALU_DEP_1)
	v_sub_f32_e32 v28, v28, v34
	v_sub_f32_e32 v28, v28, v29
	s_delay_alu instid0(VALU_DEP_1) | instskip(SKIP_2) | instid1(VALU_DEP_1)
	v_add_f32_e32 v25, v25, v28
	v_add_f32_e32 v28, v33, v30
	v_sub_f32_e32 v32, v29, v32
	v_sub_f32_e32 v29, v32, v31
	s_delay_alu instid0(VALU_DEP_1) | instskip(NEXT) | instid1(VALU_DEP_4)
	v_add_f32_e32 v25, v29, v25
	v_sub_f32_e32 v29, v28, v33
	s_delay_alu instid0(VALU_DEP_2) | instskip(NEXT) | instid1(VALU_DEP_2)
	v_add_f32_e32 v25, v34, v25
	v_sub_f32_e32 v29, v30, v29
	s_delay_alu instid0(VALU_DEP_2) | instskip(NEXT) | instid1(VALU_DEP_1)
	v_mul_f32_e32 v25, v27, v25
	v_add_f32_e32 v25, v29, v25
	s_delay_alu instid0(VALU_DEP_1) | instskip(NEXT) | instid1(VALU_DEP_1)
	v_add_f32_e32 v27, v28, v25
	v_mul_f32_e32 v29, v27, v27
	s_delay_alu instid0(VALU_DEP_1) | instskip(SKIP_1) | instid1(VALU_DEP_2)
	v_fmaak_f32 v30, s54, v29, 0x3ecc95a3
	v_mul_f32_e32 v31, v27, v29
	v_fmaak_f32 v29, v29, v30, 0x3f2aaada
	v_ldexp_f32 v30, v27, 1
	s_delay_alu instid0(VALU_DEP_2) | instskip(SKIP_1) | instid1(VALU_DEP_2)
	v_mul_f32_e32 v29, v31, v29
	v_sub_f32_e32 v27, v27, v28
	v_dual_mul_f32 v31, 0x3f317218, v24 :: v_dual_add_f32 v28, v30, v29
	s_delay_alu instid0(VALU_DEP_2) | instskip(NEXT) | instid1(VALU_DEP_2)
	v_sub_f32_e32 v25, v25, v27
	v_sub_f32_e32 v27, v28, v30
	s_delay_alu instid0(VALU_DEP_3) | instskip(NEXT) | instid1(VALU_DEP_3)
	v_fma_f32 v30, 0x3f317218, v24, -v31
	v_ldexp_f32 v25, v25, 1
	s_delay_alu instid0(VALU_DEP_2) | instskip(NEXT) | instid1(VALU_DEP_1)
	v_dual_sub_f32 v27, v29, v27 :: v_dual_fmac_f32 v30, 0xb102e308, v24
	v_dual_add_f32 v24, v25, v27 :: v_dual_add_f32 v25, v31, v30
	s_delay_alu instid0(VALU_DEP_1) | instskip(NEXT) | instid1(VALU_DEP_1)
	v_add_f32_e32 v27, v28, v24
	v_dual_add_f32 v29, v25, v27 :: v_dual_sub_f32 v28, v27, v28
	s_delay_alu instid0(VALU_DEP_1) | instskip(NEXT) | instid1(VALU_DEP_2)
	v_sub_f32_e32 v32, v29, v25
	v_dual_sub_f32 v31, v25, v31 :: v_dual_sub_f32 v24, v24, v28
	s_delay_alu instid0(VALU_DEP_1) | instskip(SKIP_1) | instid1(VALU_DEP_2)
	v_dual_sub_f32 v33, v29, v32 :: v_dual_sub_f32 v30, v30, v31
	v_sub_f32_e32 v27, v27, v32
	v_dual_sub_f32 v25, v25, v33 :: v_dual_add_f32 v28, v30, v24
	s_delay_alu instid0(VALU_DEP_1) | instskip(NEXT) | instid1(VALU_DEP_2)
	v_add_f32_e32 v25, v27, v25
	v_sub_f32_e32 v27, v28, v30
	s_delay_alu instid0(VALU_DEP_2) | instskip(NEXT) | instid1(VALU_DEP_2)
	v_add_f32_e32 v25, v28, v25
	v_sub_f32_e32 v28, v28, v27
	s_delay_alu instid0(VALU_DEP_2) | instskip(NEXT) | instid1(VALU_DEP_1)
	v_dual_sub_f32 v24, v24, v27 :: v_dual_add_f32 v31, v29, v25
	v_dual_sub_f32 v28, v30, v28 :: v_dual_sub_f32 v27, v31, v29
	s_delay_alu instid0(VALU_DEP_1) | instskip(NEXT) | instid1(VALU_DEP_1)
	v_dual_add_f32 v24, v24, v28 :: v_dual_sub_f32 v25, v25, v27
	v_add_f32_e32 v24, v24, v25
	s_delay_alu instid0(VALU_DEP_1) | instskip(NEXT) | instid1(VALU_DEP_1)
	v_add_f32_e32 v24, v31, v24
	v_cndmask_b32_e32 v106, v24, v26, vcc_lo
.LBB81_52:                              ;   in Loop: Header=BB81_12 Depth=1
	s_or_b32 exec_lo, exec_lo, s15
	v_lshrrev_b32_e32 v26, 16, v18
	v_lshrrev_b32_e32 v28, 16, v19
	;; [unrolled: 1-line block ×8, first 2 shown]
	v_cvt_f32_f16_e32 v24, v19
	v_cvt_f32_f16_e32 v25, v18
	;; [unrolled: 1-line block ×16, first 2 shown]
	v_dual_mul_f32 v87, s57, v24 :: v_dual_mul_f32 v86, s57, v27
	v_dual_mul_f32 v85, s57, v26 :: v_dual_mul_f32 v90, s57, v28
	v_dual_mul_f32 v89, s57, v25 :: v_dual_mul_f32 v92, s57, v34
	v_dual_mul_f32 v88, s57, v29 :: v_dual_mul_f32 v93, s57, v30
	v_dual_mul_f32 v91, s57, v32 :: v_dual_mul_f32 v98, s57, v33
	v_dual_mul_f32 v100, s57, v35 :: v_dual_mul_f32 v101, s57, v37
	v_dual_mul_f32 v96, s57, v36 :: v_dual_mul_f32 v95, s57, v38
	v_mul_f32_e32 v103, s57, v39
	v_mul_f32_e32 v94, s57, v31
	s_lshl_b32 s38, s73, 10
	s_and_b32 vcc_lo, exec_lo, s67
	s_barrier
	buffer_gl0_inv
	s_cbranch_vccz .LBB81_84
; %bb.53:                               ;   in Loop: Header=BB81_12 Depth=1
	v_dual_mul_f32 v107, v106, v31 :: v_dual_mul_f32 v112, v105, v24
	v_add_co_u32 v31, s14, s49, v73
	s_delay_alu instid0(VALU_DEP_1) | instskip(SKIP_1) | instid1(VALU_DEP_1)
	v_add_co_ci_u32_e64 v40, null, s50, 0, s14
	v_add_co_u32 v41, s14, s37, v73
	v_add_co_ci_u32_e64 v111, null, s61, 0, s14
	s_delay_alu instid0(VALU_DEP_4) | instskip(NEXT) | instid1(VALU_DEP_4)
	v_add_co_u32 v108, vcc_lo, v31, v74
	v_add_co_ci_u32_e32 v109, vcc_lo, 0, v40, vcc_lo
	s_delay_alu instid0(VALU_DEP_4)
	v_add_co_u32 v110, vcc_lo, v41, v74
	s_sub_i32 s25, s34, s38
	v_add_co_ci_u32_e32 v111, vcc_lo, 0, v111, vcc_lo
	v_cmp_gt_u32_e32 vcc_lo, s25, v48
	s_cmp_lg_u32 s73, 0
	v_cmp_gt_u32_e64 s16, s25, v59
	s_cselect_b32 s39, -1, 0
	s_cmp_eq_u32 s73, s69
	v_cmp_gt_u32_e64 s17, s25, v60
	s_cselect_b32 s74, -1, 0
	s_or_b32 s14, s68, vcc_lo
	v_cmp_gt_u32_e32 vcc_lo, s25, v58
	v_cmp_gt_u32_e64 s18, s25, v61
	v_cmp_gt_u32_e64 s19, s25, v62
	;; [unrolled: 1-line block ×4, first 2 shown]
	s_or_b32 s15, s68, vcc_lo
	v_cmp_gt_u32_e32 vcc_lo, s25, v63
	v_cmp_gt_u32_e64 s23, s25, v66
	v_cmp_gt_u32_e64 s24, s25, v67
	;; [unrolled: 1-line block ×4, first 2 shown]
	s_or_b32 s20, s68, vcc_lo
	v_cmp_gt_u32_e32 vcc_lo, s25, v68
	v_cmp_gt_u32_e64 s28, s25, v71
	v_cmp_gt_u32_e64 s29, s25, v72
	v_dual_mul_f32 v113, v104, v26 :: v_dual_mul_f32 v114, v102, v25
	v_dual_mul_f32 v115, v99, v27 :: v_dual_mul_f32 v116, v97, v28
	;; [unrolled: 1-line block ×7, first 2 shown]
	s_mov_b32 s52, 0
	s_or_b32 s16, s68, s16
	s_or_b32 s17, s68, s17
	s_or_b32 s18, s68, s18
	s_or_b32 s19, s68, s19
	s_or_b32 s21, s68, s21
	s_or_b32 s22, s68, s22
	s_or_b32 s23, s68, s23
	s_or_b32 s24, s68, s24
	s_or_b32 s25, s68, vcc_lo
	s_or_b32 s26, s68, s26
	s_or_b32 s27, s68, s27
	;; [unrolled: 1-line block ×4, first 2 shown]
	s_mov_b32 s40, s52
	s_mov_b32 s42, s52
	s_mov_b32 s46, s52
	s_mov_b32 s75, s35
	s_mov_b32 s76, s70
	s_branch .LBB81_55
.LBB81_54:                              ;   in Loop: Header=BB81_55 Depth=2
	s_or_b32 exec_lo, exec_lo, s30
	v_cndmask_b32_e64 v33, v156, v35, s13
	v_cndmask_b32_e64 v34, v155, v34, s13
	s_add_i32 s75, s75, -1
	s_add_i32 s76, s76, 8
	s_add_i32 s46, s46, s62
	v_fma_f32 v33, v33, v127, v39
	v_mul_f32_e32 v34, v34, v127
	s_add_i32 s42, s42, s36
	s_add_i32 s40, s40, s48
	;; [unrolled: 1-line block ×3, first 2 shown]
	v_cndmask_b32_e64 v33, v33, v39, s12
	v_cndmask_b32_e64 v34, v34, v127, s12
	s_cmp_eq_u32 s75, 0
	s_waitcnt lgkmcnt(0)
	s_delay_alu instid0(VALU_DEP_1) | instskip(NEXT) | instid1(VALU_DEP_1)
	v_fmac_f32_e32 v33, v32, v34
	v_fmac_f32_e32 v36, v33, v129
	s_delay_alu instid0(VALU_DEP_1) | instskip(NEXT) | instid1(VALU_DEP_1)
	v_fmac_f32_e32 v37, v36, v131
	v_fmac_f32_e32 v38, v37, v133
	v_fma_mix_f32 v103, v33, v28, v103 op_sel_hi:[0,1,0]
	s_delay_alu instid0(VALU_DEP_2) | instskip(SKIP_1) | instid1(VALU_DEP_2)
	v_fmac_f32_e32 v128, v38, v135
	v_fma_mix_f32 v96, v38, v29, v96 op_sel:[0,1,0] op_sel_hi:[0,1,0]
	v_fmac_f32_e32 v130, v128, v136
	v_fma_mix_f32 v100, v128, v30, v100 op_sel_hi:[0,1,0]
	s_delay_alu instid0(VALU_DEP_2) | instskip(SKIP_1) | instid1(VALU_DEP_2)
	v_fmac_f32_e32 v132, v130, v138
	v_fma_mix_f32 v101, v37, v29, v101 op_sel_hi:[0,1,0]
	v_fmac_f32_e32 v134, v132, v141
	v_fma_mix_f32 v98, v132, v31, v98 op_sel_hi:[0,1,0]
	s_delay_alu instid0(VALU_DEP_2) | instskip(SKIP_1) | instid1(VALU_DEP_2)
	v_fmac_f32_e32 v137, v134, v142
	v_fma_mix_f32 v95, v36, v28, v95 op_sel:[0,1,0] op_sel_hi:[0,1,0]
	v_fmac_f32_e32 v139, v137, v143
	v_fma_mix_f32 v92, v130, v30, v92 op_sel:[0,1,0] op_sel_hi:[0,1,0]
	v_fma_mix_f32 v93, v137, v24, v93 op_sel_hi:[0,1,0]
	s_delay_alu instid0(VALU_DEP_3) | instskip(SKIP_1) | instid1(VALU_DEP_2)
	v_fmac_f32_e32 v140, v139, v144
	v_fma_mix_f32 v88, v139, v24, v88 op_sel:[0,1,0] op_sel_hi:[0,1,0]
	v_fmac_f32_e32 v145, v140, v151
	v_fma_mix_f32 v90, v140, v25, v90 op_sel_hi:[0,1,0]
	s_delay_alu instid0(VALU_DEP_2) | instskip(NEXT) | instid1(VALU_DEP_1)
	v_fmac_f32_e32 v146, v145, v148
	v_fmac_f32_e32 v147, v146, v150
	v_fma_mix_f32 v91, v134, v31, v91 op_sel:[0,1,0] op_sel_hi:[0,1,0]
	v_fma_mix_f32 v89, v146, v26, v89 op_sel_hi:[0,1,0]
	s_delay_alu instid0(VALU_DEP_3) | instskip(SKIP_1) | instid1(VALU_DEP_2)
	v_fmac_f32_e32 v149, v147, v153
	v_fma_mix_f32 v85, v147, v26, v85 op_sel:[0,1,0] op_sel_hi:[0,1,0]
	v_fmac_f32_e32 v152, v149, v154
	v_fma_mix_f32 v86, v145, v25, v86 op_sel:[0,1,0] op_sel_hi:[0,1,0]
	v_fma_mix_f32 v87, v149, v27, v87 op_sel_hi:[0,1,0]
	s_delay_alu instid0(VALU_DEP_3)
	v_fma_mix_f32 v94, v152, v27, v94 op_sel:[0,1,0] op_sel_hi:[0,1,0]
	s_cbranch_scc1 .LBB81_84
.LBB81_55:                              ;   Parent Loop BB81_12 Depth=1
                                        ; =>  This Inner Loop Header: Depth=2
	s_lshl_b64 s[30:31], s[52:53], 2
	s_mov_b32 s41, s53
	s_add_u32 s30, s59, s30
	s_addc_u32 s31, s60, s31
	s_lshl_b64 s[78:79], s[40:41], 1
	s_mov_b32 s43, s53
	v_add_co_u32 v28, vcc_lo, v108, s78
	v_add_co_ci_u32_e32 v29, vcc_lo, s79, v109, vcc_lo
	s_lshl_b64 s[78:79], s[42:43], 1
	s_clause 0x1
	global_load_b128 v[24:27], v[28:29], off
	global_load_b128 v[28:31], v[28:29], off offset:512
	v_add_co_u32 v32, vcc_lo, v110, s78
	v_add_co_ci_u32_e32 v33, vcc_lo, s79, v111, vcc_lo
	global_load_b32 v127, v42, s[30:31]
	s_and_not1_b32 vcc_lo, exec_lo, s39
	s_waitcnt vmcnt(2)
	ds_store_b128 v43, v[24:27]
	s_waitcnt vmcnt(1)
	ds_store_b128 v44, v[28:31] offset:512
	; wave barrier
	s_clause 0x1
	global_load_b128 v[24:27], v[32:33], off
	global_load_b128 v[28:31], v[32:33], off offset:512
	ds_load_b128 v[36:39], v45
	ds_load_b128 v[32:35], v45 offset:16
	s_waitcnt vmcnt(1)
	ds_store_b128 v43, v[24:27] offset:2112
	s_waitcnt vmcnt(0)
	ds_store_b128 v46, v[28:31] offset:512
	; wave barrier
	ds_load_b128 v[28:31], v45 offset:2112
	ds_load_b128 v[24:27], v47 offset:16
	s_cbranch_vccnz .LBB81_57
; %bb.56:                               ;   in Loop: Header=BB81_55 Depth=2
	v_mov_b32_e32 v40, s76
	ds_load_b64 v[40:41], v40
	s_cbranch_execz .LBB81_58
	s_branch .LBB81_61
.LBB81_57:                              ;   in Loop: Header=BB81_55 Depth=2
                                        ; implicit-def: $vgpr40
.LBB81_58:                              ;   in Loop: Header=BB81_55 Depth=2
	s_waitcnt lgkmcnt(0)
	v_mov_b32_e32 v41, 0
	s_and_not1_b32 vcc_lo, exec_lo, s33
	s_cbranch_vccnz .LBB81_60
; %bb.59:                               ;   in Loop: Header=BB81_55 Depth=2
	s_mov_b32 s47, s53
	s_delay_alu instid0(SALU_CYCLE_1) | instskip(NEXT) | instid1(SALU_CYCLE_1)
	s_lshl_b64 s[30:31], s[46:47], 1
	s_add_u32 s30, s63, s30
	s_addc_u32 s31, s64, s31
	global_load_u16 v40, v42, s[30:31]
	s_waitcnt vmcnt(0)
	v_cvt_f32_f16_e32 v41, v40
.LBB81_60:                              ;   in Loop: Header=BB81_55 Depth=2
	v_mov_b32_e32 v40, 1.0
.LBB81_61:                              ;   in Loop: Header=BB81_55 Depth=2
	s_waitcnt lgkmcnt(5)
	v_lshrrev_b32_e32 v128, 16, v36
	v_cvt_f32_f16_e32 v36, v36
	v_mul_f32_e32 v149, 0x3fb8aa3b, v127
	v_lshrrev_b32_e32 v127, 16, v37
	v_lshrrev_b32_e32 v129, 16, v38
	v_cvt_f32_f16_e64 v132, v38
	v_mul_f32_e32 v36, v126, v36
	s_waitcnt lgkmcnt(4)
	v_lshrrev_b32_e32 v38, 16, v32
	v_cvt_f32_f16_e64 v130, v127
	v_lshrrev_b32_e32 v127, 16, v39
	v_cvt_f32_f16_e64 v137, v39
	v_cvt_f32_f16_e64 v134, v129
	;; [unrolled: 1-line block ×3, first 2 shown]
	v_lshrrev_b32_e32 v38, 16, v33
	v_cvt_f32_f16_e64 v138, v127
	v_mul_f32_e32 v127, v149, v76
	v_mul_f32_e32 v129, v149, v77
	v_cvt_f32_f16_e64 v128, v128
	v_cvt_f32_f16_e64 v145, v38
	v_lshrrev_b32_e32 v38, 16, v34
	v_cmp_gt_f32_e64 s30, 0xc2fc0000, v127
	v_cvt_f32_f16_e32 v37, v37
	v_mul_f32_e32 v136, v149, v80
	v_cvt_f32_f16_e32 v33, v33
	v_cvt_f32_f16_e64 v147, v38
	v_cndmask_b32_e64 v127, 0, 0x42800000, s30
	v_lshrrev_b32_e32 v38, 16, v35
	s_delay_alu instid0(VALU_DEP_4) | instskip(SKIP_1) | instid1(VALU_DEP_4)
	v_dual_mul_f32 v140, v149, v82 :: v_dual_mul_f32 v33, v116, v33
	v_cvt_f32_f16_e32 v32, v32
	v_fmac_f32_e32 v127, v149, v76
	s_delay_alu instid0(VALU_DEP_4) | instskip(NEXT) | instid1(VALU_DEP_4)
	v_cvt_f32_f16_e64 v152, v38
	v_cmp_gt_f32_e64 s31, 0xc2fc0000, v140
	v_cvt_f32_f16_e32 v35, v35
	v_mul_f32_e32 v134, v121, v134
	v_exp_f32_e32 v131, v127
	v_mul_f32_e32 v39, v149, v75
	v_mul_f32_e32 v127, v149, v78
	v_cndmask_b32_e64 v140, 0, 0x42800000, s31
	v_mul_f32_e32 v143, v149, v97
	v_cvt_f32_f16_e32 v34, v34
	v_cmp_gt_f32_e32 vcc_lo, 0xc2fc0000, v39
	v_mul_f32_e32 v150, v149, v102
	v_dual_fmac_f32 v140, v149, v82 :: v_dual_mul_f32 v37, v124, v37
	v_mul_f32_e32 v32, v118, v32
	v_cndmask_b32_e64 v39, 0, 0x42800000, vcc_lo
	v_cndmask_b32_e64 v38, 1.0, 0x1f800000, vcc_lo
	v_cmp_gt_f32_e32 vcc_lo, 0xc2fc0000, v129
	v_exp_f32_e32 v140, v140
	v_cndmask_b32_e64 v37, 0, v37, s16
	v_fmac_f32_e32 v39, v149, v75
	v_mul_f32_e32 v35, v112, v35
	v_cndmask_b32_e64 v129, 0, 0x42800000, vcc_lo
	v_mul_f32_e32 v34, v114, v34
	s_delay_alu instid0(VALU_DEP_4)
	v_exp_f32_e32 v39, v39
	s_waitcnt_depctr 0xfff
	v_dual_fmac_f32 v129, v149, v77 :: v_dual_mul_f32 v38, v39, v38
	v_cndmask_b32_e64 v39, 0, v36, s14
	v_cndmask_b32_e64 v36, 1.0, 0x1f800000, s30
	v_cmp_gt_f32_e64 s30, 0xc2fc0000, v127
	s_delay_alu instid0(VALU_DEP_4) | instskip(SKIP_1) | instid1(VALU_DEP_4)
	v_cndmask_b32_e64 v127, 1.0, v38, s14
	v_mul_f32_e32 v38, v125, v128
	v_mul_f32_e32 v128, v131, v36
	v_exp_f32_e32 v131, v129
	v_mul_f32_e32 v129, v149, v79
	v_cndmask_b32_e64 v133, 0, 0x42800000, s30
	v_cndmask_b32_e64 v36, 0, v38, s15
	v_cndmask_b32_e64 v38, 1.0, 0x1f800000, vcc_lo
	s_delay_alu instid0(VALU_DEP_4) | instskip(SKIP_3) | instid1(TRANS32_DEP_1)
	v_cmp_gt_f32_e32 vcc_lo, 0xc2fc0000, v129
	v_cndmask_b32_e64 v129, 1.0, v128, s15
	v_cndmask_b32_e64 v128, 1.0, 0x1f800000, s30
	v_cmp_gt_f32_e64 s30, 0xc2fc0000, v136
	v_mul_f32_e32 v38, v131, v38
	v_cndmask_b32_e64 v135, 0, 0x42800000, vcc_lo
	s_delay_alu instid0(VALU_DEP_3) | instskip(SKIP_1) | instid1(VALU_DEP_3)
	v_cndmask_b32_e64 v141, 1.0, 0x1f800000, s30
	v_fmac_f32_e32 v133, v149, v78
	v_fmac_f32_e32 v135, v149, v79
	v_cndmask_b32_e64 v131, 1.0, v38, s16
	v_mul_f32_e32 v38, v123, v130
	v_mul_f32_e32 v136, v149, v81
	v_exp_f32_e32 v133, v133
	v_exp_f32_e32 v130, v135
	v_cndmask_b32_e64 v135, 0, 0x42800000, s30
	v_cndmask_b32_e64 v38, 0, v38, s17
	s_delay_alu instid0(VALU_DEP_2) | instskip(SKIP_2) | instid1(VALU_DEP_1)
	v_fmac_f32_e32 v135, v149, v80
	s_waitcnt_depctr 0xfff
	v_mul_f32_e32 v128, v133, v128
	v_cndmask_b32_e64 v133, 1.0, v128, s17
	v_cndmask_b32_e64 v128, 1.0, 0x1f800000, vcc_lo
	v_cmp_gt_f32_e32 vcc_lo, 0xc2fc0000, v136
	s_delay_alu instid0(VALU_DEP_2) | instskip(SKIP_3) | instid1(VALU_DEP_3)
	v_mul_f32_e32 v130, v130, v128
	v_cndmask_b32_e64 v136, 0, 0x42800000, vcc_lo
	v_mul_f32_e32 v128, v122, v132
	v_exp_f32_e32 v132, v135
	v_cndmask_b32_e64 v135, 1.0, v130, s18
	s_delay_alu instid0(VALU_DEP_3) | instskip(SKIP_3) | instid1(VALU_DEP_4)
	v_fmac_f32_e32 v136, v149, v81
	v_cndmask_b32_e64 v130, 0, v134, s19
	v_cndmask_b32_e64 v134, 1.0, 0x1f800000, vcc_lo
	v_cndmask_b32_e64 v128, 0, v128, s18
	v_exp_f32_e32 v142, v136
	s_delay_alu instid0(TRANS32_DEP_2) | instskip(NEXT) | instid1(VALU_DEP_1)
	v_dual_mul_f32 v132, v132, v141 :: v_dual_mul_f32 v141, v149, v83
	v_cndmask_b32_e64 v136, 1.0, v132, s19
	v_mul_f32_e32 v132, v120, v137
	v_cndmask_b32_e64 v137, 1.0, 0x1f800000, s31
	s_delay_alu instid0(VALU_DEP_4)
	v_cmp_gt_f32_e32 vcc_lo, 0xc2fc0000, v141
	s_waitcnt_depctr 0xfff
	v_mul_f32_e32 v134, v142, v134
	v_mul_f32_e32 v141, v119, v138
	v_cmp_gt_f32_e64 s31, 0xc2fc0000, v143
	v_mul_f32_e32 v137, v140, v137
	v_cndmask_b32_e64 v142, 0, 0x42800000, vcc_lo
	v_mul_f32_e32 v140, v149, v84
	v_mul_f32_e32 v143, v149, v99
	v_cndmask_b32_e64 v138, 1.0, v134, s20
	v_cndmask_b32_e64 v134, 0, v141, s21
	v_fmac_f32_e32 v142, v149, v83
	v_cmp_gt_f32_e64 s30, 0xc2fc0000, v140
	v_cndmask_b32_e64 v141, 1.0, v137, s21
	v_cndmask_b32_e64 v144, 1.0, 0x1f800000, vcc_lo
	v_cmp_gt_f32_e32 vcc_lo, 0xc2fc0000, v143
	v_exp_f32_e32 v137, v142
	v_cndmask_b32_e64 v140, 0, 0x42800000, s30
	v_cndmask_b32_e64 v142, 0, 0x42800000, s31
	v_cndmask_b32_e64 v146, 1.0, 0x1f800000, s30
	v_cndmask_b32_e64 v143, 0, 0x42800000, vcc_lo
	v_mul_f32_e32 v151, v149, v104
	v_fmac_f32_e32 v140, v149, v84
	v_fmac_f32_e32 v142, v149, v97
	v_cndmask_b32_e64 v132, 0, v132, s20
	v_fmac_f32_e32 v143, v149, v99
	v_mul_f32_e32 v144, v137, v144
	v_exp_f32_e32 v140, v140
	v_cndmask_b32_e64 v137, 0, v32, s22
	v_exp_f32_e32 v32, v142
	v_exp_f32_e32 v148, v143
	v_cndmask_b32_e64 v142, 1.0, v144, s22
	v_cndmask_b32_e64 v144, 1.0, 0x1f800000, s31
	v_cmp_gt_f32_e64 s30, 0xc2fc0000, v151
	s_delay_alu instid0(TRANS32_DEP_3)
	v_mul_f32_e32 v140, v140, v146
	v_cndmask_b32_e64 v146, 1.0, 0x1f800000, vcc_lo
	s_delay_alu instid0(TRANS32_DEP_2) | instid1(VALU_DEP_4)
	v_mul_f32_e32 v32, v32, v144
	v_cmp_gt_f32_e32 vcc_lo, 0xc2fc0000, v150
	v_fma_f32 v150, v129, v39, v36
	v_cndmask_b32_e64 v143, 1.0, v140, s23
	v_cndmask_b32_e64 v140, 0, v33, s24
	v_cndmask_b32_e64 v144, 1.0, v32, s24
	v_dual_mul_f32 v32, v148, v146 :: v_dual_mul_f32 v33, v115, v145
	v_cndmask_b32_e64 v146, 0, 0x42800000, vcc_lo
	v_mul_f32_e32 v148, v129, v127
	s_delay_alu instid0(VALU_DEP_3) | instskip(NEXT) | instid1(VALU_DEP_4)
	v_cndmask_b32_e64 v151, 1.0, v32, s25
	v_cndmask_b32_e64 v145, 0, v33, s25
	s_delay_alu instid0(VALU_DEP_3) | instskip(SKIP_3) | instid1(VALU_DEP_4)
	v_dual_fmac_f32 v146, v149, v102 :: v_dual_mul_f32 v33, v148, v131
	v_fma_f32 v148, v150, v131, v37
	v_cndmask_b32_e64 v32, 1.0, 0x1f800000, vcc_lo
	v_cndmask_b32_e64 v150, 0, 0x42800000, s30
	v_exp_f32_e32 v146, v146
	v_mul_f32_e32 v33, v33, v133
	v_fma_f32 v148, v148, v133, v38
	s_delay_alu instid0(VALU_DEP_3) | instskip(NEXT) | instid1(VALU_DEP_3)
	v_fmac_f32_e32 v150, v149, v104
	v_mul_f32_e32 v33, v33, v135
	s_delay_alu instid0(VALU_DEP_3) | instskip(NEXT) | instid1(VALU_DEP_3)
	v_fma_f32 v148, v148, v135, v128
	v_exp_f32_e32 v150, v150
	s_delay_alu instid0(TRANS32_DEP_2) | instskip(NEXT) | instid1(VALU_DEP_3)
	v_mul_f32_e32 v32, v146, v32
	v_mul_f32_e32 v33, v33, v136
	s_delay_alu instid0(VALU_DEP_3)
	v_fma_f32 v153, v148, v136, v130
	v_cndmask_b32_e64 v146, 0, v34, s26
	v_cndmask_b32_e64 v34, 1.0, 0x1f800000, s30
	v_cndmask_b32_e64 v148, 1.0, v32, s26
	v_mul_f32_e32 v32, v33, v138
	v_fma_f32 v33, v153, v138, v132
	s_delay_alu instid0(TRANS32_DEP_1) | instid1(VALU_DEP_4)
	v_dual_mul_f32 v139, v117, v139 :: v_dual_mul_f32 v34, v150, v34
	s_delay_alu instid0(VALU_DEP_3) | instskip(NEXT) | instid1(VALU_DEP_3)
	v_mul_f32_e32 v32, v32, v141
	v_fma_f32 v33, v33, v141, v134
	s_delay_alu instid0(VALU_DEP_3) | instskip(NEXT) | instid1(VALU_DEP_3)
	v_cndmask_b32_e64 v139, 0, v139, s23
	v_mul_f32_e32 v32, v32, v142
	s_delay_alu instid0(VALU_DEP_3) | instskip(NEXT) | instid1(VALU_DEP_2)
	v_fma_f32 v33, v33, v142, v137
	v_mul_f32_e32 v32, v32, v143
	s_delay_alu instid0(VALU_DEP_2) | instskip(NEXT) | instid1(VALU_DEP_2)
	v_fma_f32 v33, v33, v143, v139
	v_dual_mul_f32 v32, v32, v144 :: v_dual_mul_f32 v153, v149, v105
	s_delay_alu instid0(VALU_DEP_2) | instskip(NEXT) | instid1(VALU_DEP_2)
	v_fma_f32 v33, v33, v144, v140
	v_mul_f32_e32 v32, v32, v151
	s_delay_alu instid0(VALU_DEP_3) | instskip(SKIP_1) | instid1(VALU_DEP_4)
	v_cmp_gt_f32_e32 vcc_lo, 0xc2fc0000, v153
	v_mul_f32_e32 v153, v149, v106
	v_fma_f32 v33, v33, v151, v145
	s_delay_alu instid0(VALU_DEP_4) | instskip(SKIP_1) | instid1(VALU_DEP_4)
	v_mul_f32_e32 v32, v32, v148
	v_cndmask_b32_e64 v150, 0, 0x42800000, vcc_lo
	v_cmp_gt_f32_e64 s30, 0xc2fc0000, v153
	s_delay_alu instid0(VALU_DEP_4) | instskip(NEXT) | instid1(VALU_DEP_3)
	v_fma_f32 v33, v33, v148, v146
	v_fmac_f32_e32 v150, v149, v105
	s_delay_alu instid0(VALU_DEP_3) | instskip(NEXT) | instid1(VALU_DEP_2)
	v_cndmask_b32_e64 v153, 0, 0x42800000, s30
	v_exp_f32_e32 v154, v150
	s_delay_alu instid0(VALU_DEP_1)
	v_fmac_f32_e32 v153, v149, v106
	v_cndmask_b32_e64 v150, 1.0, v34, s27
	v_cndmask_b32_e64 v34, 1.0, 0x1f800000, vcc_lo
	v_mul_f32_e32 v147, v113, v147
	v_cndmask_b32_e64 v149, 0, v35, s28
	v_exp_f32_e32 v155, v153
	v_cndmask_b32_e64 v35, 1.0, 0x1f800000, s30
	v_mul_f32_e32 v32, v32, v150
	s_delay_alu instid0(TRANS32_DEP_2) | instskip(SKIP_1) | instid1(VALU_DEP_2)
	v_mul_f32_e32 v34, v154, v34
	v_cndmask_b32_e64 v147, 0, v147, s27
	v_cndmask_b32_e64 v153, 1.0, v34, s28
	v_mul_f32_e32 v34, v107, v152
	s_delay_alu instid0(TRANS32_DEP_1) | instskip(NEXT) | instid1(VALU_DEP_4)
	v_mul_f32_e32 v35, v155, v35
	v_fma_f32 v33, v33, v150, v147
	s_delay_alu instid0(VALU_DEP_4) | instskip(NEXT) | instid1(VALU_DEP_4)
	v_mul_f32_e32 v32, v32, v153
	v_cndmask_b32_e64 v152, 0, v34, s29
	s_delay_alu instid0(VALU_DEP_4) | instskip(NEXT) | instid1(VALU_DEP_4)
	v_cndmask_b32_e64 v154, 1.0, v35, s29
	v_fma_f32 v33, v33, v153, v149
	s_delay_alu instid0(VALU_DEP_2) | instskip(NEXT) | instid1(VALU_DEP_2)
	v_mul_f32_e32 v32, v32, v154
	v_fma_f32 v33, v33, v154, v152
	s_delay_alu instid0(VALU_DEP_2) | instskip(NEXT) | instid1(VALU_DEP_2)
	v_mov_b32_dpp v35, v32 row_shr:1 row_mask:0xf bank_mask:0xf
	v_mov_b32_dpp v34, v33 row_shr:1 row_mask:0xf bank_mask:0xf
	s_and_saveexec_b32 s30, s2
; %bb.62:                               ;   in Loop: Header=BB81_55 Depth=2
	s_delay_alu instid0(VALU_DEP_2) | instskip(NEXT) | instid1(VALU_DEP_1)
	v_mul_f32_e32 v35, v32, v35
	v_dual_fmac_f32 v33, v32, v34 :: v_dual_mov_b32 v32, v35
; %bb.63:                               ;   in Loop: Header=BB81_55 Depth=2
	s_or_b32 exec_lo, exec_lo, s30
	s_delay_alu instid0(VALU_DEP_1) | instskip(NEXT) | instid1(VALU_DEP_2)
	v_mov_b32_dpp v34, v32 row_shr:2 row_mask:0xf bank_mask:0xf
	v_mov_b32_dpp v35, v33 row_shr:2 row_mask:0xf bank_mask:0xf
	s_and_saveexec_b32 s30, s3
; %bb.64:                               ;   in Loop: Header=BB81_55 Depth=2
	s_delay_alu instid0(VALU_DEP_1) | instskip(NEXT) | instid1(VALU_DEP_3)
	v_fmac_f32_e32 v33, v32, v35
	v_mul_f32_e32 v32, v32, v34
; %bb.65:                               ;   in Loop: Header=BB81_55 Depth=2
	s_or_b32 exec_lo, exec_lo, s30
	s_delay_alu instid0(VALU_DEP_1) | instskip(NEXT) | instid1(VALU_DEP_3)
	v_mov_b32_dpp v34, v32 row_shr:4 row_mask:0xf bank_mask:0xf
	v_mov_b32_dpp v35, v33 row_shr:4 row_mask:0xf bank_mask:0xf
	s_and_saveexec_b32 s30, s4
; %bb.66:                               ;   in Loop: Header=BB81_55 Depth=2
	s_delay_alu instid0(VALU_DEP_1) | instskip(NEXT) | instid1(VALU_DEP_3)
	v_fmac_f32_e32 v33, v32, v35
	v_mul_f32_e32 v32, v32, v34
; %bb.67:                               ;   in Loop: Header=BB81_55 Depth=2
	s_or_b32 exec_lo, exec_lo, s30
	s_delay_alu instid0(VALU_DEP_1) | instskip(NEXT) | instid1(VALU_DEP_3)
	v_mov_b32_dpp v34, v32 row_shr:8 row_mask:0xf bank_mask:0xf
	v_mov_b32_dpp v35, v33 row_shr:8 row_mask:0xf bank_mask:0xf
	s_and_saveexec_b32 s30, s5
; %bb.68:                               ;   in Loop: Header=BB81_55 Depth=2
	s_delay_alu instid0(VALU_DEP_1) | instskip(NEXT) | instid1(VALU_DEP_3)
	v_fmac_f32_e32 v33, v32, v35
	v_mul_f32_e32 v32, v32, v34
; %bb.69:                               ;   in Loop: Header=BB81_55 Depth=2
	s_or_b32 exec_lo, exec_lo, s30
	ds_swizzle_b32 v35, v32 offset:swizzle(BROADCAST,32,15)
	ds_swizzle_b32 v34, v33 offset:swizzle(BROADCAST,32,15)
	s_and_saveexec_b32 s30, s6
	s_cbranch_execz .LBB81_71
; %bb.70:                               ;   in Loop: Header=BB81_55 Depth=2
	s_waitcnt lgkmcnt(1)
	v_mul_f32_e32 v35, v32, v35
	s_waitcnt lgkmcnt(0)
	s_delay_alu instid0(VALU_DEP_1)
	v_dual_fmac_f32 v33, v32, v34 :: v_dual_mov_b32 v32, v35
.LBB81_71:                              ;   in Loop: Header=BB81_55 Depth=2
	s_or_b32 exec_lo, exec_lo, s30
	s_and_saveexec_b32 s30, s7
	s_cbranch_execz .LBB81_73
; %bb.72:                               ;   in Loop: Header=BB81_55 Depth=2
	ds_store_b64 v49, v[32:33] offset:4224
.LBB81_73:                              ;   in Loop: Header=BB81_55 Depth=2
	s_or_b32 exec_lo, exec_lo, s30
	s_waitcnt lgkmcnt(0)
	s_waitcnt_vscnt null, 0x0
	s_barrier
	buffer_gl0_inv
	s_and_saveexec_b32 s30, s8
	s_cbranch_execz .LBB81_75
; %bb.74:                               ;   in Loop: Header=BB81_55 Depth=2
	ds_load_b64 v[34:35], v50 offset:4224
	s_waitcnt lgkmcnt(0)
	v_mov_b32_dpp v155, v34 row_shr:1 row_mask:0xf bank_mask:0xf
	v_mov_b32_dpp v156, v35 row_shr:1 row_mask:0xf bank_mask:0xf
	s_delay_alu instid0(VALU_DEP_2) | instskip(NEXT) | instid1(VALU_DEP_2)
	v_mul_f32_e32 v155, v34, v155
	v_fma_f32 v156, v34, v156, v35
	s_delay_alu instid0(VALU_DEP_2) | instskip(NEXT) | instid1(VALU_DEP_2)
	v_cndmask_b32_e64 v34, v155, v34, s9
	v_cndmask_b32_e64 v35, v156, v35, s9
	ds_store_b64 v50, v[34:35] offset:4224
.LBB81_75:                              ;   in Loop: Header=BB81_55 Depth=2
	s_or_b32 exec_lo, exec_lo, s30
	s_waitcnt lgkmcnt(0)
	s_barrier
	buffer_gl0_inv
                                        ; implicit-def: $vgpr35
	s_and_saveexec_b32 s30, s11
	s_cbranch_execz .LBB81_77
; %bb.76:                               ;   in Loop: Header=BB81_55 Depth=2
	ds_load_b64 v[34:35], v49 offset:4216
	s_waitcnt lgkmcnt(0)
	v_mul_f32_e32 v155, v32, v34
	s_delay_alu instid0(VALU_DEP_1)
	v_dual_fmac_f32 v33, v32, v35 :: v_dual_mov_b32 v32, v155
.LBB81_77:                              ;   in Loop: Header=BB81_55 Depth=2
	s_or_b32 exec_lo, exec_lo, s30
	ds_bpermute_b32 v155, v51, v32
	ds_bpermute_b32 v156, v51, v33
	s_and_saveexec_b32 s30, s10
	s_cbranch_execz .LBB81_81
; %bb.78:                               ;   in Loop: Header=BB81_55 Depth=2
	ds_load_b64 v[32:33], v42 offset:4232
	s_and_saveexec_b32 s31, s12
	s_cbranch_execz .LBB81_80
; %bb.79:                               ;   in Loop: Header=BB81_55 Depth=2
	ds_store_b64 v42, v[40:41] offset:4232
.LBB81_80:                              ;   in Loop: Header=BB81_55 Depth=2
	s_or_b32 exec_lo, exec_lo, s31
	s_waitcnt lgkmcnt(0)
	v_fmac_f32_e32 v33, v41, v32
	s_delay_alu instid0(VALU_DEP_1)
	v_dual_mul_f32 v40, v40, v32 :: v_dual_mov_b32 v41, v33
.LBB81_81:                              ;   in Loop: Header=BB81_55 Depth=2
	s_or_b32 exec_lo, exec_lo, s30
	s_waitcnt lgkmcnt(0)
	s_barrier
	buffer_gl0_inv
	ds_load_b32 v32, v42 offset:4236
	s_and_saveexec_b32 s30, s12
	s_cbranch_execz .LBB81_54
; %bb.82:                               ;   in Loop: Header=BB81_55 Depth=2
	v_mov_b32_e32 v33, s76
	s_and_not1_b32 vcc_lo, exec_lo, s74
	ds_store_b64 v33, v[40:41]
	s_cbranch_vccnz .LBB81_54
; %bb.83:                               ;   in Loop: Header=BB81_55 Depth=2
	s_mov_b32 s47, s53
	v_cvt_f16_f32_e32 v33, v41
	s_lshl_b64 s[78:79], s[46:47], 1
	s_delay_alu instid0(SALU_CYCLE_1)
	s_add_u32 s78, s63, s78
	s_addc_u32 s79, s64, s79
	global_store_b16 v42, v33, s[78:79]
	s_branch .LBB81_54
.LBB81_84:                              ;   in Loop: Header=BB81_12 Depth=1
	v_cvt_f16_f32_e32 v24, v103
	v_cvt_f16_f32_e32 v28, v95
	;; [unrolled: 1-line block ×16, first 2 shown]
	v_pack_b32_f16 v27, v27, v31
	v_pack_b32_f16 v26, v26, v30
	;; [unrolled: 1-line block ×8, first 2 shown]
	s_waitcnt_vscnt null, 0x0
	s_barrier
	buffer_gl0_inv
	ds_store_b128 v45, v[24:27]
	ds_store_b128 v45, v[28:31] offset:16
	; wave barrier
	ds_load_b128 v[24:27], v43
	ds_load_b128 v[28:31], v44 offset:512
	s_mov_b32 s39, s53
	s_delay_alu instid0(SALU_CYCLE_1) | instskip(NEXT) | instid1(SALU_CYCLE_1)
	s_lshl_b64 s[18:19], s[38:39], 1
	v_add_co_u32 v32, vcc_lo, v52, s18
	v_add_co_ci_u32_e32 v33, vcc_lo, s19, v53, vcc_lo
	s_waitcnt lgkmcnt(1)
	v_lshrrev_b32_e32 v36, 16, v27
	v_alignbit_b32 v35, v26, v25, 16
	v_alignbit_b32 v26, v27, v26, 16
	;; [unrolled: 1-line block ×3, first 2 shown]
	s_clause 0x3
	global_store_b16 v[32:33], v24, off
	global_store_b16 v[32:33], v36, off offset:14
	global_store_b32 v[32:33], v26, off offset:10
	global_store_b64 v[32:33], v[34:35], off offset:2
	v_add_co_u32 v24, vcc_lo, v54, s18
	v_add_co_ci_u32_e32 v25, vcc_lo, s19, v55, vcc_lo
	s_waitcnt lgkmcnt(0)
	global_store_b128 v[32:33], v[28:31], off offset:512
	s_waitcnt_vscnt null, 0x0
	s_barrier
	buffer_gl0_inv
	s_and_saveexec_b32 s14, s0
	s_cbranch_execz .LBB81_86
; %bb.85:                               ;   in Loop: Header=BB81_12 Depth=1
	global_load_b128 v[0:3], v[24:25], off
.LBB81_86:                              ;   in Loop: Header=BB81_12 Depth=1
	s_or_b32 exec_lo, exec_lo, s14
	s_and_saveexec_b32 s14, s1
	s_cbranch_execz .LBB81_11
; %bb.87:                               ;   in Loop: Header=BB81_12 Depth=1
	global_load_b128 v[4:7], v[24:25], off offset:512
	s_branch .LBB81_11
.LBB81_88:
	s_nop 0
	s_sendmsg sendmsg(MSG_DEALLOC_VGPRS)
	s_endpgm
	.section	.rodata,"a",@progbits
	.p2align	6, 0x0
	.amdhsa_kernel _Z25selective_scan_fwd_kernelI32Selective_Scan_fwd_kernel_traitsILi64ELi16ELi1ELb1ELb1ELb1ELb1ELb0EN3c104HalfEfS2_EEv13SSMParamsBase
		.amdhsa_group_segment_fixed_size 0
		.amdhsa_private_segment_fixed_size 0
		.amdhsa_kernarg_size 248
		.amdhsa_user_sgpr_count 14
		.amdhsa_user_sgpr_dispatch_ptr 0
		.amdhsa_user_sgpr_queue_ptr 0
		.amdhsa_user_sgpr_kernarg_segment_ptr 1
		.amdhsa_user_sgpr_dispatch_id 0
		.amdhsa_user_sgpr_private_segment_size 0
		.amdhsa_wavefront_size32 1
		.amdhsa_uses_dynamic_stack 0
		.amdhsa_enable_private_segment 0
		.amdhsa_system_sgpr_workgroup_id_x 1
		.amdhsa_system_sgpr_workgroup_id_y 1
		.amdhsa_system_sgpr_workgroup_id_z 0
		.amdhsa_system_sgpr_workgroup_info 0
		.amdhsa_system_vgpr_workitem_id 0
		.amdhsa_next_free_vgpr 157
		.amdhsa_next_free_sgpr 80
		.amdhsa_reserve_vcc 1
		.amdhsa_float_round_mode_32 0
		.amdhsa_float_round_mode_16_64 0
		.amdhsa_float_denorm_mode_32 3
		.amdhsa_float_denorm_mode_16_64 3
		.amdhsa_dx10_clamp 1
		.amdhsa_ieee_mode 1
		.amdhsa_fp16_overflow 0
		.amdhsa_workgroup_processor_mode 1
		.amdhsa_memory_ordered 1
		.amdhsa_forward_progress 0
		.amdhsa_shared_vgpr_count 0
		.amdhsa_exception_fp_ieee_invalid_op 0
		.amdhsa_exception_fp_denorm_src 0
		.amdhsa_exception_fp_ieee_div_zero 0
		.amdhsa_exception_fp_ieee_overflow 0
		.amdhsa_exception_fp_ieee_underflow 0
		.amdhsa_exception_fp_ieee_inexact 0
		.amdhsa_exception_int_div_zero 0
	.end_amdhsa_kernel
	.section	.text._Z25selective_scan_fwd_kernelI32Selective_Scan_fwd_kernel_traitsILi64ELi16ELi1ELb1ELb1ELb1ELb1ELb0EN3c104HalfEfS2_EEv13SSMParamsBase,"axG",@progbits,_Z25selective_scan_fwd_kernelI32Selective_Scan_fwd_kernel_traitsILi64ELi16ELi1ELb1ELb1ELb1ELb1ELb0EN3c104HalfEfS2_EEv13SSMParamsBase,comdat
.Lfunc_end81:
	.size	_Z25selective_scan_fwd_kernelI32Selective_Scan_fwd_kernel_traitsILi64ELi16ELi1ELb1ELb1ELb1ELb1ELb0EN3c104HalfEfS2_EEv13SSMParamsBase, .Lfunc_end81-_Z25selective_scan_fwd_kernelI32Selective_Scan_fwd_kernel_traitsILi64ELi16ELi1ELb1ELb1ELb1ELb1ELb0EN3c104HalfEfS2_EEv13SSMParamsBase
                                        ; -- End function
	.section	.AMDGPU.csdata,"",@progbits
; Kernel info:
; codeLenInByte = 21232
; NumSgprs: 82
; NumVgprs: 157
; ScratchSize: 0
; MemoryBound: 1
; FloatMode: 240
; IeeeMode: 1
; LDSByteSize: 0 bytes/workgroup (compile time only)
; SGPRBlocks: 10
; VGPRBlocks: 19
; NumSGPRsForWavesPerEU: 82
; NumVGPRsForWavesPerEU: 157
; Occupancy: 9
; WaveLimiterHint : 1
; COMPUTE_PGM_RSRC2:SCRATCH_EN: 0
; COMPUTE_PGM_RSRC2:USER_SGPR: 14
; COMPUTE_PGM_RSRC2:TRAP_HANDLER: 0
; COMPUTE_PGM_RSRC2:TGID_X_EN: 1
; COMPUTE_PGM_RSRC2:TGID_Y_EN: 1
; COMPUTE_PGM_RSRC2:TGID_Z_EN: 0
; COMPUTE_PGM_RSRC2:TIDIG_COMP_CNT: 0
	.section	.text._Z25selective_scan_fwd_kernelI32Selective_Scan_fwd_kernel_traitsILi64ELi16ELi1ELb1ELb1ELb1ELb0ELb1EN3c104HalfEfS2_EEv13SSMParamsBase,"axG",@progbits,_Z25selective_scan_fwd_kernelI32Selective_Scan_fwd_kernel_traitsILi64ELi16ELi1ELb1ELb1ELb1ELb0ELb1EN3c104HalfEfS2_EEv13SSMParamsBase,comdat
	.protected	_Z25selective_scan_fwd_kernelI32Selective_Scan_fwd_kernel_traitsILi64ELi16ELi1ELb1ELb1ELb1ELb0ELb1EN3c104HalfEfS2_EEv13SSMParamsBase ; -- Begin function _Z25selective_scan_fwd_kernelI32Selective_Scan_fwd_kernel_traitsILi64ELi16ELi1ELb1ELb1ELb1ELb0ELb1EN3c104HalfEfS2_EEv13SSMParamsBase
	.globl	_Z25selective_scan_fwd_kernelI32Selective_Scan_fwd_kernel_traitsILi64ELi16ELi1ELb1ELb1ELb1ELb0ELb1EN3c104HalfEfS2_EEv13SSMParamsBase
	.p2align	8
	.type	_Z25selective_scan_fwd_kernelI32Selective_Scan_fwd_kernel_traitsILi64ELi16ELi1ELb1ELb1ELb1ELb0ELb1EN3c104HalfEfS2_EEv13SSMParamsBase,@function
_Z25selective_scan_fwd_kernelI32Selective_Scan_fwd_kernel_traitsILi64ELi16ELi1ELb1ELb1ELb1ELb0ELb1EN3c104HalfEfS2_EEv13SSMParamsBase: ; @_Z25selective_scan_fwd_kernelI32Selective_Scan_fwd_kernel_traitsILi64ELi16ELi1ELb1ELb1ELb1ELb0ELb1EN3c104HalfEfS2_EEv13SSMParamsBase
; %bb.0:
	s_clause 0x2
	s_load_b32 s34, s[0:1], 0x18
	s_load_b128 s[4:7], s[0:1], 0xe0
	s_load_b64 s[10:11], s[0:1], 0xf0
	s_mov_b32 s12, s15
	s_ashr_i32 s15, s14, 31
	s_mov_b32 s47, 0
	s_lshl_b64 s[8:9], s[14:15], 2
	s_waitcnt lgkmcnt(0)
	s_abs_i32 s33, s34
	s_add_u32 s2, s4, s8
	v_cvt_f32_u32_e32 v1, s33
	s_addc_u32 s3, s5, s9
	s_cmp_eq_u64 s[10:11], 0
	s_delay_alu instid0(VALU_DEP_1) | instskip(SKIP_2) | instid1(VALU_DEP_1)
	v_rcp_iflag_f32_e32 v1, v1
	s_waitcnt_depctr 0xfff
	v_mul_f32_e32 v1, 0x4f7ffffe, v1
	v_cvt_u32_f32_e32 v1, v1
	s_delay_alu instid0(VALU_DEP_1)
	v_readfirstlane_b32 s35, v1
	s_cbranch_scc1 .LBB82_2
; %bb.1:
	v_mov_b32_e32 v1, 0
	s_add_u32 s4, s10, s14
	s_addc_u32 s5, s11, s15
	global_load_u8 v1, v1, s[4:5]
	s_waitcnt vmcnt(0)
	v_and_b32_e32 v1, 1, v1
	s_delay_alu instid0(VALU_DEP_1)
	v_cmp_eq_u32_e64 s47, 1, v1
.LBB82_2:
	s_load_b64 s[4:5], s[0:1], 0x20
	s_cmp_eq_u64 s[6:7], 0
	s_cbranch_scc1 .LBB82_4
; %bb.3:
	s_add_u32 s6, s6, s8
	s_addc_u32 s7, s7, s9
	s_load_b32 s14, s[6:7], 0x0
	s_waitcnt lgkmcnt(0)
	s_ashr_i32 s15, s14, 31
.LBB82_4:
	s_waitcnt lgkmcnt(0)
	s_cmp_eq_u64 s[4:5], s[14:15]
	s_cbranch_scc1 .LBB82_236
; %bb.5:
	s_load_b512 s[16:31], s[0:1], 0x88
	s_load_b64 s[10:11], s[2:3], 0x0
	s_mov_b32 s66, 0
	s_mov_b32 s67, 0
	s_waitcnt lgkmcnt(0)
	s_cmp_eq_u64 s[22:23], 0
	s_cbranch_scc1 .LBB82_7
; %bb.6:
	s_ashr_i32 s13, s12, 31
	s_delay_alu instid0(SALU_CYCLE_1) | instskip(NEXT) | instid1(SALU_CYCLE_1)
	s_lshl_b64 s[2:3], s[12:13], 2
	s_add_u32 s2, s22, s2
	s_addc_u32 s3, s23, s3
	s_load_b32 s67, s[2:3], 0x0
.LBB82_7:
	s_cmp_eq_u64 s[28:29], 0
	s_cbranch_scc1 .LBB82_9
; %bb.8:
	s_ashr_i32 s13, s12, 31
	s_delay_alu instid0(SALU_CYCLE_1) | instskip(NEXT) | instid1(SALU_CYCLE_1)
	s_lshl_b64 s[2:3], s[12:13], 2
	s_add_u32 s2, s28, s2
	s_addc_u32 s3, s29, s3
	s_load_b32 s66, s[2:3], 0x0
.LBB82_9:
	s_sub_i32 s68, s11, s10
	s_delay_alu instid0(SALU_CYCLE_1)
	s_cmp_lt_i32 s68, 1
	s_cbranch_scc1 .LBB82_236
; %bb.10:
	s_sub_i32 s2, 0, s33
	s_abs_i32 s5, s12
	s_mul_i32 s4, s2, s35
	s_clause 0x1
	s_load_b64 s[2:3], s[0:1], 0x5c
	s_load_b128 s[56:59], s[0:1], 0x4c
	s_mul_hi_u32 s4, s35, s4
	s_ashr_i32 s7, s34, 31
	s_add_i32 s35, s35, s4
	s_ashr_i32 s4, s12, 31
	s_mul_hi_u32 s6, s5, s35
	s_xor_b32 s7, s4, s7
	s_mul_i32 s8, s6, s33
	s_load_b256 s[48:55], s[0:1], 0x2c
	s_sub_i32 s4, s5, s8
	s_add_i32 s5, s6, 1
	s_sub_i32 s8, s4, s33
	s_cmp_ge_u32 s4, s33
	s_mov_b32 s65, 0
	s_cselect_b32 s5, s5, s6
	s_cselect_b32 s4, s8, s4
	s_add_i32 s6, s5, 1
	s_cmp_ge_u32 s4, s33
	s_load_b128 s[60:63], s[0:1], 0x7c
	s_cselect_b32 s4, s6, s5
	s_waitcnt lgkmcnt(0)
	s_mul_i32 s64, s10, s58
	s_xor_b32 s6, s4, s7
	s_lshl_b64 s[4:5], s[64:65], 1
	s_sub_i32 s6, s6, s7
	s_mul_i32 s64, s59, s12
	s_add_u32 s7, s24, s4
	s_addc_u32 s8, s25, s5
	s_lshl_b64 s[4:5], s[64:65], 1
	s_mul_i32 s64, s10, s2
	s_add_u32 s69, s7, s4
	s_addc_u32 s70, s8, s5
	s_lshl_b64 s[4:5], s[64:65], 1
	s_mul_i32 s64, s3, s12
	s_add_u32 s4, s26, s4
	s_addc_u32 s5, s27, s5
	s_lshl_b64 s[2:3], s[64:65], 1
	v_dual_mov_b32 v21, 0 :: v_dual_lshlrev_b32 v18, 4, v0
	s_add_u32 s71, s4, s2
	s_mul_i32 s64, s48, s12
	s_addc_u32 s48, s5, s3
	s_load_b64 s[4:5], s[0:1], 0xc8
	s_lshl_b64 s[2:3], s[64:65], 2
	v_mbcnt_lo_u32_b32 v19, -1, 0
	v_and_b32_e32 v1, 0x200, v18
	s_mul_i32 s64, s10, s50
	s_add_u32 s72, s16, s2
	s_addc_u32 s63, s17, s3
	s_lshl_b64 s[2:3], s[64:65], 1
	s_mul_i32 s64, s6, s53
	s_clause 0x2
	s_load_b64 s[16:17], s[0:1], 0x6c
	s_load_b32 s77, s[0:1], 0xc
	s_load_b32 s0, s[0:1], 0x28
	s_add_u32 s7, s18, s2
	v_or_b32_e32 v20, v19, v1
	s_addc_u32 s8, s19, s3
	s_lshl_b64 s[2:3], s[64:65], 1
	s_mul_i32 s64, s10, s54
	s_add_u32 s53, s7, s2
	s_addc_u32 s73, s8, s3
	s_lshl_b64 s[2:3], s[64:65], 1
	s_mul_i32 s64, s6, s57
	v_or_b32_e32 v24, 0x60, v20
	v_and_b32_e32 v14, 32, v0
	s_add_u32 s7, s20, s2
	s_addc_u32 s6, s21, s3
	s_lshl_b64 s[2:3], s[64:65], 1
	s_mul_i32 s64, s14, s60
	s_add_u32 s57, s7, s2
	s_addc_u32 s74, s6, s3
	s_lshl_b64 s[2:3], s[64:65], 1
	v_or_b32_e32 v26, 0xa0, v20
	v_or_b32_e32 v28, 0xe0, v20
	;; [unrolled: 1-line block ×5, first 2 shown]
	v_lshrrev_b32_e32 v2, 5, v24
	v_or_b32_e32 v36, 0x1e0, v20
	v_or_b32_e32 v16, v19, v14
	s_mul_i32 s64, s61, s12
	s_waitcnt lgkmcnt(0)
	s_add_u32 s4, s4, s2
	s_addc_u32 s5, s5, s3
	s_lshl_b64 s[2:3], s[64:65], 1
	v_or_b32_e32 v23, 64, v20
	s_add_u32 s75, s4, s2
	v_or_b32_e32 v25, 0x80, v20
	v_or_b32_e32 v27, 0xc0, v20
	;; [unrolled: 1-line block ×6, first 2 shown]
	v_and_b32_e32 v2, 18, v2
	v_lshrrev_b32_e32 v5, 5, v26
	v_lshrrev_b32_e32 v8, 5, v28
	;; [unrolled: 1-line block ×6, first 2 shown]
	v_lshrrev_b16 v50, 1, v16
	s_addc_u32 s76, s5, s3
	s_add_i32 s2, s68, 0x7ff
	v_lshrrev_b32_e32 v3, 5, v1
	s_lshr_b32 s78, s2, 11
	s_bitcmp1_b32 s0, 0
	v_lshrrev_b32_e32 v4, 5, v23
	v_lshrrev_b32_e32 v6, 5, v25
	v_add_lshl_u32 v2, v2, v20, 1
	v_and_b32_e32 v5, 20, v5
	v_lshrrev_b32_e32 v7, 5, v27
	v_and_b32_e32 v8, 22, v8
	v_lshrrev_b32_e32 v10, 5, v29
	;; [unrolled: 2-line block ×5, first 2 shown]
	v_and_b32_e32 v51, 30, v49
	v_lshlrev_b32_e32 v16, 4, v16
	v_and_b32_e32 v52, 30, v50
	s_cselect_b32 s79, -1, 0
	s_cmp_gt_i32 s77, 0
	v_add_lshl_u32 v3, v3, v20, 1
	s_cselect_b32 s80, -1, 0
	s_add_i32 s0, 0, 0x840
	v_add_lshl_u32 v4, v4, v20, 1
	v_add_lshl_u32 v6, v6, v20, 1
	v_add_nc_u32_e32 v39, 0, v2
	v_add_lshl_u32 v5, v5, v20, 1
	v_add_lshl_u32 v7, v7, v20, 1
	;; [unrolled: 1-line block ×12, first 2 shown]
	v_add_nc_u32_e32 v55, s0, v2
	v_and_b32_e32 v2, 15, v19
	s_and_b32 s1, s68, 0x3ff
	v_add_nc_u32_e32 v51, 0, v67
	v_add_nc_u32_e32 v53, s0, v3
	;; [unrolled: 1-line block ×15, first 2 shown]
	s_cmp_eq_u32 s1, 0
	v_add_nc_u32_e32 v68, s0, v16
	v_cmp_ne_u32_e64 s0, 0, v2
	v_cmp_lt_u32_e64 s1, 1, v2
	v_cmp_lt_u32_e64 s2, 3, v2
	;; [unrolled: 1-line block ×3, first 2 shown]
	v_add_nc_u32_e32 v2, -1, v19
	v_add_nc_u32_e32 v37, 0, v3
	v_lshrrev_b32_e32 v3, 2, v0
	v_add_nc_u32_e32 v41, 0, v5
	v_or_b32_e32 v5, 31, v14
	v_cmp_gt_i32_e32 vcc_lo, 0, v2
	s_mul_i32 s64, s10, s16
	v_and_b32_e32 v3, 8, v3
	s_cselect_b32 s81, -1, 0
	s_lshl_b64 s[14:15], s[64:65], 1
	v_cndmask_b32_e32 v2, v2, v19, vcc_lo
	s_add_i32 s82, s78, -1
	s_mul_i32 s64, s17, s12
	v_cmp_eq_u32_e64 s5, v5, v0
	v_cmp_gt_u32_e64 s6, 2, v0
	v_lshl_add_u32 v70, v0, 3, 0
	v_cmp_gt_u32_e64 s8, 32, v0
	v_cmp_lt_u32_e64 s9, 31, v0
	v_cmp_eq_u32_e64 s10, 0, v0
	s_add_u32 s11, s30, s14
	v_lshlrev_b32_e32 v0, 1, v19
	s_addc_u32 s14, s31, s15
	s_lshl_b64 s[12:13], s[64:65], 1
	v_add_nc_u32_e32 v69, 0, v3
	v_and_b32_e32 v3, 1, v19
	s_add_u32 s11, s11, s12
	v_lshlrev_b32_e32 v71, 2, v2
	s_addc_u32 s12, s14, s13
	v_lshlrev_b32_e32 v2, 1, v1
	v_add_co_u32 v0, s11, s11, v0
	v_add_nc_u32_e32 v38, 0, v4
	v_and_b32_e32 v4, 16, v19
	v_cmp_eq_u32_e64 s7, 0, v3
	v_add_co_ci_u32_e64 v3, null, s12, 0, s11
	v_add_co_u32 v72, vcc_lo, v0, v2
	v_or_b32_e32 v22, 32, v20
	v_add_nc_u32_e32 v40, 0, v6
	v_add_nc_u32_e32 v42, 0, v7
	;; [unrolled: 1-line block ×11, first 2 shown]
	v_cmp_ne_u32_e64 s4, 0, v4
	v_cmp_eq_u32_e64 s11, 0, v19
	v_add_co_ci_u32_e32 v73, vcc_lo, 0, v3, vcc_lo
	v_or_b32_e32 v74, 1, v18
	v_or_b32_e32 v75, 2, v18
	v_or_b32_e32 v76, 3, v18
	v_or_b32_e32 v77, 4, v18
	v_or_b32_e32 v78, 5, v18
	v_or_b32_e32 v79, 6, v18
	v_or_b32_e32 v80, 7, v18
	v_or_b32_e32 v81, 8, v18
	v_or_b32_e32 v82, 9, v18
	v_or_b32_e32 v83, 10, v18
	v_or_b32_e32 v84, 11, v18
	v_or_b32_e32 v85, 12, v18
	v_or_b32_e32 v86, 13, v18
	v_or_b32_e32 v87, 14, v18
	v_or_b32_e32 v88, 15, v18
	v_lshlrev_b32_e32 v89, 1, v1
	s_mov_b32 s83, 0x3e9b6dac
	s_add_i32 s84, 0, 0x1090
	s_mov_b32 s85, 0
	s_branch .LBB82_12
.LBB82_11:                              ;   in Loop: Header=BB82_12 Depth=1
	s_or_b32 exec_lo, exec_lo, s12
	s_add_u32 s71, s71, 0x800
	s_addc_u32 s48, s48, 0
	s_add_u32 s69, s69, 0x800
	s_addc_u32 s70, s70, 0
	;; [unrolled: 2-line block ×4, first 2 shown]
	s_add_i32 s85, s85, 1
	s_delay_alu instid0(SALU_CYCLE_1)
	s_cmp_eq_u32 s85, s78
	s_cbranch_scc1 .LBB82_236
.LBB82_12:                              ; =>This Loop Header: Depth=1
                                        ;     Child Loop BB82_109 Depth 2
	s_waitcnt lgkmcnt(14)
	v_lshlrev_b32_e32 v16, 1, v19
	s_lshl_b32 s50, s85, 10
	s_waitcnt lgkmcnt(0)
	v_mov_b32_e32 v2, 0
	s_sub_i32 s40, s68, s50
	v_add_co_u32 v0, s12, s69, v16
	s_delay_alu instid0(VALU_DEP_1) | instskip(SKIP_1) | instid1(VALU_DEP_3)
	v_add_co_ci_u32_e64 v1, null, s70, 0, s12
	v_cmp_gt_u32_e64 s12, s40, v20
	v_add_co_u32 v0, vcc_lo, v0, v89
	s_delay_alu instid0(VALU_DEP_3)
	v_add_co_ci_u32_e32 v1, vcc_lo, 0, v1, vcc_lo
	s_waitcnt_vscnt null, 0x0
	s_barrier
	buffer_gl0_inv
	s_and_saveexec_b32 s13, s12
	s_cbranch_execz .LBB82_14
; %bb.13:                               ;   in Loop: Header=BB82_12 Depth=1
	global_load_u16 v2, v[0:1], off
.LBB82_14:                              ;   in Loop: Header=BB82_12 Depth=1
	s_or_b32 exec_lo, exec_lo, s13
	v_cmp_gt_u32_e64 s13, s40, v22
	v_dual_mov_b32 v3, 0 :: v_dual_mov_b32 v4, 0
	s_delay_alu instid0(VALU_DEP_2)
	s_and_saveexec_b32 s14, s13
	s_cbranch_execz .LBB82_16
; %bb.15:                               ;   in Loop: Header=BB82_12 Depth=1
	global_load_u16 v4, v[0:1], off offset:64
.LBB82_16:                              ;   in Loop: Header=BB82_12 Depth=1
	s_or_b32 exec_lo, exec_lo, s14
	v_cmp_gt_u32_e64 s14, s40, v23
	s_delay_alu instid0(VALU_DEP_1)
	s_and_saveexec_b32 s15, s14
	s_cbranch_execz .LBB82_18
; %bb.17:                               ;   in Loop: Header=BB82_12 Depth=1
	global_load_u16 v3, v[0:1], off offset:128
.LBB82_18:                              ;   in Loop: Header=BB82_12 Depth=1
	s_or_b32 exec_lo, exec_lo, s15
	v_cmp_gt_u32_e64 s15, s40, v24
	v_dual_mov_b32 v5, 0 :: v_dual_mov_b32 v6, 0
	s_delay_alu instid0(VALU_DEP_2)
	s_and_saveexec_b32 s16, s15
	s_cbranch_execz .LBB82_20
; %bb.19:                               ;   in Loop: Header=BB82_12 Depth=1
	global_load_u16 v6, v[0:1], off offset:192
.LBB82_20:                              ;   in Loop: Header=BB82_12 Depth=1
	s_or_b32 exec_lo, exec_lo, s16
	v_cmp_gt_u32_e64 s16, s40, v25
	s_delay_alu instid0(VALU_DEP_1)
	s_and_saveexec_b32 s17, s16
	s_cbranch_execz .LBB82_22
; %bb.21:                               ;   in Loop: Header=BB82_12 Depth=1
	global_load_u16 v5, v[0:1], off offset:256
.LBB82_22:                              ;   in Loop: Header=BB82_12 Depth=1
	;; [unrolled: 17-line block ×3, first 2 shown]
	s_or_b32 exec_lo, exec_lo, s19
	v_cmp_gt_u32_e64 s19, s40, v28
	v_mov_b32_e32 v9, 0
	v_mov_b32_e32 v11, 0
	s_delay_alu instid0(VALU_DEP_3)
	s_and_saveexec_b32 s20, s19
	s_cbranch_execz .LBB82_28
; %bb.27:                               ;   in Loop: Header=BB82_12 Depth=1
	global_load_u16 v11, v[0:1], off offset:448
.LBB82_28:                              ;   in Loop: Header=BB82_12 Depth=1
	s_or_b32 exec_lo, exec_lo, s20
	v_cmp_gt_u32_e64 s20, s40, v29
	s_delay_alu instid0(VALU_DEP_1)
	s_and_saveexec_b32 s21, s20
	s_cbranch_execz .LBB82_30
; %bb.29:                               ;   in Loop: Header=BB82_12 Depth=1
	global_load_u16 v9, v[0:1], off offset:512
.LBB82_30:                              ;   in Loop: Header=BB82_12 Depth=1
	s_or_b32 exec_lo, exec_lo, s21
	v_cmp_gt_u32_e64 s21, s40, v30
	v_dual_mov_b32 v12, 0 :: v_dual_mov_b32 v13, 0
	s_delay_alu instid0(VALU_DEP_2)
	s_and_saveexec_b32 s22, s21
	s_cbranch_execz .LBB82_32
; %bb.31:                               ;   in Loop: Header=BB82_12 Depth=1
	global_load_u16 v13, v[0:1], off offset:576
.LBB82_32:                              ;   in Loop: Header=BB82_12 Depth=1
	s_or_b32 exec_lo, exec_lo, s22
	v_cmp_gt_u32_e64 s22, s40, v31
	s_delay_alu instid0(VALU_DEP_1)
	s_and_saveexec_b32 s23, s22
	s_cbranch_execz .LBB82_34
; %bb.33:                               ;   in Loop: Header=BB82_12 Depth=1
	global_load_u16 v12, v[0:1], off offset:640
.LBB82_34:                              ;   in Loop: Header=BB82_12 Depth=1
	s_or_b32 exec_lo, exec_lo, s23
	v_cmp_gt_u32_e64 s23, s40, v32
	v_dual_mov_b32 v14, 0 :: v_dual_mov_b32 v15, 0
	s_delay_alu instid0(VALU_DEP_2)
	;; [unrolled: 17-line block ×4, first 2 shown]
	s_and_saveexec_b32 s28, s27
	s_cbranch_execz .LBB82_44
; %bb.43:                               ;   in Loop: Header=BB82_12 Depth=1
	global_load_u16 v91, v[0:1], off offset:960
.LBB82_44:                              ;   in Loop: Header=BB82_12 Depth=1
	s_or_b32 exec_lo, exec_lo, s28
	s_waitcnt vmcnt(0)
	ds_store_b16 v37, v2
	ds_store_b16 v37, v4 offset:64
	ds_store_b16 v38, v3 offset:128
	;; [unrolled: 1-line block ×15, first 2 shown]
	; wave barrier
	ds_load_b128 v[0:3], v52
	ds_load_b128 v[4:7], v52 offset:16
	v_add_co_u32 v8, s28, s71, v16
	s_delay_alu instid0(VALU_DEP_1) | instskip(SKIP_1) | instid1(VALU_DEP_2)
	v_add_co_ci_u32_e64 v9, null, s48, 0, s28
	s_waitcnt lgkmcnt(0)
	v_add_co_u32 v8, vcc_lo, v8, v89
	s_delay_alu instid0(VALU_DEP_2)
	v_add_co_ci_u32_e32 v9, vcc_lo, 0, v9, vcc_lo
	s_barrier
	buffer_gl0_inv
	s_and_saveexec_b32 s28, s12
	s_cbranch_execz .LBB82_46
; %bb.45:                               ;   in Loop: Header=BB82_12 Depth=1
	global_load_u16 v10, v[8:9], off
.LBB82_46:                              ;   in Loop: Header=BB82_12 Depth=1
	s_or_b32 exec_lo, exec_lo, s28
	v_dual_mov_b32 v11, 0 :: v_dual_mov_b32 v12, 0
	s_and_saveexec_b32 s28, s13
	s_cbranch_execz .LBB82_48
; %bb.47:                               ;   in Loop: Header=BB82_12 Depth=1
	global_load_u16 v12, v[8:9], off offset:64
.LBB82_48:                              ;   in Loop: Header=BB82_12 Depth=1
	s_or_b32 exec_lo, exec_lo, s28
	s_and_saveexec_b32 s28, s14
	s_cbranch_execz .LBB82_50
; %bb.49:                               ;   in Loop: Header=BB82_12 Depth=1
	global_load_u16 v11, v[8:9], off offset:128
.LBB82_50:                              ;   in Loop: Header=BB82_12 Depth=1
	s_or_b32 exec_lo, exec_lo, s28
	v_dual_mov_b32 v13, 0 :: v_dual_mov_b32 v14, 0
	s_and_saveexec_b32 s28, s15
	s_cbranch_execz .LBB82_52
; %bb.51:                               ;   in Loop: Header=BB82_12 Depth=1
	global_load_u16 v14, v[8:9], off offset:192
.LBB82_52:                              ;   in Loop: Header=BB82_12 Depth=1
	s_or_b32 exec_lo, exec_lo, s28
	s_and_saveexec_b32 s28, s16
	s_cbranch_execz .LBB82_54
; %bb.53:                               ;   in Loop: Header=BB82_12 Depth=1
	global_load_u16 v13, v[8:9], off offset:256
.LBB82_54:                              ;   in Loop: Header=BB82_12 Depth=1
	s_or_b32 exec_lo, exec_lo, s28
	v_mov_b32_e32 v15, 0
	v_mov_b32_e32 v17, 0
	s_and_saveexec_b32 s28, s17
	s_cbranch_execz .LBB82_56
; %bb.55:                               ;   in Loop: Header=BB82_12 Depth=1
	global_load_u16 v17, v[8:9], off offset:320
.LBB82_56:                              ;   in Loop: Header=BB82_12 Depth=1
	s_or_b32 exec_lo, exec_lo, s28
	s_and_saveexec_b32 s28, s18
	s_cbranch_execz .LBB82_58
; %bb.57:                               ;   in Loop: Header=BB82_12 Depth=1
	global_load_u16 v15, v[8:9], off offset:384
.LBB82_58:                              ;   in Loop: Header=BB82_12 Depth=1
	s_or_b32 exec_lo, exec_lo, s28
	v_dual_mov_b32 v90, 0 :: v_dual_mov_b32 v91, 0
	s_and_saveexec_b32 s28, s19
	s_cbranch_execz .LBB82_60
; %bb.59:                               ;   in Loop: Header=BB82_12 Depth=1
	global_load_u16 v91, v[8:9], off offset:448
.LBB82_60:                              ;   in Loop: Header=BB82_12 Depth=1
	s_or_b32 exec_lo, exec_lo, s28
	s_and_saveexec_b32 s28, s20
	s_cbranch_execz .LBB82_62
; %bb.61:                               ;   in Loop: Header=BB82_12 Depth=1
	global_load_u16 v90, v[8:9], off offset:512
.LBB82_62:                              ;   in Loop: Header=BB82_12 Depth=1
	s_or_b32 exec_lo, exec_lo, s28
	v_dual_mov_b32 v92, 0 :: v_dual_mov_b32 v93, 0
	;; [unrolled: 13-line block ×4, first 2 shown]
	s_and_saveexec_b32 s28, s25
	s_cbranch_execnz .LBB82_218
; %bb.71:                               ;   in Loop: Header=BB82_12 Depth=1
	s_or_b32 exec_lo, exec_lo, s28
	s_and_saveexec_b32 s28, s26
	s_cbranch_execnz .LBB82_219
.LBB82_72:                              ;   in Loop: Header=BB82_12 Depth=1
	s_or_b32 exec_lo, exec_lo, s28
	v_mov_b32_e32 v98, 0
	s_and_saveexec_b32 s28, s27
	s_cbranch_execz .LBB82_74
.LBB82_73:                              ;   in Loop: Header=BB82_12 Depth=1
	global_load_u16 v98, v[8:9], off offset:960
.LBB82_74:                              ;   in Loop: Header=BB82_12 Depth=1
	s_or_b32 exec_lo, exec_lo, s28
	s_waitcnt vmcnt(0)
	ds_store_b16 v37, v10
	ds_store_b16 v37, v12 offset:64
	ds_store_b16 v38, v11 offset:128
	;; [unrolled: 1-line block ×15, first 2 shown]
	; wave barrier
	ds_load_b128 v[12:15], v52
	ds_load_b128 v[8:11], v52 offset:16
	s_waitcnt lgkmcnt(1)
	v_cvt_f32_f16_e32 v17, v12
	s_delay_alu instid0(VALU_DEP_1) | instskip(NEXT) | instid1(VALU_DEP_1)
	v_add_f32_e32 v90, s66, v17
	v_cmp_ge_f32_e32 vcc_lo, 0x41a00000, v90
	s_and_b32 s28, s79, vcc_lo
	s_delay_alu instid0(SALU_CYCLE_1)
	s_and_saveexec_b32 s29, s28
	s_cbranch_execz .LBB82_76
; %bb.75:                               ;   in Loop: Header=BB82_12 Depth=1
	v_mul_f32_e32 v17, 0x3fb8aa3b, v90
	v_cmp_ngt_f32_e32 vcc_lo, 0xc2ce8ed0, v90
	s_delay_alu instid0(VALU_DEP_2) | instskip(SKIP_1) | instid1(VALU_DEP_1)
	v_rndne_f32_e32 v91, v17
	v_fma_f32 v92, 0x3fb8aa3b, v90, -v17
	v_dual_sub_f32 v17, v17, v91 :: v_dual_fmac_f32 v92, 0x32a5705f, v90
	v_cvt_i32_f32_e32 v91, v91
	s_delay_alu instid0(VALU_DEP_2) | instskip(NEXT) | instid1(VALU_DEP_1)
	v_add_f32_e32 v17, v17, v92
	v_exp_f32_e32 v17, v17
	s_waitcnt_depctr 0xfff
	v_ldexp_f32 v17, v17, v91
	s_delay_alu instid0(VALU_DEP_1) | instskip(SKIP_1) | instid1(VALU_DEP_2)
	v_cndmask_b32_e32 v17, 0, v17, vcc_lo
	v_cmp_nlt_f32_e32 vcc_lo, 0x42b17218, v90
	v_cndmask_b32_e32 v17, 0x7f800000, v17, vcc_lo
	s_delay_alu instid0(VALU_DEP_1) | instskip(NEXT) | instid1(VALU_DEP_1)
	v_add_f32_e32 v92, 1.0, v17
	v_cvt_f64_f32_e32 v[90:91], v92
	s_delay_alu instid0(VALU_DEP_1) | instskip(SKIP_1) | instid1(VALU_DEP_1)
	v_frexp_exp_i32_f64_e32 v90, v[90:91]
	v_frexp_mant_f32_e32 v91, v92
	v_cmp_gt_f32_e32 vcc_lo, 0x3f2aaaab, v91
	v_add_f32_e32 v91, -1.0, v92
	s_delay_alu instid0(VALU_DEP_1) | instskip(NEXT) | instid1(VALU_DEP_1)
	v_dual_sub_f32 v94, v91, v92 :: v_dual_sub_f32 v91, v17, v91
	v_add_f32_e32 v94, 1.0, v94
	v_subrev_co_ci_u32_e32 v90, vcc_lo, 0, v90, vcc_lo
	s_delay_alu instid0(VALU_DEP_1) | instskip(SKIP_1) | instid1(VALU_DEP_2)
	v_sub_nc_u32_e32 v93, 0, v90
	v_cvt_f32_i32_e32 v90, v90
	v_ldexp_f32 v92, v92, v93
	v_add_f32_e32 v91, v91, v94
	s_delay_alu instid0(VALU_DEP_1) | instskip(NEXT) | instid1(VALU_DEP_3)
	v_ldexp_f32 v91, v91, v93
	v_add_f32_e32 v95, 1.0, v92
	s_delay_alu instid0(VALU_DEP_1) | instskip(NEXT) | instid1(VALU_DEP_1)
	v_add_f32_e32 v94, -1.0, v95
	v_sub_f32_e32 v94, v92, v94
	v_cmp_eq_f32_e32 vcc_lo, 0x7f800000, v17
	v_cmp_gt_f32_e64 s28, 0x33800000, v17
	s_delay_alu instid0(VALU_DEP_3) | instskip(NEXT) | instid1(VALU_DEP_2)
	v_dual_add_f32 v94, v91, v94 :: v_dual_add_f32 v93, -1.0, v92
	s_or_b32 vcc_lo, s28, vcc_lo
	s_delay_alu instid0(VALU_DEP_1) | instskip(NEXT) | instid1(VALU_DEP_1)
	v_add_f32_e32 v96, 1.0, v93
	v_sub_f32_e32 v92, v92, v96
	s_delay_alu instid0(VALU_DEP_3) | instskip(NEXT) | instid1(VALU_DEP_1)
	v_add_f32_e32 v96, v95, v94
	v_sub_f32_e32 v95, v95, v96
	s_delay_alu instid0(VALU_DEP_3) | instskip(SKIP_1) | instid1(VALU_DEP_2)
	v_add_f32_e32 v91, v91, v92
	v_rcp_f32_e32 v92, v96
	v_add_f32_e32 v94, v94, v95
	s_delay_alu instid0(VALU_DEP_2) | instskip(NEXT) | instid1(VALU_DEP_1)
	v_add_f32_e32 v97, v93, v91
	v_sub_f32_e32 v93, v93, v97
	s_waitcnt_depctr 0xfff
	v_dual_mul_f32 v98, v97, v92 :: v_dual_add_f32 v91, v91, v93
	s_delay_alu instid0(VALU_DEP_1) | instskip(NEXT) | instid1(VALU_DEP_1)
	v_mul_f32_e32 v99, v96, v98
	v_fma_f32 v95, v98, v96, -v99
	s_delay_alu instid0(VALU_DEP_1) | instskip(NEXT) | instid1(VALU_DEP_1)
	v_fmac_f32_e32 v95, v98, v94
	v_add_f32_e32 v100, v99, v95
	s_delay_alu instid0(VALU_DEP_1) | instskip(NEXT) | instid1(VALU_DEP_1)
	v_sub_f32_e32 v101, v97, v100
	v_sub_f32_e32 v97, v97, v101
	;; [unrolled: 1-line block ×3, first 2 shown]
	s_delay_alu instid0(VALU_DEP_2) | instskip(NEXT) | instid1(VALU_DEP_2)
	v_sub_f32_e32 v97, v97, v100
	v_sub_f32_e32 v93, v93, v95
	s_delay_alu instid0(VALU_DEP_2) | instskip(NEXT) | instid1(VALU_DEP_1)
	v_add_f32_e32 v91, v91, v97
	v_add_f32_e32 v91, v93, v91
	s_delay_alu instid0(VALU_DEP_1) | instskip(NEXT) | instid1(VALU_DEP_1)
	v_add_f32_e32 v93, v101, v91
	v_mul_f32_e32 v95, v92, v93
	s_delay_alu instid0(VALU_DEP_1) | instskip(NEXT) | instid1(VALU_DEP_1)
	v_dual_sub_f32 v100, v101, v93 :: v_dual_mul_f32 v97, v96, v95
	v_add_f32_e32 v91, v91, v100
	s_delay_alu instid0(VALU_DEP_2) | instskip(NEXT) | instid1(VALU_DEP_1)
	v_fma_f32 v96, v95, v96, -v97
	v_fmac_f32_e32 v96, v95, v94
	s_delay_alu instid0(VALU_DEP_1) | instskip(NEXT) | instid1(VALU_DEP_1)
	v_add_f32_e32 v94, v97, v96
	v_sub_f32_e32 v99, v93, v94
	v_sub_f32_e32 v97, v94, v97
	s_delay_alu instid0(VALU_DEP_2) | instskip(NEXT) | instid1(VALU_DEP_1)
	v_sub_f32_e32 v93, v93, v99
	v_sub_f32_e32 v93, v93, v94
	s_delay_alu instid0(VALU_DEP_1) | instskip(SKIP_1) | instid1(VALU_DEP_1)
	v_dual_sub_f32 v94, v97, v96 :: v_dual_add_f32 v91, v91, v93
	v_add_f32_e32 v93, v98, v95
	v_dual_add_f32 v91, v94, v91 :: v_dual_sub_f32 v94, v93, v98
	s_delay_alu instid0(VALU_DEP_1) | instskip(NEXT) | instid1(VALU_DEP_1)
	v_add_f32_e32 v91, v99, v91
	v_dual_sub_f32 v94, v95, v94 :: v_dual_mul_f32 v91, v92, v91
	s_delay_alu instid0(VALU_DEP_1) | instskip(NEXT) | instid1(VALU_DEP_1)
	v_add_f32_e32 v91, v94, v91
	v_add_f32_e32 v92, v93, v91
	s_delay_alu instid0(VALU_DEP_1) | instskip(NEXT) | instid1(VALU_DEP_1)
	v_mul_f32_e32 v94, v92, v92
	v_fmaak_f32 v95, s83, v94, 0x3ecc95a3
	v_mul_f32_e32 v96, v92, v94
	s_delay_alu instid0(VALU_DEP_2) | instskip(SKIP_2) | instid1(VALU_DEP_3)
	v_fmaak_f32 v94, v94, v95, 0x3f2aaada
	v_ldexp_f32 v95, v92, 1
	v_sub_f32_e32 v92, v92, v93
	v_mul_f32_e32 v94, v96, v94
	s_delay_alu instid0(VALU_DEP_2) | instskip(NEXT) | instid1(VALU_DEP_2)
	v_dual_mul_f32 v96, 0x3f317218, v90 :: v_dual_sub_f32 v91, v91, v92
	v_add_f32_e32 v93, v95, v94
	s_delay_alu instid0(VALU_DEP_2) | instskip(NEXT) | instid1(VALU_DEP_2)
	v_ldexp_f32 v91, v91, 1
	v_sub_f32_e32 v92, v93, v95
	s_delay_alu instid0(VALU_DEP_4) | instskip(NEXT) | instid1(VALU_DEP_1)
	v_fma_f32 v95, 0x3f317218, v90, -v96
	v_dual_sub_f32 v92, v94, v92 :: v_dual_fmac_f32 v95, 0xb102e308, v90
	s_delay_alu instid0(VALU_DEP_1) | instskip(NEXT) | instid1(VALU_DEP_1)
	v_dual_add_f32 v90, v91, v92 :: v_dual_add_f32 v91, v96, v95
	v_add_f32_e32 v92, v93, v90
	s_delay_alu instid0(VALU_DEP_2) | instskip(NEXT) | instid1(VALU_DEP_2)
	v_sub_f32_e32 v96, v91, v96
	v_dual_add_f32 v94, v91, v92 :: v_dual_sub_f32 v93, v92, v93
	s_delay_alu instid0(VALU_DEP_2) | instskip(NEXT) | instid1(VALU_DEP_2)
	v_sub_f32_e32 v95, v95, v96
	v_sub_f32_e32 v97, v94, v91
	s_delay_alu instid0(VALU_DEP_3) | instskip(NEXT) | instid1(VALU_DEP_2)
	v_sub_f32_e32 v90, v90, v93
	v_sub_f32_e32 v98, v94, v97
	s_delay_alu instid0(VALU_DEP_2) | instskip(NEXT) | instid1(VALU_DEP_2)
	v_dual_sub_f32 v92, v92, v97 :: v_dual_add_f32 v93, v95, v90
	v_sub_f32_e32 v91, v91, v98
	s_delay_alu instid0(VALU_DEP_1) | instskip(NEXT) | instid1(VALU_DEP_3)
	v_add_f32_e32 v91, v92, v91
	v_sub_f32_e32 v92, v93, v95
	s_delay_alu instid0(VALU_DEP_2) | instskip(NEXT) | instid1(VALU_DEP_2)
	v_add_f32_e32 v91, v93, v91
	v_sub_f32_e32 v93, v93, v92
	v_sub_f32_e32 v90, v90, v92
	s_delay_alu instid0(VALU_DEP_2) | instskip(NEXT) | instid1(VALU_DEP_1)
	v_dual_add_f32 v96, v94, v91 :: v_dual_sub_f32 v93, v95, v93
	v_sub_f32_e32 v92, v96, v94
	s_delay_alu instid0(VALU_DEP_1) | instskip(NEXT) | instid1(VALU_DEP_1)
	v_dual_add_f32 v90, v90, v93 :: v_dual_sub_f32 v91, v91, v92
	v_add_f32_e32 v90, v90, v91
	s_delay_alu instid0(VALU_DEP_1) | instskip(NEXT) | instid1(VALU_DEP_1)
	v_add_f32_e32 v90, v96, v90
	v_cndmask_b32_e32 v90, v90, v17, vcc_lo
.LBB82_76:                              ;   in Loop: Header=BB82_12 Depth=1
	s_or_b32 exec_lo, exec_lo, s29
	v_lshrrev_b32_e32 v12, 16, v12
	s_delay_alu instid0(VALU_DEP_1) | instskip(NEXT) | instid1(VALU_DEP_1)
	v_cvt_f32_f16_e32 v12, v12
	v_add_f32_e32 v91, s66, v12
	s_delay_alu instid0(VALU_DEP_1) | instskip(SKIP_1) | instid1(SALU_CYCLE_1)
	v_cmp_ge_f32_e32 vcc_lo, 0x41a00000, v91
	s_and_b32 s28, s79, vcc_lo
	s_and_saveexec_b32 s29, s28
	s_cbranch_execz .LBB82_78
; %bb.77:                               ;   in Loop: Header=BB82_12 Depth=1
	v_mul_f32_e32 v12, 0x3fb8aa3b, v91
	v_cmp_ngt_f32_e32 vcc_lo, 0xc2ce8ed0, v91
	s_delay_alu instid0(VALU_DEP_2) | instskip(SKIP_1) | instid1(VALU_DEP_2)
	v_rndne_f32_e32 v17, v12
	v_fma_f32 v92, 0x3fb8aa3b, v91, -v12
	v_sub_f32_e32 v12, v12, v17
	s_delay_alu instid0(VALU_DEP_2) | instskip(SKIP_1) | instid1(VALU_DEP_2)
	v_fmac_f32_e32 v92, 0x32a5705f, v91
	v_cvt_i32_f32_e32 v17, v17
	v_add_f32_e32 v12, v12, v92
	s_delay_alu instid0(VALU_DEP_1) | instskip(SKIP_2) | instid1(VALU_DEP_1)
	v_exp_f32_e32 v12, v12
	s_waitcnt_depctr 0xfff
	v_ldexp_f32 v12, v12, v17
	v_cndmask_b32_e32 v12, 0, v12, vcc_lo
	v_cmp_nlt_f32_e32 vcc_lo, 0x42b17218, v91
	s_delay_alu instid0(VALU_DEP_2) | instskip(NEXT) | instid1(VALU_DEP_1)
	v_cndmask_b32_e32 v12, 0x7f800000, v12, vcc_lo
	v_add_f32_e32 v17, 1.0, v12
	s_delay_alu instid0(VALU_DEP_1) | instskip(NEXT) | instid1(VALU_DEP_1)
	v_cvt_f64_f32_e32 v[91:92], v17
	v_frexp_exp_i32_f64_e32 v91, v[91:92]
	v_frexp_mant_f32_e32 v92, v17
	s_delay_alu instid0(VALU_DEP_1) | instskip(SKIP_1) | instid1(VALU_DEP_1)
	v_cmp_gt_f32_e32 vcc_lo, 0x3f2aaaab, v92
	v_add_f32_e32 v92, -1.0, v17
	v_sub_f32_e32 v94, v92, v17
	v_sub_f32_e32 v92, v12, v92
	s_delay_alu instid0(VALU_DEP_2) | instskip(NEXT) | instid1(VALU_DEP_1)
	v_add_f32_e32 v94, 1.0, v94
	v_add_f32_e32 v92, v92, v94
	v_subrev_co_ci_u32_e32 v91, vcc_lo, 0, v91, vcc_lo
	s_delay_alu instid0(VALU_DEP_1) | instskip(SKIP_1) | instid1(VALU_DEP_2)
	v_sub_nc_u32_e32 v93, 0, v91
	v_cvt_f32_i32_e32 v91, v91
	v_ldexp_f32 v17, v17, v93
	v_ldexp_f32 v92, v92, v93
	s_delay_alu instid0(VALU_DEP_2) | instskip(NEXT) | instid1(VALU_DEP_1)
	v_add_f32_e32 v95, 1.0, v17
	v_dual_add_f32 v93, -1.0, v17 :: v_dual_add_f32 v94, -1.0, v95
	s_delay_alu instid0(VALU_DEP_1) | instskip(NEXT) | instid1(VALU_DEP_2)
	v_add_f32_e32 v96, 1.0, v93
	v_sub_f32_e32 v94, v17, v94
	s_delay_alu instid0(VALU_DEP_2) | instskip(NEXT) | instid1(VALU_DEP_1)
	v_sub_f32_e32 v17, v17, v96
	v_add_f32_e32 v17, v92, v17
	s_delay_alu instid0(VALU_DEP_1) | instskip(SKIP_2) | instid1(VALU_DEP_3)
	v_add_f32_e32 v97, v93, v17
	v_cmp_eq_f32_e32 vcc_lo, 0x7f800000, v12
	v_cmp_gt_f32_e64 s28, 0x33800000, v12
	v_dual_sub_f32 v93, v93, v97 :: v_dual_add_f32 v94, v92, v94
	s_delay_alu instid0(VALU_DEP_2) | instskip(NEXT) | instid1(VALU_DEP_1)
	s_or_b32 vcc_lo, s28, vcc_lo
	v_dual_add_f32 v17, v17, v93 :: v_dual_add_f32 v96, v95, v94
	s_delay_alu instid0(VALU_DEP_1) | instskip(SKIP_1) | instid1(VALU_DEP_1)
	v_rcp_f32_e32 v92, v96
	v_sub_f32_e32 v95, v95, v96
	v_add_f32_e32 v94, v94, v95
	s_waitcnt_depctr 0xfff
	v_mul_f32_e32 v98, v97, v92
	s_delay_alu instid0(VALU_DEP_1) | instskip(NEXT) | instid1(VALU_DEP_1)
	v_mul_f32_e32 v99, v96, v98
	v_fma_f32 v95, v98, v96, -v99
	s_delay_alu instid0(VALU_DEP_1) | instskip(NEXT) | instid1(VALU_DEP_1)
	v_fmac_f32_e32 v95, v98, v94
	v_add_f32_e32 v100, v99, v95
	s_delay_alu instid0(VALU_DEP_1) | instskip(SKIP_1) | instid1(VALU_DEP_2)
	v_sub_f32_e32 v101, v97, v100
	v_sub_f32_e32 v93, v100, v99
	;; [unrolled: 1-line block ×3, first 2 shown]
	s_delay_alu instid0(VALU_DEP_2) | instskip(NEXT) | instid1(VALU_DEP_2)
	v_sub_f32_e32 v93, v93, v95
	v_sub_f32_e32 v97, v97, v100
	s_delay_alu instid0(VALU_DEP_1) | instskip(NEXT) | instid1(VALU_DEP_1)
	v_add_f32_e32 v17, v17, v97
	v_add_f32_e32 v17, v93, v17
	s_delay_alu instid0(VALU_DEP_1) | instskip(NEXT) | instid1(VALU_DEP_1)
	v_add_f32_e32 v93, v101, v17
	v_mul_f32_e32 v95, v92, v93
	s_delay_alu instid0(VALU_DEP_1) | instskip(NEXT) | instid1(VALU_DEP_1)
	v_mul_f32_e32 v97, v96, v95
	v_fma_f32 v96, v95, v96, -v97
	s_delay_alu instid0(VALU_DEP_1) | instskip(SKIP_1) | instid1(VALU_DEP_2)
	v_fmac_f32_e32 v96, v95, v94
	v_sub_f32_e32 v100, v101, v93
	v_add_f32_e32 v94, v97, v96
	s_delay_alu instid0(VALU_DEP_2) | instskip(NEXT) | instid1(VALU_DEP_2)
	v_add_f32_e32 v17, v17, v100
	v_sub_f32_e32 v99, v93, v94
	s_delay_alu instid0(VALU_DEP_1) | instskip(NEXT) | instid1(VALU_DEP_1)
	v_sub_f32_e32 v93, v93, v99
	v_sub_f32_e32 v93, v93, v94
	s_delay_alu instid0(VALU_DEP_1) | instskip(SKIP_2) | instid1(VALU_DEP_1)
	v_add_f32_e32 v17, v17, v93
	v_add_f32_e32 v93, v98, v95
	v_sub_f32_e32 v97, v94, v97
	v_sub_f32_e32 v94, v97, v96
	s_delay_alu instid0(VALU_DEP_1) | instskip(NEXT) | instid1(VALU_DEP_1)
	v_dual_add_f32 v17, v94, v17 :: v_dual_sub_f32 v94, v93, v98
	v_add_f32_e32 v17, v99, v17
	s_delay_alu instid0(VALU_DEP_1) | instskip(NEXT) | instid1(VALU_DEP_1)
	v_dual_sub_f32 v94, v95, v94 :: v_dual_mul_f32 v17, v92, v17
	v_add_f32_e32 v17, v94, v17
	s_delay_alu instid0(VALU_DEP_1) | instskip(NEXT) | instid1(VALU_DEP_1)
	v_add_f32_e32 v92, v93, v17
	v_mul_f32_e32 v94, v92, v92
	s_delay_alu instid0(VALU_DEP_1) | instskip(SKIP_1) | instid1(VALU_DEP_2)
	v_fmaak_f32 v95, s83, v94, 0x3ecc95a3
	v_mul_f32_e32 v96, v92, v94
	v_fmaak_f32 v94, v94, v95, 0x3f2aaada
	v_ldexp_f32 v95, v92, 1
	s_delay_alu instid0(VALU_DEP_2) | instskip(SKIP_1) | instid1(VALU_DEP_2)
	v_mul_f32_e32 v94, v96, v94
	v_sub_f32_e32 v92, v92, v93
	v_dual_mul_f32 v96, 0x3f317218, v91 :: v_dual_add_f32 v93, v95, v94
	s_delay_alu instid0(VALU_DEP_2) | instskip(NEXT) | instid1(VALU_DEP_2)
	v_sub_f32_e32 v17, v17, v92
	v_sub_f32_e32 v92, v93, v95
	s_delay_alu instid0(VALU_DEP_3) | instskip(NEXT) | instid1(VALU_DEP_3)
	v_fma_f32 v95, 0x3f317218, v91, -v96
	v_ldexp_f32 v17, v17, 1
	s_delay_alu instid0(VALU_DEP_2) | instskip(NEXT) | instid1(VALU_DEP_1)
	v_dual_sub_f32 v92, v94, v92 :: v_dual_fmac_f32 v95, 0xb102e308, v91
	v_add_f32_e32 v17, v17, v92
	s_delay_alu instid0(VALU_DEP_1) | instskip(NEXT) | instid1(VALU_DEP_1)
	v_dual_add_f32 v91, v96, v95 :: v_dual_add_f32 v92, v93, v17
	v_sub_f32_e32 v96, v91, v96
	s_delay_alu instid0(VALU_DEP_2) | instskip(NEXT) | instid1(VALU_DEP_2)
	v_dual_add_f32 v94, v91, v92 :: v_dual_sub_f32 v93, v92, v93
	v_sub_f32_e32 v95, v95, v96
	s_delay_alu instid0(VALU_DEP_2) | instskip(NEXT) | instid1(VALU_DEP_1)
	v_sub_f32_e32 v97, v94, v91
	v_sub_f32_e32 v98, v94, v97
	;; [unrolled: 1-line block ×4, first 2 shown]
	s_delay_alu instid0(VALU_DEP_1) | instskip(NEXT) | instid1(VALU_DEP_4)
	v_add_f32_e32 v93, v95, v17
	v_sub_f32_e32 v91, v91, v98
	s_delay_alu instid0(VALU_DEP_1) | instskip(NEXT) | instid1(VALU_DEP_3)
	v_add_f32_e32 v91, v92, v91
	v_sub_f32_e32 v92, v93, v95
	s_delay_alu instid0(VALU_DEP_2) | instskip(NEXT) | instid1(VALU_DEP_2)
	v_add_f32_e32 v91, v93, v91
	v_sub_f32_e32 v93, v93, v92
	s_delay_alu instid0(VALU_DEP_2) | instskip(NEXT) | instid1(VALU_DEP_1)
	v_dual_sub_f32 v17, v17, v92 :: v_dual_add_f32 v96, v94, v91
	v_dual_sub_f32 v92, v96, v94 :: v_dual_sub_f32 v93, v95, v93
	s_delay_alu instid0(VALU_DEP_1) | instskip(NEXT) | instid1(VALU_DEP_2)
	v_sub_f32_e32 v91, v91, v92
	v_add_f32_e32 v17, v17, v93
	s_delay_alu instid0(VALU_DEP_1) | instskip(NEXT) | instid1(VALU_DEP_1)
	v_add_f32_e32 v17, v17, v91
	v_add_f32_e32 v17, v96, v17
	s_delay_alu instid0(VALU_DEP_1)
	v_cndmask_b32_e32 v91, v17, v12, vcc_lo
.LBB82_78:                              ;   in Loop: Header=BB82_12 Depth=1
	s_or_b32 exec_lo, exec_lo, s29
	v_cvt_f32_f16_e32 v12, v13
	s_delay_alu instid0(VALU_DEP_1) | instskip(NEXT) | instid1(VALU_DEP_1)
	v_add_f32_e32 v92, s66, v12
	v_cmp_ge_f32_e32 vcc_lo, 0x41a00000, v92
	s_and_b32 s28, s79, vcc_lo
	s_delay_alu instid0(SALU_CYCLE_1)
	s_and_saveexec_b32 s29, s28
	s_cbranch_execz .LBB82_80
; %bb.79:                               ;   in Loop: Header=BB82_12 Depth=1
	v_mul_f32_e32 v12, 0x3fb8aa3b, v92
	v_cmp_ngt_f32_e32 vcc_lo, 0xc2ce8ed0, v92
	s_delay_alu instid0(VALU_DEP_2) | instskip(SKIP_1) | instid1(VALU_DEP_1)
	v_rndne_f32_e32 v17, v12
	v_fma_f32 v93, 0x3fb8aa3b, v92, -v12
	v_dual_sub_f32 v12, v12, v17 :: v_dual_fmac_f32 v93, 0x32a5705f, v92
	v_cvt_i32_f32_e32 v17, v17
	s_delay_alu instid0(VALU_DEP_2) | instskip(NEXT) | instid1(VALU_DEP_1)
	v_add_f32_e32 v12, v12, v93
	v_exp_f32_e32 v12, v12
	s_waitcnt_depctr 0xfff
	v_ldexp_f32 v12, v12, v17
	s_delay_alu instid0(VALU_DEP_1) | instskip(SKIP_1) | instid1(VALU_DEP_2)
	v_cndmask_b32_e32 v12, 0, v12, vcc_lo
	v_cmp_nlt_f32_e32 vcc_lo, 0x42b17218, v92
	v_cndmask_b32_e32 v12, 0x7f800000, v12, vcc_lo
	s_delay_alu instid0(VALU_DEP_1) | instskip(NEXT) | instid1(VALU_DEP_1)
	v_add_f32_e32 v17, 1.0, v12
	v_cvt_f64_f32_e32 v[92:93], v17
	s_delay_alu instid0(VALU_DEP_1) | instskip(SKIP_1) | instid1(VALU_DEP_1)
	v_frexp_exp_i32_f64_e32 v92, v[92:93]
	v_frexp_mant_f32_e32 v93, v17
	v_cmp_gt_f32_e32 vcc_lo, 0x3f2aaaab, v93
	v_add_f32_e32 v93, -1.0, v17
	s_delay_alu instid0(VALU_DEP_1) | instskip(SKIP_1) | instid1(VALU_DEP_2)
	v_sub_f32_e32 v95, v93, v17
	v_sub_f32_e32 v93, v12, v93
	v_add_f32_e32 v95, 1.0, v95
	s_delay_alu instid0(VALU_DEP_1) | instskip(SKIP_3) | instid1(VALU_DEP_2)
	v_add_f32_e32 v93, v93, v95
	v_cmp_gt_f32_e64 s28, 0x33800000, v12
	v_subrev_co_ci_u32_e32 v92, vcc_lo, 0, v92, vcc_lo
	v_cmp_eq_f32_e32 vcc_lo, 0x7f800000, v12
	v_sub_nc_u32_e32 v94, 0, v92
	v_cvt_f32_i32_e32 v92, v92
	s_or_b32 vcc_lo, s28, vcc_lo
	s_delay_alu instid0(VALU_DEP_2) | instskip(SKIP_1) | instid1(VALU_DEP_2)
	v_ldexp_f32 v17, v17, v94
	v_ldexp_f32 v93, v93, v94
	v_add_f32_e32 v96, 1.0, v17
	s_delay_alu instid0(VALU_DEP_1) | instskip(NEXT) | instid1(VALU_DEP_1)
	v_dual_add_f32 v94, -1.0, v17 :: v_dual_add_f32 v95, -1.0, v96
	v_add_f32_e32 v97, 1.0, v94
	s_delay_alu instid0(VALU_DEP_2) | instskip(NEXT) | instid1(VALU_DEP_2)
	v_sub_f32_e32 v95, v17, v95
	v_sub_f32_e32 v17, v17, v97
	s_delay_alu instid0(VALU_DEP_1) | instskip(NEXT) | instid1(VALU_DEP_1)
	v_add_f32_e32 v17, v93, v17
	v_dual_add_f32 v98, v94, v17 :: v_dual_add_f32 v95, v93, v95
	s_delay_alu instid0(VALU_DEP_1) | instskip(NEXT) | instid1(VALU_DEP_1)
	v_dual_sub_f32 v94, v94, v98 :: v_dual_add_f32 v97, v96, v95
	v_rcp_f32_e32 v93, v97
	v_sub_f32_e32 v96, v96, v97
	s_delay_alu instid0(VALU_DEP_1) | instskip(SKIP_2) | instid1(VALU_DEP_1)
	v_add_f32_e32 v95, v95, v96
	s_waitcnt_depctr 0xfff
	v_mul_f32_e32 v99, v98, v93
	v_mul_f32_e32 v100, v97, v99
	s_delay_alu instid0(VALU_DEP_1) | instskip(NEXT) | instid1(VALU_DEP_1)
	v_fma_f32 v96, v99, v97, -v100
	v_fmac_f32_e32 v96, v99, v95
	s_delay_alu instid0(VALU_DEP_1) | instskip(NEXT) | instid1(VALU_DEP_1)
	v_add_f32_e32 v101, v100, v96
	v_sub_f32_e32 v102, v98, v101
	s_delay_alu instid0(VALU_DEP_1) | instskip(SKIP_2) | instid1(VALU_DEP_3)
	v_sub_f32_e32 v98, v98, v102
	v_add_f32_e32 v17, v17, v94
	v_sub_f32_e32 v94, v101, v100
	v_sub_f32_e32 v98, v98, v101
	s_delay_alu instid0(VALU_DEP_1) | instskip(NEXT) | instid1(VALU_DEP_1)
	v_dual_sub_f32 v94, v94, v96 :: v_dual_add_f32 v17, v17, v98
	v_add_f32_e32 v17, v94, v17
	s_delay_alu instid0(VALU_DEP_1) | instskip(NEXT) | instid1(VALU_DEP_1)
	v_add_f32_e32 v94, v102, v17
	v_mul_f32_e32 v96, v93, v94
	s_delay_alu instid0(VALU_DEP_1) | instskip(NEXT) | instid1(VALU_DEP_1)
	v_dual_sub_f32 v101, v102, v94 :: v_dual_mul_f32 v98, v97, v96
	v_add_f32_e32 v17, v17, v101
	s_delay_alu instid0(VALU_DEP_2) | instskip(NEXT) | instid1(VALU_DEP_1)
	v_fma_f32 v97, v96, v97, -v98
	v_fmac_f32_e32 v97, v96, v95
	s_delay_alu instid0(VALU_DEP_1) | instskip(NEXT) | instid1(VALU_DEP_1)
	v_add_f32_e32 v95, v98, v97
	v_sub_f32_e32 v100, v94, v95
	s_delay_alu instid0(VALU_DEP_1) | instskip(NEXT) | instid1(VALU_DEP_1)
	v_sub_f32_e32 v94, v94, v100
	v_sub_f32_e32 v94, v94, v95
	s_delay_alu instid0(VALU_DEP_1) | instskip(SKIP_1) | instid1(VALU_DEP_1)
	v_dual_add_f32 v17, v17, v94 :: v_dual_add_f32 v94, v99, v96
	v_sub_f32_e32 v98, v95, v98
	v_sub_f32_e32 v95, v98, v97
	s_delay_alu instid0(VALU_DEP_1) | instskip(NEXT) | instid1(VALU_DEP_4)
	v_add_f32_e32 v17, v95, v17
	v_sub_f32_e32 v95, v94, v99
	s_delay_alu instid0(VALU_DEP_2) | instskip(NEXT) | instid1(VALU_DEP_2)
	v_add_f32_e32 v17, v100, v17
	v_sub_f32_e32 v95, v96, v95
	s_delay_alu instid0(VALU_DEP_2) | instskip(NEXT) | instid1(VALU_DEP_1)
	v_mul_f32_e32 v17, v93, v17
	v_add_f32_e32 v17, v95, v17
	s_delay_alu instid0(VALU_DEP_1) | instskip(NEXT) | instid1(VALU_DEP_1)
	v_add_f32_e32 v93, v94, v17
	v_mul_f32_e32 v95, v93, v93
	s_delay_alu instid0(VALU_DEP_1) | instskip(SKIP_1) | instid1(VALU_DEP_2)
	v_fmaak_f32 v96, s83, v95, 0x3ecc95a3
	v_mul_f32_e32 v97, v93, v95
	v_fmaak_f32 v95, v95, v96, 0x3f2aaada
	v_ldexp_f32 v96, v93, 1
	v_sub_f32_e32 v93, v93, v94
	s_delay_alu instid0(VALU_DEP_3) | instskip(SKIP_1) | instid1(VALU_DEP_2)
	v_mul_f32_e32 v95, v97, v95
	v_mul_f32_e32 v97, 0x3f317218, v92
	v_dual_sub_f32 v17, v17, v93 :: v_dual_add_f32 v94, v96, v95
	s_delay_alu instid0(VALU_DEP_1) | instskip(NEXT) | instid1(VALU_DEP_2)
	v_ldexp_f32 v17, v17, 1
	v_sub_f32_e32 v93, v94, v96
	s_delay_alu instid0(VALU_DEP_4) | instskip(NEXT) | instid1(VALU_DEP_1)
	v_fma_f32 v96, 0x3f317218, v92, -v97
	v_dual_sub_f32 v93, v95, v93 :: v_dual_fmac_f32 v96, 0xb102e308, v92
	s_delay_alu instid0(VALU_DEP_1) | instskip(NEXT) | instid1(VALU_DEP_1)
	v_add_f32_e32 v17, v17, v93
	v_dual_add_f32 v92, v97, v96 :: v_dual_add_f32 v93, v94, v17
	s_delay_alu instid0(VALU_DEP_1) | instskip(NEXT) | instid1(VALU_DEP_2)
	v_sub_f32_e32 v97, v92, v97
	v_dual_add_f32 v95, v92, v93 :: v_dual_sub_f32 v94, v93, v94
	s_delay_alu instid0(VALU_DEP_2) | instskip(NEXT) | instid1(VALU_DEP_2)
	v_sub_f32_e32 v96, v96, v97
	v_dual_sub_f32 v98, v95, v92 :: v_dual_sub_f32 v17, v17, v94
	s_delay_alu instid0(VALU_DEP_1) | instskip(NEXT) | instid1(VALU_DEP_2)
	v_sub_f32_e32 v99, v95, v98
	v_dual_sub_f32 v93, v93, v98 :: v_dual_add_f32 v94, v96, v17
	s_delay_alu instid0(VALU_DEP_2) | instskip(NEXT) | instid1(VALU_DEP_1)
	v_sub_f32_e32 v92, v92, v99
	v_add_f32_e32 v92, v93, v92
	s_delay_alu instid0(VALU_DEP_3) | instskip(NEXT) | instid1(VALU_DEP_2)
	v_sub_f32_e32 v93, v94, v96
	v_add_f32_e32 v92, v94, v92
	s_delay_alu instid0(VALU_DEP_2) | instskip(SKIP_1) | instid1(VALU_DEP_2)
	v_sub_f32_e32 v94, v94, v93
	v_sub_f32_e32 v17, v17, v93
	v_dual_add_f32 v97, v95, v92 :: v_dual_sub_f32 v94, v96, v94
	s_delay_alu instid0(VALU_DEP_1) | instskip(NEXT) | instid1(VALU_DEP_1)
	v_sub_f32_e32 v93, v97, v95
	v_dual_add_f32 v17, v17, v94 :: v_dual_sub_f32 v92, v92, v93
	s_delay_alu instid0(VALU_DEP_1) | instskip(NEXT) | instid1(VALU_DEP_1)
	v_add_f32_e32 v17, v17, v92
	v_add_f32_e32 v17, v97, v17
	s_delay_alu instid0(VALU_DEP_1)
	v_cndmask_b32_e32 v92, v17, v12, vcc_lo
.LBB82_80:                              ;   in Loop: Header=BB82_12 Depth=1
	s_or_b32 exec_lo, exec_lo, s29
	v_lshrrev_b32_e32 v12, 16, v13
	s_delay_alu instid0(VALU_DEP_1) | instskip(NEXT) | instid1(VALU_DEP_1)
	v_cvt_f32_f16_e32 v12, v12
	v_add_f32_e32 v93, s66, v12
	s_delay_alu instid0(VALU_DEP_1) | instskip(SKIP_1) | instid1(SALU_CYCLE_1)
	v_cmp_ge_f32_e32 vcc_lo, 0x41a00000, v93
	s_and_b32 s28, s79, vcc_lo
	s_and_saveexec_b32 s29, s28
	s_cbranch_execz .LBB82_82
; %bb.81:                               ;   in Loop: Header=BB82_12 Depth=1
	v_mul_f32_e32 v12, 0x3fb8aa3b, v93
	v_cmp_ngt_f32_e32 vcc_lo, 0xc2ce8ed0, v93
	s_delay_alu instid0(VALU_DEP_2) | instskip(SKIP_1) | instid1(VALU_DEP_2)
	v_rndne_f32_e32 v13, v12
	v_fma_f32 v17, 0x3fb8aa3b, v93, -v12
	v_sub_f32_e32 v12, v12, v13
	s_delay_alu instid0(VALU_DEP_2) | instskip(SKIP_1) | instid1(VALU_DEP_2)
	v_fmac_f32_e32 v17, 0x32a5705f, v93
	v_cvt_i32_f32_e32 v13, v13
	v_add_f32_e32 v12, v12, v17
	s_delay_alu instid0(VALU_DEP_1) | instskip(SKIP_2) | instid1(VALU_DEP_1)
	v_exp_f32_e32 v12, v12
	s_waitcnt_depctr 0xfff
	v_ldexp_f32 v12, v12, v13
	v_cndmask_b32_e32 v12, 0, v12, vcc_lo
	v_cmp_nlt_f32_e32 vcc_lo, 0x42b17218, v93
	s_delay_alu instid0(VALU_DEP_2) | instskip(NEXT) | instid1(VALU_DEP_1)
	v_cndmask_b32_e32 v17, 0x7f800000, v12, vcc_lo
	v_add_f32_e32 v93, 1.0, v17
	s_delay_alu instid0(VALU_DEP_1) | instskip(NEXT) | instid1(VALU_DEP_1)
	v_cvt_f64_f32_e32 v[12:13], v93
	v_frexp_exp_i32_f64_e32 v12, v[12:13]
	v_frexp_mant_f32_e32 v13, v93
	s_delay_alu instid0(VALU_DEP_1) | instskip(SKIP_1) | instid1(VALU_DEP_1)
	v_cmp_gt_f32_e32 vcc_lo, 0x3f2aaaab, v13
	v_add_f32_e32 v13, -1.0, v93
	v_sub_f32_e32 v95, v13, v93
	s_delay_alu instid0(VALU_DEP_1) | instskip(SKIP_1) | instid1(VALU_DEP_1)
	v_add_f32_e32 v95, 1.0, v95
	v_subrev_co_ci_u32_e32 v12, vcc_lo, 0, v12, vcc_lo
	v_sub_nc_u32_e32 v94, 0, v12
	v_cvt_f32_i32_e32 v12, v12
	s_delay_alu instid0(VALU_DEP_2) | instskip(NEXT) | instid1(VALU_DEP_1)
	v_ldexp_f32 v93, v93, v94
	v_add_f32_e32 v96, 1.0, v93
	v_sub_f32_e32 v13, v17, v13
	v_cmp_eq_f32_e32 vcc_lo, 0x7f800000, v17
	v_cmp_gt_f32_e64 s28, 0x33800000, v17
	s_delay_alu instid0(VALU_DEP_3) | instskip(SKIP_1) | instid1(VALU_DEP_3)
	v_add_f32_e32 v13, v13, v95
	v_add_f32_e32 v95, -1.0, v96
	s_or_b32 vcc_lo, s28, vcc_lo
	s_delay_alu instid0(VALU_DEP_2) | instskip(NEXT) | instid1(VALU_DEP_2)
	v_ldexp_f32 v13, v13, v94
	v_dual_add_f32 v94, -1.0, v93 :: v_dual_sub_f32 v95, v93, v95
	s_delay_alu instid0(VALU_DEP_1) | instskip(NEXT) | instid1(VALU_DEP_2)
	v_add_f32_e32 v97, 1.0, v94
	v_add_f32_e32 v95, v13, v95
	s_delay_alu instid0(VALU_DEP_2) | instskip(NEXT) | instid1(VALU_DEP_1)
	v_sub_f32_e32 v93, v93, v97
	v_add_f32_e32 v13, v13, v93
	s_delay_alu instid0(VALU_DEP_1) | instskip(NEXT) | instid1(VALU_DEP_1)
	v_dual_add_f32 v98, v94, v13 :: v_dual_add_f32 v97, v96, v95
	v_sub_f32_e32 v94, v94, v98
	s_delay_alu instid0(VALU_DEP_2) | instskip(NEXT) | instid1(VALU_DEP_1)
	v_rcp_f32_e32 v93, v97
	v_dual_sub_f32 v96, v96, v97 :: v_dual_add_f32 v13, v13, v94
	s_delay_alu instid0(VALU_DEP_1) | instskip(SKIP_2) | instid1(VALU_DEP_1)
	v_add_f32_e32 v95, v95, v96
	s_waitcnt_depctr 0xfff
	v_mul_f32_e32 v99, v98, v93
	v_mul_f32_e32 v100, v97, v99
	s_delay_alu instid0(VALU_DEP_1) | instskip(NEXT) | instid1(VALU_DEP_1)
	v_fma_f32 v96, v99, v97, -v100
	v_fmac_f32_e32 v96, v99, v95
	s_delay_alu instid0(VALU_DEP_1) | instskip(NEXT) | instid1(VALU_DEP_1)
	v_add_f32_e32 v101, v100, v96
	v_sub_f32_e32 v102, v98, v101
	v_sub_f32_e32 v94, v101, v100
	s_delay_alu instid0(VALU_DEP_2) | instskip(NEXT) | instid1(VALU_DEP_2)
	v_sub_f32_e32 v98, v98, v102
	v_sub_f32_e32 v94, v94, v96
	s_delay_alu instid0(VALU_DEP_2) | instskip(NEXT) | instid1(VALU_DEP_1)
	v_sub_f32_e32 v98, v98, v101
	v_add_f32_e32 v13, v13, v98
	s_delay_alu instid0(VALU_DEP_1) | instskip(NEXT) | instid1(VALU_DEP_1)
	v_add_f32_e32 v13, v94, v13
	v_add_f32_e32 v94, v102, v13
	s_delay_alu instid0(VALU_DEP_1) | instskip(NEXT) | instid1(VALU_DEP_1)
	v_mul_f32_e32 v96, v93, v94
	v_dual_sub_f32 v101, v102, v94 :: v_dual_mul_f32 v98, v97, v96
	s_delay_alu instid0(VALU_DEP_1) | instskip(NEXT) | instid1(VALU_DEP_1)
	v_fma_f32 v97, v96, v97, -v98
	v_fmac_f32_e32 v97, v96, v95
	s_delay_alu instid0(VALU_DEP_1) | instskip(NEXT) | instid1(VALU_DEP_1)
	v_add_f32_e32 v95, v98, v97
	v_dual_add_f32 v13, v13, v101 :: v_dual_sub_f32 v100, v94, v95
	s_delay_alu instid0(VALU_DEP_1) | instskip(NEXT) | instid1(VALU_DEP_1)
	v_sub_f32_e32 v94, v94, v100
	v_sub_f32_e32 v94, v94, v95
	s_delay_alu instid0(VALU_DEP_1) | instskip(SKIP_1) | instid1(VALU_DEP_1)
	v_dual_add_f32 v13, v13, v94 :: v_dual_add_f32 v94, v99, v96
	v_sub_f32_e32 v98, v95, v98
	v_sub_f32_e32 v95, v98, v97
	s_delay_alu instid0(VALU_DEP_1) | instskip(NEXT) | instid1(VALU_DEP_4)
	v_add_f32_e32 v13, v95, v13
	v_sub_f32_e32 v95, v94, v99
	s_delay_alu instid0(VALU_DEP_2) | instskip(NEXT) | instid1(VALU_DEP_2)
	v_add_f32_e32 v13, v100, v13
	v_sub_f32_e32 v95, v96, v95
	s_delay_alu instid0(VALU_DEP_2) | instskip(NEXT) | instid1(VALU_DEP_1)
	v_mul_f32_e32 v13, v93, v13
	v_add_f32_e32 v13, v95, v13
	s_delay_alu instid0(VALU_DEP_1) | instskip(NEXT) | instid1(VALU_DEP_1)
	v_add_f32_e32 v93, v94, v13
	v_mul_f32_e32 v95, v93, v93
	s_delay_alu instid0(VALU_DEP_1) | instskip(SKIP_1) | instid1(VALU_DEP_2)
	v_fmaak_f32 v96, s83, v95, 0x3ecc95a3
	v_mul_f32_e32 v97, v93, v95
	v_fmaak_f32 v95, v95, v96, 0x3f2aaada
	v_ldexp_f32 v96, v93, 1
	v_sub_f32_e32 v93, v93, v94
	s_delay_alu instid0(VALU_DEP_3) | instskip(SKIP_1) | instid1(VALU_DEP_2)
	v_mul_f32_e32 v95, v97, v95
	v_mul_f32_e32 v97, 0x3f317218, v12
	v_dual_sub_f32 v13, v13, v93 :: v_dual_add_f32 v94, v96, v95
	s_delay_alu instid0(VALU_DEP_1) | instskip(NEXT) | instid1(VALU_DEP_2)
	v_ldexp_f32 v13, v13, 1
	v_sub_f32_e32 v93, v94, v96
	s_delay_alu instid0(VALU_DEP_4) | instskip(NEXT) | instid1(VALU_DEP_1)
	v_fma_f32 v96, 0x3f317218, v12, -v97
	v_dual_sub_f32 v93, v95, v93 :: v_dual_fmac_f32 v96, 0xb102e308, v12
	s_delay_alu instid0(VALU_DEP_1) | instskip(NEXT) | instid1(VALU_DEP_2)
	v_add_f32_e32 v12, v13, v93
	v_add_f32_e32 v13, v97, v96
	s_delay_alu instid0(VALU_DEP_2) | instskip(NEXT) | instid1(VALU_DEP_2)
	v_add_f32_e32 v93, v94, v12
	v_sub_f32_e32 v97, v13, v97
	s_delay_alu instid0(VALU_DEP_2) | instskip(SKIP_1) | instid1(VALU_DEP_3)
	v_add_f32_e32 v95, v13, v93
	v_sub_f32_e32 v94, v93, v94
	v_sub_f32_e32 v96, v96, v97
	s_delay_alu instid0(VALU_DEP_3) | instskip(NEXT) | instid1(VALU_DEP_3)
	v_sub_f32_e32 v98, v95, v13
	v_sub_f32_e32 v12, v12, v94
	s_delay_alu instid0(VALU_DEP_2) | instskip(NEXT) | instid1(VALU_DEP_2)
	v_sub_f32_e32 v99, v95, v98
	v_dual_sub_f32 v93, v93, v98 :: v_dual_add_f32 v94, v96, v12
	s_delay_alu instid0(VALU_DEP_2) | instskip(NEXT) | instid1(VALU_DEP_1)
	v_sub_f32_e32 v13, v13, v99
	v_add_f32_e32 v13, v93, v13
	s_delay_alu instid0(VALU_DEP_3) | instskip(NEXT) | instid1(VALU_DEP_2)
	v_sub_f32_e32 v93, v94, v96
	v_add_f32_e32 v13, v94, v13
	s_delay_alu instid0(VALU_DEP_2) | instskip(SKIP_1) | instid1(VALU_DEP_1)
	v_sub_f32_e32 v12, v12, v93
	v_sub_f32_e32 v94, v94, v93
	v_dual_add_f32 v97, v95, v13 :: v_dual_sub_f32 v94, v96, v94
	s_delay_alu instid0(VALU_DEP_1) | instskip(NEXT) | instid1(VALU_DEP_1)
	v_dual_sub_f32 v93, v97, v95 :: v_dual_add_f32 v12, v12, v94
	v_sub_f32_e32 v13, v13, v93
	s_delay_alu instid0(VALU_DEP_1) | instskip(NEXT) | instid1(VALU_DEP_1)
	v_add_f32_e32 v12, v12, v13
	v_add_f32_e32 v12, v97, v12
	s_delay_alu instid0(VALU_DEP_1)
	v_cndmask_b32_e32 v93, v12, v17, vcc_lo
.LBB82_82:                              ;   in Loop: Header=BB82_12 Depth=1
	s_or_b32 exec_lo, exec_lo, s29
	v_cvt_f32_f16_e32 v12, v14
	s_delay_alu instid0(VALU_DEP_1) | instskip(NEXT) | instid1(VALU_DEP_1)
	v_add_f32_e32 v94, s66, v12
	v_cmp_ge_f32_e32 vcc_lo, 0x41a00000, v94
	s_and_b32 s28, s79, vcc_lo
	s_delay_alu instid0(SALU_CYCLE_1)
	s_and_saveexec_b32 s29, s28
	s_cbranch_execz .LBB82_84
; %bb.83:                               ;   in Loop: Header=BB82_12 Depth=1
	v_mul_f32_e32 v12, 0x3fb8aa3b, v94
	v_cmp_ngt_f32_e32 vcc_lo, 0xc2ce8ed0, v94
	s_delay_alu instid0(VALU_DEP_2) | instskip(SKIP_1) | instid1(VALU_DEP_1)
	v_rndne_f32_e32 v13, v12
	v_fma_f32 v17, 0x3fb8aa3b, v94, -v12
	v_dual_sub_f32 v12, v12, v13 :: v_dual_fmac_f32 v17, 0x32a5705f, v94
	v_cvt_i32_f32_e32 v13, v13
	s_delay_alu instid0(VALU_DEP_2) | instskip(NEXT) | instid1(VALU_DEP_1)
	v_add_f32_e32 v12, v12, v17
	v_exp_f32_e32 v12, v12
	s_waitcnt_depctr 0xfff
	v_ldexp_f32 v12, v12, v13
	s_delay_alu instid0(VALU_DEP_1) | instskip(SKIP_1) | instid1(VALU_DEP_2)
	v_cndmask_b32_e32 v12, 0, v12, vcc_lo
	v_cmp_nlt_f32_e32 vcc_lo, 0x42b17218, v94
	v_cndmask_b32_e32 v17, 0x7f800000, v12, vcc_lo
	s_delay_alu instid0(VALU_DEP_1) | instskip(NEXT) | instid1(VALU_DEP_1)
	v_add_f32_e32 v94, 1.0, v17
	v_cvt_f64_f32_e32 v[12:13], v94
	s_delay_alu instid0(VALU_DEP_1) | instskip(SKIP_1) | instid1(VALU_DEP_1)
	v_frexp_exp_i32_f64_e32 v12, v[12:13]
	v_frexp_mant_f32_e32 v13, v94
	v_cmp_gt_f32_e32 vcc_lo, 0x3f2aaaab, v13
	v_add_f32_e32 v13, -1.0, v94
	s_delay_alu instid0(VALU_DEP_1) | instskip(SKIP_2) | instid1(VALU_DEP_3)
	v_sub_f32_e32 v96, v13, v94
	v_sub_f32_e32 v13, v17, v13
	v_cmp_gt_f32_e64 s28, 0x33800000, v17
	v_add_f32_e32 v96, 1.0, v96
	s_delay_alu instid0(VALU_DEP_1) | instskip(SKIP_2) | instid1(VALU_DEP_2)
	v_add_f32_e32 v13, v13, v96
	v_subrev_co_ci_u32_e32 v12, vcc_lo, 0, v12, vcc_lo
	v_cmp_eq_f32_e32 vcc_lo, 0x7f800000, v17
	v_sub_nc_u32_e32 v95, 0, v12
	v_cvt_f32_i32_e32 v12, v12
	s_or_b32 vcc_lo, s28, vcc_lo
	s_delay_alu instid0(VALU_DEP_2) | instskip(SKIP_1) | instid1(VALU_DEP_2)
	v_ldexp_f32 v94, v94, v95
	v_ldexp_f32 v13, v13, v95
	v_add_f32_e32 v95, -1.0, v94
	s_delay_alu instid0(VALU_DEP_1) | instskip(NEXT) | instid1(VALU_DEP_1)
	v_dual_add_f32 v97, 1.0, v94 :: v_dual_add_f32 v98, 1.0, v95
	v_add_f32_e32 v96, -1.0, v97
	s_delay_alu instid0(VALU_DEP_1) | instskip(NEXT) | instid1(VALU_DEP_3)
	v_sub_f32_e32 v96, v94, v96
	v_sub_f32_e32 v94, v94, v98
	s_delay_alu instid0(VALU_DEP_2) | instskip(NEXT) | instid1(VALU_DEP_2)
	v_add_f32_e32 v96, v13, v96
	v_add_f32_e32 v13, v13, v94
	s_delay_alu instid0(VALU_DEP_1) | instskip(NEXT) | instid1(VALU_DEP_1)
	v_dual_add_f32 v99, v95, v13 :: v_dual_add_f32 v98, v97, v96
	v_sub_f32_e32 v95, v95, v99
	s_delay_alu instid0(VALU_DEP_2) | instskip(SKIP_1) | instid1(VALU_DEP_1)
	v_rcp_f32_e32 v94, v98
	v_sub_f32_e32 v97, v97, v98
	v_dual_add_f32 v13, v13, v95 :: v_dual_add_f32 v96, v96, v97
	s_waitcnt_depctr 0xfff
	v_mul_f32_e32 v100, v99, v94
	s_delay_alu instid0(VALU_DEP_1) | instskip(NEXT) | instid1(VALU_DEP_1)
	v_mul_f32_e32 v101, v98, v100
	v_fma_f32 v97, v100, v98, -v101
	s_delay_alu instid0(VALU_DEP_1) | instskip(NEXT) | instid1(VALU_DEP_1)
	v_fmac_f32_e32 v97, v100, v96
	v_add_f32_e32 v102, v101, v97
	s_delay_alu instid0(VALU_DEP_1) | instskip(SKIP_1) | instid1(VALU_DEP_2)
	v_sub_f32_e32 v103, v99, v102
	v_sub_f32_e32 v95, v102, v101
	v_sub_f32_e32 v99, v99, v103
	s_delay_alu instid0(VALU_DEP_2) | instskip(NEXT) | instid1(VALU_DEP_2)
	v_sub_f32_e32 v95, v95, v97
	v_sub_f32_e32 v99, v99, v102
	s_delay_alu instid0(VALU_DEP_1) | instskip(NEXT) | instid1(VALU_DEP_1)
	v_add_f32_e32 v13, v13, v99
	v_add_f32_e32 v13, v95, v13
	s_delay_alu instid0(VALU_DEP_1) | instskip(NEXT) | instid1(VALU_DEP_1)
	v_add_f32_e32 v95, v103, v13
	v_mul_f32_e32 v97, v94, v95
	s_delay_alu instid0(VALU_DEP_1) | instskip(NEXT) | instid1(VALU_DEP_1)
	v_dual_sub_f32 v102, v103, v95 :: v_dual_mul_f32 v99, v98, v97
	v_add_f32_e32 v13, v13, v102
	s_delay_alu instid0(VALU_DEP_2) | instskip(NEXT) | instid1(VALU_DEP_1)
	v_fma_f32 v98, v97, v98, -v99
	v_fmac_f32_e32 v98, v97, v96
	s_delay_alu instid0(VALU_DEP_1) | instskip(NEXT) | instid1(VALU_DEP_1)
	v_add_f32_e32 v96, v99, v98
	v_sub_f32_e32 v101, v95, v96
	s_delay_alu instid0(VALU_DEP_1) | instskip(NEXT) | instid1(VALU_DEP_1)
	v_sub_f32_e32 v95, v95, v101
	v_sub_f32_e32 v95, v95, v96
	s_delay_alu instid0(VALU_DEP_1) | instskip(SKIP_2) | instid1(VALU_DEP_1)
	v_add_f32_e32 v13, v13, v95
	v_add_f32_e32 v95, v100, v97
	v_sub_f32_e32 v99, v96, v99
	v_sub_f32_e32 v96, v99, v98
	s_delay_alu instid0(VALU_DEP_1) | instskip(NEXT) | instid1(VALU_DEP_1)
	v_dual_add_f32 v13, v96, v13 :: v_dual_sub_f32 v96, v95, v100
	v_add_f32_e32 v13, v101, v13
	s_delay_alu instid0(VALU_DEP_1) | instskip(NEXT) | instid1(VALU_DEP_1)
	v_dual_sub_f32 v96, v97, v96 :: v_dual_mul_f32 v13, v94, v13
	v_add_f32_e32 v13, v96, v13
	s_delay_alu instid0(VALU_DEP_1) | instskip(NEXT) | instid1(VALU_DEP_1)
	v_add_f32_e32 v94, v95, v13
	v_mul_f32_e32 v96, v94, v94
	s_delay_alu instid0(VALU_DEP_1) | instskip(SKIP_1) | instid1(VALU_DEP_2)
	v_fmaak_f32 v97, s83, v96, 0x3ecc95a3
	v_mul_f32_e32 v98, v94, v96
	v_fmaak_f32 v96, v96, v97, 0x3f2aaada
	v_ldexp_f32 v97, v94, 1
	v_sub_f32_e32 v94, v94, v95
	s_delay_alu instid0(VALU_DEP_3) | instskip(NEXT) | instid1(VALU_DEP_2)
	v_mul_f32_e32 v96, v98, v96
	v_dual_mul_f32 v98, 0x3f317218, v12 :: v_dual_sub_f32 v13, v13, v94
	s_delay_alu instid0(VALU_DEP_2) | instskip(NEXT) | instid1(VALU_DEP_2)
	v_add_f32_e32 v95, v97, v96
	v_ldexp_f32 v13, v13, 1
	s_delay_alu instid0(VALU_DEP_2) | instskip(NEXT) | instid1(VALU_DEP_4)
	v_sub_f32_e32 v94, v95, v97
	v_fma_f32 v97, 0x3f317218, v12, -v98
	s_delay_alu instid0(VALU_DEP_1) | instskip(NEXT) | instid1(VALU_DEP_1)
	v_dual_sub_f32 v94, v96, v94 :: v_dual_fmac_f32 v97, 0xb102e308, v12
	v_add_f32_e32 v12, v13, v94
	s_delay_alu instid0(VALU_DEP_1) | instskip(NEXT) | instid1(VALU_DEP_1)
	v_add_f32_e32 v94, v95, v12
	v_sub_f32_e32 v95, v94, v95
	s_delay_alu instid0(VALU_DEP_1) | instskip(NEXT) | instid1(VALU_DEP_1)
	v_dual_sub_f32 v12, v12, v95 :: v_dual_add_f32 v13, v98, v97
	v_add_f32_e32 v96, v13, v94
	s_delay_alu instid0(VALU_DEP_1) | instskip(NEXT) | instid1(VALU_DEP_1)
	v_dual_sub_f32 v98, v13, v98 :: v_dual_sub_f32 v99, v96, v13
	v_dual_sub_f32 v97, v97, v98 :: v_dual_sub_f32 v100, v96, v99
	s_delay_alu instid0(VALU_DEP_1) | instskip(NEXT) | instid1(VALU_DEP_2)
	v_dual_sub_f32 v94, v94, v99 :: v_dual_add_f32 v95, v97, v12
	v_sub_f32_e32 v13, v13, v100
	s_delay_alu instid0(VALU_DEP_1) | instskip(NEXT) | instid1(VALU_DEP_3)
	v_add_f32_e32 v13, v94, v13
	v_sub_f32_e32 v94, v95, v97
	s_delay_alu instid0(VALU_DEP_2) | instskip(NEXT) | instid1(VALU_DEP_2)
	v_add_f32_e32 v13, v95, v13
	v_sub_f32_e32 v95, v95, v94
	v_sub_f32_e32 v12, v12, v94
	s_delay_alu instid0(VALU_DEP_2) | instskip(NEXT) | instid1(VALU_DEP_1)
	v_dual_add_f32 v98, v96, v13 :: v_dual_sub_f32 v95, v97, v95
	v_sub_f32_e32 v94, v98, v96
	s_delay_alu instid0(VALU_DEP_1) | instskip(NEXT) | instid1(VALU_DEP_1)
	v_dual_add_f32 v12, v12, v95 :: v_dual_sub_f32 v13, v13, v94
	v_add_f32_e32 v12, v12, v13
	s_delay_alu instid0(VALU_DEP_1) | instskip(NEXT) | instid1(VALU_DEP_1)
	v_add_f32_e32 v12, v98, v12
	v_cndmask_b32_e32 v94, v12, v17, vcc_lo
.LBB82_84:                              ;   in Loop: Header=BB82_12 Depth=1
	s_or_b32 exec_lo, exec_lo, s29
	v_lshrrev_b32_e32 v12, 16, v14
	s_delay_alu instid0(VALU_DEP_1) | instskip(NEXT) | instid1(VALU_DEP_1)
	v_cvt_f32_f16_e32 v12, v12
	v_add_f32_e32 v95, s66, v12
	s_delay_alu instid0(VALU_DEP_1) | instskip(SKIP_1) | instid1(SALU_CYCLE_1)
	v_cmp_ge_f32_e32 vcc_lo, 0x41a00000, v95
	s_and_b32 s28, s79, vcc_lo
	s_and_saveexec_b32 s29, s28
	s_cbranch_execz .LBB82_86
; %bb.85:                               ;   in Loop: Header=BB82_12 Depth=1
	v_mul_f32_e32 v12, 0x3fb8aa3b, v95
	v_cmp_ngt_f32_e32 vcc_lo, 0xc2ce8ed0, v95
	s_delay_alu instid0(VALU_DEP_2) | instskip(SKIP_1) | instid1(VALU_DEP_2)
	v_rndne_f32_e32 v13, v12
	v_fma_f32 v14, 0x3fb8aa3b, v95, -v12
	v_sub_f32_e32 v12, v12, v13
	s_delay_alu instid0(VALU_DEP_2) | instskip(SKIP_1) | instid1(VALU_DEP_2)
	v_fmac_f32_e32 v14, 0x32a5705f, v95
	v_cvt_i32_f32_e32 v13, v13
	v_add_f32_e32 v12, v12, v14
	s_delay_alu instid0(VALU_DEP_1) | instskip(SKIP_2) | instid1(VALU_DEP_1)
	v_exp_f32_e32 v12, v12
	s_waitcnt_depctr 0xfff
	v_ldexp_f32 v12, v12, v13
	v_cndmask_b32_e32 v12, 0, v12, vcc_lo
	v_cmp_nlt_f32_e32 vcc_lo, 0x42b17218, v95
	s_delay_alu instid0(VALU_DEP_2) | instskip(NEXT) | instid1(VALU_DEP_1)
	v_cndmask_b32_e32 v14, 0x7f800000, v12, vcc_lo
	v_add_f32_e32 v17, 1.0, v14
	s_delay_alu instid0(VALU_DEP_1) | instskip(NEXT) | instid1(VALU_DEP_1)
	v_cvt_f64_f32_e32 v[12:13], v17
	v_frexp_exp_i32_f64_e32 v12, v[12:13]
	v_frexp_mant_f32_e32 v13, v17
	s_delay_alu instid0(VALU_DEP_1) | instskip(SKIP_1) | instid1(VALU_DEP_1)
	v_cmp_gt_f32_e32 vcc_lo, 0x3f2aaaab, v13
	v_add_f32_e32 v13, -1.0, v17
	v_sub_f32_e32 v96, v13, v17
	v_sub_f32_e32 v13, v14, v13
	v_subrev_co_ci_u32_e32 v12, vcc_lo, 0, v12, vcc_lo
	s_delay_alu instid0(VALU_DEP_1) | instskip(SKIP_1) | instid1(VALU_DEP_2)
	v_sub_nc_u32_e32 v95, 0, v12
	v_cvt_f32_i32_e32 v12, v12
	v_ldexp_f32 v17, v17, v95
	s_delay_alu instid0(VALU_DEP_1) | instskip(NEXT) | instid1(VALU_DEP_1)
	v_dual_add_f32 v96, 1.0, v96 :: v_dual_add_f32 v97, 1.0, v17
	v_dual_add_f32 v13, v13, v96 :: v_dual_add_f32 v96, -1.0, v97
	s_delay_alu instid0(VALU_DEP_1) | instskip(SKIP_4) | instid1(VALU_DEP_4)
	v_ldexp_f32 v13, v13, v95
	v_add_f32_e32 v95, -1.0, v17
	v_cmp_eq_f32_e32 vcc_lo, 0x7f800000, v14
	v_cmp_gt_f32_e64 s28, 0x33800000, v14
	v_sub_f32_e32 v96, v17, v96
	v_add_f32_e32 v98, 1.0, v95
	s_delay_alu instid0(VALU_DEP_3) | instskip(NEXT) | instid1(VALU_DEP_2)
	s_or_b32 vcc_lo, s28, vcc_lo
	v_add_f32_e32 v96, v13, v96
	s_delay_alu instid0(VALU_DEP_2) | instskip(NEXT) | instid1(VALU_DEP_1)
	v_sub_f32_e32 v17, v17, v98
	v_add_f32_e32 v13, v13, v17
	s_delay_alu instid0(VALU_DEP_1) | instskip(NEXT) | instid1(VALU_DEP_1)
	v_dual_add_f32 v99, v95, v13 :: v_dual_add_f32 v98, v97, v96
	v_sub_f32_e32 v95, v95, v99
	s_delay_alu instid0(VALU_DEP_2) | instskip(SKIP_1) | instid1(VALU_DEP_1)
	v_rcp_f32_e32 v17, v98
	v_sub_f32_e32 v97, v97, v98
	v_dual_add_f32 v13, v13, v95 :: v_dual_add_f32 v96, v96, v97
	s_waitcnt_depctr 0xfff
	v_mul_f32_e32 v100, v99, v17
	s_delay_alu instid0(VALU_DEP_1) | instskip(NEXT) | instid1(VALU_DEP_1)
	v_mul_f32_e32 v101, v98, v100
	v_fma_f32 v97, v100, v98, -v101
	s_delay_alu instid0(VALU_DEP_1) | instskip(NEXT) | instid1(VALU_DEP_1)
	v_fmac_f32_e32 v97, v100, v96
	v_add_f32_e32 v102, v101, v97
	s_delay_alu instid0(VALU_DEP_1) | instskip(NEXT) | instid1(VALU_DEP_1)
	v_sub_f32_e32 v103, v99, v102
	v_sub_f32_e32 v99, v99, v103
	;; [unrolled: 1-line block ×3, first 2 shown]
	s_delay_alu instid0(VALU_DEP_2) | instskip(NEXT) | instid1(VALU_DEP_2)
	v_sub_f32_e32 v99, v99, v102
	v_sub_f32_e32 v95, v95, v97
	s_delay_alu instid0(VALU_DEP_2) | instskip(NEXT) | instid1(VALU_DEP_1)
	v_add_f32_e32 v13, v13, v99
	v_add_f32_e32 v13, v95, v13
	s_delay_alu instid0(VALU_DEP_1) | instskip(NEXT) | instid1(VALU_DEP_1)
	v_add_f32_e32 v95, v103, v13
	v_mul_f32_e32 v97, v17, v95
	s_delay_alu instid0(VALU_DEP_1) | instskip(NEXT) | instid1(VALU_DEP_1)
	v_dual_sub_f32 v102, v103, v95 :: v_dual_mul_f32 v99, v98, v97
	v_add_f32_e32 v13, v13, v102
	s_delay_alu instid0(VALU_DEP_2) | instskip(NEXT) | instid1(VALU_DEP_1)
	v_fma_f32 v98, v97, v98, -v99
	v_fmac_f32_e32 v98, v97, v96
	s_delay_alu instid0(VALU_DEP_1) | instskip(NEXT) | instid1(VALU_DEP_1)
	v_add_f32_e32 v96, v99, v98
	v_sub_f32_e32 v101, v95, v96
	v_sub_f32_e32 v99, v96, v99
	s_delay_alu instid0(VALU_DEP_2) | instskip(NEXT) | instid1(VALU_DEP_1)
	v_sub_f32_e32 v95, v95, v101
	v_sub_f32_e32 v95, v95, v96
	s_delay_alu instid0(VALU_DEP_1) | instskip(SKIP_1) | instid1(VALU_DEP_1)
	v_dual_sub_f32 v96, v99, v98 :: v_dual_add_f32 v13, v13, v95
	v_add_f32_e32 v95, v100, v97
	v_dual_add_f32 v13, v96, v13 :: v_dual_sub_f32 v96, v95, v100
	s_delay_alu instid0(VALU_DEP_1) | instskip(NEXT) | instid1(VALU_DEP_2)
	v_add_f32_e32 v13, v101, v13
	v_sub_f32_e32 v96, v97, v96
	s_delay_alu instid0(VALU_DEP_2) | instskip(NEXT) | instid1(VALU_DEP_1)
	v_mul_f32_e32 v13, v17, v13
	v_add_f32_e32 v13, v96, v13
	s_delay_alu instid0(VALU_DEP_1) | instskip(NEXT) | instid1(VALU_DEP_1)
	v_add_f32_e32 v17, v95, v13
	v_mul_f32_e32 v96, v17, v17
	s_delay_alu instid0(VALU_DEP_1) | instskip(SKIP_1) | instid1(VALU_DEP_2)
	v_fmaak_f32 v97, s83, v96, 0x3ecc95a3
	v_mul_f32_e32 v98, v17, v96
	v_fmaak_f32 v96, v96, v97, 0x3f2aaada
	v_ldexp_f32 v97, v17, 1
	s_delay_alu instid0(VALU_DEP_2) | instskip(NEXT) | instid1(VALU_DEP_1)
	v_dual_sub_f32 v17, v17, v95 :: v_dual_mul_f32 v96, v98, v96
	v_dual_mul_f32 v98, 0x3f317218, v12 :: v_dual_sub_f32 v13, v13, v17
	s_delay_alu instid0(VALU_DEP_2) | instskip(NEXT) | instid1(VALU_DEP_2)
	v_add_f32_e32 v95, v97, v96
	v_ldexp_f32 v13, v13, 1
	s_delay_alu instid0(VALU_DEP_2) | instskip(NEXT) | instid1(VALU_DEP_4)
	v_sub_f32_e32 v17, v95, v97
	v_fma_f32 v97, 0x3f317218, v12, -v98
	s_delay_alu instid0(VALU_DEP_2) | instskip(NEXT) | instid1(VALU_DEP_1)
	v_sub_f32_e32 v17, v96, v17
	v_dual_fmac_f32 v97, 0xb102e308, v12 :: v_dual_add_f32 v12, v13, v17
	s_delay_alu instid0(VALU_DEP_1) | instskip(NEXT) | instid1(VALU_DEP_1)
	v_add_f32_e32 v13, v98, v97
	v_dual_add_f32 v17, v95, v12 :: v_dual_sub_f32 v98, v13, v98
	s_delay_alu instid0(VALU_DEP_1) | instskip(SKIP_1) | instid1(VALU_DEP_3)
	v_add_f32_e32 v96, v13, v17
	v_sub_f32_e32 v95, v17, v95
	v_sub_f32_e32 v97, v97, v98
	s_delay_alu instid0(VALU_DEP_3) | instskip(NEXT) | instid1(VALU_DEP_3)
	v_sub_f32_e32 v99, v96, v13
	v_sub_f32_e32 v12, v12, v95
	s_delay_alu instid0(VALU_DEP_2) | instskip(SKIP_1) | instid1(VALU_DEP_3)
	v_sub_f32_e32 v100, v96, v99
	v_sub_f32_e32 v17, v17, v99
	v_add_f32_e32 v95, v97, v12
	s_delay_alu instid0(VALU_DEP_3) | instskip(NEXT) | instid1(VALU_DEP_1)
	v_sub_f32_e32 v13, v13, v100
	v_add_f32_e32 v13, v17, v13
	s_delay_alu instid0(VALU_DEP_3) | instskip(NEXT) | instid1(VALU_DEP_2)
	v_sub_f32_e32 v17, v95, v97
	v_add_f32_e32 v13, v95, v13
	s_delay_alu instid0(VALU_DEP_2) | instskip(SKIP_1) | instid1(VALU_DEP_2)
	v_sub_f32_e32 v95, v95, v17
	v_sub_f32_e32 v12, v12, v17
	v_dual_add_f32 v98, v96, v13 :: v_dual_sub_f32 v95, v97, v95
	s_delay_alu instid0(VALU_DEP_1) | instskip(NEXT) | instid1(VALU_DEP_1)
	v_dual_sub_f32 v17, v98, v96 :: v_dual_add_f32 v12, v12, v95
	v_sub_f32_e32 v13, v13, v17
	s_delay_alu instid0(VALU_DEP_1) | instskip(NEXT) | instid1(VALU_DEP_1)
	v_add_f32_e32 v12, v12, v13
	v_add_f32_e32 v12, v98, v12
	s_delay_alu instid0(VALU_DEP_1)
	v_cndmask_b32_e32 v95, v12, v14, vcc_lo
.LBB82_86:                              ;   in Loop: Header=BB82_12 Depth=1
	s_or_b32 exec_lo, exec_lo, s29
	v_cvt_f32_f16_e32 v12, v15
	s_delay_alu instid0(VALU_DEP_1) | instskip(NEXT) | instid1(VALU_DEP_1)
	v_add_f32_e32 v96, s66, v12
	v_cmp_ge_f32_e32 vcc_lo, 0x41a00000, v96
	s_and_b32 s28, s79, vcc_lo
	s_delay_alu instid0(SALU_CYCLE_1)
	s_and_saveexec_b32 s29, s28
	s_cbranch_execz .LBB82_88
; %bb.87:                               ;   in Loop: Header=BB82_12 Depth=1
	v_mul_f32_e32 v12, 0x3fb8aa3b, v96
	v_cmp_ngt_f32_e32 vcc_lo, 0xc2ce8ed0, v96
	s_delay_alu instid0(VALU_DEP_2) | instskip(SKIP_1) | instid1(VALU_DEP_2)
	v_rndne_f32_e32 v13, v12
	v_fma_f32 v14, 0x3fb8aa3b, v96, -v12
	v_sub_f32_e32 v12, v12, v13
	s_delay_alu instid0(VALU_DEP_2) | instskip(SKIP_1) | instid1(VALU_DEP_2)
	v_fmac_f32_e32 v14, 0x32a5705f, v96
	v_cvt_i32_f32_e32 v13, v13
	v_add_f32_e32 v12, v12, v14
	s_delay_alu instid0(VALU_DEP_1) | instskip(SKIP_2) | instid1(VALU_DEP_1)
	v_exp_f32_e32 v12, v12
	s_waitcnt_depctr 0xfff
	v_ldexp_f32 v12, v12, v13
	v_cndmask_b32_e32 v12, 0, v12, vcc_lo
	v_cmp_nlt_f32_e32 vcc_lo, 0x42b17218, v96
	s_delay_alu instid0(VALU_DEP_2) | instskip(NEXT) | instid1(VALU_DEP_1)
	v_cndmask_b32_e32 v14, 0x7f800000, v12, vcc_lo
	v_add_f32_e32 v17, 1.0, v14
	s_delay_alu instid0(VALU_DEP_1) | instskip(NEXT) | instid1(VALU_DEP_1)
	v_cvt_f64_f32_e32 v[12:13], v17
	v_frexp_exp_i32_f64_e32 v12, v[12:13]
	v_frexp_mant_f32_e32 v13, v17
	s_delay_alu instid0(VALU_DEP_1) | instskip(SKIP_1) | instid1(VALU_DEP_1)
	v_cmp_gt_f32_e32 vcc_lo, 0x3f2aaaab, v13
	v_add_f32_e32 v13, -1.0, v17
	v_sub_f32_e32 v97, v13, v17
	s_delay_alu instid0(VALU_DEP_1) | instskip(SKIP_2) | instid1(VALU_DEP_2)
	v_add_f32_e32 v97, 1.0, v97
	v_sub_f32_e32 v13, v14, v13
	v_cmp_gt_f32_e64 s28, 0x33800000, v14
	v_add_f32_e32 v13, v13, v97
	v_subrev_co_ci_u32_e32 v12, vcc_lo, 0, v12, vcc_lo
	v_cmp_eq_f32_e32 vcc_lo, 0x7f800000, v14
	s_delay_alu instid0(VALU_DEP_2) | instskip(SKIP_2) | instid1(VALU_DEP_2)
	v_sub_nc_u32_e32 v96, 0, v12
	v_cvt_f32_i32_e32 v12, v12
	s_or_b32 vcc_lo, s28, vcc_lo
	v_ldexp_f32 v17, v17, v96
	v_ldexp_f32 v13, v13, v96
	s_delay_alu instid0(VALU_DEP_2) | instskip(NEXT) | instid1(VALU_DEP_1)
	v_add_f32_e32 v96, -1.0, v17
	v_dual_add_f32 v98, 1.0, v17 :: v_dual_add_f32 v99, 1.0, v96
	s_delay_alu instid0(VALU_DEP_1) | instskip(NEXT) | instid1(VALU_DEP_1)
	v_add_f32_e32 v97, -1.0, v98
	v_sub_f32_e32 v97, v17, v97
	s_delay_alu instid0(VALU_DEP_3) | instskip(NEXT) | instid1(VALU_DEP_2)
	v_sub_f32_e32 v17, v17, v99
	v_add_f32_e32 v97, v13, v97
	s_delay_alu instid0(VALU_DEP_2) | instskip(NEXT) | instid1(VALU_DEP_1)
	v_add_f32_e32 v13, v13, v17
	v_add_f32_e32 v100, v96, v13
	s_delay_alu instid0(VALU_DEP_1) | instskip(NEXT) | instid1(VALU_DEP_1)
	v_dual_sub_f32 v96, v96, v100 :: v_dual_add_f32 v99, v98, v97
	v_add_f32_e32 v13, v13, v96
	s_delay_alu instid0(VALU_DEP_2) | instskip(SKIP_1) | instid1(VALU_DEP_1)
	v_rcp_f32_e32 v17, v99
	v_sub_f32_e32 v98, v98, v99
	v_add_f32_e32 v97, v97, v98
	s_waitcnt_depctr 0xfff
	v_mul_f32_e32 v101, v100, v17
	s_delay_alu instid0(VALU_DEP_1) | instskip(NEXT) | instid1(VALU_DEP_1)
	v_mul_f32_e32 v102, v99, v101
	v_fma_f32 v98, v101, v99, -v102
	s_delay_alu instid0(VALU_DEP_1) | instskip(NEXT) | instid1(VALU_DEP_1)
	v_fmac_f32_e32 v98, v101, v97
	v_add_f32_e32 v103, v102, v98
	s_delay_alu instid0(VALU_DEP_1) | instskip(SKIP_1) | instid1(VALU_DEP_2)
	v_sub_f32_e32 v104, v100, v103
	v_sub_f32_e32 v96, v103, v102
	;; [unrolled: 1-line block ×3, first 2 shown]
	s_delay_alu instid0(VALU_DEP_1) | instskip(NEXT) | instid1(VALU_DEP_1)
	v_sub_f32_e32 v100, v100, v103
	v_dual_sub_f32 v96, v96, v98 :: v_dual_add_f32 v13, v13, v100
	s_delay_alu instid0(VALU_DEP_1) | instskip(NEXT) | instid1(VALU_DEP_1)
	v_add_f32_e32 v13, v96, v13
	v_add_f32_e32 v96, v104, v13
	s_delay_alu instid0(VALU_DEP_1) | instskip(NEXT) | instid1(VALU_DEP_1)
	v_mul_f32_e32 v98, v17, v96
	v_dual_sub_f32 v103, v104, v96 :: v_dual_mul_f32 v100, v99, v98
	s_delay_alu instid0(VALU_DEP_1) | instskip(NEXT) | instid1(VALU_DEP_2)
	v_add_f32_e32 v13, v13, v103
	v_fma_f32 v99, v98, v99, -v100
	s_delay_alu instid0(VALU_DEP_1) | instskip(NEXT) | instid1(VALU_DEP_1)
	v_fmac_f32_e32 v99, v98, v97
	v_add_f32_e32 v97, v100, v99
	s_delay_alu instid0(VALU_DEP_1) | instskip(NEXT) | instid1(VALU_DEP_1)
	v_sub_f32_e32 v102, v96, v97
	v_sub_f32_e32 v96, v96, v102
	s_delay_alu instid0(VALU_DEP_1) | instskip(NEXT) | instid1(VALU_DEP_1)
	v_sub_f32_e32 v96, v96, v97
	v_add_f32_e32 v13, v13, v96
	v_add_f32_e32 v96, v101, v98
	v_sub_f32_e32 v100, v97, v100
	s_delay_alu instid0(VALU_DEP_1) | instskip(NEXT) | instid1(VALU_DEP_1)
	v_sub_f32_e32 v97, v100, v99
	v_add_f32_e32 v13, v97, v13
	s_delay_alu instid0(VALU_DEP_4) | instskip(NEXT) | instid1(VALU_DEP_2)
	v_sub_f32_e32 v97, v96, v101
	v_add_f32_e32 v13, v102, v13
	s_delay_alu instid0(VALU_DEP_2) | instskip(NEXT) | instid1(VALU_DEP_2)
	v_sub_f32_e32 v97, v98, v97
	v_mul_f32_e32 v13, v17, v13
	s_delay_alu instid0(VALU_DEP_1) | instskip(NEXT) | instid1(VALU_DEP_1)
	v_add_f32_e32 v13, v97, v13
	v_add_f32_e32 v17, v96, v13
	s_delay_alu instid0(VALU_DEP_1) | instskip(NEXT) | instid1(VALU_DEP_1)
	v_mul_f32_e32 v97, v17, v17
	v_fmaak_f32 v98, s83, v97, 0x3ecc95a3
	v_mul_f32_e32 v99, v17, v97
	s_delay_alu instid0(VALU_DEP_2) | instskip(SKIP_1) | instid1(VALU_DEP_2)
	v_fmaak_f32 v97, v97, v98, 0x3f2aaada
	v_ldexp_f32 v98, v17, 1
	v_mul_f32_e32 v97, v99, v97
	s_delay_alu instid0(VALU_DEP_1) | instskip(NEXT) | instid1(VALU_DEP_1)
	v_dual_sub_f32 v17, v17, v96 :: v_dual_add_f32 v96, v98, v97
	v_sub_f32_e32 v13, v13, v17
	s_delay_alu instid0(VALU_DEP_2) | instskip(NEXT) | instid1(VALU_DEP_2)
	v_sub_f32_e32 v17, v96, v98
	v_ldexp_f32 v13, v13, 1
	s_delay_alu instid0(VALU_DEP_2) | instskip(SKIP_1) | instid1(VALU_DEP_1)
	v_sub_f32_e32 v17, v97, v17
	v_mul_f32_e32 v99, 0x3f317218, v12
	v_fma_f32 v98, 0x3f317218, v12, -v99
	s_delay_alu instid0(VALU_DEP_1) | instskip(NEXT) | instid1(VALU_DEP_1)
	v_fmac_f32_e32 v98, 0xb102e308, v12
	v_dual_add_f32 v12, v13, v17 :: v_dual_add_f32 v13, v99, v98
	s_delay_alu instid0(VALU_DEP_1) | instskip(NEXT) | instid1(VALU_DEP_1)
	v_add_f32_e32 v17, v96, v12
	v_add_f32_e32 v97, v13, v17
	v_sub_f32_e32 v96, v17, v96
	s_delay_alu instid0(VALU_DEP_2) | instskip(NEXT) | instid1(VALU_DEP_2)
	v_sub_f32_e32 v100, v97, v13
	v_dual_sub_f32 v12, v12, v96 :: v_dual_sub_f32 v99, v13, v99
	s_delay_alu instid0(VALU_DEP_2) | instskip(NEXT) | instid1(VALU_DEP_2)
	v_sub_f32_e32 v101, v97, v100
	v_dual_sub_f32 v17, v17, v100 :: v_dual_sub_f32 v98, v98, v99
	s_delay_alu instid0(VALU_DEP_1) | instskip(NEXT) | instid1(VALU_DEP_1)
	v_dual_sub_f32 v13, v13, v101 :: v_dual_add_f32 v96, v98, v12
	v_add_f32_e32 v13, v17, v13
	s_delay_alu instid0(VALU_DEP_2) | instskip(NEXT) | instid1(VALU_DEP_2)
	v_sub_f32_e32 v17, v96, v98
	v_add_f32_e32 v13, v96, v13
	s_delay_alu instid0(VALU_DEP_2) | instskip(SKIP_1) | instid1(VALU_DEP_2)
	v_sub_f32_e32 v96, v96, v17
	v_sub_f32_e32 v12, v12, v17
	v_dual_add_f32 v99, v97, v13 :: v_dual_sub_f32 v96, v98, v96
	s_delay_alu instid0(VALU_DEP_1) | instskip(NEXT) | instid1(VALU_DEP_1)
	v_dual_sub_f32 v17, v99, v97 :: v_dual_add_f32 v12, v12, v96
	v_sub_f32_e32 v13, v13, v17
	s_delay_alu instid0(VALU_DEP_1) | instskip(NEXT) | instid1(VALU_DEP_1)
	v_add_f32_e32 v12, v12, v13
	v_add_f32_e32 v12, v99, v12
	s_delay_alu instid0(VALU_DEP_1)
	v_cndmask_b32_e32 v96, v12, v14, vcc_lo
.LBB82_88:                              ;   in Loop: Header=BB82_12 Depth=1
	s_or_b32 exec_lo, exec_lo, s29
	v_lshrrev_b32_e32 v12, 16, v15
	s_delay_alu instid0(VALU_DEP_1) | instskip(NEXT) | instid1(VALU_DEP_1)
	v_cvt_f32_f16_e32 v12, v12
	v_add_f32_e32 v97, s66, v12
	s_delay_alu instid0(VALU_DEP_1) | instskip(SKIP_1) | instid1(SALU_CYCLE_1)
	v_cmp_ge_f32_e32 vcc_lo, 0x41a00000, v97
	s_and_b32 s28, s79, vcc_lo
	s_and_saveexec_b32 s29, s28
	s_cbranch_execz .LBB82_90
; %bb.89:                               ;   in Loop: Header=BB82_12 Depth=1
	v_mul_f32_e32 v12, 0x3fb8aa3b, v97
	v_cmp_ngt_f32_e32 vcc_lo, 0xc2ce8ed0, v97
	s_delay_alu instid0(VALU_DEP_2) | instskip(SKIP_1) | instid1(VALU_DEP_2)
	v_rndne_f32_e32 v13, v12
	v_fma_f32 v14, 0x3fb8aa3b, v97, -v12
	v_sub_f32_e32 v12, v12, v13
	s_delay_alu instid0(VALU_DEP_2) | instskip(SKIP_1) | instid1(VALU_DEP_2)
	v_fmac_f32_e32 v14, 0x32a5705f, v97
	v_cvt_i32_f32_e32 v13, v13
	v_add_f32_e32 v12, v12, v14
	s_delay_alu instid0(VALU_DEP_1) | instskip(SKIP_2) | instid1(VALU_DEP_1)
	v_exp_f32_e32 v12, v12
	s_waitcnt_depctr 0xfff
	v_ldexp_f32 v12, v12, v13
	v_cndmask_b32_e32 v12, 0, v12, vcc_lo
	v_cmp_nlt_f32_e32 vcc_lo, 0x42b17218, v97
	s_delay_alu instid0(VALU_DEP_2) | instskip(NEXT) | instid1(VALU_DEP_1)
	v_cndmask_b32_e32 v14, 0x7f800000, v12, vcc_lo
	v_add_f32_e32 v15, 1.0, v14
	s_delay_alu instid0(VALU_DEP_1) | instskip(NEXT) | instid1(VALU_DEP_1)
	v_cvt_f64_f32_e32 v[12:13], v15
	v_frexp_exp_i32_f64_e32 v12, v[12:13]
	v_frexp_mant_f32_e32 v13, v15
	s_delay_alu instid0(VALU_DEP_1) | instskip(SKIP_1) | instid1(VALU_DEP_1)
	v_cmp_gt_f32_e32 vcc_lo, 0x3f2aaaab, v13
	v_add_f32_e32 v13, -1.0, v15
	v_sub_f32_e32 v97, v13, v15
	v_sub_f32_e32 v13, v14, v13
	s_delay_alu instid0(VALU_DEP_2) | instskip(NEXT) | instid1(VALU_DEP_1)
	v_add_f32_e32 v97, 1.0, v97
	v_add_f32_e32 v13, v13, v97
	v_cmp_gt_f32_e64 s28, 0x33800000, v14
	v_subrev_co_ci_u32_e32 v12, vcc_lo, 0, v12, vcc_lo
	v_cmp_eq_f32_e32 vcc_lo, 0x7f800000, v14
	s_delay_alu instid0(VALU_DEP_2) | instskip(SKIP_2) | instid1(VALU_DEP_2)
	v_sub_nc_u32_e32 v17, 0, v12
	v_cvt_f32_i32_e32 v12, v12
	s_or_b32 vcc_lo, s28, vcc_lo
	v_ldexp_f32 v15, v15, v17
	v_ldexp_f32 v13, v13, v17
	s_delay_alu instid0(VALU_DEP_2) | instskip(SKIP_1) | instid1(VALU_DEP_2)
	v_add_f32_e32 v98, 1.0, v15
	v_add_f32_e32 v17, -1.0, v15
	v_add_f32_e32 v97, -1.0, v98
	s_delay_alu instid0(VALU_DEP_2) | instskip(NEXT) | instid1(VALU_DEP_2)
	v_add_f32_e32 v99, 1.0, v17
	v_sub_f32_e32 v97, v15, v97
	s_delay_alu instid0(VALU_DEP_2) | instskip(NEXT) | instid1(VALU_DEP_2)
	v_sub_f32_e32 v15, v15, v99
	v_add_f32_e32 v97, v13, v97
	s_delay_alu instid0(VALU_DEP_2) | instskip(NEXT) | instid1(VALU_DEP_1)
	v_add_f32_e32 v13, v13, v15
	v_add_f32_e32 v100, v17, v13
	s_delay_alu instid0(VALU_DEP_3) | instskip(NEXT) | instid1(VALU_DEP_1)
	v_add_f32_e32 v99, v98, v97
	v_rcp_f32_e32 v15, v99
	v_sub_f32_e32 v98, v98, v99
	s_delay_alu instid0(VALU_DEP_1) | instskip(SKIP_2) | instid1(VALU_DEP_1)
	v_add_f32_e32 v97, v97, v98
	s_waitcnt_depctr 0xfff
	v_mul_f32_e32 v101, v100, v15
	v_dual_mul_f32 v102, v99, v101 :: v_dual_sub_f32 v17, v17, v100
	s_delay_alu instid0(VALU_DEP_1) | instskip(NEXT) | instid1(VALU_DEP_2)
	v_fma_f32 v98, v101, v99, -v102
	v_add_f32_e32 v13, v13, v17
	s_delay_alu instid0(VALU_DEP_2) | instskip(NEXT) | instid1(VALU_DEP_1)
	v_fmac_f32_e32 v98, v101, v97
	v_add_f32_e32 v103, v102, v98
	s_delay_alu instid0(VALU_DEP_1) | instskip(NEXT) | instid1(VALU_DEP_1)
	v_dual_sub_f32 v104, v100, v103 :: v_dual_sub_f32 v17, v103, v102
	v_dual_sub_f32 v100, v100, v104 :: v_dual_sub_f32 v17, v17, v98
	s_delay_alu instid0(VALU_DEP_1) | instskip(NEXT) | instid1(VALU_DEP_1)
	v_sub_f32_e32 v100, v100, v103
	v_add_f32_e32 v13, v13, v100
	s_delay_alu instid0(VALU_DEP_1) | instskip(NEXT) | instid1(VALU_DEP_1)
	v_add_f32_e32 v13, v17, v13
	v_add_f32_e32 v17, v104, v13
	s_delay_alu instid0(VALU_DEP_1) | instskip(NEXT) | instid1(VALU_DEP_1)
	v_mul_f32_e32 v98, v15, v17
	v_dual_sub_f32 v103, v104, v17 :: v_dual_mul_f32 v100, v99, v98
	s_delay_alu instid0(VALU_DEP_1) | instskip(NEXT) | instid1(VALU_DEP_2)
	v_add_f32_e32 v13, v13, v103
	v_fma_f32 v99, v98, v99, -v100
	s_delay_alu instid0(VALU_DEP_1) | instskip(NEXT) | instid1(VALU_DEP_1)
	v_fmac_f32_e32 v99, v98, v97
	v_add_f32_e32 v97, v100, v99
	s_delay_alu instid0(VALU_DEP_1) | instskip(SKIP_1) | instid1(VALU_DEP_2)
	v_sub_f32_e32 v102, v17, v97
	v_sub_f32_e32 v100, v97, v100
	;; [unrolled: 1-line block ×3, first 2 shown]
	s_delay_alu instid0(VALU_DEP_1) | instskip(NEXT) | instid1(VALU_DEP_3)
	v_sub_f32_e32 v17, v17, v97
	v_sub_f32_e32 v97, v100, v99
	s_delay_alu instid0(VALU_DEP_2) | instskip(SKIP_1) | instid1(VALU_DEP_2)
	v_add_f32_e32 v13, v13, v17
	v_add_f32_e32 v17, v101, v98
	;; [unrolled: 1-line block ×3, first 2 shown]
	s_delay_alu instid0(VALU_DEP_2) | instskip(NEXT) | instid1(VALU_DEP_2)
	v_sub_f32_e32 v97, v17, v101
	v_add_f32_e32 v13, v102, v13
	s_delay_alu instid0(VALU_DEP_2) | instskip(NEXT) | instid1(VALU_DEP_2)
	v_sub_f32_e32 v97, v98, v97
	v_mul_f32_e32 v13, v15, v13
	s_delay_alu instid0(VALU_DEP_1) | instskip(NEXT) | instid1(VALU_DEP_1)
	v_add_f32_e32 v13, v97, v13
	v_add_f32_e32 v15, v17, v13
	s_delay_alu instid0(VALU_DEP_1) | instskip(NEXT) | instid1(VALU_DEP_1)
	v_mul_f32_e32 v97, v15, v15
	v_fmaak_f32 v98, s83, v97, 0x3ecc95a3
	v_mul_f32_e32 v99, v15, v97
	s_delay_alu instid0(VALU_DEP_2) | instskip(SKIP_2) | instid1(VALU_DEP_3)
	v_fmaak_f32 v97, v97, v98, 0x3f2aaada
	v_ldexp_f32 v98, v15, 1
	v_sub_f32_e32 v15, v15, v17
	v_mul_f32_e32 v97, v99, v97
	v_mul_f32_e32 v99, 0x3f317218, v12
	s_delay_alu instid0(VALU_DEP_3) | instskip(NEXT) | instid1(VALU_DEP_3)
	v_sub_f32_e32 v13, v13, v15
	v_add_f32_e32 v17, v98, v97
	s_delay_alu instid0(VALU_DEP_2) | instskip(NEXT) | instid1(VALU_DEP_2)
	v_ldexp_f32 v13, v13, 1
	v_sub_f32_e32 v15, v17, v98
	v_fma_f32 v98, 0x3f317218, v12, -v99
	s_delay_alu instid0(VALU_DEP_1) | instskip(NEXT) | instid1(VALU_DEP_1)
	v_dual_sub_f32 v15, v97, v15 :: v_dual_fmac_f32 v98, 0xb102e308, v12
	v_dual_add_f32 v12, v13, v15 :: v_dual_add_f32 v13, v99, v98
	s_delay_alu instid0(VALU_DEP_1) | instskip(NEXT) | instid1(VALU_DEP_1)
	v_add_f32_e32 v15, v17, v12
	v_add_f32_e32 v97, v13, v15
	v_sub_f32_e32 v17, v15, v17
	s_delay_alu instid0(VALU_DEP_2) | instskip(NEXT) | instid1(VALU_DEP_2)
	v_sub_f32_e32 v100, v97, v13
	v_dual_sub_f32 v99, v13, v99 :: v_dual_sub_f32 v12, v12, v17
	s_delay_alu instid0(VALU_DEP_1) | instskip(SKIP_1) | instid1(VALU_DEP_2)
	v_dual_sub_f32 v101, v97, v100 :: v_dual_sub_f32 v98, v98, v99
	v_sub_f32_e32 v15, v15, v100
	v_sub_f32_e32 v13, v13, v101
	s_delay_alu instid0(VALU_DEP_3) | instskip(NEXT) | instid1(VALU_DEP_2)
	v_add_f32_e32 v17, v98, v12
	v_add_f32_e32 v13, v15, v13
	s_delay_alu instid0(VALU_DEP_2) | instskip(NEXT) | instid1(VALU_DEP_2)
	v_sub_f32_e32 v15, v17, v98
	v_add_f32_e32 v13, v17, v13
	s_delay_alu instid0(VALU_DEP_2) | instskip(NEXT) | instid1(VALU_DEP_2)
	v_sub_f32_e32 v17, v17, v15
	v_dual_sub_f32 v12, v12, v15 :: v_dual_add_f32 v99, v97, v13
	s_delay_alu instid0(VALU_DEP_2) | instskip(NEXT) | instid1(VALU_DEP_2)
	v_sub_f32_e32 v17, v98, v17
	v_sub_f32_e32 v15, v99, v97
	s_delay_alu instid0(VALU_DEP_1) | instskip(NEXT) | instid1(VALU_DEP_1)
	v_dual_add_f32 v12, v12, v17 :: v_dual_sub_f32 v13, v13, v15
	v_add_f32_e32 v12, v12, v13
	s_delay_alu instid0(VALU_DEP_1) | instskip(NEXT) | instid1(VALU_DEP_1)
	v_add_f32_e32 v12, v99, v12
	v_cndmask_b32_e32 v97, v12, v14, vcc_lo
.LBB82_90:                              ;   in Loop: Header=BB82_12 Depth=1
	s_or_b32 exec_lo, exec_lo, s29
	s_waitcnt lgkmcnt(0)
	v_cvt_f32_f16_e32 v12, v8
	s_delay_alu instid0(VALU_DEP_1) | instskip(NEXT) | instid1(VALU_DEP_1)
	v_add_f32_e32 v98, s66, v12
	v_cmp_ge_f32_e32 vcc_lo, 0x41a00000, v98
	s_and_b32 s28, s79, vcc_lo
	s_delay_alu instid0(SALU_CYCLE_1)
	s_and_saveexec_b32 s29, s28
	s_cbranch_execz .LBB82_92
; %bb.91:                               ;   in Loop: Header=BB82_12 Depth=1
	v_mul_f32_e32 v12, 0x3fb8aa3b, v98
	v_cmp_ngt_f32_e32 vcc_lo, 0xc2ce8ed0, v98
	s_delay_alu instid0(VALU_DEP_2) | instskip(SKIP_1) | instid1(VALU_DEP_2)
	v_rndne_f32_e32 v13, v12
	v_fma_f32 v14, 0x3fb8aa3b, v98, -v12
	v_sub_f32_e32 v12, v12, v13
	s_delay_alu instid0(VALU_DEP_2) | instskip(SKIP_1) | instid1(VALU_DEP_2)
	v_fmac_f32_e32 v14, 0x32a5705f, v98
	v_cvt_i32_f32_e32 v13, v13
	v_add_f32_e32 v12, v12, v14
	s_delay_alu instid0(VALU_DEP_1) | instskip(SKIP_2) | instid1(VALU_DEP_1)
	v_exp_f32_e32 v12, v12
	s_waitcnt_depctr 0xfff
	v_ldexp_f32 v12, v12, v13
	v_cndmask_b32_e32 v12, 0, v12, vcc_lo
	v_cmp_nlt_f32_e32 vcc_lo, 0x42b17218, v98
	s_delay_alu instid0(VALU_DEP_2) | instskip(NEXT) | instid1(VALU_DEP_1)
	v_cndmask_b32_e32 v14, 0x7f800000, v12, vcc_lo
	v_add_f32_e32 v15, 1.0, v14
	s_delay_alu instid0(VALU_DEP_1) | instskip(NEXT) | instid1(VALU_DEP_1)
	v_cvt_f64_f32_e32 v[12:13], v15
	v_frexp_exp_i32_f64_e32 v12, v[12:13]
	v_frexp_mant_f32_e32 v13, v15
	s_delay_alu instid0(VALU_DEP_1) | instskip(SKIP_1) | instid1(VALU_DEP_1)
	v_cmp_gt_f32_e32 vcc_lo, 0x3f2aaaab, v13
	v_add_f32_e32 v13, -1.0, v15
	v_dual_sub_f32 v98, v13, v15 :: v_dual_sub_f32 v13, v14, v13
	s_delay_alu instid0(VALU_DEP_1) | instskip(NEXT) | instid1(VALU_DEP_1)
	v_add_f32_e32 v98, 1.0, v98
	v_add_f32_e32 v13, v13, v98
	v_subrev_co_ci_u32_e32 v12, vcc_lo, 0, v12, vcc_lo
	s_delay_alu instid0(VALU_DEP_1) | instskip(SKIP_1) | instid1(VALU_DEP_2)
	v_sub_nc_u32_e32 v17, 0, v12
	v_cvt_f32_i32_e32 v12, v12
	v_ldexp_f32 v15, v15, v17
	v_ldexp_f32 v13, v13, v17
	s_delay_alu instid0(VALU_DEP_2) | instskip(SKIP_3) | instid1(VALU_DEP_4)
	v_add_f32_e32 v99, 1.0, v15
	v_add_f32_e32 v17, -1.0, v15
	v_cmp_eq_f32_e32 vcc_lo, 0x7f800000, v14
	v_cmp_gt_f32_e64 s28, 0x33800000, v14
	v_add_f32_e32 v98, -1.0, v99
	s_delay_alu instid0(VALU_DEP_4) | instskip(NEXT) | instid1(VALU_DEP_3)
	v_add_f32_e32 v100, 1.0, v17
	s_or_b32 vcc_lo, s28, vcc_lo
	s_delay_alu instid0(VALU_DEP_2) | instskip(NEXT) | instid1(VALU_DEP_1)
	v_sub_f32_e32 v98, v15, v98
	v_dual_sub_f32 v15, v15, v100 :: v_dual_add_f32 v98, v13, v98
	s_delay_alu instid0(VALU_DEP_1) | instskip(NEXT) | instid1(VALU_DEP_1)
	v_add_f32_e32 v13, v13, v15
	v_dual_add_f32 v101, v17, v13 :: v_dual_add_f32 v100, v99, v98
	s_delay_alu instid0(VALU_DEP_1) | instskip(NEXT) | instid1(VALU_DEP_2)
	v_sub_f32_e32 v17, v17, v101
	v_rcp_f32_e32 v15, v100
	v_sub_f32_e32 v99, v99, v100
	s_delay_alu instid0(VALU_DEP_1) | instskip(SKIP_2) | instid1(VALU_DEP_1)
	v_dual_add_f32 v98, v98, v99 :: v_dual_add_f32 v13, v13, v17
	s_waitcnt_depctr 0xfff
	v_mul_f32_e32 v102, v101, v15
	v_mul_f32_e32 v103, v100, v102
	s_delay_alu instid0(VALU_DEP_1) | instskip(NEXT) | instid1(VALU_DEP_1)
	v_fma_f32 v99, v102, v100, -v103
	v_fmac_f32_e32 v99, v102, v98
	s_delay_alu instid0(VALU_DEP_1) | instskip(NEXT) | instid1(VALU_DEP_1)
	v_add_f32_e32 v104, v103, v99
	v_sub_f32_e32 v105, v101, v104
	s_delay_alu instid0(VALU_DEP_1) | instskip(SKIP_1) | instid1(VALU_DEP_2)
	v_sub_f32_e32 v101, v101, v105
	v_sub_f32_e32 v17, v104, v103
	;; [unrolled: 1-line block ×3, first 2 shown]
	s_delay_alu instid0(VALU_DEP_2) | instskip(NEXT) | instid1(VALU_DEP_2)
	v_sub_f32_e32 v17, v17, v99
	v_add_f32_e32 v13, v13, v101
	s_delay_alu instid0(VALU_DEP_1) | instskip(NEXT) | instid1(VALU_DEP_1)
	v_add_f32_e32 v13, v17, v13
	v_add_f32_e32 v17, v105, v13
	s_delay_alu instid0(VALU_DEP_1) | instskip(NEXT) | instid1(VALU_DEP_1)
	v_mul_f32_e32 v99, v15, v17
	v_dual_sub_f32 v104, v105, v17 :: v_dual_mul_f32 v101, v100, v99
	s_delay_alu instid0(VALU_DEP_1) | instskip(NEXT) | instid1(VALU_DEP_2)
	v_add_f32_e32 v13, v13, v104
	v_fma_f32 v100, v99, v100, -v101
	s_delay_alu instid0(VALU_DEP_1) | instskip(NEXT) | instid1(VALU_DEP_1)
	v_fmac_f32_e32 v100, v99, v98
	v_add_f32_e32 v98, v101, v100
	s_delay_alu instid0(VALU_DEP_1) | instskip(NEXT) | instid1(VALU_DEP_1)
	v_sub_f32_e32 v103, v17, v98
	v_sub_f32_e32 v17, v17, v103
	s_delay_alu instid0(VALU_DEP_1) | instskip(NEXT) | instid1(VALU_DEP_1)
	v_sub_f32_e32 v17, v17, v98
	v_add_f32_e32 v13, v13, v17
	v_add_f32_e32 v17, v102, v99
	v_sub_f32_e32 v101, v98, v101
	s_delay_alu instid0(VALU_DEP_1) | instskip(NEXT) | instid1(VALU_DEP_1)
	v_sub_f32_e32 v98, v101, v100
	v_dual_add_f32 v13, v98, v13 :: v_dual_sub_f32 v98, v17, v102
	s_delay_alu instid0(VALU_DEP_1) | instskip(NEXT) | instid1(VALU_DEP_2)
	v_add_f32_e32 v13, v103, v13
	v_sub_f32_e32 v98, v99, v98
	s_delay_alu instid0(VALU_DEP_2) | instskip(NEXT) | instid1(VALU_DEP_1)
	v_mul_f32_e32 v13, v15, v13
	v_add_f32_e32 v13, v98, v13
	s_delay_alu instid0(VALU_DEP_1) | instskip(NEXT) | instid1(VALU_DEP_1)
	v_add_f32_e32 v15, v17, v13
	v_mul_f32_e32 v98, v15, v15
	s_delay_alu instid0(VALU_DEP_1) | instskip(SKIP_1) | instid1(VALU_DEP_2)
	v_fmaak_f32 v99, s83, v98, 0x3ecc95a3
	v_mul_f32_e32 v100, v15, v98
	v_fmaak_f32 v98, v98, v99, 0x3f2aaada
	v_ldexp_f32 v99, v15, 1
	s_delay_alu instid0(VALU_DEP_2) | instskip(NEXT) | instid1(VALU_DEP_1)
	v_dual_sub_f32 v15, v15, v17 :: v_dual_mul_f32 v98, v100, v98
	v_dual_mul_f32 v100, 0x3f317218, v12 :: v_dual_sub_f32 v13, v13, v15
	s_delay_alu instid0(VALU_DEP_2) | instskip(NEXT) | instid1(VALU_DEP_2)
	v_add_f32_e32 v17, v99, v98
	v_ldexp_f32 v13, v13, 1
	s_delay_alu instid0(VALU_DEP_2) | instskip(NEXT) | instid1(VALU_DEP_4)
	v_sub_f32_e32 v15, v17, v99
	v_fma_f32 v99, 0x3f317218, v12, -v100
	s_delay_alu instid0(VALU_DEP_2) | instskip(NEXT) | instid1(VALU_DEP_1)
	v_sub_f32_e32 v15, v98, v15
	v_dual_fmac_f32 v99, 0xb102e308, v12 :: v_dual_add_f32 v12, v13, v15
	s_delay_alu instid0(VALU_DEP_1) | instskip(NEXT) | instid1(VALU_DEP_2)
	v_add_f32_e32 v13, v100, v99
	v_add_f32_e32 v15, v17, v12
	s_delay_alu instid0(VALU_DEP_2) | instskip(NEXT) | instid1(VALU_DEP_2)
	v_sub_f32_e32 v100, v13, v100
	v_dual_add_f32 v98, v13, v15 :: v_dual_sub_f32 v17, v15, v17
	s_delay_alu instid0(VALU_DEP_2) | instskip(NEXT) | instid1(VALU_DEP_2)
	v_sub_f32_e32 v99, v99, v100
	v_sub_f32_e32 v101, v98, v13
	s_delay_alu instid0(VALU_DEP_3) | instskip(NEXT) | instid1(VALU_DEP_2)
	v_sub_f32_e32 v12, v12, v17
	v_sub_f32_e32 v102, v98, v101
	;; [unrolled: 1-line block ×3, first 2 shown]
	s_delay_alu instid0(VALU_DEP_3) | instskip(NEXT) | instid1(VALU_DEP_3)
	v_add_f32_e32 v17, v99, v12
	v_sub_f32_e32 v13, v13, v102
	s_delay_alu instid0(VALU_DEP_1) | instskip(NEXT) | instid1(VALU_DEP_3)
	v_add_f32_e32 v13, v15, v13
	v_sub_f32_e32 v15, v17, v99
	s_delay_alu instid0(VALU_DEP_2) | instskip(NEXT) | instid1(VALU_DEP_2)
	v_add_f32_e32 v13, v17, v13
	v_sub_f32_e32 v17, v17, v15
	v_sub_f32_e32 v12, v12, v15
	s_delay_alu instid0(VALU_DEP_3) | instskip(NEXT) | instid1(VALU_DEP_3)
	v_add_f32_e32 v100, v98, v13
	v_sub_f32_e32 v17, v99, v17
	s_delay_alu instid0(VALU_DEP_2) | instskip(NEXT) | instid1(VALU_DEP_1)
	v_sub_f32_e32 v15, v100, v98
	v_dual_add_f32 v12, v12, v17 :: v_dual_sub_f32 v13, v13, v15
	s_delay_alu instid0(VALU_DEP_1) | instskip(NEXT) | instid1(VALU_DEP_1)
	v_add_f32_e32 v12, v12, v13
	v_add_f32_e32 v12, v100, v12
	s_delay_alu instid0(VALU_DEP_1)
	v_cndmask_b32_e32 v98, v12, v14, vcc_lo
.LBB82_92:                              ;   in Loop: Header=BB82_12 Depth=1
	s_or_b32 exec_lo, exec_lo, s29
	v_lshrrev_b32_e32 v8, 16, v8
	s_delay_alu instid0(VALU_DEP_1) | instskip(NEXT) | instid1(VALU_DEP_1)
	v_cvt_f32_f16_e32 v8, v8
	v_add_f32_e32 v99, s66, v8
	s_delay_alu instid0(VALU_DEP_1) | instskip(SKIP_1) | instid1(SALU_CYCLE_1)
	v_cmp_ge_f32_e32 vcc_lo, 0x41a00000, v99
	s_and_b32 s28, s79, vcc_lo
	s_and_saveexec_b32 s29, s28
	s_cbranch_execz .LBB82_94
; %bb.93:                               ;   in Loop: Header=BB82_12 Depth=1
	v_mul_f32_e32 v8, 0x3fb8aa3b, v99
	v_cmp_ngt_f32_e32 vcc_lo, 0xc2ce8ed0, v99
	s_delay_alu instid0(VALU_DEP_2) | instskip(SKIP_1) | instid1(VALU_DEP_1)
	v_rndne_f32_e32 v12, v8
	v_fma_f32 v13, 0x3fb8aa3b, v99, -v8
	v_dual_sub_f32 v8, v8, v12 :: v_dual_fmac_f32 v13, 0x32a5705f, v99
	v_cvt_i32_f32_e32 v12, v12
	s_delay_alu instid0(VALU_DEP_2) | instskip(NEXT) | instid1(VALU_DEP_1)
	v_add_f32_e32 v8, v8, v13
	v_exp_f32_e32 v8, v8
	s_waitcnt_depctr 0xfff
	v_ldexp_f32 v8, v8, v12
	s_delay_alu instid0(VALU_DEP_1) | instskip(SKIP_1) | instid1(VALU_DEP_2)
	v_cndmask_b32_e32 v8, 0, v8, vcc_lo
	v_cmp_nlt_f32_e32 vcc_lo, 0x42b17218, v99
	v_cndmask_b32_e32 v8, 0x7f800000, v8, vcc_lo
	s_delay_alu instid0(VALU_DEP_1) | instskip(NEXT) | instid1(VALU_DEP_1)
	v_add_f32_e32 v14, 1.0, v8
	v_cvt_f64_f32_e32 v[12:13], v14
	s_delay_alu instid0(VALU_DEP_1) | instskip(SKIP_1) | instid1(VALU_DEP_1)
	v_frexp_exp_i32_f64_e32 v12, v[12:13]
	v_frexp_mant_f32_e32 v13, v14
	v_cmp_gt_f32_e32 vcc_lo, 0x3f2aaaab, v13
	v_add_f32_e32 v13, -1.0, v14
	s_delay_alu instid0(VALU_DEP_1) | instskip(NEXT) | instid1(VALU_DEP_1)
	v_sub_f32_e32 v17, v13, v14
	v_add_f32_e32 v17, 1.0, v17
	v_subrev_co_ci_u32_e32 v12, vcc_lo, 0, v12, vcc_lo
	s_delay_alu instid0(VALU_DEP_1) | instskip(SKIP_1) | instid1(VALU_DEP_2)
	v_sub_nc_u32_e32 v15, 0, v12
	v_cvt_f32_i32_e32 v12, v12
	v_ldexp_f32 v14, v14, v15
	s_delay_alu instid0(VALU_DEP_1) | instskip(SKIP_3) | instid1(VALU_DEP_3)
	v_add_f32_e32 v99, 1.0, v14
	v_sub_f32_e32 v13, v8, v13
	v_cmp_eq_f32_e32 vcc_lo, 0x7f800000, v8
	v_cmp_gt_f32_e64 s28, 0x33800000, v8
	v_add_f32_e32 v13, v13, v17
	s_delay_alu instid0(VALU_DEP_2) | instskip(NEXT) | instid1(VALU_DEP_1)
	s_or_b32 vcc_lo, s28, vcc_lo
	v_ldexp_f32 v13, v13, v15
	v_add_f32_e32 v15, -1.0, v14
	s_delay_alu instid0(VALU_DEP_1) | instskip(SKIP_1) | instid1(VALU_DEP_1)
	v_add_f32_e32 v100, 1.0, v15
	v_add_f32_e32 v17, -1.0, v99
	v_sub_f32_e32 v17, v14, v17
	s_delay_alu instid0(VALU_DEP_1) | instskip(NEXT) | instid1(VALU_DEP_1)
	v_dual_sub_f32 v14, v14, v100 :: v_dual_add_f32 v17, v13, v17
	v_add_f32_e32 v100, v99, v17
	s_delay_alu instid0(VALU_DEP_1) | instskip(NEXT) | instid1(VALU_DEP_1)
	v_sub_f32_e32 v99, v99, v100
	v_add_f32_e32 v17, v17, v99
	s_delay_alu instid0(VALU_DEP_4) | instskip(SKIP_1) | instid1(VALU_DEP_1)
	v_add_f32_e32 v13, v13, v14
	v_rcp_f32_e32 v14, v100
	v_add_f32_e32 v101, v15, v13
	s_waitcnt_depctr 0xfff
	v_dual_sub_f32 v15, v15, v101 :: v_dual_mul_f32 v102, v101, v14
	s_delay_alu instid0(VALU_DEP_1) | instskip(NEXT) | instid1(VALU_DEP_2)
	v_add_f32_e32 v13, v13, v15
	v_mul_f32_e32 v103, v100, v102
	s_delay_alu instid0(VALU_DEP_1) | instskip(NEXT) | instid1(VALU_DEP_1)
	v_fma_f32 v99, v102, v100, -v103
	v_fmac_f32_e32 v99, v102, v17
	s_delay_alu instid0(VALU_DEP_1) | instskip(NEXT) | instid1(VALU_DEP_1)
	v_add_f32_e32 v104, v103, v99
	v_sub_f32_e32 v105, v101, v104
	v_sub_f32_e32 v15, v104, v103
	s_delay_alu instid0(VALU_DEP_2) | instskip(NEXT) | instid1(VALU_DEP_2)
	v_sub_f32_e32 v101, v101, v105
	v_sub_f32_e32 v15, v15, v99
	s_delay_alu instid0(VALU_DEP_2) | instskip(NEXT) | instid1(VALU_DEP_1)
	v_sub_f32_e32 v101, v101, v104
	v_add_f32_e32 v13, v13, v101
	s_delay_alu instid0(VALU_DEP_1) | instskip(NEXT) | instid1(VALU_DEP_1)
	v_add_f32_e32 v13, v15, v13
	v_add_f32_e32 v15, v105, v13
	s_delay_alu instid0(VALU_DEP_1) | instskip(SKIP_1) | instid1(VALU_DEP_2)
	v_mul_f32_e32 v99, v14, v15
	v_sub_f32_e32 v104, v105, v15
	v_mul_f32_e32 v101, v100, v99
	s_delay_alu instid0(VALU_DEP_2) | instskip(NEXT) | instid1(VALU_DEP_2)
	v_add_f32_e32 v13, v13, v104
	v_fma_f32 v100, v99, v100, -v101
	s_delay_alu instid0(VALU_DEP_1) | instskip(NEXT) | instid1(VALU_DEP_1)
	v_fmac_f32_e32 v100, v99, v17
	v_add_f32_e32 v17, v101, v100
	s_delay_alu instid0(VALU_DEP_1) | instskip(SKIP_1) | instid1(VALU_DEP_2)
	v_sub_f32_e32 v103, v15, v17
	v_sub_f32_e32 v101, v17, v101
	;; [unrolled: 1-line block ×3, first 2 shown]
	s_delay_alu instid0(VALU_DEP_1) | instskip(NEXT) | instid1(VALU_DEP_3)
	v_sub_f32_e32 v15, v15, v17
	v_sub_f32_e32 v17, v101, v100
	s_delay_alu instid0(VALU_DEP_2) | instskip(SKIP_1) | instid1(VALU_DEP_2)
	v_add_f32_e32 v13, v13, v15
	v_add_f32_e32 v15, v102, v99
	;; [unrolled: 1-line block ×3, first 2 shown]
	s_delay_alu instid0(VALU_DEP_2) | instskip(NEXT) | instid1(VALU_DEP_2)
	v_sub_f32_e32 v17, v15, v102
	v_add_f32_e32 v13, v103, v13
	s_delay_alu instid0(VALU_DEP_2) | instskip(NEXT) | instid1(VALU_DEP_2)
	v_sub_f32_e32 v17, v99, v17
	v_mul_f32_e32 v13, v14, v13
	s_delay_alu instid0(VALU_DEP_1) | instskip(NEXT) | instid1(VALU_DEP_1)
	v_add_f32_e32 v13, v17, v13
	v_add_f32_e32 v14, v15, v13
	s_delay_alu instid0(VALU_DEP_1) | instskip(NEXT) | instid1(VALU_DEP_1)
	v_mul_f32_e32 v17, v14, v14
	v_fmaak_f32 v99, s83, v17, 0x3ecc95a3
	s_delay_alu instid0(VALU_DEP_1) | instskip(SKIP_1) | instid1(VALU_DEP_2)
	v_dual_mul_f32 v100, v14, v17 :: v_dual_fmaak_f32 v17, v17, v99, 0x3f2aaada
	v_ldexp_f32 v99, v14, 1
	v_dual_sub_f32 v14, v14, v15 :: v_dual_mul_f32 v17, v100, v17
	s_delay_alu instid0(VALU_DEP_1) | instskip(NEXT) | instid1(VALU_DEP_2)
	v_dual_mul_f32 v100, 0x3f317218, v12 :: v_dual_sub_f32 v13, v13, v14
	v_add_f32_e32 v15, v99, v17
	s_delay_alu instid0(VALU_DEP_2) | instskip(NEXT) | instid1(VALU_DEP_2)
	v_ldexp_f32 v13, v13, 1
	v_sub_f32_e32 v14, v15, v99
	s_delay_alu instid0(VALU_DEP_4) | instskip(NEXT) | instid1(VALU_DEP_1)
	v_fma_f32 v99, 0x3f317218, v12, -v100
	v_dual_sub_f32 v14, v17, v14 :: v_dual_fmac_f32 v99, 0xb102e308, v12
	s_delay_alu instid0(VALU_DEP_1) | instskip(NEXT) | instid1(VALU_DEP_1)
	v_dual_add_f32 v12, v13, v14 :: v_dual_add_f32 v13, v100, v99
	v_add_f32_e32 v14, v15, v12
	s_delay_alu instid0(VALU_DEP_2) | instskip(NEXT) | instid1(VALU_DEP_2)
	v_sub_f32_e32 v100, v13, v100
	v_add_f32_e32 v17, v13, v14
	v_sub_f32_e32 v15, v14, v15
	s_delay_alu instid0(VALU_DEP_3) | instskip(NEXT) | instid1(VALU_DEP_2)
	v_sub_f32_e32 v99, v99, v100
	v_dual_sub_f32 v101, v17, v13 :: v_dual_sub_f32 v12, v12, v15
	s_delay_alu instid0(VALU_DEP_1) | instskip(NEXT) | instid1(VALU_DEP_2)
	v_sub_f32_e32 v102, v17, v101
	v_dual_sub_f32 v14, v14, v101 :: v_dual_add_f32 v15, v99, v12
	s_delay_alu instid0(VALU_DEP_2) | instskip(NEXT) | instid1(VALU_DEP_1)
	v_sub_f32_e32 v13, v13, v102
	v_dual_add_f32 v13, v14, v13 :: v_dual_sub_f32 v14, v15, v99
	s_delay_alu instid0(VALU_DEP_1) | instskip(NEXT) | instid1(VALU_DEP_2)
	v_add_f32_e32 v13, v15, v13
	v_sub_f32_e32 v15, v15, v14
	v_sub_f32_e32 v12, v12, v14
	s_delay_alu instid0(VALU_DEP_2) | instskip(NEXT) | instid1(VALU_DEP_1)
	v_dual_add_f32 v100, v17, v13 :: v_dual_sub_f32 v15, v99, v15
	v_sub_f32_e32 v14, v100, v17
	s_delay_alu instid0(VALU_DEP_1) | instskip(NEXT) | instid1(VALU_DEP_1)
	v_dual_add_f32 v12, v12, v15 :: v_dual_sub_f32 v13, v13, v14
	v_add_f32_e32 v12, v12, v13
	s_delay_alu instid0(VALU_DEP_1) | instskip(NEXT) | instid1(VALU_DEP_1)
	v_add_f32_e32 v12, v100, v12
	v_cndmask_b32_e32 v99, v12, v8, vcc_lo
.LBB82_94:                              ;   in Loop: Header=BB82_12 Depth=1
	s_or_b32 exec_lo, exec_lo, s29
	v_cvt_f32_f16_e32 v8, v9
	s_delay_alu instid0(VALU_DEP_1) | instskip(NEXT) | instid1(VALU_DEP_1)
	v_add_f32_e32 v100, s66, v8
	v_cmp_ge_f32_e32 vcc_lo, 0x41a00000, v100
	s_and_b32 s28, s79, vcc_lo
	s_delay_alu instid0(SALU_CYCLE_1)
	s_and_saveexec_b32 s29, s28
	s_cbranch_execz .LBB82_96
; %bb.95:                               ;   in Loop: Header=BB82_12 Depth=1
	v_mul_f32_e32 v8, 0x3fb8aa3b, v100
	v_cmp_ngt_f32_e32 vcc_lo, 0xc2ce8ed0, v100
	s_delay_alu instid0(VALU_DEP_2) | instskip(SKIP_1) | instid1(VALU_DEP_2)
	v_rndne_f32_e32 v12, v8
	v_fma_f32 v13, 0x3fb8aa3b, v100, -v8
	v_sub_f32_e32 v8, v8, v12
	s_delay_alu instid0(VALU_DEP_2) | instskip(SKIP_1) | instid1(VALU_DEP_2)
	v_fmac_f32_e32 v13, 0x32a5705f, v100
	v_cvt_i32_f32_e32 v12, v12
	v_add_f32_e32 v8, v8, v13
	s_delay_alu instid0(VALU_DEP_1) | instskip(SKIP_2) | instid1(VALU_DEP_1)
	v_exp_f32_e32 v8, v8
	s_waitcnt_depctr 0xfff
	v_ldexp_f32 v8, v8, v12
	v_cndmask_b32_e32 v8, 0, v8, vcc_lo
	v_cmp_nlt_f32_e32 vcc_lo, 0x42b17218, v100
	s_delay_alu instid0(VALU_DEP_2) | instskip(NEXT) | instid1(VALU_DEP_1)
	v_cndmask_b32_e32 v8, 0x7f800000, v8, vcc_lo
	v_add_f32_e32 v14, 1.0, v8
	s_delay_alu instid0(VALU_DEP_1) | instskip(NEXT) | instid1(VALU_DEP_1)
	v_cvt_f64_f32_e32 v[12:13], v14
	v_frexp_exp_i32_f64_e32 v12, v[12:13]
	v_frexp_mant_f32_e32 v13, v14
	s_delay_alu instid0(VALU_DEP_1) | instskip(SKIP_1) | instid1(VALU_DEP_1)
	v_cmp_gt_f32_e32 vcc_lo, 0x3f2aaaab, v13
	v_add_f32_e32 v13, -1.0, v14
	v_sub_f32_e32 v17, v13, v14
	v_sub_f32_e32 v13, v8, v13
	s_delay_alu instid0(VALU_DEP_2) | instskip(NEXT) | instid1(VALU_DEP_1)
	v_add_f32_e32 v17, 1.0, v17
	v_add_f32_e32 v13, v13, v17
	v_cmp_gt_f32_e64 s28, 0x33800000, v8
	v_subrev_co_ci_u32_e32 v12, vcc_lo, 0, v12, vcc_lo
	v_cmp_eq_f32_e32 vcc_lo, 0x7f800000, v8
	s_delay_alu instid0(VALU_DEP_2) | instskip(SKIP_2) | instid1(VALU_DEP_2)
	v_sub_nc_u32_e32 v15, 0, v12
	v_cvt_f32_i32_e32 v12, v12
	s_or_b32 vcc_lo, s28, vcc_lo
	v_ldexp_f32 v14, v14, v15
	v_ldexp_f32 v13, v13, v15
	s_delay_alu instid0(VALU_DEP_2) | instskip(SKIP_1) | instid1(VALU_DEP_2)
	v_add_f32_e32 v100, 1.0, v14
	v_add_f32_e32 v15, -1.0, v14
	v_add_f32_e32 v17, -1.0, v100
	s_delay_alu instid0(VALU_DEP_2) | instskip(NEXT) | instid1(VALU_DEP_2)
	v_add_f32_e32 v101, 1.0, v15
	v_sub_f32_e32 v17, v14, v17
	s_delay_alu instid0(VALU_DEP_2) | instskip(NEXT) | instid1(VALU_DEP_2)
	v_sub_f32_e32 v14, v14, v101
	v_add_f32_e32 v17, v13, v17
	s_delay_alu instid0(VALU_DEP_1) | instskip(NEXT) | instid1(VALU_DEP_1)
	v_add_f32_e32 v101, v100, v17
	v_dual_add_f32 v13, v13, v14 :: v_dual_sub_f32 v100, v100, v101
	v_rcp_f32_e32 v14, v101
	s_delay_alu instid0(VALU_DEP_1) | instskip(NEXT) | instid1(VALU_DEP_1)
	v_dual_add_f32 v102, v15, v13 :: v_dual_add_f32 v17, v17, v100
	v_sub_f32_e32 v15, v15, v102
	s_waitcnt_depctr 0xfff
	v_mul_f32_e32 v103, v102, v14
	v_add_f32_e32 v13, v13, v15
	s_delay_alu instid0(VALU_DEP_2) | instskip(NEXT) | instid1(VALU_DEP_1)
	v_mul_f32_e32 v104, v101, v103
	v_fma_f32 v100, v103, v101, -v104
	s_delay_alu instid0(VALU_DEP_1) | instskip(NEXT) | instid1(VALU_DEP_1)
	v_fmac_f32_e32 v100, v103, v17
	v_add_f32_e32 v105, v104, v100
	s_delay_alu instid0(VALU_DEP_1) | instskip(NEXT) | instid1(VALU_DEP_1)
	v_dual_sub_f32 v106, v102, v105 :: v_dual_sub_f32 v15, v105, v104
	v_dual_sub_f32 v102, v102, v106 :: v_dual_sub_f32 v15, v15, v100
	s_delay_alu instid0(VALU_DEP_1) | instskip(NEXT) | instid1(VALU_DEP_1)
	v_sub_f32_e32 v102, v102, v105
	v_add_f32_e32 v13, v13, v102
	s_delay_alu instid0(VALU_DEP_1) | instskip(NEXT) | instid1(VALU_DEP_1)
	v_add_f32_e32 v13, v15, v13
	v_add_f32_e32 v15, v106, v13
	s_delay_alu instid0(VALU_DEP_1) | instskip(NEXT) | instid1(VALU_DEP_1)
	v_mul_f32_e32 v100, v14, v15
	v_dual_sub_f32 v105, v106, v15 :: v_dual_mul_f32 v102, v101, v100
	s_delay_alu instid0(VALU_DEP_1) | instskip(NEXT) | instid1(VALU_DEP_2)
	v_add_f32_e32 v13, v13, v105
	v_fma_f32 v101, v100, v101, -v102
	s_delay_alu instid0(VALU_DEP_1) | instskip(NEXT) | instid1(VALU_DEP_1)
	v_fmac_f32_e32 v101, v100, v17
	v_add_f32_e32 v17, v102, v101
	s_delay_alu instid0(VALU_DEP_1) | instskip(NEXT) | instid1(VALU_DEP_1)
	v_sub_f32_e32 v104, v15, v17
	v_dual_sub_f32 v102, v17, v102 :: v_dual_sub_f32 v15, v15, v104
	s_delay_alu instid0(VALU_DEP_1) | instskip(NEXT) | instid1(VALU_DEP_2)
	v_sub_f32_e32 v15, v15, v17
	v_sub_f32_e32 v17, v102, v101
	s_delay_alu instid0(VALU_DEP_2) | instskip(SKIP_1) | instid1(VALU_DEP_2)
	v_add_f32_e32 v13, v13, v15
	v_add_f32_e32 v15, v103, v100
	;; [unrolled: 1-line block ×3, first 2 shown]
	s_delay_alu instid0(VALU_DEP_2) | instskip(NEXT) | instid1(VALU_DEP_2)
	v_sub_f32_e32 v17, v15, v103
	v_add_f32_e32 v13, v104, v13
	s_delay_alu instid0(VALU_DEP_2) | instskip(NEXT) | instid1(VALU_DEP_2)
	v_sub_f32_e32 v17, v100, v17
	v_mul_f32_e32 v13, v14, v13
	s_delay_alu instid0(VALU_DEP_1) | instskip(NEXT) | instid1(VALU_DEP_1)
	v_add_f32_e32 v13, v17, v13
	v_add_f32_e32 v14, v15, v13
	s_delay_alu instid0(VALU_DEP_1) | instskip(NEXT) | instid1(VALU_DEP_1)
	v_mul_f32_e32 v17, v14, v14
	v_fmaak_f32 v100, s83, v17, 0x3ecc95a3
	v_mul_f32_e32 v101, v14, v17
	s_delay_alu instid0(VALU_DEP_2) | instskip(SKIP_1) | instid1(VALU_DEP_2)
	v_fmaak_f32 v17, v17, v100, 0x3f2aaada
	v_ldexp_f32 v100, v14, 1
	v_dual_sub_f32 v14, v14, v15 :: v_dual_mul_f32 v17, v101, v17
	v_mul_f32_e32 v101, 0x3f317218, v12
	s_delay_alu instid0(VALU_DEP_2) | instskip(NEXT) | instid1(VALU_DEP_3)
	v_sub_f32_e32 v13, v13, v14
	v_add_f32_e32 v15, v100, v17
	s_delay_alu instid0(VALU_DEP_2) | instskip(NEXT) | instid1(VALU_DEP_2)
	v_ldexp_f32 v13, v13, 1
	v_sub_f32_e32 v14, v15, v100
	v_fma_f32 v100, 0x3f317218, v12, -v101
	s_delay_alu instid0(VALU_DEP_2) | instskip(NEXT) | instid1(VALU_DEP_2)
	v_sub_f32_e32 v14, v17, v14
	v_fmac_f32_e32 v100, 0xb102e308, v12
	s_delay_alu instid0(VALU_DEP_2) | instskip(NEXT) | instid1(VALU_DEP_2)
	v_add_f32_e32 v12, v13, v14
	v_add_f32_e32 v13, v101, v100
	s_delay_alu instid0(VALU_DEP_1) | instskip(NEXT) | instid1(VALU_DEP_1)
	v_dual_add_f32 v14, v15, v12 :: v_dual_sub_f32 v101, v13, v101
	v_add_f32_e32 v17, v13, v14
	s_delay_alu instid0(VALU_DEP_2) | instskip(NEXT) | instid1(VALU_DEP_2)
	v_dual_sub_f32 v15, v14, v15 :: v_dual_sub_f32 v100, v100, v101
	v_sub_f32_e32 v102, v17, v13
	s_delay_alu instid0(VALU_DEP_1) | instskip(NEXT) | instid1(VALU_DEP_1)
	v_dual_sub_f32 v12, v12, v15 :: v_dual_sub_f32 v103, v17, v102
	v_dual_sub_f32 v14, v14, v102 :: v_dual_add_f32 v15, v100, v12
	s_delay_alu instid0(VALU_DEP_2) | instskip(NEXT) | instid1(VALU_DEP_1)
	v_sub_f32_e32 v13, v13, v103
	v_dual_add_f32 v13, v14, v13 :: v_dual_sub_f32 v14, v15, v100
	s_delay_alu instid0(VALU_DEP_1) | instskip(NEXT) | instid1(VALU_DEP_2)
	v_add_f32_e32 v13, v15, v13
	v_sub_f32_e32 v15, v15, v14
	s_delay_alu instid0(VALU_DEP_2) | instskip(NEXT) | instid1(VALU_DEP_1)
	v_dual_sub_f32 v12, v12, v14 :: v_dual_add_f32 v101, v17, v13
	v_dual_sub_f32 v15, v100, v15 :: v_dual_sub_f32 v14, v101, v17
	s_delay_alu instid0(VALU_DEP_1) | instskip(NEXT) | instid1(VALU_DEP_1)
	v_dual_add_f32 v12, v12, v15 :: v_dual_sub_f32 v13, v13, v14
	v_add_f32_e32 v12, v12, v13
	s_delay_alu instid0(VALU_DEP_1) | instskip(NEXT) | instid1(VALU_DEP_1)
	v_add_f32_e32 v12, v101, v12
	v_cndmask_b32_e32 v100, v12, v8, vcc_lo
.LBB82_96:                              ;   in Loop: Header=BB82_12 Depth=1
	s_or_b32 exec_lo, exec_lo, s29
	v_lshrrev_b32_e32 v8, 16, v9
	s_delay_alu instid0(VALU_DEP_1) | instskip(NEXT) | instid1(VALU_DEP_1)
	v_cvt_f32_f16_e32 v8, v8
	v_add_f32_e32 v101, s66, v8
	s_delay_alu instid0(VALU_DEP_1) | instskip(SKIP_1) | instid1(SALU_CYCLE_1)
	v_cmp_ge_f32_e32 vcc_lo, 0x41a00000, v101
	s_and_b32 s28, s79, vcc_lo
	s_and_saveexec_b32 s29, s28
	s_cbranch_execz .LBB82_98
; %bb.97:                               ;   in Loop: Header=BB82_12 Depth=1
	v_mul_f32_e32 v8, 0x3fb8aa3b, v101
	v_cmp_ngt_f32_e32 vcc_lo, 0xc2ce8ed0, v101
	s_delay_alu instid0(VALU_DEP_2) | instskip(SKIP_1) | instid1(VALU_DEP_2)
	v_rndne_f32_e32 v9, v8
	v_fma_f32 v12, 0x3fb8aa3b, v101, -v8
	v_sub_f32_e32 v8, v8, v9
	s_delay_alu instid0(VALU_DEP_2) | instskip(SKIP_1) | instid1(VALU_DEP_2)
	v_fmac_f32_e32 v12, 0x32a5705f, v101
	v_cvt_i32_f32_e32 v9, v9
	v_add_f32_e32 v8, v8, v12
	s_delay_alu instid0(VALU_DEP_1) | instskip(SKIP_2) | instid1(VALU_DEP_1)
	v_exp_f32_e32 v8, v8
	s_waitcnt_depctr 0xfff
	v_ldexp_f32 v8, v8, v9
	v_cndmask_b32_e32 v8, 0, v8, vcc_lo
	v_cmp_nlt_f32_e32 vcc_lo, 0x42b17218, v101
	s_delay_alu instid0(VALU_DEP_2) | instskip(NEXT) | instid1(VALU_DEP_1)
	v_cndmask_b32_e32 v12, 0x7f800000, v8, vcc_lo
	v_add_f32_e32 v13, 1.0, v12
	s_delay_alu instid0(VALU_DEP_1) | instskip(NEXT) | instid1(VALU_DEP_1)
	v_cvt_f64_f32_e32 v[8:9], v13
	v_frexp_exp_i32_f64_e32 v8, v[8:9]
	v_frexp_mant_f32_e32 v9, v13
	s_delay_alu instid0(VALU_DEP_1) | instskip(SKIP_1) | instid1(VALU_DEP_1)
	v_cmp_gt_f32_e32 vcc_lo, 0x3f2aaaab, v9
	v_add_f32_e32 v9, -1.0, v13
	v_sub_f32_e32 v15, v9, v13
	s_delay_alu instid0(VALU_DEP_1) | instskip(SKIP_1) | instid1(VALU_DEP_1)
	v_add_f32_e32 v15, 1.0, v15
	v_subrev_co_ci_u32_e32 v8, vcc_lo, 0, v8, vcc_lo
	v_sub_nc_u32_e32 v14, 0, v8
	v_cvt_f32_i32_e32 v8, v8
	s_delay_alu instid0(VALU_DEP_2) | instskip(NEXT) | instid1(VALU_DEP_1)
	v_ldexp_f32 v13, v13, v14
	v_add_f32_e32 v17, 1.0, v13
	v_sub_f32_e32 v9, v12, v9
	v_cmp_eq_f32_e32 vcc_lo, 0x7f800000, v12
	v_cmp_gt_f32_e64 s28, 0x33800000, v12
	s_delay_alu instid0(VALU_DEP_3) | instskip(NEXT) | instid1(VALU_DEP_2)
	v_add_f32_e32 v9, v9, v15
	s_or_b32 vcc_lo, s28, vcc_lo
	s_delay_alu instid0(VALU_DEP_1) | instskip(SKIP_2) | instid1(VALU_DEP_1)
	v_ldexp_f32 v9, v9, v14
	v_add_f32_e32 v14, -1.0, v13
	v_add_f32_e32 v15, -1.0, v17
	v_sub_f32_e32 v15, v13, v15
	s_delay_alu instid0(VALU_DEP_3) | instskip(NEXT) | instid1(VALU_DEP_2)
	v_add_f32_e32 v101, 1.0, v14
	v_add_f32_e32 v15, v9, v15
	s_delay_alu instid0(VALU_DEP_2) | instskip(NEXT) | instid1(VALU_DEP_2)
	v_sub_f32_e32 v13, v13, v101
	v_add_f32_e32 v101, v17, v15
	s_delay_alu instid0(VALU_DEP_2) | instskip(NEXT) | instid1(VALU_DEP_2)
	v_add_f32_e32 v9, v9, v13
	v_rcp_f32_e32 v13, v101
	s_delay_alu instid0(VALU_DEP_1) | instskip(NEXT) | instid1(VALU_DEP_1)
	v_add_f32_e32 v102, v14, v9
	v_dual_sub_f32 v17, v17, v101 :: v_dual_sub_f32 v14, v14, v102
	s_delay_alu instid0(VALU_DEP_1) | instskip(SKIP_2) | instid1(VALU_DEP_1)
	v_add_f32_e32 v15, v15, v17
	s_waitcnt_depctr 0xfff
	v_mul_f32_e32 v103, v102, v13
	v_mul_f32_e32 v104, v101, v103
	s_delay_alu instid0(VALU_DEP_1) | instskip(NEXT) | instid1(VALU_DEP_1)
	v_fma_f32 v17, v103, v101, -v104
	v_fmac_f32_e32 v17, v103, v15
	v_add_f32_e32 v9, v9, v14
	s_delay_alu instid0(VALU_DEP_2) | instskip(NEXT) | instid1(VALU_DEP_1)
	v_add_f32_e32 v105, v104, v17
	v_sub_f32_e32 v106, v102, v105
	v_sub_f32_e32 v14, v105, v104
	s_delay_alu instid0(VALU_DEP_2) | instskip(NEXT) | instid1(VALU_DEP_2)
	v_sub_f32_e32 v102, v102, v106
	v_sub_f32_e32 v14, v14, v17
	s_delay_alu instid0(VALU_DEP_2) | instskip(NEXT) | instid1(VALU_DEP_1)
	v_sub_f32_e32 v102, v102, v105
	v_add_f32_e32 v9, v9, v102
	s_delay_alu instid0(VALU_DEP_1) | instskip(NEXT) | instid1(VALU_DEP_1)
	v_add_f32_e32 v9, v14, v9
	v_add_f32_e32 v14, v106, v9
	s_delay_alu instid0(VALU_DEP_1) | instskip(NEXT) | instid1(VALU_DEP_1)
	v_mul_f32_e32 v17, v13, v14
	v_dual_sub_f32 v105, v106, v14 :: v_dual_mul_f32 v102, v101, v17
	s_delay_alu instid0(VALU_DEP_1) | instskip(NEXT) | instid1(VALU_DEP_2)
	v_add_f32_e32 v9, v9, v105
	v_fma_f32 v101, v17, v101, -v102
	s_delay_alu instid0(VALU_DEP_1) | instskip(NEXT) | instid1(VALU_DEP_1)
	v_fmac_f32_e32 v101, v17, v15
	v_add_f32_e32 v15, v102, v101
	s_delay_alu instid0(VALU_DEP_1) | instskip(SKIP_1) | instid1(VALU_DEP_2)
	v_sub_f32_e32 v104, v14, v15
	v_sub_f32_e32 v102, v15, v102
	;; [unrolled: 1-line block ×3, first 2 shown]
	s_delay_alu instid0(VALU_DEP_1) | instskip(NEXT) | instid1(VALU_DEP_1)
	v_sub_f32_e32 v14, v14, v15
	v_dual_add_f32 v9, v9, v14 :: v_dual_add_f32 v14, v103, v17
	s_delay_alu instid0(VALU_DEP_4) | instskip(NEXT) | instid1(VALU_DEP_1)
	v_sub_f32_e32 v15, v102, v101
	v_add_f32_e32 v9, v15, v9
	s_delay_alu instid0(VALU_DEP_3) | instskip(NEXT) | instid1(VALU_DEP_2)
	v_sub_f32_e32 v15, v14, v103
	v_add_f32_e32 v9, v104, v9
	s_delay_alu instid0(VALU_DEP_2) | instskip(NEXT) | instid1(VALU_DEP_2)
	v_sub_f32_e32 v15, v17, v15
	v_mul_f32_e32 v9, v13, v9
	s_delay_alu instid0(VALU_DEP_1) | instskip(NEXT) | instid1(VALU_DEP_1)
	v_add_f32_e32 v9, v15, v9
	v_add_f32_e32 v13, v14, v9
	s_delay_alu instid0(VALU_DEP_1) | instskip(NEXT) | instid1(VALU_DEP_1)
	v_mul_f32_e32 v15, v13, v13
	v_fmaak_f32 v17, s83, v15, 0x3ecc95a3
	v_mul_f32_e32 v101, v13, v15
	s_delay_alu instid0(VALU_DEP_2) | instskip(SKIP_2) | instid1(VALU_DEP_3)
	v_fmaak_f32 v15, v15, v17, 0x3f2aaada
	v_ldexp_f32 v17, v13, 1
	v_sub_f32_e32 v13, v13, v14
	v_mul_f32_e32 v15, v101, v15
	v_mul_f32_e32 v101, 0x3f317218, v8
	s_delay_alu instid0(VALU_DEP_3) | instskip(NEXT) | instid1(VALU_DEP_3)
	v_sub_f32_e32 v9, v9, v13
	v_add_f32_e32 v14, v17, v15
	s_delay_alu instid0(VALU_DEP_2) | instskip(NEXT) | instid1(VALU_DEP_2)
	v_ldexp_f32 v9, v9, 1
	v_sub_f32_e32 v13, v14, v17
	v_fma_f32 v17, 0x3f317218, v8, -v101
	s_delay_alu instid0(VALU_DEP_2) | instskip(NEXT) | instid1(VALU_DEP_1)
	v_sub_f32_e32 v13, v15, v13
	v_dual_fmac_f32 v17, 0xb102e308, v8 :: v_dual_add_f32 v8, v9, v13
	s_delay_alu instid0(VALU_DEP_1) | instskip(NEXT) | instid1(VALU_DEP_2)
	v_add_f32_e32 v9, v101, v17
	v_add_f32_e32 v13, v14, v8
	s_delay_alu instid0(VALU_DEP_2) | instskip(NEXT) | instid1(VALU_DEP_2)
	v_sub_f32_e32 v101, v9, v101
	v_add_f32_e32 v15, v9, v13
	v_sub_f32_e32 v14, v13, v14
	s_delay_alu instid0(VALU_DEP_3) | instskip(NEXT) | instid1(VALU_DEP_3)
	v_sub_f32_e32 v17, v17, v101
	v_sub_f32_e32 v102, v15, v9
	s_delay_alu instid0(VALU_DEP_3) | instskip(NEXT) | instid1(VALU_DEP_2)
	v_sub_f32_e32 v8, v8, v14
	v_sub_f32_e32 v103, v15, v102
	;; [unrolled: 1-line block ×3, first 2 shown]
	s_delay_alu instid0(VALU_DEP_3) | instskip(NEXT) | instid1(VALU_DEP_3)
	v_add_f32_e32 v14, v17, v8
	v_sub_f32_e32 v9, v9, v103
	s_delay_alu instid0(VALU_DEP_1) | instskip(NEXT) | instid1(VALU_DEP_3)
	v_add_f32_e32 v9, v13, v9
	v_sub_f32_e32 v13, v14, v17
	s_delay_alu instid0(VALU_DEP_2) | instskip(NEXT) | instid1(VALU_DEP_2)
	v_add_f32_e32 v9, v14, v9
	v_sub_f32_e32 v14, v14, v13
	v_sub_f32_e32 v8, v8, v13
	s_delay_alu instid0(VALU_DEP_2) | instskip(NEXT) | instid1(VALU_DEP_1)
	v_dual_add_f32 v101, v15, v9 :: v_dual_sub_f32 v14, v17, v14
	v_dual_sub_f32 v13, v101, v15 :: v_dual_add_f32 v8, v8, v14
	s_delay_alu instid0(VALU_DEP_1) | instskip(NEXT) | instid1(VALU_DEP_1)
	v_sub_f32_e32 v9, v9, v13
	v_add_f32_e32 v8, v8, v9
	s_delay_alu instid0(VALU_DEP_1) | instskip(NEXT) | instid1(VALU_DEP_1)
	v_add_f32_e32 v8, v101, v8
	v_cndmask_b32_e32 v101, v8, v12, vcc_lo
.LBB82_98:                              ;   in Loop: Header=BB82_12 Depth=1
	s_or_b32 exec_lo, exec_lo, s29
	v_cvt_f32_f16_e32 v8, v10
	s_delay_alu instid0(VALU_DEP_1) | instskip(NEXT) | instid1(VALU_DEP_1)
	v_add_f32_e32 v102, s66, v8
	v_cmp_ge_f32_e32 vcc_lo, 0x41a00000, v102
	s_and_b32 s28, s79, vcc_lo
	s_delay_alu instid0(SALU_CYCLE_1)
	s_and_saveexec_b32 s29, s28
	s_cbranch_execz .LBB82_100
; %bb.99:                               ;   in Loop: Header=BB82_12 Depth=1
	v_mul_f32_e32 v8, 0x3fb8aa3b, v102
	v_cmp_ngt_f32_e32 vcc_lo, 0xc2ce8ed0, v102
	s_delay_alu instid0(VALU_DEP_2) | instskip(SKIP_1) | instid1(VALU_DEP_2)
	v_rndne_f32_e32 v9, v8
	v_fma_f32 v12, 0x3fb8aa3b, v102, -v8
	v_sub_f32_e32 v8, v8, v9
	s_delay_alu instid0(VALU_DEP_2) | instskip(SKIP_1) | instid1(VALU_DEP_2)
	v_fmac_f32_e32 v12, 0x32a5705f, v102
	v_cvt_i32_f32_e32 v9, v9
	v_add_f32_e32 v8, v8, v12
	s_delay_alu instid0(VALU_DEP_1) | instskip(SKIP_2) | instid1(VALU_DEP_1)
	v_exp_f32_e32 v8, v8
	s_waitcnt_depctr 0xfff
	v_ldexp_f32 v8, v8, v9
	v_cndmask_b32_e32 v8, 0, v8, vcc_lo
	v_cmp_nlt_f32_e32 vcc_lo, 0x42b17218, v102
	s_delay_alu instid0(VALU_DEP_2) | instskip(NEXT) | instid1(VALU_DEP_1)
	v_cndmask_b32_e32 v12, 0x7f800000, v8, vcc_lo
	v_add_f32_e32 v13, 1.0, v12
	s_delay_alu instid0(VALU_DEP_1) | instskip(NEXT) | instid1(VALU_DEP_1)
	v_cvt_f64_f32_e32 v[8:9], v13
	v_frexp_exp_i32_f64_e32 v8, v[8:9]
	v_frexp_mant_f32_e32 v9, v13
	s_delay_alu instid0(VALU_DEP_1) | instskip(SKIP_1) | instid1(VALU_DEP_1)
	v_cmp_gt_f32_e32 vcc_lo, 0x3f2aaaab, v9
	v_add_f32_e32 v9, -1.0, v13
	v_sub_f32_e32 v15, v9, v13
	s_delay_alu instid0(VALU_DEP_1) | instskip(SKIP_1) | instid1(VALU_DEP_1)
	v_add_f32_e32 v15, 1.0, v15
	v_subrev_co_ci_u32_e32 v8, vcc_lo, 0, v8, vcc_lo
	v_sub_nc_u32_e32 v14, 0, v8
	v_cvt_f32_i32_e32 v8, v8
	s_delay_alu instid0(VALU_DEP_2) | instskip(NEXT) | instid1(VALU_DEP_1)
	v_ldexp_f32 v13, v13, v14
	v_add_f32_e32 v17, 1.0, v13
	v_sub_f32_e32 v9, v12, v9
	v_cmp_eq_f32_e32 vcc_lo, 0x7f800000, v12
	v_cmp_gt_f32_e64 s28, 0x33800000, v12
	s_delay_alu instid0(VALU_DEP_3) | instskip(NEXT) | instid1(VALU_DEP_2)
	v_add_f32_e32 v9, v9, v15
	s_or_b32 vcc_lo, s28, vcc_lo
	s_delay_alu instid0(VALU_DEP_1) | instskip(SKIP_1) | instid1(VALU_DEP_1)
	v_ldexp_f32 v9, v9, v14
	v_add_f32_e32 v14, -1.0, v13
	v_dual_add_f32 v15, -1.0, v17 :: v_dual_add_f32 v102, 1.0, v14
	s_delay_alu instid0(VALU_DEP_1) | instskip(NEXT) | instid1(VALU_DEP_2)
	v_sub_f32_e32 v15, v13, v15
	v_sub_f32_e32 v13, v13, v102
	s_delay_alu instid0(VALU_DEP_2) | instskip(NEXT) | instid1(VALU_DEP_2)
	v_add_f32_e32 v15, v9, v15
	v_add_f32_e32 v9, v9, v13
	s_delay_alu instid0(VALU_DEP_1) | instskip(NEXT) | instid1(VALU_DEP_1)
	v_dual_add_f32 v102, v17, v15 :: v_dual_add_f32 v103, v14, v9
	v_rcp_f32_e32 v13, v102
	s_delay_alu instid0(VALU_DEP_1) | instskip(NEXT) | instid1(VALU_DEP_1)
	v_dual_sub_f32 v17, v17, v102 :: v_dual_sub_f32 v14, v14, v103
	v_add_f32_e32 v15, v15, v17
	s_waitcnt_depctr 0xfff
	v_dual_add_f32 v9, v9, v14 :: v_dual_mul_f32 v104, v103, v13
	s_delay_alu instid0(VALU_DEP_1) | instskip(NEXT) | instid1(VALU_DEP_1)
	v_mul_f32_e32 v105, v102, v104
	v_fma_f32 v17, v104, v102, -v105
	s_delay_alu instid0(VALU_DEP_1) | instskip(NEXT) | instid1(VALU_DEP_1)
	v_fmac_f32_e32 v17, v104, v15
	v_add_f32_e32 v106, v105, v17
	s_delay_alu instid0(VALU_DEP_1) | instskip(NEXT) | instid1(VALU_DEP_1)
	v_sub_f32_e32 v107, v103, v106
	v_dual_sub_f32 v103, v103, v107 :: v_dual_sub_f32 v14, v106, v105
	s_delay_alu instid0(VALU_DEP_1) | instskip(NEXT) | instid1(VALU_DEP_1)
	v_dual_sub_f32 v103, v103, v106 :: v_dual_sub_f32 v14, v14, v17
	v_add_f32_e32 v9, v9, v103
	s_delay_alu instid0(VALU_DEP_1) | instskip(NEXT) | instid1(VALU_DEP_1)
	v_add_f32_e32 v9, v14, v9
	v_add_f32_e32 v14, v107, v9
	s_delay_alu instid0(VALU_DEP_1) | instskip(NEXT) | instid1(VALU_DEP_1)
	v_mul_f32_e32 v17, v13, v14
	v_dual_sub_f32 v106, v107, v14 :: v_dual_mul_f32 v103, v102, v17
	s_delay_alu instid0(VALU_DEP_1) | instskip(NEXT) | instid1(VALU_DEP_2)
	v_add_f32_e32 v9, v9, v106
	v_fma_f32 v102, v17, v102, -v103
	s_delay_alu instid0(VALU_DEP_1) | instskip(NEXT) | instid1(VALU_DEP_1)
	v_fmac_f32_e32 v102, v17, v15
	v_add_f32_e32 v15, v103, v102
	s_delay_alu instid0(VALU_DEP_1) | instskip(NEXT) | instid1(VALU_DEP_1)
	v_sub_f32_e32 v105, v14, v15
	v_dual_sub_f32 v103, v15, v103 :: v_dual_sub_f32 v14, v14, v105
	s_delay_alu instid0(VALU_DEP_1) | instskip(NEXT) | instid1(VALU_DEP_1)
	v_dual_sub_f32 v14, v14, v15 :: v_dual_sub_f32 v15, v103, v102
	v_dual_add_f32 v9, v9, v14 :: v_dual_add_f32 v14, v104, v17
	s_delay_alu instid0(VALU_DEP_1) | instskip(NEXT) | instid1(VALU_DEP_2)
	v_add_f32_e32 v9, v15, v9
	v_sub_f32_e32 v15, v14, v104
	s_delay_alu instid0(VALU_DEP_2) | instskip(NEXT) | instid1(VALU_DEP_2)
	v_add_f32_e32 v9, v105, v9
	v_sub_f32_e32 v15, v17, v15
	s_delay_alu instid0(VALU_DEP_2) | instskip(NEXT) | instid1(VALU_DEP_1)
	v_mul_f32_e32 v9, v13, v9
	v_add_f32_e32 v9, v15, v9
	s_delay_alu instid0(VALU_DEP_1) | instskip(NEXT) | instid1(VALU_DEP_1)
	v_add_f32_e32 v13, v14, v9
	v_mul_f32_e32 v15, v13, v13
	s_delay_alu instid0(VALU_DEP_1) | instskip(NEXT) | instid1(VALU_DEP_1)
	v_fmaak_f32 v17, s83, v15, 0x3ecc95a3
	v_dual_mul_f32 v102, v13, v15 :: v_dual_fmaak_f32 v15, v15, v17, 0x3f2aaada
	v_ldexp_f32 v17, v13, 1
	v_sub_f32_e32 v13, v13, v14
	s_delay_alu instid0(VALU_DEP_3) | instskip(NEXT) | instid1(VALU_DEP_2)
	v_dual_mul_f32 v15, v102, v15 :: v_dual_mul_f32 v102, 0x3f317218, v8
	v_sub_f32_e32 v9, v9, v13
	s_delay_alu instid0(VALU_DEP_2) | instskip(NEXT) | instid1(VALU_DEP_2)
	v_add_f32_e32 v14, v17, v15
	v_ldexp_f32 v9, v9, 1
	s_delay_alu instid0(VALU_DEP_2) | instskip(SKIP_1) | instid1(VALU_DEP_2)
	v_sub_f32_e32 v13, v14, v17
	v_fma_f32 v17, 0x3f317218, v8, -v102
	v_sub_f32_e32 v13, v15, v13
	s_delay_alu instid0(VALU_DEP_1) | instskip(NEXT) | instid1(VALU_DEP_1)
	v_dual_fmac_f32 v17, 0xb102e308, v8 :: v_dual_add_f32 v8, v9, v13
	v_add_f32_e32 v9, v102, v17
	s_delay_alu instid0(VALU_DEP_1) | instskip(NEXT) | instid1(VALU_DEP_1)
	v_dual_add_f32 v13, v14, v8 :: v_dual_sub_f32 v102, v9, v102
	v_add_f32_e32 v15, v9, v13
	v_sub_f32_e32 v14, v13, v14
	s_delay_alu instid0(VALU_DEP_3) | instskip(NEXT) | instid1(VALU_DEP_2)
	v_sub_f32_e32 v17, v17, v102
	v_dual_sub_f32 v103, v15, v9 :: v_dual_sub_f32 v8, v8, v14
	s_delay_alu instid0(VALU_DEP_1) | instskip(SKIP_1) | instid1(VALU_DEP_3)
	v_sub_f32_e32 v104, v15, v103
	v_sub_f32_e32 v13, v13, v103
	v_add_f32_e32 v14, v17, v8
	s_delay_alu instid0(VALU_DEP_3) | instskip(NEXT) | instid1(VALU_DEP_1)
	v_sub_f32_e32 v9, v9, v104
	v_add_f32_e32 v9, v13, v9
	s_delay_alu instid0(VALU_DEP_3) | instskip(NEXT) | instid1(VALU_DEP_2)
	v_sub_f32_e32 v13, v14, v17
	v_add_f32_e32 v9, v14, v9
	s_delay_alu instid0(VALU_DEP_2) | instskip(SKIP_1) | instid1(VALU_DEP_3)
	v_sub_f32_e32 v14, v14, v13
	v_sub_f32_e32 v8, v8, v13
	v_add_f32_e32 v102, v15, v9
	s_delay_alu instid0(VALU_DEP_1) | instskip(NEXT) | instid1(VALU_DEP_1)
	v_dual_sub_f32 v14, v17, v14 :: v_dual_sub_f32 v13, v102, v15
	v_dual_add_f32 v8, v8, v14 :: v_dual_sub_f32 v9, v9, v13
	s_delay_alu instid0(VALU_DEP_1) | instskip(NEXT) | instid1(VALU_DEP_1)
	v_add_f32_e32 v8, v8, v9
	v_add_f32_e32 v8, v102, v8
	s_delay_alu instid0(VALU_DEP_1)
	v_cndmask_b32_e32 v102, v8, v12, vcc_lo
.LBB82_100:                             ;   in Loop: Header=BB82_12 Depth=1
	s_or_b32 exec_lo, exec_lo, s29
	v_lshrrev_b32_e32 v8, 16, v10
	s_delay_alu instid0(VALU_DEP_1) | instskip(NEXT) | instid1(VALU_DEP_1)
	v_cvt_f32_f16_e32 v8, v8
	v_add_f32_e32 v103, s66, v8
	s_delay_alu instid0(VALU_DEP_1) | instskip(SKIP_1) | instid1(SALU_CYCLE_1)
	v_cmp_ge_f32_e32 vcc_lo, 0x41a00000, v103
	s_and_b32 s28, s79, vcc_lo
	s_and_saveexec_b32 s29, s28
	s_cbranch_execz .LBB82_102
; %bb.101:                              ;   in Loop: Header=BB82_12 Depth=1
	v_mul_f32_e32 v8, 0x3fb8aa3b, v103
	v_cmp_ngt_f32_e32 vcc_lo, 0xc2ce8ed0, v103
	s_delay_alu instid0(VALU_DEP_2) | instskip(SKIP_1) | instid1(VALU_DEP_2)
	v_rndne_f32_e32 v9, v8
	v_fma_f32 v10, 0x3fb8aa3b, v103, -v8
	v_sub_f32_e32 v8, v8, v9
	s_delay_alu instid0(VALU_DEP_2) | instskip(SKIP_1) | instid1(VALU_DEP_2)
	v_fmac_f32_e32 v10, 0x32a5705f, v103
	v_cvt_i32_f32_e32 v9, v9
	v_add_f32_e32 v8, v8, v10
	s_delay_alu instid0(VALU_DEP_1) | instskip(SKIP_2) | instid1(VALU_DEP_1)
	v_exp_f32_e32 v8, v8
	s_waitcnt_depctr 0xfff
	v_ldexp_f32 v8, v8, v9
	v_cndmask_b32_e32 v8, 0, v8, vcc_lo
	v_cmp_nlt_f32_e32 vcc_lo, 0x42b17218, v103
	s_delay_alu instid0(VALU_DEP_2) | instskip(NEXT) | instid1(VALU_DEP_1)
	v_cndmask_b32_e32 v10, 0x7f800000, v8, vcc_lo
	v_add_f32_e32 v12, 1.0, v10
	s_delay_alu instid0(VALU_DEP_1) | instskip(NEXT) | instid1(VALU_DEP_1)
	v_cvt_f64_f32_e32 v[8:9], v12
	v_frexp_exp_i32_f64_e32 v8, v[8:9]
	v_frexp_mant_f32_e32 v9, v12
	s_delay_alu instid0(VALU_DEP_1) | instskip(SKIP_1) | instid1(VALU_DEP_1)
	v_cmp_gt_f32_e32 vcc_lo, 0x3f2aaaab, v9
	v_add_f32_e32 v9, -1.0, v12
	v_dual_sub_f32 v14, v9, v12 :: v_dual_sub_f32 v9, v10, v9
	v_subrev_co_ci_u32_e32 v8, vcc_lo, 0, v8, vcc_lo
	s_delay_alu instid0(VALU_DEP_1) | instskip(SKIP_1) | instid1(VALU_DEP_2)
	v_sub_nc_u32_e32 v13, 0, v8
	v_cvt_f32_i32_e32 v8, v8
	v_ldexp_f32 v12, v12, v13
	s_delay_alu instid0(VALU_DEP_1) | instskip(NEXT) | instid1(VALU_DEP_1)
	v_dual_add_f32 v14, 1.0, v14 :: v_dual_add_f32 v15, 1.0, v12
	v_add_f32_e32 v9, v9, v14
	s_delay_alu instid0(VALU_DEP_1) | instskip(NEXT) | instid1(VALU_DEP_3)
	v_ldexp_f32 v9, v9, v13
	v_dual_add_f32 v13, -1.0, v12 :: v_dual_add_f32 v14, -1.0, v15
	s_delay_alu instid0(VALU_DEP_1) | instskip(NEXT) | instid1(VALU_DEP_1)
	v_dual_add_f32 v17, 1.0, v13 :: v_dual_sub_f32 v14, v12, v14
	v_sub_f32_e32 v12, v12, v17
	s_delay_alu instid0(VALU_DEP_2) | instskip(NEXT) | instid1(VALU_DEP_2)
	v_add_f32_e32 v14, v9, v14
	v_add_f32_e32 v9, v9, v12
	s_delay_alu instid0(VALU_DEP_2) | instskip(SKIP_2) | instid1(VALU_DEP_4)
	v_add_f32_e32 v17, v15, v14
	v_cmp_eq_f32_e32 vcc_lo, 0x7f800000, v10
	v_cmp_gt_f32_e64 s28, 0x33800000, v10
	v_add_f32_e32 v103, v13, v9
	s_delay_alu instid0(VALU_DEP_4) | instskip(SKIP_1) | instid1(VALU_DEP_3)
	v_rcp_f32_e32 v12, v17
	v_sub_f32_e32 v15, v15, v17
	s_or_b32 vcc_lo, s28, vcc_lo
	s_delay_alu instid0(VALU_DEP_2) | instskip(NEXT) | instid1(VALU_DEP_1)
	v_sub_f32_e32 v13, v13, v103
	v_dual_add_f32 v14, v14, v15 :: v_dual_add_f32 v9, v9, v13
	s_waitcnt_depctr 0xfff
	v_mul_f32_e32 v104, v103, v12
	s_delay_alu instid0(VALU_DEP_1) | instskip(NEXT) | instid1(VALU_DEP_1)
	v_mul_f32_e32 v105, v17, v104
	v_fma_f32 v15, v104, v17, -v105
	s_delay_alu instid0(VALU_DEP_1) | instskip(NEXT) | instid1(VALU_DEP_1)
	v_fmac_f32_e32 v15, v104, v14
	v_add_f32_e32 v106, v105, v15
	s_delay_alu instid0(VALU_DEP_1) | instskip(SKIP_1) | instid1(VALU_DEP_2)
	v_sub_f32_e32 v107, v103, v106
	v_sub_f32_e32 v13, v106, v105
	;; [unrolled: 1-line block ×3, first 2 shown]
	s_delay_alu instid0(VALU_DEP_2) | instskip(NEXT) | instid1(VALU_DEP_2)
	v_sub_f32_e32 v13, v13, v15
	v_sub_f32_e32 v103, v103, v106
	s_delay_alu instid0(VALU_DEP_1) | instskip(NEXT) | instid1(VALU_DEP_1)
	v_add_f32_e32 v9, v9, v103
	v_add_f32_e32 v9, v13, v9
	s_delay_alu instid0(VALU_DEP_1) | instskip(NEXT) | instid1(VALU_DEP_1)
	v_add_f32_e32 v13, v107, v9
	v_mul_f32_e32 v15, v12, v13
	s_delay_alu instid0(VALU_DEP_1) | instskip(NEXT) | instid1(VALU_DEP_1)
	v_dual_sub_f32 v106, v107, v13 :: v_dual_mul_f32 v103, v17, v15
	v_add_f32_e32 v9, v9, v106
	s_delay_alu instid0(VALU_DEP_2) | instskip(NEXT) | instid1(VALU_DEP_1)
	v_fma_f32 v17, v15, v17, -v103
	v_fmac_f32_e32 v17, v15, v14
	s_delay_alu instid0(VALU_DEP_1) | instskip(NEXT) | instid1(VALU_DEP_1)
	v_add_f32_e32 v14, v103, v17
	v_sub_f32_e32 v105, v13, v14
	v_sub_f32_e32 v103, v14, v103
	s_delay_alu instid0(VALU_DEP_2) | instskip(NEXT) | instid1(VALU_DEP_1)
	v_sub_f32_e32 v13, v13, v105
	v_dual_sub_f32 v13, v13, v14 :: v_dual_sub_f32 v14, v103, v17
	s_delay_alu instid0(VALU_DEP_1) | instskip(SKIP_1) | instid1(VALU_DEP_1)
	v_add_f32_e32 v9, v9, v13
	v_add_f32_e32 v13, v104, v15
	v_dual_add_f32 v9, v14, v9 :: v_dual_sub_f32 v14, v13, v104
	s_delay_alu instid0(VALU_DEP_1) | instskip(NEXT) | instid1(VALU_DEP_1)
	v_dual_add_f32 v9, v105, v9 :: v_dual_sub_f32 v14, v15, v14
	v_mul_f32_e32 v9, v12, v9
	s_delay_alu instid0(VALU_DEP_1) | instskip(NEXT) | instid1(VALU_DEP_1)
	v_add_f32_e32 v9, v14, v9
	v_add_f32_e32 v12, v13, v9
	s_delay_alu instid0(VALU_DEP_1) | instskip(NEXT) | instid1(VALU_DEP_1)
	v_mul_f32_e32 v14, v12, v12
	v_fmaak_f32 v15, s83, v14, 0x3ecc95a3
	s_delay_alu instid0(VALU_DEP_1) | instskip(SKIP_2) | instid1(VALU_DEP_3)
	v_dual_mul_f32 v17, v12, v14 :: v_dual_fmaak_f32 v14, v14, v15, 0x3f2aaada
	v_ldexp_f32 v15, v12, 1
	v_sub_f32_e32 v12, v12, v13
	v_dual_mul_f32 v14, v17, v14 :: v_dual_mul_f32 v17, 0x3f317218, v8
	s_delay_alu instid0(VALU_DEP_2) | instskip(NEXT) | instid1(VALU_DEP_2)
	v_sub_f32_e32 v9, v9, v12
	v_add_f32_e32 v13, v15, v14
	s_delay_alu instid0(VALU_DEP_2) | instskip(NEXT) | instid1(VALU_DEP_2)
	v_ldexp_f32 v9, v9, 1
	v_sub_f32_e32 v12, v13, v15
	v_fma_f32 v15, 0x3f317218, v8, -v17
	s_delay_alu instid0(VALU_DEP_2) | instskip(NEXT) | instid1(VALU_DEP_2)
	v_sub_f32_e32 v12, v14, v12
	v_fmac_f32_e32 v15, 0xb102e308, v8
	s_delay_alu instid0(VALU_DEP_2) | instskip(NEXT) | instid1(VALU_DEP_2)
	v_add_f32_e32 v8, v9, v12
	v_add_f32_e32 v9, v17, v15
	s_delay_alu instid0(VALU_DEP_2) | instskip(NEXT) | instid1(VALU_DEP_2)
	v_add_f32_e32 v12, v13, v8
	v_sub_f32_e32 v17, v9, v17
	s_delay_alu instid0(VALU_DEP_2) | instskip(NEXT) | instid1(VALU_DEP_2)
	v_dual_add_f32 v14, v9, v12 :: v_dual_sub_f32 v13, v12, v13
	v_sub_f32_e32 v15, v15, v17
	s_delay_alu instid0(VALU_DEP_2) | instskip(NEXT) | instid1(VALU_DEP_3)
	v_sub_f32_e32 v103, v14, v9
	v_sub_f32_e32 v8, v8, v13
	s_delay_alu instid0(VALU_DEP_2) | instskip(NEXT) | instid1(VALU_DEP_2)
	v_sub_f32_e32 v104, v14, v103
	v_dual_sub_f32 v12, v12, v103 :: v_dual_add_f32 v13, v15, v8
	s_delay_alu instid0(VALU_DEP_2) | instskip(NEXT) | instid1(VALU_DEP_1)
	v_sub_f32_e32 v9, v9, v104
	v_dual_add_f32 v9, v12, v9 :: v_dual_sub_f32 v12, v13, v15
	s_delay_alu instid0(VALU_DEP_1) | instskip(NEXT) | instid1(VALU_DEP_2)
	v_add_f32_e32 v9, v13, v9
	v_sub_f32_e32 v13, v13, v12
	s_delay_alu instid0(VALU_DEP_2) | instskip(NEXT) | instid1(VALU_DEP_1)
	v_dual_sub_f32 v8, v8, v12 :: v_dual_add_f32 v17, v14, v9
	v_dual_sub_f32 v13, v15, v13 :: v_dual_sub_f32 v12, v17, v14
	s_delay_alu instid0(VALU_DEP_1) | instskip(NEXT) | instid1(VALU_DEP_1)
	v_dual_add_f32 v8, v8, v13 :: v_dual_sub_f32 v9, v9, v12
	v_add_f32_e32 v8, v8, v9
	s_delay_alu instid0(VALU_DEP_1) | instskip(NEXT) | instid1(VALU_DEP_1)
	v_add_f32_e32 v8, v17, v8
	v_cndmask_b32_e32 v103, v8, v10, vcc_lo
.LBB82_102:                             ;   in Loop: Header=BB82_12 Depth=1
	s_or_b32 exec_lo, exec_lo, s29
	v_cvt_f32_f16_e32 v8, v11
	s_delay_alu instid0(VALU_DEP_1) | instskip(NEXT) | instid1(VALU_DEP_1)
	v_add_f32_e32 v104, s66, v8
	v_cmp_ge_f32_e32 vcc_lo, 0x41a00000, v104
	s_and_b32 s28, s79, vcc_lo
	s_delay_alu instid0(SALU_CYCLE_1)
	s_and_saveexec_b32 s29, s28
	s_cbranch_execz .LBB82_104
; %bb.103:                              ;   in Loop: Header=BB82_12 Depth=1
	v_mul_f32_e32 v8, 0x3fb8aa3b, v104
	v_cmp_ngt_f32_e32 vcc_lo, 0xc2ce8ed0, v104
	s_delay_alu instid0(VALU_DEP_2) | instskip(SKIP_1) | instid1(VALU_DEP_2)
	v_rndne_f32_e32 v9, v8
	v_fma_f32 v10, 0x3fb8aa3b, v104, -v8
	v_sub_f32_e32 v8, v8, v9
	s_delay_alu instid0(VALU_DEP_2) | instskip(SKIP_1) | instid1(VALU_DEP_2)
	v_fmac_f32_e32 v10, 0x32a5705f, v104
	v_cvt_i32_f32_e32 v9, v9
	v_add_f32_e32 v8, v8, v10
	s_delay_alu instid0(VALU_DEP_1) | instskip(SKIP_2) | instid1(VALU_DEP_1)
	v_exp_f32_e32 v8, v8
	s_waitcnt_depctr 0xfff
	v_ldexp_f32 v8, v8, v9
	v_cndmask_b32_e32 v8, 0, v8, vcc_lo
	v_cmp_nlt_f32_e32 vcc_lo, 0x42b17218, v104
	s_delay_alu instid0(VALU_DEP_2) | instskip(NEXT) | instid1(VALU_DEP_1)
	v_cndmask_b32_e32 v10, 0x7f800000, v8, vcc_lo
	v_add_f32_e32 v12, 1.0, v10
	s_delay_alu instid0(VALU_DEP_1) | instskip(NEXT) | instid1(VALU_DEP_1)
	v_cvt_f64_f32_e32 v[8:9], v12
	v_frexp_exp_i32_f64_e32 v8, v[8:9]
	v_frexp_mant_f32_e32 v9, v12
	s_delay_alu instid0(VALU_DEP_1) | instskip(SKIP_1) | instid1(VALU_DEP_1)
	v_cmp_gt_f32_e32 vcc_lo, 0x3f2aaaab, v9
	v_add_f32_e32 v9, -1.0, v12
	v_dual_sub_f32 v14, v9, v12 :: v_dual_sub_f32 v9, v10, v9
	v_subrev_co_ci_u32_e32 v8, vcc_lo, 0, v8, vcc_lo
	s_delay_alu instid0(VALU_DEP_1) | instskip(SKIP_1) | instid1(VALU_DEP_2)
	v_sub_nc_u32_e32 v13, 0, v8
	v_cvt_f32_i32_e32 v8, v8
	v_ldexp_f32 v12, v12, v13
	s_delay_alu instid0(VALU_DEP_1) | instskip(NEXT) | instid1(VALU_DEP_1)
	v_dual_add_f32 v14, 1.0, v14 :: v_dual_add_f32 v15, 1.0, v12
	v_add_f32_e32 v9, v9, v14
	s_delay_alu instid0(VALU_DEP_1) | instskip(NEXT) | instid1(VALU_DEP_3)
	v_ldexp_f32 v9, v9, v13
	v_dual_add_f32 v13, -1.0, v12 :: v_dual_add_f32 v14, -1.0, v15
	s_delay_alu instid0(VALU_DEP_1) | instskip(NEXT) | instid1(VALU_DEP_1)
	v_dual_add_f32 v17, 1.0, v13 :: v_dual_sub_f32 v14, v12, v14
	v_sub_f32_e32 v12, v12, v17
	s_delay_alu instid0(VALU_DEP_2) | instskip(NEXT) | instid1(VALU_DEP_2)
	v_add_f32_e32 v14, v9, v14
	v_add_f32_e32 v9, v9, v12
	s_delay_alu instid0(VALU_DEP_2) | instskip(SKIP_2) | instid1(VALU_DEP_4)
	v_add_f32_e32 v17, v15, v14
	v_cmp_eq_f32_e32 vcc_lo, 0x7f800000, v10
	v_cmp_gt_f32_e64 s28, 0x33800000, v10
	v_add_f32_e32 v104, v13, v9
	s_delay_alu instid0(VALU_DEP_4) | instskip(SKIP_1) | instid1(VALU_DEP_3)
	v_rcp_f32_e32 v12, v17
	v_sub_f32_e32 v15, v15, v17
	s_or_b32 vcc_lo, s28, vcc_lo
	s_delay_alu instid0(VALU_DEP_2) | instskip(NEXT) | instid1(VALU_DEP_1)
	v_sub_f32_e32 v13, v13, v104
	v_add_f32_e32 v9, v9, v13
	s_waitcnt_depctr 0xfff
	v_dual_mul_f32 v105, v104, v12 :: v_dual_add_f32 v14, v14, v15
	s_delay_alu instid0(VALU_DEP_1) | instskip(NEXT) | instid1(VALU_DEP_1)
	v_mul_f32_e32 v106, v17, v105
	v_fma_f32 v15, v105, v17, -v106
	s_delay_alu instid0(VALU_DEP_1) | instskip(NEXT) | instid1(VALU_DEP_1)
	v_fmac_f32_e32 v15, v105, v14
	v_add_f32_e32 v107, v106, v15
	s_delay_alu instid0(VALU_DEP_1) | instskip(NEXT) | instid1(VALU_DEP_1)
	v_dual_sub_f32 v13, v107, v106 :: v_dual_sub_f32 v108, v104, v107
	v_dual_sub_f32 v13, v13, v15 :: v_dual_sub_f32 v104, v104, v108
	s_delay_alu instid0(VALU_DEP_1) | instskip(NEXT) | instid1(VALU_DEP_1)
	v_sub_f32_e32 v104, v104, v107
	v_add_f32_e32 v9, v9, v104
	s_delay_alu instid0(VALU_DEP_1) | instskip(NEXT) | instid1(VALU_DEP_1)
	v_add_f32_e32 v9, v13, v9
	v_add_f32_e32 v13, v108, v9
	s_delay_alu instid0(VALU_DEP_1) | instskip(NEXT) | instid1(VALU_DEP_1)
	v_mul_f32_e32 v15, v12, v13
	v_mul_f32_e32 v104, v17, v15
	s_delay_alu instid0(VALU_DEP_1) | instskip(NEXT) | instid1(VALU_DEP_1)
	v_fma_f32 v17, v15, v17, -v104
	v_fmac_f32_e32 v17, v15, v14
	s_delay_alu instid0(VALU_DEP_1) | instskip(NEXT) | instid1(VALU_DEP_1)
	v_add_f32_e32 v14, v104, v17
	v_dual_sub_f32 v107, v108, v13 :: v_dual_sub_f32 v106, v13, v14
	s_delay_alu instid0(VALU_DEP_1) | instskip(NEXT) | instid1(VALU_DEP_2)
	v_dual_sub_f32 v13, v13, v106 :: v_dual_sub_f32 v104, v14, v104
	v_add_f32_e32 v9, v9, v107
	s_delay_alu instid0(VALU_DEP_2) | instskip(NEXT) | instid1(VALU_DEP_1)
	v_dual_sub_f32 v13, v13, v14 :: v_dual_sub_f32 v14, v104, v17
	v_add_f32_e32 v9, v9, v13
	v_add_f32_e32 v13, v105, v15
	s_delay_alu instid0(VALU_DEP_2) | instskip(NEXT) | instid1(VALU_DEP_2)
	v_add_f32_e32 v9, v14, v9
	v_sub_f32_e32 v14, v13, v105
	s_delay_alu instid0(VALU_DEP_1) | instskip(NEXT) | instid1(VALU_DEP_1)
	v_dual_add_f32 v9, v106, v9 :: v_dual_sub_f32 v14, v15, v14
	v_mul_f32_e32 v9, v12, v9
	s_delay_alu instid0(VALU_DEP_1) | instskip(NEXT) | instid1(VALU_DEP_1)
	v_add_f32_e32 v9, v14, v9
	v_add_f32_e32 v12, v13, v9
	s_delay_alu instid0(VALU_DEP_1) | instskip(NEXT) | instid1(VALU_DEP_1)
	v_mul_f32_e32 v14, v12, v12
	v_fmaak_f32 v15, s83, v14, 0x3ecc95a3
	s_delay_alu instid0(VALU_DEP_1) | instskip(SKIP_1) | instid1(VALU_DEP_2)
	v_dual_mul_f32 v17, v12, v14 :: v_dual_fmaak_f32 v14, v14, v15, 0x3f2aaada
	v_ldexp_f32 v15, v12, 1
	v_mul_f32_e32 v14, v17, v14
	v_dual_sub_f32 v12, v12, v13 :: v_dual_mul_f32 v17, 0x3f317218, v8
	s_delay_alu instid0(VALU_DEP_2) | instskip(NEXT) | instid1(VALU_DEP_2)
	v_add_f32_e32 v13, v15, v14
	v_sub_f32_e32 v9, v9, v12
	s_delay_alu instid0(VALU_DEP_2) | instskip(NEXT) | instid1(VALU_DEP_4)
	v_sub_f32_e32 v12, v13, v15
	v_fma_f32 v15, 0x3f317218, v8, -v17
	s_delay_alu instid0(VALU_DEP_3) | instskip(NEXT) | instid1(VALU_DEP_3)
	v_ldexp_f32 v9, v9, 1
	v_sub_f32_e32 v12, v14, v12
	s_delay_alu instid0(VALU_DEP_3) | instskip(NEXT) | instid1(VALU_DEP_2)
	v_fmac_f32_e32 v15, 0xb102e308, v8
	v_add_f32_e32 v8, v9, v12
	s_delay_alu instid0(VALU_DEP_1) | instskip(NEXT) | instid1(VALU_DEP_3)
	v_add_f32_e32 v12, v13, v8
	v_add_f32_e32 v9, v17, v15
	s_delay_alu instid0(VALU_DEP_1) | instskip(NEXT) | instid1(VALU_DEP_1)
	v_dual_sub_f32 v13, v12, v13 :: v_dual_add_f32 v14, v9, v12
	v_sub_f32_e32 v8, v8, v13
	s_delay_alu instid0(VALU_DEP_2) | instskip(NEXT) | instid1(VALU_DEP_1)
	v_sub_f32_e32 v104, v14, v9
	v_dual_sub_f32 v12, v12, v104 :: v_dual_sub_f32 v17, v9, v17
	s_delay_alu instid0(VALU_DEP_1) | instskip(NEXT) | instid1(VALU_DEP_1)
	v_sub_f32_e32 v15, v15, v17
	v_add_f32_e32 v13, v15, v8
	v_sub_f32_e32 v105, v14, v104
	s_delay_alu instid0(VALU_DEP_1) | instskip(NEXT) | instid1(VALU_DEP_1)
	v_sub_f32_e32 v9, v9, v105
	v_dual_add_f32 v9, v12, v9 :: v_dual_sub_f32 v12, v13, v15
	s_delay_alu instid0(VALU_DEP_1) | instskip(NEXT) | instid1(VALU_DEP_2)
	v_add_f32_e32 v9, v13, v9
	v_sub_f32_e32 v13, v13, v12
	s_delay_alu instid0(VALU_DEP_2) | instskip(NEXT) | instid1(VALU_DEP_1)
	v_dual_sub_f32 v8, v8, v12 :: v_dual_add_f32 v17, v14, v9
	v_dual_sub_f32 v12, v17, v14 :: v_dual_sub_f32 v13, v15, v13
	s_delay_alu instid0(VALU_DEP_1) | instskip(NEXT) | instid1(VALU_DEP_1)
	v_dual_sub_f32 v9, v9, v12 :: v_dual_add_f32 v8, v8, v13
	v_add_f32_e32 v8, v8, v9
	s_delay_alu instid0(VALU_DEP_1) | instskip(NEXT) | instid1(VALU_DEP_1)
	v_add_f32_e32 v8, v17, v8
	v_cndmask_b32_e32 v104, v8, v10, vcc_lo
.LBB82_104:                             ;   in Loop: Header=BB82_12 Depth=1
	s_or_b32 exec_lo, exec_lo, s29
	v_lshrrev_b32_e32 v8, 16, v11
	s_delay_alu instid0(VALU_DEP_1) | instskip(NEXT) | instid1(VALU_DEP_1)
	v_cvt_f32_f16_e32 v8, v8
	v_add_f32_e32 v111, s66, v8
	s_delay_alu instid0(VALU_DEP_1) | instskip(SKIP_1) | instid1(SALU_CYCLE_1)
	v_cmp_ge_f32_e32 vcc_lo, 0x41a00000, v111
	s_and_b32 s28, s79, vcc_lo
	s_and_saveexec_b32 s29, s28
	s_cbranch_execz .LBB82_106
; %bb.105:                              ;   in Loop: Header=BB82_12 Depth=1
	v_mul_f32_e32 v8, 0x3fb8aa3b, v111
	v_cmp_ngt_f32_e32 vcc_lo, 0xc2ce8ed0, v111
	s_delay_alu instid0(VALU_DEP_2) | instskip(SKIP_1) | instid1(VALU_DEP_2)
	v_rndne_f32_e32 v9, v8
	v_fma_f32 v10, 0x3fb8aa3b, v111, -v8
	v_sub_f32_e32 v8, v8, v9
	s_delay_alu instid0(VALU_DEP_2) | instskip(SKIP_1) | instid1(VALU_DEP_2)
	v_fmac_f32_e32 v10, 0x32a5705f, v111
	v_cvt_i32_f32_e32 v9, v9
	v_add_f32_e32 v8, v8, v10
	s_delay_alu instid0(VALU_DEP_1) | instskip(SKIP_2) | instid1(VALU_DEP_1)
	v_exp_f32_e32 v8, v8
	s_waitcnt_depctr 0xfff
	v_ldexp_f32 v8, v8, v9
	v_cndmask_b32_e32 v8, 0, v8, vcc_lo
	v_cmp_nlt_f32_e32 vcc_lo, 0x42b17218, v111
	s_delay_alu instid0(VALU_DEP_2) | instskip(NEXT) | instid1(VALU_DEP_1)
	v_cndmask_b32_e32 v10, 0x7f800000, v8, vcc_lo
	v_add_f32_e32 v11, 1.0, v10
	s_delay_alu instid0(VALU_DEP_1) | instskip(NEXT) | instid1(VALU_DEP_1)
	v_cvt_f64_f32_e32 v[8:9], v11
	v_frexp_exp_i32_f64_e32 v8, v[8:9]
	v_frexp_mant_f32_e32 v9, v11
	s_delay_alu instid0(VALU_DEP_1) | instskip(SKIP_1) | instid1(VALU_DEP_1)
	v_cmp_gt_f32_e32 vcc_lo, 0x3f2aaaab, v9
	v_add_f32_e32 v9, -1.0, v11
	v_sub_f32_e32 v13, v9, v11
	v_sub_f32_e32 v9, v10, v9
	s_delay_alu instid0(VALU_DEP_2) | instskip(NEXT) | instid1(VALU_DEP_1)
	v_add_f32_e32 v13, 1.0, v13
	v_add_f32_e32 v9, v9, v13
	v_cmp_gt_f32_e64 s28, 0x33800000, v10
	v_subrev_co_ci_u32_e32 v8, vcc_lo, 0, v8, vcc_lo
	v_cmp_eq_f32_e32 vcc_lo, 0x7f800000, v10
	s_delay_alu instid0(VALU_DEP_2) | instskip(SKIP_2) | instid1(VALU_DEP_2)
	v_sub_nc_u32_e32 v12, 0, v8
	v_cvt_f32_i32_e32 v8, v8
	s_or_b32 vcc_lo, s28, vcc_lo
	v_ldexp_f32 v11, v11, v12
	v_ldexp_f32 v9, v9, v12
	s_delay_alu instid0(VALU_DEP_2) | instskip(NEXT) | instid1(VALU_DEP_1)
	v_add_f32_e32 v14, 1.0, v11
	v_dual_add_f32 v12, -1.0, v11 :: v_dual_add_f32 v13, -1.0, v14
	s_delay_alu instid0(VALU_DEP_1) | instskip(NEXT) | instid1(VALU_DEP_2)
	v_add_f32_e32 v15, 1.0, v12
	v_sub_f32_e32 v13, v11, v13
	s_delay_alu instid0(VALU_DEP_2) | instskip(NEXT) | instid1(VALU_DEP_2)
	v_sub_f32_e32 v11, v11, v15
	v_add_f32_e32 v13, v9, v13
	s_delay_alu instid0(VALU_DEP_2) | instskip(NEXT) | instid1(VALU_DEP_1)
	v_add_f32_e32 v9, v9, v11
	v_add_f32_e32 v17, v12, v9
	s_delay_alu instid0(VALU_DEP_3) | instskip(NEXT) | instid1(VALU_DEP_2)
	v_add_f32_e32 v15, v14, v13
	v_sub_f32_e32 v12, v12, v17
	s_delay_alu instid0(VALU_DEP_2) | instskip(SKIP_1) | instid1(VALU_DEP_1)
	v_rcp_f32_e32 v11, v15
	v_sub_f32_e32 v14, v14, v15
	v_add_f32_e32 v13, v13, v14
	s_waitcnt_depctr 0xfff
	v_mul_f32_e32 v105, v17, v11
	s_delay_alu instid0(VALU_DEP_1) | instskip(NEXT) | instid1(VALU_DEP_1)
	v_dual_mul_f32 v106, v15, v105 :: v_dual_add_f32 v9, v9, v12
	v_fma_f32 v14, v105, v15, -v106
	s_delay_alu instid0(VALU_DEP_1) | instskip(NEXT) | instid1(VALU_DEP_1)
	v_fmac_f32_e32 v14, v105, v13
	v_add_f32_e32 v107, v106, v14
	s_delay_alu instid0(VALU_DEP_1) | instskip(SKIP_1) | instid1(VALU_DEP_1)
	v_sub_f32_e32 v12, v107, v106
	v_sub_f32_e32 v108, v17, v107
	v_dual_sub_f32 v12, v12, v14 :: v_dual_sub_f32 v17, v17, v108
	s_delay_alu instid0(VALU_DEP_1) | instskip(NEXT) | instid1(VALU_DEP_1)
	v_sub_f32_e32 v17, v17, v107
	v_add_f32_e32 v9, v9, v17
	s_delay_alu instid0(VALU_DEP_1) | instskip(NEXT) | instid1(VALU_DEP_1)
	v_add_f32_e32 v9, v12, v9
	v_add_f32_e32 v12, v108, v9
	s_delay_alu instid0(VALU_DEP_1) | instskip(SKIP_1) | instid1(VALU_DEP_2)
	v_mul_f32_e32 v14, v11, v12
	v_sub_f32_e32 v107, v108, v12
	v_mul_f32_e32 v17, v15, v14
	s_delay_alu instid0(VALU_DEP_2) | instskip(NEXT) | instid1(VALU_DEP_2)
	v_add_f32_e32 v9, v9, v107
	v_fma_f32 v15, v14, v15, -v17
	s_delay_alu instid0(VALU_DEP_1) | instskip(NEXT) | instid1(VALU_DEP_1)
	v_fmac_f32_e32 v15, v14, v13
	v_add_f32_e32 v13, v17, v15
	s_delay_alu instid0(VALU_DEP_1) | instskip(NEXT) | instid1(VALU_DEP_1)
	v_sub_f32_e32 v106, v12, v13
	v_dual_sub_f32 v17, v13, v17 :: v_dual_sub_f32 v12, v12, v106
	s_delay_alu instid0(VALU_DEP_1) | instskip(NEXT) | instid1(VALU_DEP_1)
	v_dual_sub_f32 v12, v12, v13 :: v_dual_sub_f32 v13, v17, v15
	v_add_f32_e32 v9, v9, v12
	v_add_f32_e32 v12, v105, v14
	s_delay_alu instid0(VALU_DEP_2) | instskip(NEXT) | instid1(VALU_DEP_2)
	v_add_f32_e32 v9, v13, v9
	v_sub_f32_e32 v13, v12, v105
	s_delay_alu instid0(VALU_DEP_2) | instskip(NEXT) | instid1(VALU_DEP_2)
	v_add_f32_e32 v9, v106, v9
	v_sub_f32_e32 v13, v14, v13
	s_delay_alu instid0(VALU_DEP_2) | instskip(NEXT) | instid1(VALU_DEP_1)
	v_mul_f32_e32 v9, v11, v9
	v_add_f32_e32 v9, v13, v9
	s_delay_alu instid0(VALU_DEP_1) | instskip(NEXT) | instid1(VALU_DEP_1)
	v_add_f32_e32 v11, v12, v9
	v_mul_f32_e32 v13, v11, v11
	s_delay_alu instid0(VALU_DEP_1) | instskip(SKIP_1) | instid1(VALU_DEP_2)
	v_fmaak_f32 v14, s83, v13, 0x3ecc95a3
	v_mul_f32_e32 v15, v11, v13
	v_fmaak_f32 v13, v13, v14, 0x3f2aaada
	v_ldexp_f32 v14, v11, 1
	v_sub_f32_e32 v11, v11, v12
	s_delay_alu instid0(VALU_DEP_3) | instskip(SKIP_1) | instid1(VALU_DEP_2)
	v_mul_f32_e32 v13, v15, v13
	v_mul_f32_e32 v15, 0x3f317218, v8
	v_dual_sub_f32 v9, v9, v11 :: v_dual_add_f32 v12, v14, v13
	s_delay_alu instid0(VALU_DEP_1) | instskip(NEXT) | instid1(VALU_DEP_2)
	v_ldexp_f32 v9, v9, 1
	v_sub_f32_e32 v11, v12, v14
	s_delay_alu instid0(VALU_DEP_4) | instskip(NEXT) | instid1(VALU_DEP_1)
	v_fma_f32 v14, 0x3f317218, v8, -v15
	v_dual_sub_f32 v11, v13, v11 :: v_dual_fmac_f32 v14, 0xb102e308, v8
	s_delay_alu instid0(VALU_DEP_1) | instskip(NEXT) | instid1(VALU_DEP_1)
	v_dual_add_f32 v8, v9, v11 :: v_dual_add_f32 v9, v15, v14
	v_add_f32_e32 v11, v12, v8
	s_delay_alu instid0(VALU_DEP_2) | instskip(NEXT) | instid1(VALU_DEP_2)
	v_sub_f32_e32 v15, v9, v15
	v_dual_add_f32 v13, v9, v11 :: v_dual_sub_f32 v12, v11, v12
	s_delay_alu instid0(VALU_DEP_1) | instskip(NEXT) | instid1(VALU_DEP_1)
	v_dual_sub_f32 v14, v14, v15 :: v_dual_sub_f32 v17, v13, v9
	v_dual_sub_f32 v8, v8, v12 :: v_dual_sub_f32 v105, v13, v17
	s_delay_alu instid0(VALU_DEP_1) | instskip(NEXT) | instid1(VALU_DEP_2)
	v_dual_sub_f32 v11, v11, v17 :: v_dual_add_f32 v12, v14, v8
	v_sub_f32_e32 v9, v9, v105
	s_delay_alu instid0(VALU_DEP_1) | instskip(NEXT) | instid1(VALU_DEP_3)
	v_add_f32_e32 v9, v11, v9
	v_sub_f32_e32 v11, v12, v14
	s_delay_alu instid0(VALU_DEP_2) | instskip(NEXT) | instid1(VALU_DEP_2)
	v_add_f32_e32 v9, v12, v9
	v_sub_f32_e32 v12, v12, v11
	s_delay_alu instid0(VALU_DEP_2) | instskip(NEXT) | instid1(VALU_DEP_1)
	v_dual_sub_f32 v8, v8, v11 :: v_dual_add_f32 v15, v13, v9
	v_dual_sub_f32 v12, v14, v12 :: v_dual_sub_f32 v11, v15, v13
	s_delay_alu instid0(VALU_DEP_1) | instskip(NEXT) | instid1(VALU_DEP_1)
	v_dual_add_f32 v8, v8, v12 :: v_dual_sub_f32 v9, v9, v11
	v_add_f32_e32 v8, v8, v9
	s_delay_alu instid0(VALU_DEP_1) | instskip(NEXT) | instid1(VALU_DEP_1)
	v_add_f32_e32 v8, v15, v8
	v_cndmask_b32_e32 v111, v8, v10, vcc_lo
.LBB82_106:                             ;   in Loop: Header=BB82_12 Depth=1
	s_or_b32 exec_lo, exec_lo, s29
	v_lshrrev_b32_e32 v9, 16, v6
	v_lshrrev_b32_e32 v10, 16, v7
	;; [unrolled: 1-line block ×6, first 2 shown]
	v_cvt_f32_f16_e32 v8, v7
	v_cvt_f32_f16_e32 v7, v9
	;; [unrolled: 1-line block ×7, first 2 shown]
	v_lshrrev_b32_e32 v14, 16, v1
	v_lshrrev_b32_e32 v15, 16, v0
	v_cvt_f32_f16_e32 v6, v6
	v_cvt_f32_f16_e32 v5, v5
	;; [unrolled: 1-line block ×9, first 2 shown]
	v_dual_mul_f32 v105, s67, v8 :: v_dual_mul_f32 v106, s67, v7
	v_dual_mul_f32 v107, s67, v6 :: v_dual_mul_f32 v108, s67, v9
	;; [unrolled: 1-line block ×8, first 2 shown]
	s_and_b32 vcc_lo, exec_lo, s80
	s_barrier
	buffer_gl0_inv
	s_cbranch_vccz .LBB82_202
; %bb.107:                              ;   in Loop: Header=BB82_12 Depth=1
	v_dual_mul_f32 v122, v111, v11 :: v_dual_mul_f32 v127, v104, v8
	v_add_co_u32 v11, s28, s53, v16
	s_delay_alu instid0(VALU_DEP_1) | instskip(SKIP_1) | instid1(VALU_DEP_1)
	v_add_co_ci_u32_e64 v17, null, s73, 0, s28
	v_add_co_u32 v16, s28, s57, v16
	v_add_co_ci_u32_e64 v126, null, s74, 0, s28
	s_delay_alu instid0(VALU_DEP_4) | instskip(NEXT) | instid1(VALU_DEP_4)
	v_add_co_u32 v123, vcc_lo, v11, v89
	v_add_co_ci_u32_e32 v124, vcc_lo, 0, v17, vcc_lo
	s_delay_alu instid0(VALU_DEP_4) | instskip(NEXT) | instid1(VALU_DEP_4)
	v_add_co_u32 v125, vcc_lo, v16, v89
	v_add_co_ci_u32_e32 v126, vcc_lo, 0, v126, vcc_lo
	v_cmp_gt_u32_e32 vcc_lo, s40, v18
	s_cmp_lg_u32 s85, 0
	v_cmp_gt_u32_e64 s30, s40, v75
	s_cselect_b32 s51, -1, 0
	s_cmp_eq_u32 s85, s82
	v_cmp_gt_u32_e64 s31, s40, v76
	s_cselect_b32 s86, -1, 0
	s_or_b32 s28, s81, vcc_lo
	v_cmp_gt_u32_e32 vcc_lo, s40, v74
	v_cmp_gt_u32_e64 s33, s40, v77
	v_cmp_gt_u32_e64 s34, s40, v78
	;; [unrolled: 1-line block ×4, first 2 shown]
	s_or_b32 s29, s81, vcc_lo
	v_cmp_gt_u32_e32 vcc_lo, s40, v79
	v_cmp_gt_u32_e64 s38, s40, v82
	v_cmp_gt_u32_e64 s39, s40, v83
	;; [unrolled: 1-line block ×4, first 2 shown]
	s_or_b32 s35, s81, vcc_lo
	v_cmp_gt_u32_e32 vcc_lo, s40, v84
	v_cmp_gt_u32_e64 s43, s40, v87
	v_cmp_gt_u32_e64 s44, s40, v88
	v_dual_mul_f32 v128, v103, v7 :: v_dual_mul_f32 v129, v102, v6
	v_dual_mul_f32 v130, v101, v9 :: v_dual_mul_f32 v133, v98, v4
	;; [unrolled: 1-line block ×7, first 2 shown]
	s_mov_b32 s64, 0
	s_or_b32 s30, s81, s30
	s_or_b32 s31, s81, s31
	;; [unrolled: 1-line block ×8, first 2 shown]
	s_or_b32 s40, s81, vcc_lo
	s_or_b32 s41, s81, s41
	s_or_b32 s42, s81, s42
	;; [unrolled: 1-line block ×4, first 2 shown]
	s_mov_b32 s54, s64
	s_mov_b32 s58, s64
	s_mov_b32 s60, s64
	s_mov_b32 s87, s77
	s_mov_b32 s88, s84
	s_branch .LBB82_109
.LBB82_108:                             ;   in Loop: Header=BB82_109 Depth=2
	s_or_b32 exec_lo, exec_lo, s45
	v_cndmask_b32_e64 v9, v171, v11, s11
	v_cndmask_b32_e64 v10, v170, v10, s11
	s_add_i32 s87, s87, -1
	s_add_i32 s88, s88, 8
	s_add_i32 s60, s60, s62
	v_fma_f32 v9, v9, v142, v15
	v_mul_f32_e32 v10, v10, v142
	s_add_i32 s58, s58, s56
	s_add_i32 s54, s54, s52
	;; [unrolled: 1-line block ×3, first 2 shown]
	v_cndmask_b32_e64 v9, v9, v15, s10
	v_cndmask_b32_e64 v10, v10, v142, s10
	s_cmp_eq_u32 s87, 0
	s_waitcnt lgkmcnt(0)
	s_delay_alu instid0(VALU_DEP_1) | instskip(NEXT) | instid1(VALU_DEP_1)
	v_fmac_f32_e32 v9, v8, v10
	v_fmac_f32_e32 v12, v9, v144
	s_delay_alu instid0(VALU_DEP_1) | instskip(NEXT) | instid1(VALU_DEP_1)
	v_fmac_f32_e32 v13, v12, v146
	v_fmac_f32_e32 v14, v13, v148
	v_fma_mix_f32 v121, v9, v4, v121 op_sel_hi:[0,1,0]
	s_delay_alu instid0(VALU_DEP_2) | instskip(SKIP_2) | instid1(VALU_DEP_3)
	v_fmac_f32_e32 v143, v14, v150
	v_fma_mix_f32 v120, v12, v4, v120 op_sel:[0,1,0] op_sel_hi:[0,1,0]
	v_fma_mix_f32 v118, v14, v5, v118 op_sel:[0,1,0] op_sel_hi:[0,1,0]
	v_fmac_f32_e32 v145, v143, v151
	v_fma_mix_f32 v117, v143, v6, v117 op_sel_hi:[0,1,0]
	s_delay_alu instid0(VALU_DEP_2) | instskip(SKIP_1) | instid1(VALU_DEP_2)
	v_fmac_f32_e32 v147, v145, v153
	v_fma_mix_f32 v115, v145, v6, v115 op_sel:[0,1,0] op_sel_hi:[0,1,0]
	v_fmac_f32_e32 v149, v147, v156
	s_delay_alu instid0(VALU_DEP_1) | instskip(SKIP_1) | instid1(VALU_DEP_2)
	v_fmac_f32_e32 v152, v149, v157
	v_fma_mix_f32 v119, v13, v5, v119 op_sel_hi:[0,1,0]
	v_fmac_f32_e32 v154, v152, v158
	v_fma_mix_f32 v114, v147, v7, v114 op_sel_hi:[0,1,0]
	v_fma_mix_f32 v112, v152, v0, v112 op_sel_hi:[0,1,0]
	s_delay_alu instid0(VALU_DEP_3) | instskip(SKIP_1) | instid1(VALU_DEP_2)
	v_fmac_f32_e32 v155, v154, v159
	v_fma_mix_f32 v110, v154, v0, v110 op_sel:[0,1,0] op_sel_hi:[0,1,0]
	v_fmac_f32_e32 v160, v155, v166
	v_fma_mix_f32 v109, v155, v1, v109 op_sel_hi:[0,1,0]
	s_delay_alu instid0(VALU_DEP_2) | instskip(NEXT) | instid1(VALU_DEP_1)
	v_fmac_f32_e32 v161, v160, v163
	v_fmac_f32_e32 v162, v161, v165
	v_fma_mix_f32 v113, v149, v7, v113 op_sel:[0,1,0] op_sel_hi:[0,1,0]
	s_delay_alu instid0(VALU_DEP_2) | instskip(SKIP_2) | instid1(VALU_DEP_3)
	v_fmac_f32_e32 v164, v162, v168
	v_fma_mix_f32 v107, v161, v2, v107 op_sel_hi:[0,1,0]
	v_fma_mix_f32 v106, v162, v2, v106 op_sel:[0,1,0] op_sel_hi:[0,1,0]
	v_fmac_f32_e32 v167, v164, v169
	v_fma_mix_f32 v108, v160, v1, v108 op_sel:[0,1,0] op_sel_hi:[0,1,0]
	v_fma_mix_f32 v105, v164, v3, v105 op_sel_hi:[0,1,0]
	s_delay_alu instid0(VALU_DEP_3)
	v_fma_mix_f32 v116, v167, v3, v116 op_sel:[0,1,0] op_sel_hi:[0,1,0]
	s_cbranch_scc1 .LBB82_202
.LBB82_109:                             ;   Parent Loop BB82_12 Depth=1
                                        ; =>  This Inner Loop Header: Depth=2
	s_lshl_b64 s[90:91], s[64:65], 2
	s_mov_b32 s55, s65
	s_add_u32 s90, s72, s90
	s_addc_u32 s91, s63, s91
	v_dual_mov_b32 v2, 0 :: v_dual_mov_b32 v3, 0
	global_load_b32 v142, v21, s[90:91]
	s_lshl_b64 s[90:91], s[54:55], 1
	s_delay_alu instid0(SALU_CYCLE_1)
	v_add_co_u32 v0, vcc_lo, v123, s90
	v_add_co_ci_u32_e32 v1, vcc_lo, s91, v124, vcc_lo
	s_and_saveexec_b32 s45, s12
	s_cbranch_execnz .LBB82_145
; %bb.110:                              ;   in Loop: Header=BB82_109 Depth=2
	s_or_b32 exec_lo, exec_lo, s45
	s_and_saveexec_b32 s45, s13
	s_cbranch_execnz .LBB82_146
.LBB82_111:                             ;   in Loop: Header=BB82_109 Depth=2
	s_or_b32 exec_lo, exec_lo, s45
	v_mov_b32_e32 v4, 0
	s_and_saveexec_b32 s45, s14
	s_cbranch_execnz .LBB82_147
.LBB82_112:                             ;   in Loop: Header=BB82_109 Depth=2
	s_or_b32 exec_lo, exec_lo, s45
	s_and_saveexec_b32 s45, s15
	s_cbranch_execnz .LBB82_148
.LBB82_113:                             ;   in Loop: Header=BB82_109 Depth=2
	s_or_b32 exec_lo, exec_lo, s45
	v_mov_b32_e32 v5, 0
	s_and_saveexec_b32 s45, s16
	s_cbranch_execnz .LBB82_149
.LBB82_114:                             ;   in Loop: Header=BB82_109 Depth=2
	s_or_b32 exec_lo, exec_lo, s45
	s_and_saveexec_b32 s45, s17
	s_cbranch_execnz .LBB82_150
.LBB82_115:                             ;   in Loop: Header=BB82_109 Depth=2
	s_or_b32 exec_lo, exec_lo, s45
	v_mov_b32_e32 v6, 0
	s_and_saveexec_b32 s45, s18
	s_cbranch_execnz .LBB82_151
.LBB82_116:                             ;   in Loop: Header=BB82_109 Depth=2
	s_or_b32 exec_lo, exec_lo, s45
	s_and_saveexec_b32 s45, s19
	s_cbranch_execnz .LBB82_152
.LBB82_117:                             ;   in Loop: Header=BB82_109 Depth=2
	s_or_b32 exec_lo, exec_lo, s45
	v_mov_b32_e32 v7, 0
	s_and_saveexec_b32 s45, s20
	s_cbranch_execnz .LBB82_153
.LBB82_118:                             ;   in Loop: Header=BB82_109 Depth=2
	s_or_b32 exec_lo, exec_lo, s45
	s_and_saveexec_b32 s45, s21
	s_cbranch_execnz .LBB82_154
.LBB82_119:                             ;   in Loop: Header=BB82_109 Depth=2
	s_or_b32 exec_lo, exec_lo, s45
	v_mov_b32_e32 v8, 0
	s_and_saveexec_b32 s45, s22
	s_cbranch_execnz .LBB82_155
.LBB82_120:                             ;   in Loop: Header=BB82_109 Depth=2
	s_or_b32 exec_lo, exec_lo, s45
	s_and_saveexec_b32 s45, s23
	s_cbranch_execnz .LBB82_156
.LBB82_121:                             ;   in Loop: Header=BB82_109 Depth=2
	s_or_b32 exec_lo, exec_lo, s45
	v_mov_b32_e32 v9, 0
	s_and_saveexec_b32 s45, s24
	s_cbranch_execnz .LBB82_157
.LBB82_122:                             ;   in Loop: Header=BB82_109 Depth=2
	s_or_b32 exec_lo, exec_lo, s45
	s_and_saveexec_b32 s45, s25
	s_cbranch_execnz .LBB82_158
.LBB82_123:                             ;   in Loop: Header=BB82_109 Depth=2
	s_or_b32 exec_lo, exec_lo, s45
	v_mov_b32_e32 v10, 0
	s_and_saveexec_b32 s45, s26
	s_cbranch_execnz .LBB82_159
.LBB82_124:                             ;   in Loop: Header=BB82_109 Depth=2
	s_or_b32 exec_lo, exec_lo, s45
	s_and_saveexec_b32 s45, s27
	s_cbranch_execz .LBB82_126
.LBB82_125:                             ;   in Loop: Header=BB82_109 Depth=2
	global_load_u16 v0, v[0:1], off offset:960
	s_waitcnt vmcnt(0)
	v_lshl_or_b32 v10, v0, 16, v10
.LBB82_126:                             ;   in Loop: Header=BB82_109 Depth=2
	s_or_b32 exec_lo, exec_lo, s45
	s_waitcnt vmcnt(0)
	ds_store_b16 v37, v3
	ds_store_b16 v37, v2 offset:64
	ds_store_b16 v38, v4 offset:128
	ds_store_b16_d16_hi v39, v4 offset:192
	ds_store_b16 v40, v5 offset:256
	ds_store_b16_d16_hi v41, v5 offset:320
	;; [unrolled: 2-line block ×7, first 2 shown]
	; wave barrier
	ds_load_b128 v[12:15], v52
	ds_load_b128 v[8:11], v52 offset:16
	s_mov_b32 s59, s65
	v_dual_mov_b32 v2, 0 :: v_dual_mov_b32 v3, 0
	s_lshl_b64 s[90:91], s[58:59], 1
	s_delay_alu instid0(SALU_CYCLE_1)
	v_add_co_u32 v0, vcc_lo, v125, s90
	v_add_co_ci_u32_e32 v1, vcc_lo, s91, v126, vcc_lo
	s_and_saveexec_b32 s45, s12
	s_cbranch_execnz .LBB82_160
; %bb.127:                              ;   in Loop: Header=BB82_109 Depth=2
	s_or_b32 exec_lo, exec_lo, s45
	s_and_saveexec_b32 s45, s13
	s_cbranch_execnz .LBB82_161
.LBB82_128:                             ;   in Loop: Header=BB82_109 Depth=2
	s_or_b32 exec_lo, exec_lo, s45
	v_mov_b32_e32 v4, 0
	s_and_saveexec_b32 s45, s14
	s_cbranch_execnz .LBB82_162
.LBB82_129:                             ;   in Loop: Header=BB82_109 Depth=2
	s_or_b32 exec_lo, exec_lo, s45
	s_and_saveexec_b32 s45, s15
	s_cbranch_execnz .LBB82_163
.LBB82_130:                             ;   in Loop: Header=BB82_109 Depth=2
	s_or_b32 exec_lo, exec_lo, s45
	v_mov_b32_e32 v5, 0
	s_and_saveexec_b32 s45, s16
	s_cbranch_execnz .LBB82_164
.LBB82_131:                             ;   in Loop: Header=BB82_109 Depth=2
	s_or_b32 exec_lo, exec_lo, s45
	s_and_saveexec_b32 s45, s17
	s_cbranch_execnz .LBB82_165
.LBB82_132:                             ;   in Loop: Header=BB82_109 Depth=2
	s_or_b32 exec_lo, exec_lo, s45
	v_mov_b32_e32 v6, 0
	s_and_saveexec_b32 s45, s18
	s_cbranch_execnz .LBB82_166
.LBB82_133:                             ;   in Loop: Header=BB82_109 Depth=2
	s_or_b32 exec_lo, exec_lo, s45
	s_and_saveexec_b32 s45, s19
	s_cbranch_execnz .LBB82_167
.LBB82_134:                             ;   in Loop: Header=BB82_109 Depth=2
	s_or_b32 exec_lo, exec_lo, s45
	v_mov_b32_e32 v7, 0
	s_and_saveexec_b32 s45, s20
	s_cbranch_execnz .LBB82_168
.LBB82_135:                             ;   in Loop: Header=BB82_109 Depth=2
	s_or_b32 exec_lo, exec_lo, s45
	s_and_saveexec_b32 s45, s21
	s_cbranch_execnz .LBB82_169
.LBB82_136:                             ;   in Loop: Header=BB82_109 Depth=2
	s_or_b32 exec_lo, exec_lo, s45
	v_mov_b32_e32 v16, 0
	s_and_saveexec_b32 s45, s22
	s_cbranch_execnz .LBB82_170
.LBB82_137:                             ;   in Loop: Header=BB82_109 Depth=2
	s_or_b32 exec_lo, exec_lo, s45
	s_and_saveexec_b32 s45, s23
	s_cbranch_execnz .LBB82_171
.LBB82_138:                             ;   in Loop: Header=BB82_109 Depth=2
	s_or_b32 exec_lo, exec_lo, s45
	v_mov_b32_e32 v17, 0
	s_and_saveexec_b32 s45, s24
	s_cbranch_execnz .LBB82_172
.LBB82_139:                             ;   in Loop: Header=BB82_109 Depth=2
	s_or_b32 exec_lo, exec_lo, s45
	s_and_saveexec_b32 s45, s25
	s_cbranch_execnz .LBB82_173
.LBB82_140:                             ;   in Loop: Header=BB82_109 Depth=2
	s_or_b32 exec_lo, exec_lo, s45
	v_mov_b32_e32 v143, 0
	s_and_saveexec_b32 s45, s26
	s_cbranch_execnz .LBB82_174
.LBB82_141:                             ;   in Loop: Header=BB82_109 Depth=2
	s_or_b32 exec_lo, exec_lo, s45
	s_and_saveexec_b32 s45, s27
	s_cbranch_execz .LBB82_143
.LBB82_142:                             ;   in Loop: Header=BB82_109 Depth=2
	global_load_u16 v0, v[0:1], off offset:960
	s_waitcnt vmcnt(0)
	v_lshl_or_b32 v143, v0, 16, v143
.LBB82_143:                             ;   in Loop: Header=BB82_109 Depth=2
	s_or_b32 exec_lo, exec_lo, s45
	s_waitcnt vmcnt(0)
	ds_store_b16 v37, v3 offset:2112
	ds_store_b16 v53, v2 offset:64
	;; [unrolled: 1-line block ×3, first 2 shown]
	ds_store_b16_d16_hi v55, v4 offset:192
	ds_store_b16 v56, v5 offset:256
	ds_store_b16_d16_hi v57, v5 offset:320
	ds_store_b16 v58, v6 offset:384
	;; [unrolled: 2-line block ×6, first 2 shown]
	ds_store_b16_d16_hi v67, v143 offset:960
	; wave barrier
	ds_load_b128 v[4:7], v52 offset:2112
	ds_load_b128 v[0:3], v68 offset:16
	s_and_not1_b32 vcc_lo, exec_lo, s51
	s_cbranch_vccnz .LBB82_175
; %bb.144:                              ;   in Loop: Header=BB82_109 Depth=2
	v_mov_b32_e32 v16, s88
	ds_load_b64 v[16:17], v16
	s_cbranch_execz .LBB82_176
	s_branch .LBB82_179
.LBB82_145:                             ;   in Loop: Header=BB82_109 Depth=2
	global_load_u16 v3, v[0:1], off
	s_or_b32 exec_lo, exec_lo, s45
	s_and_saveexec_b32 s45, s13
	s_cbranch_execz .LBB82_111
.LBB82_146:                             ;   in Loop: Header=BB82_109 Depth=2
	global_load_u16 v2, v[0:1], off offset:64
	s_or_b32 exec_lo, exec_lo, s45
	v_mov_b32_e32 v4, 0
	s_and_saveexec_b32 s45, s14
	s_cbranch_execz .LBB82_112
.LBB82_147:                             ;   in Loop: Header=BB82_109 Depth=2
	global_load_u16 v4, v[0:1], off offset:128
	s_or_b32 exec_lo, exec_lo, s45
	s_and_saveexec_b32 s45, s15
	s_cbranch_execz .LBB82_113
.LBB82_148:                             ;   in Loop: Header=BB82_109 Depth=2
	global_load_u16 v5, v[0:1], off offset:192
	s_waitcnt vmcnt(0)
	v_lshl_or_b32 v4, v5, 16, v4
	s_or_b32 exec_lo, exec_lo, s45
	v_mov_b32_e32 v5, 0
	s_and_saveexec_b32 s45, s16
	s_cbranch_execz .LBB82_114
.LBB82_149:                             ;   in Loop: Header=BB82_109 Depth=2
	global_load_u16 v5, v[0:1], off offset:256
	s_or_b32 exec_lo, exec_lo, s45
	s_and_saveexec_b32 s45, s17
	s_cbranch_execz .LBB82_115
.LBB82_150:                             ;   in Loop: Header=BB82_109 Depth=2
	global_load_u16 v6, v[0:1], off offset:320
	s_waitcnt vmcnt(0)
	v_lshl_or_b32 v5, v6, 16, v5
	s_or_b32 exec_lo, exec_lo, s45
	v_mov_b32_e32 v6, 0
	s_and_saveexec_b32 s45, s18
	s_cbranch_execz .LBB82_116
.LBB82_151:                             ;   in Loop: Header=BB82_109 Depth=2
	global_load_u16 v6, v[0:1], off offset:384
	s_or_b32 exec_lo, exec_lo, s45
	s_and_saveexec_b32 s45, s19
	s_cbranch_execz .LBB82_117
.LBB82_152:                             ;   in Loop: Header=BB82_109 Depth=2
	global_load_u16 v7, v[0:1], off offset:448
	s_waitcnt vmcnt(0)
	v_lshl_or_b32 v6, v7, 16, v6
	s_or_b32 exec_lo, exec_lo, s45
	v_mov_b32_e32 v7, 0
	s_and_saveexec_b32 s45, s20
	s_cbranch_execz .LBB82_118
.LBB82_153:                             ;   in Loop: Header=BB82_109 Depth=2
	global_load_u16 v7, v[0:1], off offset:512
	s_or_b32 exec_lo, exec_lo, s45
	s_and_saveexec_b32 s45, s21
	s_cbranch_execz .LBB82_119
.LBB82_154:                             ;   in Loop: Header=BB82_109 Depth=2
	global_load_u16 v8, v[0:1], off offset:576
	s_waitcnt vmcnt(0)
	v_lshl_or_b32 v7, v8, 16, v7
	s_or_b32 exec_lo, exec_lo, s45
	v_mov_b32_e32 v8, 0
	s_and_saveexec_b32 s45, s22
	s_cbranch_execz .LBB82_120
.LBB82_155:                             ;   in Loop: Header=BB82_109 Depth=2
	global_load_u16 v8, v[0:1], off offset:640
	s_or_b32 exec_lo, exec_lo, s45
	s_and_saveexec_b32 s45, s23
	s_cbranch_execz .LBB82_121
.LBB82_156:                             ;   in Loop: Header=BB82_109 Depth=2
	global_load_u16 v9, v[0:1], off offset:704
	s_waitcnt vmcnt(0)
	v_lshl_or_b32 v8, v9, 16, v8
	s_or_b32 exec_lo, exec_lo, s45
	v_mov_b32_e32 v9, 0
	s_and_saveexec_b32 s45, s24
	s_cbranch_execz .LBB82_122
.LBB82_157:                             ;   in Loop: Header=BB82_109 Depth=2
	global_load_u16 v9, v[0:1], off offset:768
	s_or_b32 exec_lo, exec_lo, s45
	s_and_saveexec_b32 s45, s25
	s_cbranch_execz .LBB82_123
.LBB82_158:                             ;   in Loop: Header=BB82_109 Depth=2
	global_load_u16 v10, v[0:1], off offset:832
	s_waitcnt vmcnt(0)
	v_lshl_or_b32 v9, v10, 16, v9
	s_or_b32 exec_lo, exec_lo, s45
	v_mov_b32_e32 v10, 0
	s_and_saveexec_b32 s45, s26
	s_cbranch_execz .LBB82_124
.LBB82_159:                             ;   in Loop: Header=BB82_109 Depth=2
	global_load_u16 v10, v[0:1], off offset:896
	s_or_b32 exec_lo, exec_lo, s45
	s_and_saveexec_b32 s45, s27
	s_cbranch_execnz .LBB82_125
	s_branch .LBB82_126
.LBB82_160:                             ;   in Loop: Header=BB82_109 Depth=2
	global_load_u16 v3, v[0:1], off
	s_or_b32 exec_lo, exec_lo, s45
	s_and_saveexec_b32 s45, s13
	s_cbranch_execz .LBB82_128
.LBB82_161:                             ;   in Loop: Header=BB82_109 Depth=2
	global_load_u16 v2, v[0:1], off offset:64
	s_or_b32 exec_lo, exec_lo, s45
	v_mov_b32_e32 v4, 0
	s_and_saveexec_b32 s45, s14
	s_cbranch_execz .LBB82_129
.LBB82_162:                             ;   in Loop: Header=BB82_109 Depth=2
	global_load_u16 v4, v[0:1], off offset:128
	s_or_b32 exec_lo, exec_lo, s45
	s_and_saveexec_b32 s45, s15
	s_cbranch_execz .LBB82_130
.LBB82_163:                             ;   in Loop: Header=BB82_109 Depth=2
	global_load_u16 v5, v[0:1], off offset:192
	s_waitcnt vmcnt(0)
	v_lshl_or_b32 v4, v5, 16, v4
	s_or_b32 exec_lo, exec_lo, s45
	v_mov_b32_e32 v5, 0
	s_and_saveexec_b32 s45, s16
	s_cbranch_execz .LBB82_131
.LBB82_164:                             ;   in Loop: Header=BB82_109 Depth=2
	global_load_u16 v5, v[0:1], off offset:256
	s_or_b32 exec_lo, exec_lo, s45
	s_and_saveexec_b32 s45, s17
	s_cbranch_execz .LBB82_132
.LBB82_165:                             ;   in Loop: Header=BB82_109 Depth=2
	global_load_u16 v6, v[0:1], off offset:320
	s_waitcnt vmcnt(0)
	v_lshl_or_b32 v5, v6, 16, v5
	s_or_b32 exec_lo, exec_lo, s45
	v_mov_b32_e32 v6, 0
	s_and_saveexec_b32 s45, s18
	s_cbranch_execz .LBB82_133
.LBB82_166:                             ;   in Loop: Header=BB82_109 Depth=2
	global_load_u16 v6, v[0:1], off offset:384
	s_or_b32 exec_lo, exec_lo, s45
	s_and_saveexec_b32 s45, s19
	s_cbranch_execz .LBB82_134
.LBB82_167:                             ;   in Loop: Header=BB82_109 Depth=2
	global_load_u16 v7, v[0:1], off offset:448
	s_waitcnt vmcnt(0)
	v_lshl_or_b32 v6, v7, 16, v6
	s_or_b32 exec_lo, exec_lo, s45
	v_mov_b32_e32 v7, 0
	s_and_saveexec_b32 s45, s20
	s_cbranch_execz .LBB82_135
.LBB82_168:                             ;   in Loop: Header=BB82_109 Depth=2
	global_load_u16 v7, v[0:1], off offset:512
	s_or_b32 exec_lo, exec_lo, s45
	s_and_saveexec_b32 s45, s21
	s_cbranch_execz .LBB82_136
.LBB82_169:                             ;   in Loop: Header=BB82_109 Depth=2
	global_load_u16 v16, v[0:1], off offset:576
	s_waitcnt vmcnt(0)
	v_lshl_or_b32 v7, v16, 16, v7
	s_or_b32 exec_lo, exec_lo, s45
	v_mov_b32_e32 v16, 0
	s_and_saveexec_b32 s45, s22
	s_cbranch_execz .LBB82_137
.LBB82_170:                             ;   in Loop: Header=BB82_109 Depth=2
	global_load_u16 v16, v[0:1], off offset:640
	s_or_b32 exec_lo, exec_lo, s45
	s_and_saveexec_b32 s45, s23
	s_cbranch_execz .LBB82_138
.LBB82_171:                             ;   in Loop: Header=BB82_109 Depth=2
	global_load_u16 v17, v[0:1], off offset:704
	s_waitcnt vmcnt(0)
	v_lshl_or_b32 v16, v17, 16, v16
	s_or_b32 exec_lo, exec_lo, s45
	v_mov_b32_e32 v17, 0
	s_and_saveexec_b32 s45, s24
	s_cbranch_execz .LBB82_139
.LBB82_172:                             ;   in Loop: Header=BB82_109 Depth=2
	global_load_u16 v17, v[0:1], off offset:768
	s_or_b32 exec_lo, exec_lo, s45
	s_and_saveexec_b32 s45, s25
	s_cbranch_execz .LBB82_140
.LBB82_173:                             ;   in Loop: Header=BB82_109 Depth=2
	global_load_u16 v143, v[0:1], off offset:832
	s_waitcnt vmcnt(0)
	v_lshl_or_b32 v17, v143, 16, v17
	s_or_b32 exec_lo, exec_lo, s45
	v_mov_b32_e32 v143, 0
	s_and_saveexec_b32 s45, s26
	s_cbranch_execz .LBB82_141
.LBB82_174:                             ;   in Loop: Header=BB82_109 Depth=2
	global_load_u16 v143, v[0:1], off offset:896
	s_or_b32 exec_lo, exec_lo, s45
	s_and_saveexec_b32 s45, s27
	s_cbranch_execnz .LBB82_142
	s_branch .LBB82_143
.LBB82_175:                             ;   in Loop: Header=BB82_109 Depth=2
                                        ; implicit-def: $vgpr16
.LBB82_176:                             ;   in Loop: Header=BB82_109 Depth=2
	s_waitcnt lgkmcnt(0)
	v_mov_b32_e32 v17, 0
	s_and_not1_b32 vcc_lo, exec_lo, s47
	s_cbranch_vccnz .LBB82_178
; %bb.177:                              ;   in Loop: Header=BB82_109 Depth=2
	s_mov_b32 s61, s65
	s_delay_alu instid0(SALU_CYCLE_1) | instskip(NEXT) | instid1(SALU_CYCLE_1)
	s_lshl_b64 s[90:91], s[60:61], 1
	s_add_u32 s90, s75, s90
	s_addc_u32 s91, s76, s91
	global_load_u16 v16, v21, s[90:91]
	s_waitcnt vmcnt(0)
	v_cvt_f32_f16_e32 v17, v16
.LBB82_178:                             ;   in Loop: Header=BB82_109 Depth=2
	v_mov_b32_e32 v16, 1.0
.LBB82_179:                             ;   in Loop: Header=BB82_109 Depth=2
	v_mul_f32_e32 v164, 0x3fb8aa3b, v142
	s_waitcnt lgkmcnt(19)
	v_lshrrev_b32_e32 v144, 16, v13
	v_lshrrev_b32_e32 v145, 16, v14
	v_cvt_f32_f16_e32 v13, v13
	v_cvt_f32_f16_e64 v152, v14
	v_mul_f32_e32 v14, v164, v90
	v_lshrrev_b32_e32 v143, 16, v12
	v_lshrrev_b32_e32 v146, 16, v15
	v_mul_f32_e32 v13, v139, v13
	v_cvt_f32_f16_e32 v12, v12
	v_cmp_gt_f32_e32 vcc_lo, 0xc2fc0000, v14
	v_cvt_f32_f16_e64 v153, v15
	v_mul_f32_e32 v15, v164, v91
	v_cvt_f32_f16_e64 v151, v144
	v_mul_f32_e32 v12, v141, v12
	v_cndmask_b32_e64 v14, 0, 0x42800000, vcc_lo
	v_mul_f32_e32 v142, v164, v92
	v_cmp_gt_f32_e64 s45, 0xc2fc0000, v15
	v_cndmask_b32_e64 v144, 1.0, 0x1f800000, vcc_lo
	s_waitcnt lgkmcnt(18)
	v_lshrrev_b32_e32 v147, 16, v8
	v_fmac_f32_e32 v14, v164, v90
	v_cvt_f32_f16_e64 v143, v143
	v_cndmask_b32_e64 v15, 0, 0x42800000, s45
	v_cvt_f32_f16_e64 v154, v146
	v_cmp_gt_f32_e32 vcc_lo, 0xc2fc0000, v142
	v_exp_f32_e32 v14, v14
	v_mul_f32_e32 v142, v164, v93
	v_fmac_f32_e32 v15, v164, v91
	v_cvt_f32_f16_e64 v155, v147
	v_cndmask_b32_e64 v147, 0, 0x42800000, vcc_lo
	v_lshrrev_b32_e32 v148, 16, v9
	v_lshrrev_b32_e32 v149, 16, v10
	;; [unrolled: 1-line block ×3, first 2 shown]
	v_cvt_f32_f16_e32 v9, v9
	v_cvt_f32_f16_e32 v8, v8
	v_mul_f32_e32 v14, v14, v144
	v_exp_f32_e32 v146, v15
	v_cndmask_b32_e64 v15, 0, v12, s28
	v_cndmask_b32_e64 v12, 1.0, 0x1f800000, s45
	v_cmp_gt_f32_e64 s45, 0xc2fc0000, v142
	v_cndmask_b32_e64 v142, 1.0, v14, s28
	v_mul_f32_e32 v14, v140, v143
	v_cvt_f32_f16_e64 v160, v148
	v_cvt_f32_f16_e64 v162, v149
	v_cndmask_b32_e64 v144, 0, 0x42800000, s45
	v_cvt_f32_f16_e64 v167, v150
	v_mul_f32_e32 v143, v146, v12
	v_cndmask_b32_e64 v12, 0, v14, s29
	v_cndmask_b32_e64 v14, 1.0, 0x1f800000, vcc_lo
	v_fmac_f32_e32 v147, v164, v92
	v_fmac_f32_e32 v144, v164, v93
	v_dual_mul_f32 v149, v164, v95 :: v_dual_mul_f32 v154, v134, v154
	v_dual_mul_f32 v150, v164, v96 :: v_dual_mul_f32 v9, v131, v9
	s_delay_alu instid0(VALU_DEP_4)
	v_exp_f32_e32 v146, v147
	v_mul_f32_e32 v147, v164, v94
	v_exp_f32_e32 v148, v144
	v_cndmask_b32_e64 v144, 1.0, v143, s29
	v_cndmask_b32_e64 v143, 1.0, 0x1f800000, s45
	v_cmp_gt_f32_e64 s45, 0xc2fc0000, v149
	v_cvt_f32_f16_e32 v10, v10
	v_cvt_f32_f16_e32 v11, v11
	v_mul_f32_e32 v165, v164, v102
	s_delay_alu instid0(TRANS32_DEP_2) | instskip(SKIP_1) | instid1(TRANS32_DEP_1)
	v_dual_mul_f32 v155, v132, v155 :: v_dual_mul_f32 v14, v146, v14
	v_cndmask_b32_e64 v149, 0, 0x42800000, s45
	v_dual_mul_f32 v143, v148, v143 :: v_dual_mul_f32 v10, v129, v10
	v_cndmask_b32_e64 v13, 0, v13, s30
	s_delay_alu instid0(VALU_DEP_4)
	v_cndmask_b32_e64 v146, 1.0, v14, s30
	v_mul_f32_e32 v14, v138, v151
	v_cmp_gt_f32_e32 vcc_lo, 0xc2fc0000, v147
	v_cndmask_b32_e64 v148, 1.0, v143, s31
	v_dual_fmac_f32 v149, v164, v95 :: v_dual_mul_f32 v8, v133, v8
	v_mul_f32_e32 v151, v164, v97
	v_cndmask_b32_e64 v147, 0, 0x42800000, vcc_lo
	v_cndmask_b32_e64 v143, 1.0, 0x1f800000, vcc_lo
	v_cmp_gt_f32_e32 vcc_lo, 0xc2fc0000, v150
	v_exp_f32_e32 v149, v149
	v_cmp_gt_f32_e64 s46, 0xc2fc0000, v151
	v_fmac_f32_e32 v147, v164, v94
	v_mul_f32_e32 v158, v164, v99
	v_cndmask_b32_e64 v150, 0, 0x42800000, vcc_lo
	v_cvt_f32_f16_e64 v145, v145
	v_cndmask_b32_e64 v151, 0, 0x42800000, s46
	v_exp_f32_e32 v147, v147
	v_cndmask_b32_e64 v14, 0, v14, s31
	v_dual_fmac_f32 v150, v164, v96 :: v_dual_mul_f32 v11, v127, v11
	s_delay_alu instid0(VALU_DEP_3) | instskip(SKIP_2) | instid1(VALU_DEP_4)
	v_fmac_f32_e32 v151, v164, v97
	v_mul_f32_e32 v166, v164, v103
	v_mul_f32_e32 v162, v128, v162
	v_exp_f32_e32 v156, v150
	s_delay_alu instid0(TRANS32_DEP_2)
	v_mul_f32_e32 v147, v147, v143
	v_mul_f32_e32 v143, v137, v152
	v_cndmask_b32_e64 v152, 1.0, 0x1f800000, s45
	v_cmp_gt_f32_e64 s45, 0xc2fc0000, v158
	v_mul_f32_e32 v158, v164, v101
	v_cndmask_b32_e64 v150, 1.0, v147, s33
	v_cndmask_b32_e64 v143, 0, v143, s33
	v_mul_f32_e32 v147, v149, v152
	v_cndmask_b32_e64 v149, 1.0, 0x1f800000, vcc_lo
	v_exp_f32_e32 v152, v151
	v_cndmask_b32_e64 v162, 0, v162, s42
	s_delay_alu instid0(VALU_DEP_3) | instskip(NEXT) | instid1(VALU_DEP_3)
	v_cndmask_b32_e64 v151, 1.0, v147, s34
	v_mul_f32_e32 v149, v156, v149
	v_mul_f32_e32 v147, v135, v153
	v_cndmask_b32_e64 v156, 1.0, 0x1f800000, s46
	s_delay_alu instid0(VALU_DEP_3)
	v_cndmask_b32_e64 v153, 1.0, v149, s35
	v_mul_f32_e32 v157, v164, v98
	v_cndmask_b32_e64 v149, 0, v154, s36
	v_mul_f32_e32 v154, v164, v100
	v_mul_f32_e32 v152, v152, v156
	v_cndmask_b32_e64 v147, 0, v147, s35
	v_cmp_gt_f32_e32 vcc_lo, 0xc2fc0000, v157
	s_delay_alu instid0(VALU_DEP_4) | instskip(NEXT) | instid1(VALU_DEP_4)
	v_cmp_gt_f32_e64 s46, 0xc2fc0000, v154
	v_cndmask_b32_e64 v156, 1.0, v152, s36
	v_cndmask_b32_e64 v157, 0, 0x42800000, vcc_lo
	v_cndmask_b32_e64 v159, 1.0, 0x1f800000, vcc_lo
	s_delay_alu instid0(VALU_DEP_4) | instskip(SKIP_1) | instid1(VALU_DEP_4)
	v_cndmask_b32_e64 v154, 0, 0x42800000, s46
	v_cmp_gt_f32_e32 vcc_lo, 0xc2fc0000, v158
	v_fmac_f32_e32 v157, v164, v98
	s_delay_alu instid0(VALU_DEP_3) | instskip(SKIP_1) | instid1(VALU_DEP_3)
	v_fmac_f32_e32 v154, v164, v100
	v_cndmask_b32_e64 v158, 0, 0x42800000, vcc_lo
	v_exp_f32_e32 v152, v157
	v_cndmask_b32_e64 v157, 0, 0x42800000, s45
	s_delay_alu instid0(VALU_DEP_2) | instskip(NEXT) | instid1(VALU_DEP_2)
	v_fmac_f32_e32 v158, v164, v101
	v_fmac_f32_e32 v157, v164, v99
	s_delay_alu instid0(VALU_DEP_2) | instskip(NEXT) | instid1(VALU_DEP_1)
	v_exp_f32_e32 v163, v158
	v_exp_f32_e32 v161, v157
	s_delay_alu instid0(TRANS32_DEP_3)
	v_mul_f32_e32 v157, v152, v159
	v_cndmask_b32_e64 v152, 0, v8, s37
	v_exp_f32_e32 v8, v154
	v_cndmask_b32_e64 v154, 1.0, 0x1f800000, s45
	v_cndmask_b32_e64 v159, 1.0, 0x1f800000, s46
	v_cmp_gt_f32_e64 s45, 0xc2fc0000, v166
	v_cndmask_b32_e64 v157, 1.0, v157, s37
	s_delay_alu instid0(TRANS32_DEP_2) | instid1(VALU_DEP_4)
	v_mul_f32_e32 v158, v161, v154
	v_cndmask_b32_e64 v161, 1.0, 0x1f800000, vcc_lo
	v_cmp_gt_f32_e32 vcc_lo, 0xc2fc0000, v165
	s_delay_alu instid0(TRANS32_DEP_1)
	v_mul_f32_e32 v8, v8, v159
	v_cndmask_b32_e64 v154, 0, v155, s38
	v_cndmask_b32_e64 v155, 0, v9, s39
	v_mul_f32_e32 v9, v130, v160
	v_fma_f32 v165, v144, v15, v12
	v_cndmask_b32_e64 v159, 1.0, v8, s39
	v_mul_f32_e32 v8, v163, v161
	v_cndmask_b32_e64 v161, 0, 0x42800000, vcc_lo
	v_mul_f32_e32 v163, v144, v142
	v_cndmask_b32_e64 v160, 0, v9, s40
	v_cndmask_b32_e64 v158, 1.0, v158, s38
	v_cndmask_b32_e64 v166, 1.0, v8, s40
	v_fmac_f32_e32 v161, v164, v102
	v_mul_f32_e32 v9, v163, v146
	v_fma_f32 v163, v165, v146, v13
	v_cndmask_b32_e64 v8, 1.0, 0x1f800000, vcc_lo
	v_cndmask_b32_e64 v165, 0, 0x42800000, s45
	v_exp_f32_e32 v161, v161
	v_mul_f32_e32 v145, v136, v145
	v_mul_f32_e32 v9, v9, v148
	v_fma_f32 v163, v163, v148, v14
	v_fmac_f32_e32 v165, v164, v103
	s_delay_alu instid0(VALU_DEP_3) | instskip(NEXT) | instid1(VALU_DEP_3)
	v_mul_f32_e32 v9, v9, v150
	v_fma_f32 v163, v163, v150, v143
	s_delay_alu instid0(VALU_DEP_3) | instskip(NEXT) | instid1(TRANS32_DEP_2)
	v_exp_f32_e32 v165, v165
	v_mul_f32_e32 v8, v161, v8
	v_cndmask_b32_e64 v145, 0, v145, s34
	v_mul_f32_e32 v9, v9, v151
	v_cndmask_b32_e64 v161, 0, v10, s41
	v_cndmask_b32_e64 v10, 1.0, 0x1f800000, s45
	s_delay_alu instid0(VALU_DEP_4)
	v_fma_f32 v168, v163, v151, v145
	v_cndmask_b32_e64 v163, 1.0, v8, s41
	v_mul_f32_e32 v8, v9, v153
	s_delay_alu instid0(TRANS32_DEP_1) | instid1(VALU_DEP_4)
	v_mul_f32_e32 v10, v165, v10
	s_delay_alu instid0(VALU_DEP_4) | instskip(SKIP_1) | instid1(VALU_DEP_4)
	v_fma_f32 v9, v168, v153, v147
	v_mul_f32_e32 v168, v164, v104
	v_mul_f32_e32 v8, v8, v156
	s_delay_alu instid0(VALU_DEP_3) | instskip(NEXT) | instid1(VALU_DEP_3)
	v_fma_f32 v9, v9, v156, v149
	v_cmp_gt_f32_e32 vcc_lo, 0xc2fc0000, v168
	v_mul_f32_e32 v168, v164, v111
	s_delay_alu instid0(VALU_DEP_4) | instskip(NEXT) | instid1(VALU_DEP_4)
	v_mul_f32_e32 v8, v8, v157
	v_fma_f32 v9, v9, v157, v152
	v_cndmask_b32_e64 v165, 0, 0x42800000, vcc_lo
	s_delay_alu instid0(VALU_DEP_4) | instskip(NEXT) | instid1(VALU_DEP_4)
	v_cmp_gt_f32_e64 s45, 0xc2fc0000, v168
	v_mul_f32_e32 v8, v8, v158
	s_delay_alu instid0(VALU_DEP_4) | instskip(NEXT) | instid1(VALU_DEP_4)
	v_fma_f32 v9, v9, v158, v154
	v_fmac_f32_e32 v165, v164, v104
	s_delay_alu instid0(VALU_DEP_4) | instskip(NEXT) | instid1(VALU_DEP_4)
	v_cndmask_b32_e64 v168, 0, 0x42800000, s45
	v_mul_f32_e32 v8, v8, v159
	s_delay_alu instid0(VALU_DEP_4) | instskip(NEXT) | instid1(VALU_DEP_4)
	v_fma_f32 v9, v9, v159, v155
	v_exp_f32_e32 v169, v165
	s_delay_alu instid0(VALU_DEP_3)
	v_fmac_f32_e32 v168, v164, v111
	v_cndmask_b32_e64 v165, 1.0, v10, s42
	v_cndmask_b32_e64 v10, 1.0, 0x1f800000, vcc_lo
	v_mul_f32_e32 v8, v8, v166
	v_fma_f32 v9, v9, v166, v160
	v_exp_f32_e32 v170, v168
	v_cndmask_b32_e64 v164, 0, v11, s43
	v_cndmask_b32_e64 v11, 1.0, 0x1f800000, s45
	v_mul_f32_e32 v8, v8, v163
	v_mul_f32_e32 v10, v169, v10
	v_fma_f32 v9, v9, v163, v161
	s_delay_alu instid0(VALU_DEP_3) | instskip(NEXT) | instid1(VALU_DEP_3)
	v_mul_f32_e32 v8, v8, v165
	v_cndmask_b32_e64 v168, 1.0, v10, s43
	v_mul_f32_e32 v10, v122, v167
	s_delay_alu instid0(TRANS32_DEP_1) | instskip(SKIP_1) | instid1(VALU_DEP_4)
	v_mul_f32_e32 v11, v170, v11
	v_fma_f32 v9, v9, v165, v162
	v_mul_f32_e32 v8, v8, v168
	s_delay_alu instid0(VALU_DEP_4) | instskip(NEXT) | instid1(VALU_DEP_4)
	v_cndmask_b32_e64 v167, 0, v10, s44
	v_cndmask_b32_e64 v169, 1.0, v11, s44
	s_delay_alu instid0(VALU_DEP_4) | instskip(NEXT) | instid1(VALU_DEP_2)
	v_fma_f32 v9, v9, v168, v164
	v_mul_f32_e32 v8, v8, v169
	s_delay_alu instid0(VALU_DEP_2) | instskip(NEXT) | instid1(VALU_DEP_2)
	v_fma_f32 v9, v9, v169, v167
	v_mov_b32_dpp v11, v8 row_shr:1 row_mask:0xf bank_mask:0xf
	s_delay_alu instid0(VALU_DEP_2)
	v_mov_b32_dpp v10, v9 row_shr:1 row_mask:0xf bank_mask:0xf
	s_and_saveexec_b32 s45, s0
; %bb.180:                              ;   in Loop: Header=BB82_109 Depth=2
	s_delay_alu instid0(VALU_DEP_2) | instskip(NEXT) | instid1(VALU_DEP_1)
	v_mul_f32_e32 v11, v8, v11
	v_dual_fmac_f32 v9, v8, v10 :: v_dual_mov_b32 v8, v11
; %bb.181:                              ;   in Loop: Header=BB82_109 Depth=2
	s_or_b32 exec_lo, exec_lo, s45
	s_delay_alu instid0(VALU_DEP_1) | instskip(NEXT) | instid1(VALU_DEP_2)
	v_mov_b32_dpp v10, v8 row_shr:2 row_mask:0xf bank_mask:0xf
	v_mov_b32_dpp v11, v9 row_shr:2 row_mask:0xf bank_mask:0xf
	s_and_saveexec_b32 s45, s1
; %bb.182:                              ;   in Loop: Header=BB82_109 Depth=2
	s_delay_alu instid0(VALU_DEP_1) | instskip(NEXT) | instid1(VALU_DEP_3)
	v_fmac_f32_e32 v9, v8, v11
	v_mul_f32_e32 v8, v8, v10
; %bb.183:                              ;   in Loop: Header=BB82_109 Depth=2
	s_or_b32 exec_lo, exec_lo, s45
	s_delay_alu instid0(VALU_DEP_1) | instskip(NEXT) | instid1(VALU_DEP_3)
	v_mov_b32_dpp v10, v8 row_shr:4 row_mask:0xf bank_mask:0xf
	v_mov_b32_dpp v11, v9 row_shr:4 row_mask:0xf bank_mask:0xf
	s_and_saveexec_b32 s45, s2
; %bb.184:                              ;   in Loop: Header=BB82_109 Depth=2
	s_delay_alu instid0(VALU_DEP_1) | instskip(NEXT) | instid1(VALU_DEP_3)
	v_fmac_f32_e32 v9, v8, v11
	v_mul_f32_e32 v8, v8, v10
; %bb.185:                              ;   in Loop: Header=BB82_109 Depth=2
	s_or_b32 exec_lo, exec_lo, s45
	s_delay_alu instid0(VALU_DEP_1) | instskip(NEXT) | instid1(VALU_DEP_3)
	v_mov_b32_dpp v10, v8 row_shr:8 row_mask:0xf bank_mask:0xf
	v_mov_b32_dpp v11, v9 row_shr:8 row_mask:0xf bank_mask:0xf
	s_and_saveexec_b32 s45, s3
; %bb.186:                              ;   in Loop: Header=BB82_109 Depth=2
	s_delay_alu instid0(VALU_DEP_1) | instskip(NEXT) | instid1(VALU_DEP_3)
	v_fmac_f32_e32 v9, v8, v11
	v_mul_f32_e32 v8, v8, v10
; %bb.187:                              ;   in Loop: Header=BB82_109 Depth=2
	s_or_b32 exec_lo, exec_lo, s45
	ds_swizzle_b32 v11, v8 offset:swizzle(BROADCAST,32,15)
	ds_swizzle_b32 v10, v9 offset:swizzle(BROADCAST,32,15)
	s_and_saveexec_b32 s45, s4
	s_cbranch_execz .LBB82_189
; %bb.188:                              ;   in Loop: Header=BB82_109 Depth=2
	s_waitcnt lgkmcnt(1)
	v_mul_f32_e32 v11, v8, v11
	s_waitcnt lgkmcnt(0)
	s_delay_alu instid0(VALU_DEP_1)
	v_dual_fmac_f32 v9, v8, v10 :: v_dual_mov_b32 v8, v11
.LBB82_189:                             ;   in Loop: Header=BB82_109 Depth=2
	s_or_b32 exec_lo, exec_lo, s45
	s_and_saveexec_b32 s45, s5
	s_cbranch_execz .LBB82_191
; %bb.190:                              ;   in Loop: Header=BB82_109 Depth=2
	ds_store_b64 v69, v[8:9] offset:4224
.LBB82_191:                             ;   in Loop: Header=BB82_109 Depth=2
	s_or_b32 exec_lo, exec_lo, s45
	s_waitcnt lgkmcnt(0)
	s_waitcnt_vscnt null, 0x0
	s_barrier
	buffer_gl0_inv
	s_and_saveexec_b32 s45, s6
	s_cbranch_execz .LBB82_193
; %bb.192:                              ;   in Loop: Header=BB82_109 Depth=2
	ds_load_b64 v[10:11], v70 offset:4224
	s_waitcnt lgkmcnt(0)
	v_mov_b32_dpp v170, v10 row_shr:1 row_mask:0xf bank_mask:0xf
	v_mov_b32_dpp v171, v11 row_shr:1 row_mask:0xf bank_mask:0xf
	s_delay_alu instid0(VALU_DEP_2) | instskip(NEXT) | instid1(VALU_DEP_2)
	v_mul_f32_e32 v170, v10, v170
	v_fma_f32 v171, v10, v171, v11
	s_delay_alu instid0(VALU_DEP_2) | instskip(NEXT) | instid1(VALU_DEP_2)
	v_cndmask_b32_e64 v10, v170, v10, s7
	v_cndmask_b32_e64 v11, v171, v11, s7
	ds_store_b64 v70, v[10:11] offset:4224
.LBB82_193:                             ;   in Loop: Header=BB82_109 Depth=2
	s_or_b32 exec_lo, exec_lo, s45
	s_waitcnt lgkmcnt(0)
	s_barrier
	buffer_gl0_inv
                                        ; implicit-def: $vgpr11
	s_and_saveexec_b32 s45, s9
	s_cbranch_execz .LBB82_195
; %bb.194:                              ;   in Loop: Header=BB82_109 Depth=2
	ds_load_b64 v[10:11], v69 offset:4216
	s_waitcnt lgkmcnt(0)
	v_mul_f32_e32 v170, v8, v10
	s_delay_alu instid0(VALU_DEP_1)
	v_dual_fmac_f32 v9, v8, v11 :: v_dual_mov_b32 v8, v170
.LBB82_195:                             ;   in Loop: Header=BB82_109 Depth=2
	s_or_b32 exec_lo, exec_lo, s45
	ds_bpermute_b32 v170, v71, v8
	ds_bpermute_b32 v171, v71, v9
	s_and_saveexec_b32 s45, s8
	s_cbranch_execz .LBB82_199
; %bb.196:                              ;   in Loop: Header=BB82_109 Depth=2
	ds_load_b64 v[8:9], v21 offset:4232
	s_and_saveexec_b32 s46, s10
	s_cbranch_execz .LBB82_198
; %bb.197:                              ;   in Loop: Header=BB82_109 Depth=2
	ds_store_b64 v21, v[16:17] offset:4232
.LBB82_198:                             ;   in Loop: Header=BB82_109 Depth=2
	s_or_b32 exec_lo, exec_lo, s46
	s_waitcnt lgkmcnt(0)
	v_fmac_f32_e32 v9, v17, v8
	s_delay_alu instid0(VALU_DEP_1)
	v_dual_mul_f32 v16, v16, v8 :: v_dual_mov_b32 v17, v9
.LBB82_199:                             ;   in Loop: Header=BB82_109 Depth=2
	s_or_b32 exec_lo, exec_lo, s45
	s_waitcnt lgkmcnt(0)
	s_barrier
	buffer_gl0_inv
	ds_load_b32 v8, v21 offset:4236
	s_and_saveexec_b32 s45, s10
	s_cbranch_execz .LBB82_108
; %bb.200:                              ;   in Loop: Header=BB82_109 Depth=2
	v_mov_b32_e32 v9, s88
	s_and_not1_b32 vcc_lo, exec_lo, s86
	ds_store_b64 v9, v[16:17]
	s_cbranch_vccnz .LBB82_108
; %bb.201:                              ;   in Loop: Header=BB82_109 Depth=2
	s_mov_b32 s61, s65
	v_cvt_f16_f32_e32 v9, v17
	s_lshl_b64 s[90:91], s[60:61], 1
	s_delay_alu instid0(SALU_CYCLE_1)
	s_add_u32 s90, s75, s90
	s_addc_u32 s91, s76, s91
	global_store_b16 v21, v9, s[90:91]
	s_branch .LBB82_108
.LBB82_202:                             ;   in Loop: Header=BB82_12 Depth=1
	v_cvt_f16_f32_e32 v0, v121
	v_cvt_f16_f32_e32 v4, v120
	;; [unrolled: 1-line block ×16, first 2 shown]
	v_pack_b32_f16 v3, v3, v7
	v_pack_b32_f16 v2, v2, v6
	;; [unrolled: 1-line block ×8, first 2 shown]
	s_waitcnt_vscnt null, 0x0
	s_barrier
	buffer_gl0_inv
	ds_store_b128 v52, v[0:3]
	ds_store_b128 v52, v[4:7] offset:16
	; wave barrier
	ds_load_u16 v16, v37 offset:64
	ds_load_u16 v15, v38 offset:128
	;; [unrolled: 1-line block ×15, first 2 shown]
	s_mov_b32 s51, s65
	s_delay_alu instid0(SALU_CYCLE_1) | instskip(NEXT) | instid1(SALU_CYCLE_1)
	s_lshl_b64 s[28:29], s[50:51], 1
	v_add_co_u32 v0, vcc_lo, v72, s28
	v_add_co_ci_u32_e32 v1, vcc_lo, s29, v73, vcc_lo
	s_and_saveexec_b32 s28, s12
	s_cbranch_execnz .LBB82_220
; %bb.203:                              ;   in Loop: Header=BB82_12 Depth=1
	s_or_b32 exec_lo, exec_lo, s28
	s_and_saveexec_b32 s12, s13
	s_cbranch_execnz .LBB82_221
.LBB82_204:                             ;   in Loop: Header=BB82_12 Depth=1
	s_or_b32 exec_lo, exec_lo, s12
	s_and_saveexec_b32 s12, s14
	s_cbranch_execnz .LBB82_222
.LBB82_205:                             ;   in Loop: Header=BB82_12 Depth=1
	s_or_b32 exec_lo, exec_lo, s12
	s_and_saveexec_b32 s12, s15
	s_cbranch_execnz .LBB82_223
.LBB82_206:                             ;   in Loop: Header=BB82_12 Depth=1
	s_or_b32 exec_lo, exec_lo, s12
	s_and_saveexec_b32 s12, s16
	s_cbranch_execnz .LBB82_224
.LBB82_207:                             ;   in Loop: Header=BB82_12 Depth=1
	s_or_b32 exec_lo, exec_lo, s12
	s_and_saveexec_b32 s12, s17
	s_cbranch_execnz .LBB82_225
.LBB82_208:                             ;   in Loop: Header=BB82_12 Depth=1
	s_or_b32 exec_lo, exec_lo, s12
	s_and_saveexec_b32 s12, s18
	s_cbranch_execnz .LBB82_226
.LBB82_209:                             ;   in Loop: Header=BB82_12 Depth=1
	s_or_b32 exec_lo, exec_lo, s12
	s_and_saveexec_b32 s12, s19
	s_cbranch_execnz .LBB82_227
.LBB82_210:                             ;   in Loop: Header=BB82_12 Depth=1
	s_or_b32 exec_lo, exec_lo, s12
	s_and_saveexec_b32 s12, s20
	s_cbranch_execnz .LBB82_228
.LBB82_211:                             ;   in Loop: Header=BB82_12 Depth=1
	s_or_b32 exec_lo, exec_lo, s12
	s_and_saveexec_b32 s12, s21
	s_cbranch_execnz .LBB82_229
.LBB82_212:                             ;   in Loop: Header=BB82_12 Depth=1
	s_or_b32 exec_lo, exec_lo, s12
	s_and_saveexec_b32 s12, s22
	s_cbranch_execnz .LBB82_230
.LBB82_213:                             ;   in Loop: Header=BB82_12 Depth=1
	s_or_b32 exec_lo, exec_lo, s12
	s_and_saveexec_b32 s12, s23
	s_cbranch_execnz .LBB82_231
.LBB82_214:                             ;   in Loop: Header=BB82_12 Depth=1
	s_or_b32 exec_lo, exec_lo, s12
	s_and_saveexec_b32 s12, s24
	s_cbranch_execnz .LBB82_232
.LBB82_215:                             ;   in Loop: Header=BB82_12 Depth=1
	s_or_b32 exec_lo, exec_lo, s12
	s_and_saveexec_b32 s12, s25
	s_cbranch_execnz .LBB82_233
.LBB82_216:                             ;   in Loop: Header=BB82_12 Depth=1
	s_or_b32 exec_lo, exec_lo, s12
	s_and_saveexec_b32 s12, s26
	s_cbranch_execnz .LBB82_234
.LBB82_217:                             ;   in Loop: Header=BB82_12 Depth=1
	s_or_b32 exec_lo, exec_lo, s12
	s_and_saveexec_b32 s12, s27
	s_cbranch_execz .LBB82_11
	s_branch .LBB82_235
.LBB82_218:                             ;   in Loop: Header=BB82_12 Depth=1
	global_load_u16 v97, v[8:9], off offset:832
	s_or_b32 exec_lo, exec_lo, s28
	s_and_saveexec_b32 s28, s26
	s_cbranch_execz .LBB82_72
.LBB82_219:                             ;   in Loop: Header=BB82_12 Depth=1
	global_load_u16 v96, v[8:9], off offset:896
	s_or_b32 exec_lo, exec_lo, s28
	v_mov_b32_e32 v98, 0
	s_and_saveexec_b32 s28, s27
	s_cbranch_execnz .LBB82_73
	s_branch .LBB82_74
.LBB82_220:                             ;   in Loop: Header=BB82_12 Depth=1
	ds_load_u16 v17, v37
	s_waitcnt lgkmcnt(0)
	global_store_b16 v[0:1], v17, off
	s_or_b32 exec_lo, exec_lo, s28
	s_and_saveexec_b32 s12, s13
	s_cbranch_execz .LBB82_204
.LBB82_221:                             ;   in Loop: Header=BB82_12 Depth=1
	s_waitcnt lgkmcnt(14)
	global_store_b16 v[0:1], v16, off offset:64
	s_or_b32 exec_lo, exec_lo, s12
	s_and_saveexec_b32 s12, s14
	s_cbranch_execz .LBB82_205
.LBB82_222:                             ;   in Loop: Header=BB82_12 Depth=1
	s_waitcnt lgkmcnt(13)
	global_store_b16 v[0:1], v15, off offset:128
	s_or_b32 exec_lo, exec_lo, s12
	s_and_saveexec_b32 s12, s15
	s_cbranch_execz .LBB82_206
.LBB82_223:                             ;   in Loop: Header=BB82_12 Depth=1
	s_waitcnt lgkmcnt(12)
	global_store_b16 v[0:1], v14, off offset:192
	s_or_b32 exec_lo, exec_lo, s12
	s_and_saveexec_b32 s12, s16
	s_cbranch_execz .LBB82_207
.LBB82_224:                             ;   in Loop: Header=BB82_12 Depth=1
	s_waitcnt lgkmcnt(11)
	global_store_b16 v[0:1], v13, off offset:256
	s_or_b32 exec_lo, exec_lo, s12
	s_and_saveexec_b32 s12, s17
	s_cbranch_execz .LBB82_208
.LBB82_225:                             ;   in Loop: Header=BB82_12 Depth=1
	s_waitcnt lgkmcnt(10)
	global_store_b16 v[0:1], v12, off offset:320
	s_or_b32 exec_lo, exec_lo, s12
	s_and_saveexec_b32 s12, s18
	s_cbranch_execz .LBB82_209
.LBB82_226:                             ;   in Loop: Header=BB82_12 Depth=1
	s_waitcnt lgkmcnt(9)
	global_store_b16 v[0:1], v11, off offset:384
	s_or_b32 exec_lo, exec_lo, s12
	s_and_saveexec_b32 s12, s19
	s_cbranch_execz .LBB82_210
.LBB82_227:                             ;   in Loop: Header=BB82_12 Depth=1
	s_waitcnt lgkmcnt(8)
	global_store_b16 v[0:1], v10, off offset:448
	s_or_b32 exec_lo, exec_lo, s12
	s_and_saveexec_b32 s12, s20
	s_cbranch_execz .LBB82_211
.LBB82_228:                             ;   in Loop: Header=BB82_12 Depth=1
	s_waitcnt lgkmcnt(7)
	global_store_b16 v[0:1], v9, off offset:512
	s_or_b32 exec_lo, exec_lo, s12
	s_and_saveexec_b32 s12, s21
	s_cbranch_execz .LBB82_212
.LBB82_229:                             ;   in Loop: Header=BB82_12 Depth=1
	s_waitcnt lgkmcnt(6)
	global_store_b16 v[0:1], v8, off offset:576
	s_or_b32 exec_lo, exec_lo, s12
	s_and_saveexec_b32 s12, s22
	s_cbranch_execz .LBB82_213
.LBB82_230:                             ;   in Loop: Header=BB82_12 Depth=1
	s_waitcnt lgkmcnt(5)
	global_store_b16 v[0:1], v7, off offset:640
	s_or_b32 exec_lo, exec_lo, s12
	s_and_saveexec_b32 s12, s23
	s_cbranch_execz .LBB82_214
.LBB82_231:                             ;   in Loop: Header=BB82_12 Depth=1
	s_waitcnt lgkmcnt(4)
	global_store_b16 v[0:1], v6, off offset:704
	s_or_b32 exec_lo, exec_lo, s12
	s_and_saveexec_b32 s12, s24
	s_cbranch_execz .LBB82_215
.LBB82_232:                             ;   in Loop: Header=BB82_12 Depth=1
	s_waitcnt lgkmcnt(3)
	global_store_b16 v[0:1], v5, off offset:768
	s_or_b32 exec_lo, exec_lo, s12
	s_and_saveexec_b32 s12, s25
	s_cbranch_execz .LBB82_216
.LBB82_233:                             ;   in Loop: Header=BB82_12 Depth=1
	s_waitcnt lgkmcnt(2)
	global_store_b16 v[0:1], v4, off offset:832
	s_or_b32 exec_lo, exec_lo, s12
	s_and_saveexec_b32 s12, s26
	s_cbranch_execz .LBB82_217
.LBB82_234:                             ;   in Loop: Header=BB82_12 Depth=1
	s_waitcnt lgkmcnt(1)
	global_store_b16 v[0:1], v3, off offset:896
	s_or_b32 exec_lo, exec_lo, s12
	s_and_saveexec_b32 s12, s27
	s_cbranch_execz .LBB82_11
.LBB82_235:                             ;   in Loop: Header=BB82_12 Depth=1
	s_waitcnt lgkmcnt(0)
	global_store_b16 v[0:1], v2, off offset:960
	s_branch .LBB82_11
.LBB82_236:
	s_nop 0
	s_sendmsg sendmsg(MSG_DEALLOC_VGPRS)
	s_endpgm
	.section	.rodata,"a",@progbits
	.p2align	6, 0x0
	.amdhsa_kernel _Z25selective_scan_fwd_kernelI32Selective_Scan_fwd_kernel_traitsILi64ELi16ELi1ELb1ELb1ELb1ELb0ELb1EN3c104HalfEfS2_EEv13SSMParamsBase
		.amdhsa_group_segment_fixed_size 0
		.amdhsa_private_segment_fixed_size 0
		.amdhsa_kernarg_size 248
		.amdhsa_user_sgpr_count 14
		.amdhsa_user_sgpr_dispatch_ptr 0
		.amdhsa_user_sgpr_queue_ptr 0
		.amdhsa_user_sgpr_kernarg_segment_ptr 1
		.amdhsa_user_sgpr_dispatch_id 0
		.amdhsa_user_sgpr_private_segment_size 0
		.amdhsa_wavefront_size32 1
		.amdhsa_uses_dynamic_stack 0
		.amdhsa_enable_private_segment 0
		.amdhsa_system_sgpr_workgroup_id_x 1
		.amdhsa_system_sgpr_workgroup_id_y 1
		.amdhsa_system_sgpr_workgroup_id_z 0
		.amdhsa_system_sgpr_workgroup_info 0
		.amdhsa_system_vgpr_workitem_id 0
		.amdhsa_next_free_vgpr 172
		.amdhsa_next_free_sgpr 92
		.amdhsa_reserve_vcc 1
		.amdhsa_float_round_mode_32 0
		.amdhsa_float_round_mode_16_64 0
		.amdhsa_float_denorm_mode_32 3
		.amdhsa_float_denorm_mode_16_64 3
		.amdhsa_dx10_clamp 1
		.amdhsa_ieee_mode 1
		.amdhsa_fp16_overflow 0
		.amdhsa_workgroup_processor_mode 1
		.amdhsa_memory_ordered 1
		.amdhsa_forward_progress 0
		.amdhsa_shared_vgpr_count 0
		.amdhsa_exception_fp_ieee_invalid_op 0
		.amdhsa_exception_fp_denorm_src 0
		.amdhsa_exception_fp_ieee_div_zero 0
		.amdhsa_exception_fp_ieee_overflow 0
		.amdhsa_exception_fp_ieee_underflow 0
		.amdhsa_exception_fp_ieee_inexact 0
		.amdhsa_exception_int_div_zero 0
	.end_amdhsa_kernel
	.section	.text._Z25selective_scan_fwd_kernelI32Selective_Scan_fwd_kernel_traitsILi64ELi16ELi1ELb1ELb1ELb1ELb0ELb1EN3c104HalfEfS2_EEv13SSMParamsBase,"axG",@progbits,_Z25selective_scan_fwd_kernelI32Selective_Scan_fwd_kernel_traitsILi64ELi16ELi1ELb1ELb1ELb1ELb0ELb1EN3c104HalfEfS2_EEv13SSMParamsBase,comdat
.Lfunc_end82:
	.size	_Z25selective_scan_fwd_kernelI32Selective_Scan_fwd_kernel_traitsILi64ELi16ELi1ELb1ELb1ELb1ELb0ELb1EN3c104HalfEfS2_EEv13SSMParamsBase, .Lfunc_end82-_Z25selective_scan_fwd_kernelI32Selective_Scan_fwd_kernel_traitsILi64ELi16ELi1ELb1ELb1ELb1ELb0ELb1EN3c104HalfEfS2_EEv13SSMParamsBase
                                        ; -- End function
	.section	.AMDGPU.csdata,"",@progbits
; Kernel info:
; codeLenInByte = 21420
; NumSgprs: 94
; NumVgprs: 172
; ScratchSize: 0
; MemoryBound: 0
; FloatMode: 240
; IeeeMode: 1
; LDSByteSize: 0 bytes/workgroup (compile time only)
; SGPRBlocks: 11
; VGPRBlocks: 21
; NumSGPRsForWavesPerEU: 94
; NumVGPRsForWavesPerEU: 172
; Occupancy: 8
; WaveLimiterHint : 1
; COMPUTE_PGM_RSRC2:SCRATCH_EN: 0
; COMPUTE_PGM_RSRC2:USER_SGPR: 14
; COMPUTE_PGM_RSRC2:TRAP_HANDLER: 0
; COMPUTE_PGM_RSRC2:TGID_X_EN: 1
; COMPUTE_PGM_RSRC2:TGID_Y_EN: 1
; COMPUTE_PGM_RSRC2:TGID_Z_EN: 0
; COMPUTE_PGM_RSRC2:TIDIG_COMP_CNT: 0
	.section	.text._Z25selective_scan_fwd_kernelI32Selective_Scan_fwd_kernel_traitsILi64ELi16ELi1ELb1ELb1ELb1ELb0ELb0EN3c104HalfEfS2_EEv13SSMParamsBase,"axG",@progbits,_Z25selective_scan_fwd_kernelI32Selective_Scan_fwd_kernel_traitsILi64ELi16ELi1ELb1ELb1ELb1ELb0ELb0EN3c104HalfEfS2_EEv13SSMParamsBase,comdat
	.protected	_Z25selective_scan_fwd_kernelI32Selective_Scan_fwd_kernel_traitsILi64ELi16ELi1ELb1ELb1ELb1ELb0ELb0EN3c104HalfEfS2_EEv13SSMParamsBase ; -- Begin function _Z25selective_scan_fwd_kernelI32Selective_Scan_fwd_kernel_traitsILi64ELi16ELi1ELb1ELb1ELb1ELb0ELb0EN3c104HalfEfS2_EEv13SSMParamsBase
	.globl	_Z25selective_scan_fwd_kernelI32Selective_Scan_fwd_kernel_traitsILi64ELi16ELi1ELb1ELb1ELb1ELb0ELb0EN3c104HalfEfS2_EEv13SSMParamsBase
	.p2align	8
	.type	_Z25selective_scan_fwd_kernelI32Selective_Scan_fwd_kernel_traitsILi64ELi16ELi1ELb1ELb1ELb1ELb0ELb0EN3c104HalfEfS2_EEv13SSMParamsBase,@function
_Z25selective_scan_fwd_kernelI32Selective_Scan_fwd_kernel_traitsILi64ELi16ELi1ELb1ELb1ELb1ELb0ELb0EN3c104HalfEfS2_EEv13SSMParamsBase: ; @_Z25selective_scan_fwd_kernelI32Selective_Scan_fwd_kernel_traitsILi64ELi16ELi1ELb1ELb1ELb1ELb0ELb0EN3c104HalfEfS2_EEv13SSMParamsBase
; %bb.0:
	s_clause 0x1
	s_load_b32 s9, s[0:1], 0x18
	s_load_b128 s[4:7], s[0:1], 0xe8
	s_mov_b32 s54, s15
	s_mov_b32 s33, 0
	s_waitcnt lgkmcnt(0)
	s_abs_i32 s8, s9
	s_cmp_eq_u64 s[6:7], 0
	v_cvt_f32_u32_e32 v1, s8
	s_delay_alu instid0(VALU_DEP_1) | instskip(SKIP_2) | instid1(VALU_DEP_1)
	v_rcp_iflag_f32_e32 v1, v1
	s_waitcnt_depctr 0xfff
	v_mul_f32_e32 v1, 0x4f7ffffe, v1
	v_cvt_u32_f32_e32 v1, v1
	s_delay_alu instid0(VALU_DEP_1)
	v_readfirstlane_b32 s10, v1
	s_cbranch_scc1 .LBB83_2
; %bb.1:
	v_mov_b32_e32 v1, 0
	s_ashr_i32 s3, s14, 31
	s_add_u32 s2, s6, s14
	s_addc_u32 s3, s7, s3
	global_load_u8 v1, v1, s[2:3]
	s_waitcnt vmcnt(0)
	v_and_b32_e32 v1, 1, v1
	s_delay_alu instid0(VALU_DEP_1)
	v_cmp_eq_u32_e64 s33, 1, v1
.LBB83_2:
	s_load_b64 s[6:7], s[0:1], 0x20
	s_cmp_eq_u64 s[4:5], 0
	s_cbranch_scc1 .LBB83_4
; %bb.3:
	s_ashr_i32 s15, s14, 31
	s_delay_alu instid0(SALU_CYCLE_1) | instskip(NEXT) | instid1(SALU_CYCLE_1)
	s_lshl_b64 s[2:3], s[14:15], 2
	s_add_u32 s2, s4, s2
	s_addc_u32 s3, s5, s3
	s_load_b32 s2, s[2:3], 0x0
	s_waitcnt lgkmcnt(0)
	s_ashr_i32 s3, s2, 31
	s_delay_alu instid0(SALU_CYCLE_1)
	s_cmp_eq_u64 s[6:7], s[2:3]
	s_cbranch_scc0 .LBB83_5
	s_branch .LBB83_84
.LBB83_4:
	s_mov_b32 s2, s14
	s_delay_alu instid0(SALU_CYCLE_1)
	s_ashr_i32 s3, s2, 31
	s_waitcnt lgkmcnt(0)
	s_cmp_eq_u64 s[6:7], s[2:3]
	s_cbranch_scc1 .LBB83_84
.LBB83_5:
	s_clause 0x1
	s_load_b512 s[16:31], s[0:1], 0x88
	s_load_b64 s[34:35], s[0:1], 0x8
	s_mov_b32 s56, 0
	s_mov_b32 s57, 0
	s_waitcnt lgkmcnt(0)
	s_cmp_eq_u64 s[22:23], 0
	s_cbranch_scc1 .LBB83_7
; %bb.6:
	s_ashr_i32 s55, s54, 31
	s_delay_alu instid0(SALU_CYCLE_1) | instskip(NEXT) | instid1(SALU_CYCLE_1)
	s_lshl_b64 s[4:5], s[54:55], 2
	s_add_u32 s4, s22, s4
	s_addc_u32 s5, s23, s5
	s_load_b32 s57, s[4:5], 0x0
.LBB83_7:
	s_cmp_eq_u64 s[28:29], 0
	s_cbranch_scc1 .LBB83_9
; %bb.8:
	s_ashr_i32 s55, s54, 31
	s_delay_alu instid0(SALU_CYCLE_1) | instskip(NEXT) | instid1(SALU_CYCLE_1)
	s_lshl_b64 s[4:5], s[54:55], 2
	s_add_u32 s4, s28, s4
	s_addc_u32 s5, s29, s5
	s_load_b32 s56, s[4:5], 0x0
.LBB83_9:
	s_cmp_lt_i32 s34, 1
	s_cbranch_scc1 .LBB83_84
; %bb.10:
	s_sub_i32 s3, 0, s8
	s_clause 0x1
	s_load_b64 s[4:5], s[0:1], 0x5c
	s_load_b128 s[44:47], s[0:1], 0x4c
	s_mul_i32 s3, s3, s10
	s_abs_i32 s6, s54
	s_mul_hi_u32 s3, s10, s3
	s_ashr_i32 s9, s9, 31
	s_add_i32 s10, s10, s3
	s_ashr_i32 s3, s54, 31
	s_mul_hi_u32 s7, s6, s10
	s_xor_b32 s3, s3, s9
	s_mul_i32 s10, s7, s8
	s_add_i32 s9, s7, 1
	s_sub_i32 s6, s6, s10
	s_load_b256 s[36:43], s[0:1], 0x2c
	s_sub_i32 s10, s6, s8
	s_cmp_ge_u32 s6, s8
	s_mov_b32 s53, 0
	s_cselect_b32 s7, s9, s7
	s_cselect_b32 s6, s10, s6
	s_add_i32 s9, s7, 1
	s_cmp_ge_u32 s6, s8
	s_waitcnt lgkmcnt(0)
	s_mul_i32 s52, s46, s14
	s_cselect_b32 s6, s9, s7
	s_load_b128 s[48:51], s[0:1], 0x7c
	s_xor_b32 s8, s6, s3
	s_lshl_b64 s[6:7], s[52:53], 1
	s_sub_i32 s3, s8, s3
	s_mul_i32 s52, s47, s54
	s_add_u32 s8, s24, s6
	s_addc_u32 s9, s25, s7
	s_lshl_b64 s[6:7], s[52:53], 1
	s_mul_i32 s52, s4, s14
	s_add_u32 s55, s8, s6
	s_addc_u32 s58, s9, s7
	s_lshl_b64 s[6:7], s[52:53], 1
	;; [unrolled: 4-line block ×3, first 2 shown]
	s_mul_i32 s52, s36, s54
	s_add_u32 s59, s6, s4
	s_addc_u32 s36, s7, s5
	s_load_b64 s[6:7], s[0:1], 0xc8
	s_lshl_b64 s[4:5], s[52:53], 2
	s_mul_i32 s52, s38, s14
	s_add_u32 s60, s16, s4
	s_waitcnt lgkmcnt(0)
	s_addc_u32 s51, s17, s5
	s_lshl_b64 s[4:5], s[52:53], 1
	s_mul_i32 s52, s3, s41
	s_add_u32 s8, s18, s4
	s_addc_u32 s9, s19, s5
	s_lshl_b64 s[4:5], s[52:53], 1
	s_mul_i32 s52, s42, s14
	s_add_u32 s41, s8, s4
	;; [unrolled: 4-line block ×3, first 2 shown]
	s_addc_u32 s3, s21, s5
	s_lshl_b64 s[4:5], s[52:53], 1
	s_mul_i32 s52, s2, s48
	v_dual_mov_b32 v34, 0 :: v_dual_lshlrev_b32 v1, 1, v0
	s_add_u32 s45, s8, s4
	s_addc_u32 s62, s3, s5
	s_lshl_b64 s[2:3], s[52:53], 1
	s_load_b64 s[12:13], s[0:1], 0x6c
	s_add_u32 s4, s6, s2
	s_load_b32 s6, s[0:1], 0x28
	v_mbcnt_lo_u32_b32 v2, -1, 0
	v_and_b32_e32 v1, 64, v1
	v_and_b32_e32 v4, 32, v0
	s_mul_i32 s52, s49, s54
	s_addc_u32 s5, s7, s3
	s_lshl_b64 s[2:3], s[52:53], 1
	v_or_b32_e32 v3, v2, v1
	s_add_u32 s63, s4, s2
	v_lshrrev_b32_e32 v5, 5, v1
	v_or_b32_e32 v7, v2, v4
	s_addc_u32 s64, s5, s3
	v_or_b32_e32 v6, 32, v3
	s_add_i32 s0, s34, 0x7ff
	v_add_nc_u32_e32 v5, v5, v3
	s_lshr_b32 s65, s0, 11
	v_cmp_gt_u32_e64 s0, 0x80, v3
	v_lshrrev_b32_e32 v8, 5, v6
	v_lshlrev_b32_e32 v9, 1, v7
	v_bfe_u32 v7, v7, 4, 27
	s_waitcnt lgkmcnt(0)
	s_bitcmp1_b32 s6, 0
	v_lshl_add_u32 v35, v5, 4, 0
	v_add_lshl_u32 v3, v8, v3, 4
	s_cselect_b32 s66, -1, 0
	s_cmp_gt_i32 s35, 0
	v_add_lshl_u32 v5, v7, v9, 4
	s_cselect_b32 s67, -1, 0
	s_add_i32 s2, 0, 0x840
	v_add_nc_u32_e32 v36, 0, v3
	v_add_nc_u32_e32 v38, s2, v3
	v_and_b32_e32 v3, 15, v2
	s_and_b32 s3, s34, 0x3ff
	v_add_nc_u32_e32 v39, s2, v5
	s_cmp_eq_u32 s3, 0
	s_mul_i32 s52, s12, s14
	v_cmp_ne_u32_e64 s2, 0, v3
	v_cmp_lt_u32_e64 s3, 1, v3
	v_cmp_lt_u32_e64 s4, 3, v3
	;; [unrolled: 1-line block ×3, first 2 shown]
	v_add_nc_u32_e32 v3, -1, v2
	s_cselect_b32 s68, -1, 0
	s_lshl_b64 s[14:15], s[52:53], 1
	s_add_i32 s69, s65, -1
	s_mul_i32 s52, s13, s54
	v_cmp_gt_i32_e32 vcc_lo, 0, v3
	v_add_nc_u32_e32 v37, 0, v5
	v_lshlrev_b32_e32 v40, 4, v0
	v_lshrrev_b32_e32 v5, 2, v0
	v_cmp_gt_u32_e64 s8, 2, v0
	v_cndmask_b32_e32 v3, v3, v2, vcc_lo
	v_or_b32_e32 v4, 31, v4
	v_lshl_add_u32 v42, v0, 3, 0
	v_cmp_gt_u32_e64 s10, 32, v0
	v_cmp_lt_u32_e64 s11, 31, v0
	v_cmp_eq_u32_e64 s12, 0, v0
	v_cmp_eq_u32_e64 s7, v4, v0
	s_add_u32 s16, s30, s14
	v_lshlrev_b32_e32 v0, 4, v2
	s_addc_u32 s13, s31, s15
	s_lshl_b64 s[14:15], s[52:53], 1
	v_and_b32_e32 v4, 1, v2
	s_add_u32 s14, s16, s14
	v_lshlrev_b32_e32 v43, 2, v3
	s_addc_u32 s13, s13, s15
	v_lshlrev_b32_e32 v3, 4, v1
	v_add_co_u32 v0, s14, s14, v0
	v_cmp_gt_u32_e64 s1, 0x80, v6
	v_and_b32_e32 v6, 16, v2
	v_and_b32_e32 v5, 8, v5
	v_cmp_eq_u32_e64 s9, 0, v4
	v_add_co_ci_u32_e64 v4, null, s13, 0, s14
	v_add_co_u32 v44, vcc_lo, v0, v3
	v_cmp_ne_u32_e64 s6, 0, v6
	v_add_nc_u32_e32 v41, 0, v5
	v_cmp_eq_u32_e64 s13, 0, v2
	v_add_co_ci_u32_e32 v45, vcc_lo, 0, v4, vcc_lo
	v_or_b32_e32 v46, 1, v40
	v_or_b32_e32 v47, 2, v40
	;; [unrolled: 1-line block ×15, first 2 shown]
	v_lshlrev_b32_e32 v61, 4, v2
	v_lshlrev_b32_e32 v62, 4, v1
	s_mov_b32 s54, 0x3e9b6dac
	s_add_i32 s70, 0, 0x1090
	s_mov_b32 s71, 0
                                        ; implicit-def: $vgpr4
                                        ; implicit-def: $vgpr0
                                        ; implicit-def: $vgpr12
                                        ; implicit-def: $vgpr8
	s_branch .LBB83_12
.LBB83_11:                              ;   in Loop: Header=BB83_12 Depth=1
	v_cvt_f16_f32_e32 v16, v94
	v_cvt_f16_f32_e32 v20, v93
	;; [unrolled: 1-line block ×16, first 2 shown]
	v_pack_b32_f16 v19, v23, v19
	v_pack_b32_f16 v18, v22, v18
	;; [unrolled: 1-line block ×8, first 2 shown]
	s_waitcnt_vscnt null, 0x0
	s_barrier
	buffer_gl0_inv
	ds_store_b128 v37, v[16:19]
	ds_store_b128 v37, v[20:23] offset:16
	; wave barrier
	ds_load_b128 v[16:19], v35
	ds_load_b128 v[20:23], v36 offset:512
	s_add_u32 s59, s59, 0x800
	s_addc_u32 s36, s36, 0
	s_mov_b32 s39, s53
	s_add_u32 s55, s55, 0x800
	s_addc_u32 s58, s58, 0
	s_lshl_b64 s[14:15], s[38:39], 1
	s_add_u32 s41, s41, 0x800
	v_add_co_u32 v24, vcc_lo, v44, s14
	s_addc_u32 s61, s61, 0
	v_add_co_ci_u32_e32 v25, vcc_lo, s15, v45, vcc_lo
	s_add_u32 s45, s45, 0x800
	s_addc_u32 s62, s62, 0
	s_add_i32 s71, s71, 1
	s_delay_alu instid0(SALU_CYCLE_1)
	s_cmp_eq_u32 s71, s65
	s_waitcnt lgkmcnt(1)
	v_lshrrev_b32_e32 v28, 16, v19
	v_alignbit_b32 v27, v18, v17, 16
	v_alignbit_b32 v26, v17, v16, 16
	v_alignbit_b32 v17, v19, v18, 16
	s_clause 0x3
	global_store_b16 v[24:25], v16, off
	global_store_b16 v[24:25], v28, off offset:14
	global_store_b32 v[24:25], v17, off offset:10
	global_store_b64 v[24:25], v[26:27], off offset:2
	s_waitcnt lgkmcnt(0)
	global_store_b128 v[24:25], v[20:23], off offset:512
	s_cbranch_scc1 .LBB83_84
.LBB83_12:                              ; =>This Loop Header: Depth=1
                                        ;     Child Loop BB83_55 Depth 2
	v_add_co_u32 v16, s14, s55, v61
	s_delay_alu instid0(VALU_DEP_1) | instskip(NEXT) | instid1(VALU_DEP_2)
	v_add_co_ci_u32_e64 v17, null, s58, 0, s14
	v_add_co_u32 v16, vcc_lo, v16, v62
	s_delay_alu instid0(VALU_DEP_2)
	v_add_co_ci_u32_e32 v17, vcc_lo, 0, v17, vcc_lo
	s_waitcnt_vscnt null, 0x0
	s_barrier
	buffer_gl0_inv
	s_and_saveexec_b32 s14, s0
	s_cbranch_execz .LBB83_14
; %bb.13:                               ;   in Loop: Header=BB83_12 Depth=1
	global_load_b128 v[12:15], v[16:17], off
.LBB83_14:                              ;   in Loop: Header=BB83_12 Depth=1
	s_or_b32 exec_lo, exec_lo, s14
	s_and_saveexec_b32 s14, s1
	s_cbranch_execz .LBB83_16
; %bb.15:                               ;   in Loop: Header=BB83_12 Depth=1
	global_load_b128 v[8:11], v[16:17], off offset:512
.LBB83_16:                              ;   in Loop: Header=BB83_12 Depth=1
	s_or_b32 exec_lo, exec_lo, s14
	s_waitcnt vmcnt(0)
	ds_store_b128 v35, v[12:15]
	ds_store_b128 v36, v[8:11] offset:512
	; wave barrier
	ds_load_b128 v[12:15], v37
	ds_load_b128 v[8:11], v37 offset:16
	v_add_co_u32 v16, s14, s59, v61
	s_delay_alu instid0(VALU_DEP_1) | instskip(SKIP_1) | instid1(VALU_DEP_2)
	v_add_co_ci_u32_e64 v17, null, s36, 0, s14
	s_waitcnt lgkmcnt(0)
	v_add_co_u32 v16, vcc_lo, v16, v62
	s_delay_alu instid0(VALU_DEP_2)
	v_add_co_ci_u32_e32 v17, vcc_lo, 0, v17, vcc_lo
	s_barrier
	buffer_gl0_inv
	s_and_saveexec_b32 s14, s0
	s_cbranch_execz .LBB83_18
; %bb.17:                               ;   in Loop: Header=BB83_12 Depth=1
	global_load_b128 v[4:7], v[16:17], off
.LBB83_18:                              ;   in Loop: Header=BB83_12 Depth=1
	s_or_b32 exec_lo, exec_lo, s14
	s_and_saveexec_b32 s14, s1
	s_cbranch_execz .LBB83_20
; %bb.19:                               ;   in Loop: Header=BB83_12 Depth=1
	global_load_b128 v[0:3], v[16:17], off offset:512
.LBB83_20:                              ;   in Loop: Header=BB83_12 Depth=1
	s_or_b32 exec_lo, exec_lo, s14
	s_waitcnt vmcnt(0)
	ds_store_b128 v35, v[4:7]
	ds_store_b128 v36, v[0:3] offset:512
	; wave barrier
	ds_load_b128 v[4:7], v37
	ds_load_b128 v[0:3], v37 offset:16
	s_waitcnt lgkmcnt(1)
	v_cvt_f32_f16_e32 v16, v4
	s_delay_alu instid0(VALU_DEP_1) | instskip(NEXT) | instid1(VALU_DEP_1)
	v_add_f32_e32 v63, s56, v16
	v_cmp_ge_f32_e32 vcc_lo, 0x41a00000, v63
	s_and_b32 s14, s66, vcc_lo
	s_delay_alu instid0(SALU_CYCLE_1)
	s_and_saveexec_b32 s15, s14
	s_cbranch_execz .LBB83_22
; %bb.21:                               ;   in Loop: Header=BB83_12 Depth=1
	v_mul_f32_e32 v16, 0x3fb8aa3b, v63
	v_cmp_ngt_f32_e32 vcc_lo, 0xc2ce8ed0, v63
	s_delay_alu instid0(VALU_DEP_2) | instskip(SKIP_1) | instid1(VALU_DEP_2)
	v_rndne_f32_e32 v17, v16
	v_fma_f32 v18, 0x3fb8aa3b, v63, -v16
	v_sub_f32_e32 v16, v16, v17
	s_delay_alu instid0(VALU_DEP_2) | instskip(SKIP_1) | instid1(VALU_DEP_2)
	v_fmac_f32_e32 v18, 0x32a5705f, v63
	v_cvt_i32_f32_e32 v17, v17
	v_add_f32_e32 v16, v16, v18
	s_delay_alu instid0(VALU_DEP_1) | instskip(SKIP_2) | instid1(VALU_DEP_1)
	v_exp_f32_e32 v16, v16
	s_waitcnt_depctr 0xfff
	v_ldexp_f32 v16, v16, v17
	v_cndmask_b32_e32 v16, 0, v16, vcc_lo
	v_cmp_nlt_f32_e32 vcc_lo, 0x42b17218, v63
	s_delay_alu instid0(VALU_DEP_2) | instskip(NEXT) | instid1(VALU_DEP_1)
	v_cndmask_b32_e32 v18, 0x7f800000, v16, vcc_lo
	v_add_f32_e32 v19, 1.0, v18
	s_delay_alu instid0(VALU_DEP_1) | instskip(NEXT) | instid1(VALU_DEP_1)
	v_cvt_f64_f32_e32 v[16:17], v19
	v_frexp_exp_i32_f64_e32 v16, v[16:17]
	v_frexp_mant_f32_e32 v17, v19
	s_delay_alu instid0(VALU_DEP_1) | instskip(SKIP_1) | instid1(VALU_DEP_1)
	v_cmp_gt_f32_e32 vcc_lo, 0x3f2aaaab, v17
	v_add_f32_e32 v17, -1.0, v19
	v_sub_f32_e32 v21, v17, v19
	v_sub_f32_e32 v17, v18, v17
	s_delay_alu instid0(VALU_DEP_2) | instskip(NEXT) | instid1(VALU_DEP_1)
	v_add_f32_e32 v21, 1.0, v21
	v_add_f32_e32 v17, v17, v21
	v_cmp_gt_f32_e64 s14, 0x33800000, v18
	v_subrev_co_ci_u32_e32 v16, vcc_lo, 0, v16, vcc_lo
	v_cmp_eq_f32_e32 vcc_lo, 0x7f800000, v18
	s_delay_alu instid0(VALU_DEP_2) | instskip(SKIP_2) | instid1(VALU_DEP_2)
	v_sub_nc_u32_e32 v20, 0, v16
	v_cvt_f32_i32_e32 v16, v16
	s_or_b32 vcc_lo, s14, vcc_lo
	v_ldexp_f32 v19, v19, v20
	v_ldexp_f32 v17, v17, v20
	s_delay_alu instid0(VALU_DEP_2) | instskip(NEXT) | instid1(VALU_DEP_1)
	v_add_f32_e32 v22, 1.0, v19
	v_dual_add_f32 v20, -1.0, v19 :: v_dual_add_f32 v21, -1.0, v22
	s_delay_alu instid0(VALU_DEP_1) | instskip(NEXT) | instid1(VALU_DEP_2)
	v_add_f32_e32 v23, 1.0, v20
	v_sub_f32_e32 v21, v19, v21
	s_delay_alu instid0(VALU_DEP_2) | instskip(NEXT) | instid1(VALU_DEP_2)
	v_sub_f32_e32 v19, v19, v23
	v_add_f32_e32 v21, v17, v21
	s_delay_alu instid0(VALU_DEP_2) | instskip(NEXT) | instid1(VALU_DEP_1)
	v_add_f32_e32 v17, v17, v19
	v_add_f32_e32 v24, v20, v17
	s_delay_alu instid0(VALU_DEP_1) | instskip(NEXT) | instid1(VALU_DEP_1)
	v_dual_add_f32 v23, v22, v21 :: v_dual_sub_f32 v20, v20, v24
	v_rcp_f32_e32 v19, v23
	v_sub_f32_e32 v22, v22, v23
	s_delay_alu instid0(VALU_DEP_1) | instskip(SKIP_2) | instid1(VALU_DEP_1)
	v_add_f32_e32 v21, v21, v22
	s_waitcnt_depctr 0xfff
	v_mul_f32_e32 v25, v24, v19
	v_mul_f32_e32 v26, v23, v25
	s_delay_alu instid0(VALU_DEP_1) | instskip(NEXT) | instid1(VALU_DEP_1)
	v_fma_f32 v22, v25, v23, -v26
	v_fmac_f32_e32 v22, v25, v21
	s_delay_alu instid0(VALU_DEP_1) | instskip(NEXT) | instid1(VALU_DEP_1)
	v_add_f32_e32 v27, v26, v22
	v_sub_f32_e32 v28, v24, v27
	s_delay_alu instid0(VALU_DEP_1) | instskip(SKIP_1) | instid1(VALU_DEP_2)
	v_sub_f32_e32 v24, v24, v28
	v_dual_add_f32 v17, v17, v20 :: v_dual_sub_f32 v20, v27, v26
	v_sub_f32_e32 v24, v24, v27
	s_delay_alu instid0(VALU_DEP_1) | instskip(NEXT) | instid1(VALU_DEP_1)
	v_dual_sub_f32 v20, v20, v22 :: v_dual_add_f32 v17, v17, v24
	v_add_f32_e32 v17, v20, v17
	s_delay_alu instid0(VALU_DEP_1) | instskip(NEXT) | instid1(VALU_DEP_1)
	v_add_f32_e32 v20, v28, v17
	v_mul_f32_e32 v22, v19, v20
	s_delay_alu instid0(VALU_DEP_1) | instskip(NEXT) | instid1(VALU_DEP_1)
	v_dual_sub_f32 v27, v28, v20 :: v_dual_mul_f32 v24, v23, v22
	v_add_f32_e32 v17, v17, v27
	s_delay_alu instid0(VALU_DEP_2) | instskip(NEXT) | instid1(VALU_DEP_1)
	v_fma_f32 v23, v22, v23, -v24
	v_fmac_f32_e32 v23, v22, v21
	s_delay_alu instid0(VALU_DEP_1) | instskip(NEXT) | instid1(VALU_DEP_1)
	v_add_f32_e32 v21, v24, v23
	v_sub_f32_e32 v26, v20, v21
	s_delay_alu instid0(VALU_DEP_1) | instskip(NEXT) | instid1(VALU_DEP_1)
	v_sub_f32_e32 v20, v20, v26
	v_sub_f32_e32 v20, v20, v21
	s_delay_alu instid0(VALU_DEP_1) | instskip(SKIP_2) | instid1(VALU_DEP_1)
	v_add_f32_e32 v17, v17, v20
	v_add_f32_e32 v20, v25, v22
	v_sub_f32_e32 v24, v21, v24
	v_sub_f32_e32 v21, v24, v23
	s_delay_alu instid0(VALU_DEP_1) | instskip(NEXT) | instid1(VALU_DEP_4)
	v_add_f32_e32 v17, v21, v17
	v_sub_f32_e32 v21, v20, v25
	s_delay_alu instid0(VALU_DEP_2) | instskip(NEXT) | instid1(VALU_DEP_2)
	v_add_f32_e32 v17, v26, v17
	v_sub_f32_e32 v21, v22, v21
	s_delay_alu instid0(VALU_DEP_2) | instskip(NEXT) | instid1(VALU_DEP_1)
	v_mul_f32_e32 v17, v19, v17
	v_add_f32_e32 v17, v21, v17
	s_delay_alu instid0(VALU_DEP_1) | instskip(NEXT) | instid1(VALU_DEP_1)
	v_add_f32_e32 v19, v20, v17
	v_mul_f32_e32 v21, v19, v19
	s_delay_alu instid0(VALU_DEP_1) | instskip(SKIP_1) | instid1(VALU_DEP_2)
	v_fmaak_f32 v22, s54, v21, 0x3ecc95a3
	v_mul_f32_e32 v23, v19, v21
	v_fmaak_f32 v21, v21, v22, 0x3f2aaada
	v_ldexp_f32 v22, v19, 1
	s_delay_alu instid0(VALU_DEP_2) | instskip(SKIP_1) | instid1(VALU_DEP_2)
	v_mul_f32_e32 v21, v23, v21
	v_sub_f32_e32 v19, v19, v20
	v_dual_mul_f32 v23, 0x3f317218, v16 :: v_dual_add_f32 v20, v22, v21
	s_delay_alu instid0(VALU_DEP_2) | instskip(NEXT) | instid1(VALU_DEP_2)
	v_sub_f32_e32 v17, v17, v19
	v_sub_f32_e32 v19, v20, v22
	s_delay_alu instid0(VALU_DEP_3) | instskip(NEXT) | instid1(VALU_DEP_3)
	v_fma_f32 v22, 0x3f317218, v16, -v23
	v_ldexp_f32 v17, v17, 1
	s_delay_alu instid0(VALU_DEP_2) | instskip(NEXT) | instid1(VALU_DEP_1)
	v_dual_sub_f32 v19, v21, v19 :: v_dual_fmac_f32 v22, 0xb102e308, v16
	v_dual_add_f32 v16, v17, v19 :: v_dual_add_f32 v17, v23, v22
	s_delay_alu instid0(VALU_DEP_1) | instskip(NEXT) | instid1(VALU_DEP_1)
	v_add_f32_e32 v19, v20, v16
	v_dual_add_f32 v21, v17, v19 :: v_dual_sub_f32 v20, v19, v20
	s_delay_alu instid0(VALU_DEP_1) | instskip(NEXT) | instid1(VALU_DEP_2)
	v_sub_f32_e32 v24, v21, v17
	v_dual_sub_f32 v23, v17, v23 :: v_dual_sub_f32 v16, v16, v20
	s_delay_alu instid0(VALU_DEP_1) | instskip(SKIP_1) | instid1(VALU_DEP_2)
	v_dual_sub_f32 v25, v21, v24 :: v_dual_sub_f32 v22, v22, v23
	v_sub_f32_e32 v19, v19, v24
	v_dual_sub_f32 v17, v17, v25 :: v_dual_add_f32 v20, v22, v16
	s_delay_alu instid0(VALU_DEP_1) | instskip(NEXT) | instid1(VALU_DEP_2)
	v_add_f32_e32 v17, v19, v17
	v_sub_f32_e32 v19, v20, v22
	s_delay_alu instid0(VALU_DEP_2) | instskip(NEXT) | instid1(VALU_DEP_2)
	v_add_f32_e32 v17, v20, v17
	v_sub_f32_e32 v20, v20, v19
	s_delay_alu instid0(VALU_DEP_2) | instskip(NEXT) | instid1(VALU_DEP_1)
	v_dual_sub_f32 v16, v16, v19 :: v_dual_add_f32 v23, v21, v17
	v_dual_sub_f32 v20, v22, v20 :: v_dual_sub_f32 v19, v23, v21
	s_delay_alu instid0(VALU_DEP_1) | instskip(NEXT) | instid1(VALU_DEP_1)
	v_dual_add_f32 v16, v16, v20 :: v_dual_sub_f32 v17, v17, v19
	v_add_f32_e32 v16, v16, v17
	s_delay_alu instid0(VALU_DEP_1) | instskip(NEXT) | instid1(VALU_DEP_1)
	v_add_f32_e32 v16, v23, v16
	v_cndmask_b32_e32 v63, v16, v18, vcc_lo
.LBB83_22:                              ;   in Loop: Header=BB83_12 Depth=1
	s_or_b32 exec_lo, exec_lo, s15
	v_lshrrev_b32_e32 v16, 16, v4
	s_delay_alu instid0(VALU_DEP_1) | instskip(NEXT) | instid1(VALU_DEP_1)
	v_cvt_f32_f16_e32 v16, v16
	v_add_f32_e32 v64, s56, v16
	s_delay_alu instid0(VALU_DEP_1) | instskip(SKIP_1) | instid1(SALU_CYCLE_1)
	v_cmp_ge_f32_e32 vcc_lo, 0x41a00000, v64
	s_and_b32 s14, s66, vcc_lo
	s_and_saveexec_b32 s15, s14
	s_cbranch_execz .LBB83_24
; %bb.23:                               ;   in Loop: Header=BB83_12 Depth=1
	v_mul_f32_e32 v16, 0x3fb8aa3b, v64
	v_cmp_ngt_f32_e32 vcc_lo, 0xc2ce8ed0, v64
	s_delay_alu instid0(VALU_DEP_2) | instskip(SKIP_1) | instid1(VALU_DEP_2)
	v_rndne_f32_e32 v17, v16
	v_fma_f32 v18, 0x3fb8aa3b, v64, -v16
	v_sub_f32_e32 v16, v16, v17
	s_delay_alu instid0(VALU_DEP_2) | instskip(SKIP_1) | instid1(VALU_DEP_2)
	v_fmac_f32_e32 v18, 0x32a5705f, v64
	v_cvt_i32_f32_e32 v17, v17
	v_add_f32_e32 v16, v16, v18
	s_delay_alu instid0(VALU_DEP_1) | instskip(SKIP_2) | instid1(VALU_DEP_1)
	v_exp_f32_e32 v16, v16
	s_waitcnt_depctr 0xfff
	v_ldexp_f32 v16, v16, v17
	v_cndmask_b32_e32 v16, 0, v16, vcc_lo
	v_cmp_nlt_f32_e32 vcc_lo, 0x42b17218, v64
	s_delay_alu instid0(VALU_DEP_2) | instskip(NEXT) | instid1(VALU_DEP_1)
	v_cndmask_b32_e32 v18, 0x7f800000, v16, vcc_lo
	v_add_f32_e32 v19, 1.0, v18
	s_delay_alu instid0(VALU_DEP_1) | instskip(NEXT) | instid1(VALU_DEP_1)
	v_cvt_f64_f32_e32 v[16:17], v19
	v_frexp_exp_i32_f64_e32 v16, v[16:17]
	v_frexp_mant_f32_e32 v17, v19
	s_delay_alu instid0(VALU_DEP_1) | instskip(SKIP_1) | instid1(VALU_DEP_1)
	v_cmp_gt_f32_e32 vcc_lo, 0x3f2aaaab, v17
	v_add_f32_e32 v17, -1.0, v19
	v_sub_f32_e32 v21, v17, v19
	v_sub_f32_e32 v17, v18, v17
	s_delay_alu instid0(VALU_DEP_2) | instskip(NEXT) | instid1(VALU_DEP_1)
	v_add_f32_e32 v21, 1.0, v21
	v_add_f32_e32 v17, v17, v21
	v_cmp_gt_f32_e64 s14, 0x33800000, v18
	v_subrev_co_ci_u32_e32 v16, vcc_lo, 0, v16, vcc_lo
	v_cmp_eq_f32_e32 vcc_lo, 0x7f800000, v18
	s_delay_alu instid0(VALU_DEP_2) | instskip(SKIP_2) | instid1(VALU_DEP_2)
	v_sub_nc_u32_e32 v20, 0, v16
	v_cvt_f32_i32_e32 v16, v16
	s_or_b32 vcc_lo, s14, vcc_lo
	v_ldexp_f32 v19, v19, v20
	v_ldexp_f32 v17, v17, v20
	s_delay_alu instid0(VALU_DEP_2) | instskip(NEXT) | instid1(VALU_DEP_1)
	v_add_f32_e32 v22, 1.0, v19
	v_dual_add_f32 v20, -1.0, v19 :: v_dual_add_f32 v21, -1.0, v22
	s_delay_alu instid0(VALU_DEP_1) | instskip(NEXT) | instid1(VALU_DEP_2)
	v_add_f32_e32 v23, 1.0, v20
	v_sub_f32_e32 v21, v19, v21
	s_delay_alu instid0(VALU_DEP_2) | instskip(NEXT) | instid1(VALU_DEP_2)
	v_sub_f32_e32 v19, v19, v23
	v_add_f32_e32 v21, v17, v21
	s_delay_alu instid0(VALU_DEP_2) | instskip(NEXT) | instid1(VALU_DEP_1)
	v_add_f32_e32 v17, v17, v19
	v_add_f32_e32 v24, v20, v17
	s_delay_alu instid0(VALU_DEP_1) | instskip(NEXT) | instid1(VALU_DEP_1)
	v_dual_add_f32 v23, v22, v21 :: v_dual_sub_f32 v20, v20, v24
	v_rcp_f32_e32 v19, v23
	v_sub_f32_e32 v22, v22, v23
	s_delay_alu instid0(VALU_DEP_1) | instskip(SKIP_2) | instid1(VALU_DEP_1)
	v_add_f32_e32 v21, v21, v22
	s_waitcnt_depctr 0xfff
	v_mul_f32_e32 v25, v24, v19
	v_mul_f32_e32 v26, v23, v25
	s_delay_alu instid0(VALU_DEP_1) | instskip(NEXT) | instid1(VALU_DEP_1)
	v_fma_f32 v22, v25, v23, -v26
	v_fmac_f32_e32 v22, v25, v21
	s_delay_alu instid0(VALU_DEP_1) | instskip(NEXT) | instid1(VALU_DEP_1)
	v_add_f32_e32 v27, v26, v22
	v_sub_f32_e32 v28, v24, v27
	s_delay_alu instid0(VALU_DEP_1) | instskip(SKIP_1) | instid1(VALU_DEP_2)
	v_sub_f32_e32 v24, v24, v28
	v_dual_add_f32 v17, v17, v20 :: v_dual_sub_f32 v20, v27, v26
	v_sub_f32_e32 v24, v24, v27
	s_delay_alu instid0(VALU_DEP_1) | instskip(NEXT) | instid1(VALU_DEP_1)
	v_dual_sub_f32 v20, v20, v22 :: v_dual_add_f32 v17, v17, v24
	v_add_f32_e32 v17, v20, v17
	s_delay_alu instid0(VALU_DEP_1) | instskip(NEXT) | instid1(VALU_DEP_1)
	v_add_f32_e32 v20, v28, v17
	v_mul_f32_e32 v22, v19, v20
	s_delay_alu instid0(VALU_DEP_1) | instskip(NEXT) | instid1(VALU_DEP_1)
	v_dual_sub_f32 v27, v28, v20 :: v_dual_mul_f32 v24, v23, v22
	v_add_f32_e32 v17, v17, v27
	s_delay_alu instid0(VALU_DEP_2) | instskip(NEXT) | instid1(VALU_DEP_1)
	v_fma_f32 v23, v22, v23, -v24
	v_fmac_f32_e32 v23, v22, v21
	s_delay_alu instid0(VALU_DEP_1) | instskip(NEXT) | instid1(VALU_DEP_1)
	v_add_f32_e32 v21, v24, v23
	v_sub_f32_e32 v26, v20, v21
	s_delay_alu instid0(VALU_DEP_1) | instskip(NEXT) | instid1(VALU_DEP_1)
	v_sub_f32_e32 v20, v20, v26
	v_sub_f32_e32 v20, v20, v21
	s_delay_alu instid0(VALU_DEP_1) | instskip(SKIP_2) | instid1(VALU_DEP_1)
	v_add_f32_e32 v17, v17, v20
	v_add_f32_e32 v20, v25, v22
	v_sub_f32_e32 v24, v21, v24
	v_sub_f32_e32 v21, v24, v23
	s_delay_alu instid0(VALU_DEP_1) | instskip(NEXT) | instid1(VALU_DEP_4)
	v_add_f32_e32 v17, v21, v17
	v_sub_f32_e32 v21, v20, v25
	s_delay_alu instid0(VALU_DEP_2) | instskip(NEXT) | instid1(VALU_DEP_2)
	v_add_f32_e32 v17, v26, v17
	v_sub_f32_e32 v21, v22, v21
	s_delay_alu instid0(VALU_DEP_2) | instskip(NEXT) | instid1(VALU_DEP_1)
	v_mul_f32_e32 v17, v19, v17
	v_add_f32_e32 v17, v21, v17
	s_delay_alu instid0(VALU_DEP_1) | instskip(NEXT) | instid1(VALU_DEP_1)
	v_add_f32_e32 v19, v20, v17
	v_mul_f32_e32 v21, v19, v19
	s_delay_alu instid0(VALU_DEP_1) | instskip(SKIP_1) | instid1(VALU_DEP_2)
	v_fmaak_f32 v22, s54, v21, 0x3ecc95a3
	v_mul_f32_e32 v23, v19, v21
	v_fmaak_f32 v21, v21, v22, 0x3f2aaada
	v_ldexp_f32 v22, v19, 1
	s_delay_alu instid0(VALU_DEP_2) | instskip(SKIP_1) | instid1(VALU_DEP_2)
	v_mul_f32_e32 v21, v23, v21
	v_sub_f32_e32 v19, v19, v20
	v_dual_mul_f32 v23, 0x3f317218, v16 :: v_dual_add_f32 v20, v22, v21
	s_delay_alu instid0(VALU_DEP_2) | instskip(NEXT) | instid1(VALU_DEP_2)
	v_sub_f32_e32 v17, v17, v19
	v_sub_f32_e32 v19, v20, v22
	s_delay_alu instid0(VALU_DEP_3) | instskip(NEXT) | instid1(VALU_DEP_3)
	v_fma_f32 v22, 0x3f317218, v16, -v23
	v_ldexp_f32 v17, v17, 1
	s_delay_alu instid0(VALU_DEP_2) | instskip(NEXT) | instid1(VALU_DEP_1)
	v_dual_sub_f32 v19, v21, v19 :: v_dual_fmac_f32 v22, 0xb102e308, v16
	v_dual_add_f32 v16, v17, v19 :: v_dual_add_f32 v17, v23, v22
	s_delay_alu instid0(VALU_DEP_1) | instskip(NEXT) | instid1(VALU_DEP_1)
	v_add_f32_e32 v19, v20, v16
	v_dual_add_f32 v21, v17, v19 :: v_dual_sub_f32 v20, v19, v20
	s_delay_alu instid0(VALU_DEP_1) | instskip(NEXT) | instid1(VALU_DEP_2)
	v_sub_f32_e32 v24, v21, v17
	v_dual_sub_f32 v23, v17, v23 :: v_dual_sub_f32 v16, v16, v20
	s_delay_alu instid0(VALU_DEP_1) | instskip(SKIP_1) | instid1(VALU_DEP_2)
	v_dual_sub_f32 v25, v21, v24 :: v_dual_sub_f32 v22, v22, v23
	v_sub_f32_e32 v19, v19, v24
	v_dual_sub_f32 v17, v17, v25 :: v_dual_add_f32 v20, v22, v16
	s_delay_alu instid0(VALU_DEP_1) | instskip(NEXT) | instid1(VALU_DEP_2)
	v_add_f32_e32 v17, v19, v17
	v_sub_f32_e32 v19, v20, v22
	s_delay_alu instid0(VALU_DEP_2) | instskip(NEXT) | instid1(VALU_DEP_2)
	v_add_f32_e32 v17, v20, v17
	v_sub_f32_e32 v20, v20, v19
	s_delay_alu instid0(VALU_DEP_2) | instskip(NEXT) | instid1(VALU_DEP_1)
	v_dual_sub_f32 v16, v16, v19 :: v_dual_add_f32 v23, v21, v17
	v_dual_sub_f32 v20, v22, v20 :: v_dual_sub_f32 v19, v23, v21
	s_delay_alu instid0(VALU_DEP_1) | instskip(NEXT) | instid1(VALU_DEP_1)
	v_dual_add_f32 v16, v16, v20 :: v_dual_sub_f32 v17, v17, v19
	v_add_f32_e32 v16, v16, v17
	s_delay_alu instid0(VALU_DEP_1) | instskip(NEXT) | instid1(VALU_DEP_1)
	v_add_f32_e32 v16, v23, v16
	v_cndmask_b32_e32 v64, v16, v18, vcc_lo
.LBB83_24:                              ;   in Loop: Header=BB83_12 Depth=1
	s_or_b32 exec_lo, exec_lo, s15
	v_cvt_f32_f16_e32 v16, v5
	s_delay_alu instid0(VALU_DEP_1) | instskip(NEXT) | instid1(VALU_DEP_1)
	v_add_f32_e32 v65, s56, v16
	v_cmp_ge_f32_e32 vcc_lo, 0x41a00000, v65
	s_and_b32 s14, s66, vcc_lo
	s_delay_alu instid0(SALU_CYCLE_1)
	s_and_saveexec_b32 s15, s14
	s_cbranch_execz .LBB83_26
; %bb.25:                               ;   in Loop: Header=BB83_12 Depth=1
	v_mul_f32_e32 v16, 0x3fb8aa3b, v65
	v_cmp_ngt_f32_e32 vcc_lo, 0xc2ce8ed0, v65
	s_delay_alu instid0(VALU_DEP_2) | instskip(SKIP_1) | instid1(VALU_DEP_2)
	v_rndne_f32_e32 v17, v16
	v_fma_f32 v18, 0x3fb8aa3b, v65, -v16
	v_sub_f32_e32 v16, v16, v17
	s_delay_alu instid0(VALU_DEP_2) | instskip(SKIP_1) | instid1(VALU_DEP_2)
	v_fmac_f32_e32 v18, 0x32a5705f, v65
	v_cvt_i32_f32_e32 v17, v17
	v_add_f32_e32 v16, v16, v18
	s_delay_alu instid0(VALU_DEP_1) | instskip(SKIP_2) | instid1(VALU_DEP_1)
	v_exp_f32_e32 v16, v16
	s_waitcnt_depctr 0xfff
	v_ldexp_f32 v16, v16, v17
	v_cndmask_b32_e32 v16, 0, v16, vcc_lo
	v_cmp_nlt_f32_e32 vcc_lo, 0x42b17218, v65
	s_delay_alu instid0(VALU_DEP_2) | instskip(NEXT) | instid1(VALU_DEP_1)
	v_cndmask_b32_e32 v18, 0x7f800000, v16, vcc_lo
	v_add_f32_e32 v19, 1.0, v18
	s_delay_alu instid0(VALU_DEP_1) | instskip(NEXT) | instid1(VALU_DEP_1)
	v_cvt_f64_f32_e32 v[16:17], v19
	v_frexp_exp_i32_f64_e32 v16, v[16:17]
	v_frexp_mant_f32_e32 v17, v19
	s_delay_alu instid0(VALU_DEP_1) | instskip(SKIP_1) | instid1(VALU_DEP_1)
	v_cmp_gt_f32_e32 vcc_lo, 0x3f2aaaab, v17
	v_add_f32_e32 v17, -1.0, v19
	v_sub_f32_e32 v21, v17, v19
	v_sub_f32_e32 v17, v18, v17
	s_delay_alu instid0(VALU_DEP_2) | instskip(NEXT) | instid1(VALU_DEP_1)
	v_add_f32_e32 v21, 1.0, v21
	v_add_f32_e32 v17, v17, v21
	v_cmp_gt_f32_e64 s14, 0x33800000, v18
	v_subrev_co_ci_u32_e32 v16, vcc_lo, 0, v16, vcc_lo
	v_cmp_eq_f32_e32 vcc_lo, 0x7f800000, v18
	s_delay_alu instid0(VALU_DEP_2) | instskip(SKIP_2) | instid1(VALU_DEP_2)
	v_sub_nc_u32_e32 v20, 0, v16
	v_cvt_f32_i32_e32 v16, v16
	s_or_b32 vcc_lo, s14, vcc_lo
	v_ldexp_f32 v19, v19, v20
	v_ldexp_f32 v17, v17, v20
	s_delay_alu instid0(VALU_DEP_2) | instskip(NEXT) | instid1(VALU_DEP_1)
	v_add_f32_e32 v22, 1.0, v19
	v_dual_add_f32 v20, -1.0, v19 :: v_dual_add_f32 v21, -1.0, v22
	s_delay_alu instid0(VALU_DEP_1) | instskip(NEXT) | instid1(VALU_DEP_2)
	v_add_f32_e32 v23, 1.0, v20
	v_sub_f32_e32 v21, v19, v21
	s_delay_alu instid0(VALU_DEP_2) | instskip(NEXT) | instid1(VALU_DEP_2)
	v_sub_f32_e32 v19, v19, v23
	v_add_f32_e32 v21, v17, v21
	s_delay_alu instid0(VALU_DEP_2) | instskip(NEXT) | instid1(VALU_DEP_1)
	v_add_f32_e32 v17, v17, v19
	v_add_f32_e32 v24, v20, v17
	s_delay_alu instid0(VALU_DEP_1) | instskip(NEXT) | instid1(VALU_DEP_1)
	v_dual_add_f32 v23, v22, v21 :: v_dual_sub_f32 v20, v20, v24
	v_rcp_f32_e32 v19, v23
	v_sub_f32_e32 v22, v22, v23
	s_delay_alu instid0(VALU_DEP_1) | instskip(SKIP_2) | instid1(VALU_DEP_1)
	v_add_f32_e32 v21, v21, v22
	s_waitcnt_depctr 0xfff
	v_mul_f32_e32 v25, v24, v19
	v_mul_f32_e32 v26, v23, v25
	s_delay_alu instid0(VALU_DEP_1) | instskip(NEXT) | instid1(VALU_DEP_1)
	v_fma_f32 v22, v25, v23, -v26
	v_fmac_f32_e32 v22, v25, v21
	s_delay_alu instid0(VALU_DEP_1) | instskip(NEXT) | instid1(VALU_DEP_1)
	v_add_f32_e32 v27, v26, v22
	v_sub_f32_e32 v28, v24, v27
	s_delay_alu instid0(VALU_DEP_1) | instskip(SKIP_1) | instid1(VALU_DEP_2)
	v_sub_f32_e32 v24, v24, v28
	v_dual_add_f32 v17, v17, v20 :: v_dual_sub_f32 v20, v27, v26
	v_sub_f32_e32 v24, v24, v27
	s_delay_alu instid0(VALU_DEP_1) | instskip(NEXT) | instid1(VALU_DEP_1)
	v_dual_sub_f32 v20, v20, v22 :: v_dual_add_f32 v17, v17, v24
	v_add_f32_e32 v17, v20, v17
	s_delay_alu instid0(VALU_DEP_1) | instskip(NEXT) | instid1(VALU_DEP_1)
	v_add_f32_e32 v20, v28, v17
	v_mul_f32_e32 v22, v19, v20
	s_delay_alu instid0(VALU_DEP_1) | instskip(NEXT) | instid1(VALU_DEP_1)
	v_dual_sub_f32 v27, v28, v20 :: v_dual_mul_f32 v24, v23, v22
	v_add_f32_e32 v17, v17, v27
	s_delay_alu instid0(VALU_DEP_2) | instskip(NEXT) | instid1(VALU_DEP_1)
	v_fma_f32 v23, v22, v23, -v24
	v_fmac_f32_e32 v23, v22, v21
	s_delay_alu instid0(VALU_DEP_1) | instskip(NEXT) | instid1(VALU_DEP_1)
	v_add_f32_e32 v21, v24, v23
	v_sub_f32_e32 v26, v20, v21
	s_delay_alu instid0(VALU_DEP_1) | instskip(NEXT) | instid1(VALU_DEP_1)
	v_sub_f32_e32 v20, v20, v26
	v_sub_f32_e32 v20, v20, v21
	s_delay_alu instid0(VALU_DEP_1) | instskip(SKIP_2) | instid1(VALU_DEP_1)
	v_add_f32_e32 v17, v17, v20
	v_add_f32_e32 v20, v25, v22
	v_sub_f32_e32 v24, v21, v24
	v_sub_f32_e32 v21, v24, v23
	s_delay_alu instid0(VALU_DEP_1) | instskip(NEXT) | instid1(VALU_DEP_4)
	v_add_f32_e32 v17, v21, v17
	v_sub_f32_e32 v21, v20, v25
	s_delay_alu instid0(VALU_DEP_2) | instskip(NEXT) | instid1(VALU_DEP_2)
	v_add_f32_e32 v17, v26, v17
	v_sub_f32_e32 v21, v22, v21
	s_delay_alu instid0(VALU_DEP_2) | instskip(NEXT) | instid1(VALU_DEP_1)
	v_mul_f32_e32 v17, v19, v17
	v_add_f32_e32 v17, v21, v17
	s_delay_alu instid0(VALU_DEP_1) | instskip(NEXT) | instid1(VALU_DEP_1)
	v_add_f32_e32 v19, v20, v17
	v_mul_f32_e32 v21, v19, v19
	s_delay_alu instid0(VALU_DEP_1) | instskip(SKIP_1) | instid1(VALU_DEP_2)
	v_fmaak_f32 v22, s54, v21, 0x3ecc95a3
	v_mul_f32_e32 v23, v19, v21
	v_fmaak_f32 v21, v21, v22, 0x3f2aaada
	v_ldexp_f32 v22, v19, 1
	s_delay_alu instid0(VALU_DEP_2) | instskip(SKIP_1) | instid1(VALU_DEP_2)
	v_mul_f32_e32 v21, v23, v21
	v_sub_f32_e32 v19, v19, v20
	v_dual_mul_f32 v23, 0x3f317218, v16 :: v_dual_add_f32 v20, v22, v21
	s_delay_alu instid0(VALU_DEP_2) | instskip(NEXT) | instid1(VALU_DEP_2)
	v_sub_f32_e32 v17, v17, v19
	v_sub_f32_e32 v19, v20, v22
	s_delay_alu instid0(VALU_DEP_3) | instskip(NEXT) | instid1(VALU_DEP_3)
	v_fma_f32 v22, 0x3f317218, v16, -v23
	v_ldexp_f32 v17, v17, 1
	s_delay_alu instid0(VALU_DEP_2) | instskip(NEXT) | instid1(VALU_DEP_1)
	v_dual_sub_f32 v19, v21, v19 :: v_dual_fmac_f32 v22, 0xb102e308, v16
	v_dual_add_f32 v16, v17, v19 :: v_dual_add_f32 v17, v23, v22
	s_delay_alu instid0(VALU_DEP_1) | instskip(NEXT) | instid1(VALU_DEP_1)
	v_add_f32_e32 v19, v20, v16
	v_dual_add_f32 v21, v17, v19 :: v_dual_sub_f32 v20, v19, v20
	s_delay_alu instid0(VALU_DEP_1) | instskip(NEXT) | instid1(VALU_DEP_2)
	v_sub_f32_e32 v24, v21, v17
	v_dual_sub_f32 v23, v17, v23 :: v_dual_sub_f32 v16, v16, v20
	s_delay_alu instid0(VALU_DEP_1) | instskip(SKIP_1) | instid1(VALU_DEP_2)
	v_dual_sub_f32 v25, v21, v24 :: v_dual_sub_f32 v22, v22, v23
	v_sub_f32_e32 v19, v19, v24
	v_dual_sub_f32 v17, v17, v25 :: v_dual_add_f32 v20, v22, v16
	s_delay_alu instid0(VALU_DEP_1) | instskip(NEXT) | instid1(VALU_DEP_2)
	v_add_f32_e32 v17, v19, v17
	v_sub_f32_e32 v19, v20, v22
	s_delay_alu instid0(VALU_DEP_2) | instskip(NEXT) | instid1(VALU_DEP_2)
	v_add_f32_e32 v17, v20, v17
	v_sub_f32_e32 v20, v20, v19
	s_delay_alu instid0(VALU_DEP_2) | instskip(NEXT) | instid1(VALU_DEP_1)
	v_dual_sub_f32 v16, v16, v19 :: v_dual_add_f32 v23, v21, v17
	v_dual_sub_f32 v20, v22, v20 :: v_dual_sub_f32 v19, v23, v21
	s_delay_alu instid0(VALU_DEP_1) | instskip(NEXT) | instid1(VALU_DEP_1)
	v_dual_add_f32 v16, v16, v20 :: v_dual_sub_f32 v17, v17, v19
	v_add_f32_e32 v16, v16, v17
	s_delay_alu instid0(VALU_DEP_1) | instskip(NEXT) | instid1(VALU_DEP_1)
	v_add_f32_e32 v16, v23, v16
	v_cndmask_b32_e32 v65, v16, v18, vcc_lo
.LBB83_26:                              ;   in Loop: Header=BB83_12 Depth=1
	s_or_b32 exec_lo, exec_lo, s15
	v_lshrrev_b32_e32 v16, 16, v5
	s_delay_alu instid0(VALU_DEP_1) | instskip(NEXT) | instid1(VALU_DEP_1)
	v_cvt_f32_f16_e32 v16, v16
	v_add_f32_e32 v66, s56, v16
	s_delay_alu instid0(VALU_DEP_1) | instskip(SKIP_1) | instid1(SALU_CYCLE_1)
	v_cmp_ge_f32_e32 vcc_lo, 0x41a00000, v66
	s_and_b32 s14, s66, vcc_lo
	s_and_saveexec_b32 s15, s14
	s_cbranch_execz .LBB83_28
; %bb.27:                               ;   in Loop: Header=BB83_12 Depth=1
	v_mul_f32_e32 v16, 0x3fb8aa3b, v66
	v_cmp_ngt_f32_e32 vcc_lo, 0xc2ce8ed0, v66
	s_delay_alu instid0(VALU_DEP_2) | instskip(SKIP_1) | instid1(VALU_DEP_2)
	v_rndne_f32_e32 v17, v16
	v_fma_f32 v18, 0x3fb8aa3b, v66, -v16
	v_sub_f32_e32 v16, v16, v17
	s_delay_alu instid0(VALU_DEP_2) | instskip(SKIP_1) | instid1(VALU_DEP_2)
	v_fmac_f32_e32 v18, 0x32a5705f, v66
	v_cvt_i32_f32_e32 v17, v17
	v_add_f32_e32 v16, v16, v18
	s_delay_alu instid0(VALU_DEP_1) | instskip(SKIP_2) | instid1(VALU_DEP_1)
	v_exp_f32_e32 v16, v16
	s_waitcnt_depctr 0xfff
	v_ldexp_f32 v16, v16, v17
	v_cndmask_b32_e32 v16, 0, v16, vcc_lo
	v_cmp_nlt_f32_e32 vcc_lo, 0x42b17218, v66
	s_delay_alu instid0(VALU_DEP_2) | instskip(NEXT) | instid1(VALU_DEP_1)
	v_cndmask_b32_e32 v18, 0x7f800000, v16, vcc_lo
	v_add_f32_e32 v19, 1.0, v18
	s_delay_alu instid0(VALU_DEP_1) | instskip(NEXT) | instid1(VALU_DEP_1)
	v_cvt_f64_f32_e32 v[16:17], v19
	v_frexp_exp_i32_f64_e32 v16, v[16:17]
	v_frexp_mant_f32_e32 v17, v19
	s_delay_alu instid0(VALU_DEP_1) | instskip(SKIP_1) | instid1(VALU_DEP_1)
	v_cmp_gt_f32_e32 vcc_lo, 0x3f2aaaab, v17
	v_add_f32_e32 v17, -1.0, v19
	v_sub_f32_e32 v21, v17, v19
	v_sub_f32_e32 v17, v18, v17
	s_delay_alu instid0(VALU_DEP_2) | instskip(NEXT) | instid1(VALU_DEP_1)
	v_add_f32_e32 v21, 1.0, v21
	v_add_f32_e32 v17, v17, v21
	v_cmp_gt_f32_e64 s14, 0x33800000, v18
	v_subrev_co_ci_u32_e32 v16, vcc_lo, 0, v16, vcc_lo
	v_cmp_eq_f32_e32 vcc_lo, 0x7f800000, v18
	s_delay_alu instid0(VALU_DEP_2) | instskip(SKIP_2) | instid1(VALU_DEP_2)
	v_sub_nc_u32_e32 v20, 0, v16
	v_cvt_f32_i32_e32 v16, v16
	s_or_b32 vcc_lo, s14, vcc_lo
	v_ldexp_f32 v19, v19, v20
	v_ldexp_f32 v17, v17, v20
	s_delay_alu instid0(VALU_DEP_2) | instskip(NEXT) | instid1(VALU_DEP_1)
	v_add_f32_e32 v22, 1.0, v19
	v_dual_add_f32 v20, -1.0, v19 :: v_dual_add_f32 v21, -1.0, v22
	s_delay_alu instid0(VALU_DEP_1) | instskip(NEXT) | instid1(VALU_DEP_2)
	v_add_f32_e32 v23, 1.0, v20
	v_sub_f32_e32 v21, v19, v21
	s_delay_alu instid0(VALU_DEP_2) | instskip(NEXT) | instid1(VALU_DEP_2)
	v_sub_f32_e32 v19, v19, v23
	v_add_f32_e32 v21, v17, v21
	s_delay_alu instid0(VALU_DEP_2) | instskip(NEXT) | instid1(VALU_DEP_1)
	v_add_f32_e32 v17, v17, v19
	v_add_f32_e32 v24, v20, v17
	s_delay_alu instid0(VALU_DEP_1) | instskip(NEXT) | instid1(VALU_DEP_1)
	v_dual_add_f32 v23, v22, v21 :: v_dual_sub_f32 v20, v20, v24
	v_rcp_f32_e32 v19, v23
	v_sub_f32_e32 v22, v22, v23
	s_delay_alu instid0(VALU_DEP_1) | instskip(SKIP_2) | instid1(VALU_DEP_1)
	v_add_f32_e32 v21, v21, v22
	s_waitcnt_depctr 0xfff
	v_mul_f32_e32 v25, v24, v19
	v_mul_f32_e32 v26, v23, v25
	s_delay_alu instid0(VALU_DEP_1) | instskip(NEXT) | instid1(VALU_DEP_1)
	v_fma_f32 v22, v25, v23, -v26
	v_fmac_f32_e32 v22, v25, v21
	s_delay_alu instid0(VALU_DEP_1) | instskip(NEXT) | instid1(VALU_DEP_1)
	v_add_f32_e32 v27, v26, v22
	v_sub_f32_e32 v28, v24, v27
	s_delay_alu instid0(VALU_DEP_1) | instskip(SKIP_1) | instid1(VALU_DEP_2)
	v_sub_f32_e32 v24, v24, v28
	v_dual_add_f32 v17, v17, v20 :: v_dual_sub_f32 v20, v27, v26
	v_sub_f32_e32 v24, v24, v27
	s_delay_alu instid0(VALU_DEP_1) | instskip(NEXT) | instid1(VALU_DEP_1)
	v_dual_sub_f32 v20, v20, v22 :: v_dual_add_f32 v17, v17, v24
	v_add_f32_e32 v17, v20, v17
	s_delay_alu instid0(VALU_DEP_1) | instskip(NEXT) | instid1(VALU_DEP_1)
	v_add_f32_e32 v20, v28, v17
	v_mul_f32_e32 v22, v19, v20
	s_delay_alu instid0(VALU_DEP_1) | instskip(NEXT) | instid1(VALU_DEP_1)
	v_dual_sub_f32 v27, v28, v20 :: v_dual_mul_f32 v24, v23, v22
	v_add_f32_e32 v17, v17, v27
	s_delay_alu instid0(VALU_DEP_2) | instskip(NEXT) | instid1(VALU_DEP_1)
	v_fma_f32 v23, v22, v23, -v24
	v_fmac_f32_e32 v23, v22, v21
	s_delay_alu instid0(VALU_DEP_1) | instskip(NEXT) | instid1(VALU_DEP_1)
	v_add_f32_e32 v21, v24, v23
	v_sub_f32_e32 v26, v20, v21
	s_delay_alu instid0(VALU_DEP_1) | instskip(NEXT) | instid1(VALU_DEP_1)
	v_sub_f32_e32 v20, v20, v26
	v_sub_f32_e32 v20, v20, v21
	s_delay_alu instid0(VALU_DEP_1) | instskip(SKIP_2) | instid1(VALU_DEP_1)
	v_add_f32_e32 v17, v17, v20
	v_add_f32_e32 v20, v25, v22
	v_sub_f32_e32 v24, v21, v24
	v_sub_f32_e32 v21, v24, v23
	s_delay_alu instid0(VALU_DEP_1) | instskip(NEXT) | instid1(VALU_DEP_4)
	v_add_f32_e32 v17, v21, v17
	v_sub_f32_e32 v21, v20, v25
	s_delay_alu instid0(VALU_DEP_2) | instskip(NEXT) | instid1(VALU_DEP_2)
	v_add_f32_e32 v17, v26, v17
	v_sub_f32_e32 v21, v22, v21
	s_delay_alu instid0(VALU_DEP_2) | instskip(NEXT) | instid1(VALU_DEP_1)
	v_mul_f32_e32 v17, v19, v17
	v_add_f32_e32 v17, v21, v17
	s_delay_alu instid0(VALU_DEP_1) | instskip(NEXT) | instid1(VALU_DEP_1)
	v_add_f32_e32 v19, v20, v17
	v_mul_f32_e32 v21, v19, v19
	s_delay_alu instid0(VALU_DEP_1) | instskip(SKIP_1) | instid1(VALU_DEP_2)
	v_fmaak_f32 v22, s54, v21, 0x3ecc95a3
	v_mul_f32_e32 v23, v19, v21
	v_fmaak_f32 v21, v21, v22, 0x3f2aaada
	v_ldexp_f32 v22, v19, 1
	s_delay_alu instid0(VALU_DEP_2) | instskip(SKIP_1) | instid1(VALU_DEP_2)
	v_mul_f32_e32 v21, v23, v21
	v_sub_f32_e32 v19, v19, v20
	v_dual_mul_f32 v23, 0x3f317218, v16 :: v_dual_add_f32 v20, v22, v21
	s_delay_alu instid0(VALU_DEP_2) | instskip(NEXT) | instid1(VALU_DEP_2)
	v_sub_f32_e32 v17, v17, v19
	v_sub_f32_e32 v19, v20, v22
	s_delay_alu instid0(VALU_DEP_3) | instskip(NEXT) | instid1(VALU_DEP_3)
	v_fma_f32 v22, 0x3f317218, v16, -v23
	v_ldexp_f32 v17, v17, 1
	s_delay_alu instid0(VALU_DEP_2) | instskip(NEXT) | instid1(VALU_DEP_1)
	v_dual_sub_f32 v19, v21, v19 :: v_dual_fmac_f32 v22, 0xb102e308, v16
	v_dual_add_f32 v16, v17, v19 :: v_dual_add_f32 v17, v23, v22
	s_delay_alu instid0(VALU_DEP_1) | instskip(NEXT) | instid1(VALU_DEP_1)
	v_add_f32_e32 v19, v20, v16
	v_dual_add_f32 v21, v17, v19 :: v_dual_sub_f32 v20, v19, v20
	s_delay_alu instid0(VALU_DEP_1) | instskip(NEXT) | instid1(VALU_DEP_2)
	v_sub_f32_e32 v24, v21, v17
	v_dual_sub_f32 v23, v17, v23 :: v_dual_sub_f32 v16, v16, v20
	s_delay_alu instid0(VALU_DEP_1) | instskip(SKIP_1) | instid1(VALU_DEP_2)
	v_dual_sub_f32 v25, v21, v24 :: v_dual_sub_f32 v22, v22, v23
	v_sub_f32_e32 v19, v19, v24
	v_dual_sub_f32 v17, v17, v25 :: v_dual_add_f32 v20, v22, v16
	s_delay_alu instid0(VALU_DEP_1) | instskip(NEXT) | instid1(VALU_DEP_2)
	v_add_f32_e32 v17, v19, v17
	v_sub_f32_e32 v19, v20, v22
	s_delay_alu instid0(VALU_DEP_2) | instskip(NEXT) | instid1(VALU_DEP_2)
	v_add_f32_e32 v17, v20, v17
	v_sub_f32_e32 v20, v20, v19
	s_delay_alu instid0(VALU_DEP_2) | instskip(NEXT) | instid1(VALU_DEP_1)
	v_dual_sub_f32 v16, v16, v19 :: v_dual_add_f32 v23, v21, v17
	v_dual_sub_f32 v20, v22, v20 :: v_dual_sub_f32 v19, v23, v21
	s_delay_alu instid0(VALU_DEP_1) | instskip(NEXT) | instid1(VALU_DEP_1)
	v_dual_add_f32 v16, v16, v20 :: v_dual_sub_f32 v17, v17, v19
	v_add_f32_e32 v16, v16, v17
	s_delay_alu instid0(VALU_DEP_1) | instskip(NEXT) | instid1(VALU_DEP_1)
	v_add_f32_e32 v16, v23, v16
	v_cndmask_b32_e32 v66, v16, v18, vcc_lo
.LBB83_28:                              ;   in Loop: Header=BB83_12 Depth=1
	s_or_b32 exec_lo, exec_lo, s15
	v_cvt_f32_f16_e32 v16, v6
	s_delay_alu instid0(VALU_DEP_1) | instskip(NEXT) | instid1(VALU_DEP_1)
	v_add_f32_e32 v67, s56, v16
	v_cmp_ge_f32_e32 vcc_lo, 0x41a00000, v67
	s_and_b32 s14, s66, vcc_lo
	s_delay_alu instid0(SALU_CYCLE_1)
	s_and_saveexec_b32 s15, s14
	s_cbranch_execz .LBB83_30
; %bb.29:                               ;   in Loop: Header=BB83_12 Depth=1
	v_mul_f32_e32 v16, 0x3fb8aa3b, v67
	v_cmp_ngt_f32_e32 vcc_lo, 0xc2ce8ed0, v67
	s_delay_alu instid0(VALU_DEP_2) | instskip(SKIP_1) | instid1(VALU_DEP_2)
	v_rndne_f32_e32 v17, v16
	v_fma_f32 v18, 0x3fb8aa3b, v67, -v16
	v_sub_f32_e32 v16, v16, v17
	s_delay_alu instid0(VALU_DEP_2) | instskip(SKIP_1) | instid1(VALU_DEP_2)
	v_fmac_f32_e32 v18, 0x32a5705f, v67
	v_cvt_i32_f32_e32 v17, v17
	v_add_f32_e32 v16, v16, v18
	s_delay_alu instid0(VALU_DEP_1) | instskip(SKIP_2) | instid1(VALU_DEP_1)
	v_exp_f32_e32 v16, v16
	s_waitcnt_depctr 0xfff
	v_ldexp_f32 v16, v16, v17
	v_cndmask_b32_e32 v16, 0, v16, vcc_lo
	v_cmp_nlt_f32_e32 vcc_lo, 0x42b17218, v67
	s_delay_alu instid0(VALU_DEP_2) | instskip(NEXT) | instid1(VALU_DEP_1)
	v_cndmask_b32_e32 v18, 0x7f800000, v16, vcc_lo
	v_add_f32_e32 v19, 1.0, v18
	s_delay_alu instid0(VALU_DEP_1) | instskip(NEXT) | instid1(VALU_DEP_1)
	v_cvt_f64_f32_e32 v[16:17], v19
	v_frexp_exp_i32_f64_e32 v16, v[16:17]
	v_frexp_mant_f32_e32 v17, v19
	s_delay_alu instid0(VALU_DEP_1) | instskip(SKIP_1) | instid1(VALU_DEP_1)
	v_cmp_gt_f32_e32 vcc_lo, 0x3f2aaaab, v17
	v_add_f32_e32 v17, -1.0, v19
	v_sub_f32_e32 v21, v17, v19
	v_sub_f32_e32 v17, v18, v17
	s_delay_alu instid0(VALU_DEP_2) | instskip(NEXT) | instid1(VALU_DEP_1)
	v_add_f32_e32 v21, 1.0, v21
	v_add_f32_e32 v17, v17, v21
	v_cmp_gt_f32_e64 s14, 0x33800000, v18
	v_subrev_co_ci_u32_e32 v16, vcc_lo, 0, v16, vcc_lo
	v_cmp_eq_f32_e32 vcc_lo, 0x7f800000, v18
	s_delay_alu instid0(VALU_DEP_2) | instskip(SKIP_2) | instid1(VALU_DEP_2)
	v_sub_nc_u32_e32 v20, 0, v16
	v_cvt_f32_i32_e32 v16, v16
	s_or_b32 vcc_lo, s14, vcc_lo
	v_ldexp_f32 v19, v19, v20
	v_ldexp_f32 v17, v17, v20
	s_delay_alu instid0(VALU_DEP_2) | instskip(NEXT) | instid1(VALU_DEP_1)
	v_add_f32_e32 v22, 1.0, v19
	v_dual_add_f32 v20, -1.0, v19 :: v_dual_add_f32 v21, -1.0, v22
	s_delay_alu instid0(VALU_DEP_1) | instskip(NEXT) | instid1(VALU_DEP_2)
	v_add_f32_e32 v23, 1.0, v20
	v_sub_f32_e32 v21, v19, v21
	s_delay_alu instid0(VALU_DEP_2) | instskip(NEXT) | instid1(VALU_DEP_2)
	v_sub_f32_e32 v19, v19, v23
	v_add_f32_e32 v21, v17, v21
	s_delay_alu instid0(VALU_DEP_2) | instskip(NEXT) | instid1(VALU_DEP_1)
	v_add_f32_e32 v17, v17, v19
	v_add_f32_e32 v24, v20, v17
	s_delay_alu instid0(VALU_DEP_1) | instskip(NEXT) | instid1(VALU_DEP_1)
	v_dual_add_f32 v23, v22, v21 :: v_dual_sub_f32 v20, v20, v24
	v_rcp_f32_e32 v19, v23
	v_sub_f32_e32 v22, v22, v23
	s_delay_alu instid0(VALU_DEP_1) | instskip(SKIP_2) | instid1(VALU_DEP_1)
	v_add_f32_e32 v21, v21, v22
	s_waitcnt_depctr 0xfff
	v_mul_f32_e32 v25, v24, v19
	v_mul_f32_e32 v26, v23, v25
	s_delay_alu instid0(VALU_DEP_1) | instskip(NEXT) | instid1(VALU_DEP_1)
	v_fma_f32 v22, v25, v23, -v26
	v_fmac_f32_e32 v22, v25, v21
	s_delay_alu instid0(VALU_DEP_1) | instskip(NEXT) | instid1(VALU_DEP_1)
	v_add_f32_e32 v27, v26, v22
	v_sub_f32_e32 v28, v24, v27
	s_delay_alu instid0(VALU_DEP_1) | instskip(SKIP_1) | instid1(VALU_DEP_2)
	v_sub_f32_e32 v24, v24, v28
	v_dual_add_f32 v17, v17, v20 :: v_dual_sub_f32 v20, v27, v26
	v_sub_f32_e32 v24, v24, v27
	s_delay_alu instid0(VALU_DEP_1) | instskip(NEXT) | instid1(VALU_DEP_1)
	v_dual_sub_f32 v20, v20, v22 :: v_dual_add_f32 v17, v17, v24
	v_add_f32_e32 v17, v20, v17
	s_delay_alu instid0(VALU_DEP_1) | instskip(NEXT) | instid1(VALU_DEP_1)
	v_add_f32_e32 v20, v28, v17
	v_mul_f32_e32 v22, v19, v20
	s_delay_alu instid0(VALU_DEP_1) | instskip(NEXT) | instid1(VALU_DEP_1)
	v_dual_sub_f32 v27, v28, v20 :: v_dual_mul_f32 v24, v23, v22
	v_add_f32_e32 v17, v17, v27
	s_delay_alu instid0(VALU_DEP_2) | instskip(NEXT) | instid1(VALU_DEP_1)
	v_fma_f32 v23, v22, v23, -v24
	v_fmac_f32_e32 v23, v22, v21
	s_delay_alu instid0(VALU_DEP_1) | instskip(NEXT) | instid1(VALU_DEP_1)
	v_add_f32_e32 v21, v24, v23
	v_sub_f32_e32 v26, v20, v21
	s_delay_alu instid0(VALU_DEP_1) | instskip(NEXT) | instid1(VALU_DEP_1)
	v_sub_f32_e32 v20, v20, v26
	v_sub_f32_e32 v20, v20, v21
	s_delay_alu instid0(VALU_DEP_1) | instskip(SKIP_2) | instid1(VALU_DEP_1)
	v_add_f32_e32 v17, v17, v20
	v_add_f32_e32 v20, v25, v22
	v_sub_f32_e32 v24, v21, v24
	v_sub_f32_e32 v21, v24, v23
	s_delay_alu instid0(VALU_DEP_1) | instskip(NEXT) | instid1(VALU_DEP_4)
	v_add_f32_e32 v17, v21, v17
	v_sub_f32_e32 v21, v20, v25
	s_delay_alu instid0(VALU_DEP_2) | instskip(NEXT) | instid1(VALU_DEP_2)
	v_add_f32_e32 v17, v26, v17
	v_sub_f32_e32 v21, v22, v21
	s_delay_alu instid0(VALU_DEP_2) | instskip(NEXT) | instid1(VALU_DEP_1)
	v_mul_f32_e32 v17, v19, v17
	v_add_f32_e32 v17, v21, v17
	s_delay_alu instid0(VALU_DEP_1) | instskip(NEXT) | instid1(VALU_DEP_1)
	v_add_f32_e32 v19, v20, v17
	v_mul_f32_e32 v21, v19, v19
	s_delay_alu instid0(VALU_DEP_1) | instskip(SKIP_1) | instid1(VALU_DEP_2)
	v_fmaak_f32 v22, s54, v21, 0x3ecc95a3
	v_mul_f32_e32 v23, v19, v21
	v_fmaak_f32 v21, v21, v22, 0x3f2aaada
	v_ldexp_f32 v22, v19, 1
	s_delay_alu instid0(VALU_DEP_2) | instskip(SKIP_1) | instid1(VALU_DEP_2)
	v_mul_f32_e32 v21, v23, v21
	v_sub_f32_e32 v19, v19, v20
	v_dual_mul_f32 v23, 0x3f317218, v16 :: v_dual_add_f32 v20, v22, v21
	s_delay_alu instid0(VALU_DEP_2) | instskip(NEXT) | instid1(VALU_DEP_2)
	v_sub_f32_e32 v17, v17, v19
	v_sub_f32_e32 v19, v20, v22
	s_delay_alu instid0(VALU_DEP_3) | instskip(NEXT) | instid1(VALU_DEP_3)
	v_fma_f32 v22, 0x3f317218, v16, -v23
	v_ldexp_f32 v17, v17, 1
	s_delay_alu instid0(VALU_DEP_2) | instskip(NEXT) | instid1(VALU_DEP_1)
	v_dual_sub_f32 v19, v21, v19 :: v_dual_fmac_f32 v22, 0xb102e308, v16
	v_dual_add_f32 v16, v17, v19 :: v_dual_add_f32 v17, v23, v22
	s_delay_alu instid0(VALU_DEP_1) | instskip(NEXT) | instid1(VALU_DEP_1)
	v_add_f32_e32 v19, v20, v16
	v_dual_add_f32 v21, v17, v19 :: v_dual_sub_f32 v20, v19, v20
	s_delay_alu instid0(VALU_DEP_1) | instskip(NEXT) | instid1(VALU_DEP_2)
	v_sub_f32_e32 v24, v21, v17
	v_dual_sub_f32 v23, v17, v23 :: v_dual_sub_f32 v16, v16, v20
	s_delay_alu instid0(VALU_DEP_1) | instskip(SKIP_1) | instid1(VALU_DEP_2)
	v_dual_sub_f32 v25, v21, v24 :: v_dual_sub_f32 v22, v22, v23
	v_sub_f32_e32 v19, v19, v24
	v_dual_sub_f32 v17, v17, v25 :: v_dual_add_f32 v20, v22, v16
	s_delay_alu instid0(VALU_DEP_1) | instskip(NEXT) | instid1(VALU_DEP_2)
	v_add_f32_e32 v17, v19, v17
	v_sub_f32_e32 v19, v20, v22
	s_delay_alu instid0(VALU_DEP_2) | instskip(NEXT) | instid1(VALU_DEP_2)
	v_add_f32_e32 v17, v20, v17
	v_sub_f32_e32 v20, v20, v19
	s_delay_alu instid0(VALU_DEP_2) | instskip(NEXT) | instid1(VALU_DEP_1)
	v_dual_sub_f32 v16, v16, v19 :: v_dual_add_f32 v23, v21, v17
	v_dual_sub_f32 v20, v22, v20 :: v_dual_sub_f32 v19, v23, v21
	s_delay_alu instid0(VALU_DEP_1) | instskip(NEXT) | instid1(VALU_DEP_1)
	v_dual_add_f32 v16, v16, v20 :: v_dual_sub_f32 v17, v17, v19
	v_add_f32_e32 v16, v16, v17
	s_delay_alu instid0(VALU_DEP_1) | instskip(NEXT) | instid1(VALU_DEP_1)
	v_add_f32_e32 v16, v23, v16
	v_cndmask_b32_e32 v67, v16, v18, vcc_lo
.LBB83_30:                              ;   in Loop: Header=BB83_12 Depth=1
	s_or_b32 exec_lo, exec_lo, s15
	v_lshrrev_b32_e32 v16, 16, v6
	s_delay_alu instid0(VALU_DEP_1) | instskip(NEXT) | instid1(VALU_DEP_1)
	v_cvt_f32_f16_e32 v16, v16
	v_add_f32_e32 v68, s56, v16
	s_delay_alu instid0(VALU_DEP_1) | instskip(SKIP_1) | instid1(SALU_CYCLE_1)
	v_cmp_ge_f32_e32 vcc_lo, 0x41a00000, v68
	s_and_b32 s14, s66, vcc_lo
	s_and_saveexec_b32 s15, s14
	s_cbranch_execz .LBB83_32
; %bb.31:                               ;   in Loop: Header=BB83_12 Depth=1
	v_mul_f32_e32 v16, 0x3fb8aa3b, v68
	v_cmp_ngt_f32_e32 vcc_lo, 0xc2ce8ed0, v68
	s_delay_alu instid0(VALU_DEP_2) | instskip(SKIP_1) | instid1(VALU_DEP_2)
	v_rndne_f32_e32 v17, v16
	v_fma_f32 v18, 0x3fb8aa3b, v68, -v16
	v_sub_f32_e32 v16, v16, v17
	s_delay_alu instid0(VALU_DEP_2) | instskip(SKIP_1) | instid1(VALU_DEP_2)
	v_fmac_f32_e32 v18, 0x32a5705f, v68
	v_cvt_i32_f32_e32 v17, v17
	v_add_f32_e32 v16, v16, v18
	s_delay_alu instid0(VALU_DEP_1) | instskip(SKIP_2) | instid1(VALU_DEP_1)
	v_exp_f32_e32 v16, v16
	s_waitcnt_depctr 0xfff
	v_ldexp_f32 v16, v16, v17
	v_cndmask_b32_e32 v16, 0, v16, vcc_lo
	v_cmp_nlt_f32_e32 vcc_lo, 0x42b17218, v68
	s_delay_alu instid0(VALU_DEP_2) | instskip(NEXT) | instid1(VALU_DEP_1)
	v_cndmask_b32_e32 v18, 0x7f800000, v16, vcc_lo
	v_add_f32_e32 v19, 1.0, v18
	s_delay_alu instid0(VALU_DEP_1) | instskip(NEXT) | instid1(VALU_DEP_1)
	v_cvt_f64_f32_e32 v[16:17], v19
	v_frexp_exp_i32_f64_e32 v16, v[16:17]
	v_frexp_mant_f32_e32 v17, v19
	s_delay_alu instid0(VALU_DEP_1) | instskip(SKIP_1) | instid1(VALU_DEP_1)
	v_cmp_gt_f32_e32 vcc_lo, 0x3f2aaaab, v17
	v_add_f32_e32 v17, -1.0, v19
	v_sub_f32_e32 v21, v17, v19
	v_sub_f32_e32 v17, v18, v17
	s_delay_alu instid0(VALU_DEP_2) | instskip(NEXT) | instid1(VALU_DEP_1)
	v_add_f32_e32 v21, 1.0, v21
	v_add_f32_e32 v17, v17, v21
	v_cmp_gt_f32_e64 s14, 0x33800000, v18
	v_subrev_co_ci_u32_e32 v16, vcc_lo, 0, v16, vcc_lo
	v_cmp_eq_f32_e32 vcc_lo, 0x7f800000, v18
	s_delay_alu instid0(VALU_DEP_2) | instskip(SKIP_2) | instid1(VALU_DEP_2)
	v_sub_nc_u32_e32 v20, 0, v16
	v_cvt_f32_i32_e32 v16, v16
	s_or_b32 vcc_lo, s14, vcc_lo
	v_ldexp_f32 v19, v19, v20
	v_ldexp_f32 v17, v17, v20
	s_delay_alu instid0(VALU_DEP_2) | instskip(NEXT) | instid1(VALU_DEP_1)
	v_add_f32_e32 v22, 1.0, v19
	v_dual_add_f32 v20, -1.0, v19 :: v_dual_add_f32 v21, -1.0, v22
	s_delay_alu instid0(VALU_DEP_1) | instskip(NEXT) | instid1(VALU_DEP_2)
	v_add_f32_e32 v23, 1.0, v20
	v_sub_f32_e32 v21, v19, v21
	s_delay_alu instid0(VALU_DEP_2) | instskip(NEXT) | instid1(VALU_DEP_2)
	v_sub_f32_e32 v19, v19, v23
	v_add_f32_e32 v21, v17, v21
	s_delay_alu instid0(VALU_DEP_2) | instskip(NEXT) | instid1(VALU_DEP_1)
	v_add_f32_e32 v17, v17, v19
	v_add_f32_e32 v24, v20, v17
	s_delay_alu instid0(VALU_DEP_1) | instskip(NEXT) | instid1(VALU_DEP_1)
	v_dual_add_f32 v23, v22, v21 :: v_dual_sub_f32 v20, v20, v24
	v_rcp_f32_e32 v19, v23
	v_sub_f32_e32 v22, v22, v23
	s_delay_alu instid0(VALU_DEP_1) | instskip(SKIP_2) | instid1(VALU_DEP_1)
	v_add_f32_e32 v21, v21, v22
	s_waitcnt_depctr 0xfff
	v_mul_f32_e32 v25, v24, v19
	v_mul_f32_e32 v26, v23, v25
	s_delay_alu instid0(VALU_DEP_1) | instskip(NEXT) | instid1(VALU_DEP_1)
	v_fma_f32 v22, v25, v23, -v26
	v_fmac_f32_e32 v22, v25, v21
	s_delay_alu instid0(VALU_DEP_1) | instskip(NEXT) | instid1(VALU_DEP_1)
	v_add_f32_e32 v27, v26, v22
	v_sub_f32_e32 v28, v24, v27
	s_delay_alu instid0(VALU_DEP_1) | instskip(SKIP_1) | instid1(VALU_DEP_2)
	v_sub_f32_e32 v24, v24, v28
	v_dual_add_f32 v17, v17, v20 :: v_dual_sub_f32 v20, v27, v26
	v_sub_f32_e32 v24, v24, v27
	s_delay_alu instid0(VALU_DEP_1) | instskip(NEXT) | instid1(VALU_DEP_1)
	v_dual_sub_f32 v20, v20, v22 :: v_dual_add_f32 v17, v17, v24
	v_add_f32_e32 v17, v20, v17
	s_delay_alu instid0(VALU_DEP_1) | instskip(NEXT) | instid1(VALU_DEP_1)
	v_add_f32_e32 v20, v28, v17
	v_mul_f32_e32 v22, v19, v20
	s_delay_alu instid0(VALU_DEP_1) | instskip(NEXT) | instid1(VALU_DEP_1)
	v_dual_sub_f32 v27, v28, v20 :: v_dual_mul_f32 v24, v23, v22
	v_add_f32_e32 v17, v17, v27
	s_delay_alu instid0(VALU_DEP_2) | instskip(NEXT) | instid1(VALU_DEP_1)
	v_fma_f32 v23, v22, v23, -v24
	v_fmac_f32_e32 v23, v22, v21
	s_delay_alu instid0(VALU_DEP_1) | instskip(NEXT) | instid1(VALU_DEP_1)
	v_add_f32_e32 v21, v24, v23
	v_sub_f32_e32 v26, v20, v21
	s_delay_alu instid0(VALU_DEP_1) | instskip(NEXT) | instid1(VALU_DEP_1)
	v_sub_f32_e32 v20, v20, v26
	v_sub_f32_e32 v20, v20, v21
	s_delay_alu instid0(VALU_DEP_1) | instskip(SKIP_2) | instid1(VALU_DEP_1)
	v_add_f32_e32 v17, v17, v20
	v_add_f32_e32 v20, v25, v22
	v_sub_f32_e32 v24, v21, v24
	v_sub_f32_e32 v21, v24, v23
	s_delay_alu instid0(VALU_DEP_1) | instskip(NEXT) | instid1(VALU_DEP_4)
	v_add_f32_e32 v17, v21, v17
	v_sub_f32_e32 v21, v20, v25
	s_delay_alu instid0(VALU_DEP_2) | instskip(NEXT) | instid1(VALU_DEP_2)
	v_add_f32_e32 v17, v26, v17
	v_sub_f32_e32 v21, v22, v21
	s_delay_alu instid0(VALU_DEP_2) | instskip(NEXT) | instid1(VALU_DEP_1)
	v_mul_f32_e32 v17, v19, v17
	v_add_f32_e32 v17, v21, v17
	s_delay_alu instid0(VALU_DEP_1) | instskip(NEXT) | instid1(VALU_DEP_1)
	v_add_f32_e32 v19, v20, v17
	v_mul_f32_e32 v21, v19, v19
	s_delay_alu instid0(VALU_DEP_1) | instskip(SKIP_1) | instid1(VALU_DEP_2)
	v_fmaak_f32 v22, s54, v21, 0x3ecc95a3
	v_mul_f32_e32 v23, v19, v21
	v_fmaak_f32 v21, v21, v22, 0x3f2aaada
	v_ldexp_f32 v22, v19, 1
	s_delay_alu instid0(VALU_DEP_2) | instskip(SKIP_1) | instid1(VALU_DEP_2)
	v_mul_f32_e32 v21, v23, v21
	v_sub_f32_e32 v19, v19, v20
	v_dual_mul_f32 v23, 0x3f317218, v16 :: v_dual_add_f32 v20, v22, v21
	s_delay_alu instid0(VALU_DEP_2) | instskip(NEXT) | instid1(VALU_DEP_2)
	v_sub_f32_e32 v17, v17, v19
	v_sub_f32_e32 v19, v20, v22
	s_delay_alu instid0(VALU_DEP_3) | instskip(NEXT) | instid1(VALU_DEP_3)
	v_fma_f32 v22, 0x3f317218, v16, -v23
	v_ldexp_f32 v17, v17, 1
	s_delay_alu instid0(VALU_DEP_2) | instskip(NEXT) | instid1(VALU_DEP_1)
	v_dual_sub_f32 v19, v21, v19 :: v_dual_fmac_f32 v22, 0xb102e308, v16
	v_dual_add_f32 v16, v17, v19 :: v_dual_add_f32 v17, v23, v22
	s_delay_alu instid0(VALU_DEP_1) | instskip(NEXT) | instid1(VALU_DEP_1)
	v_add_f32_e32 v19, v20, v16
	v_dual_add_f32 v21, v17, v19 :: v_dual_sub_f32 v20, v19, v20
	s_delay_alu instid0(VALU_DEP_1) | instskip(NEXT) | instid1(VALU_DEP_2)
	v_sub_f32_e32 v24, v21, v17
	v_dual_sub_f32 v23, v17, v23 :: v_dual_sub_f32 v16, v16, v20
	s_delay_alu instid0(VALU_DEP_1) | instskip(SKIP_1) | instid1(VALU_DEP_2)
	v_dual_sub_f32 v25, v21, v24 :: v_dual_sub_f32 v22, v22, v23
	v_sub_f32_e32 v19, v19, v24
	v_dual_sub_f32 v17, v17, v25 :: v_dual_add_f32 v20, v22, v16
	s_delay_alu instid0(VALU_DEP_1) | instskip(NEXT) | instid1(VALU_DEP_2)
	v_add_f32_e32 v17, v19, v17
	v_sub_f32_e32 v19, v20, v22
	s_delay_alu instid0(VALU_DEP_2) | instskip(NEXT) | instid1(VALU_DEP_2)
	v_add_f32_e32 v17, v20, v17
	v_sub_f32_e32 v20, v20, v19
	s_delay_alu instid0(VALU_DEP_2) | instskip(NEXT) | instid1(VALU_DEP_1)
	v_dual_sub_f32 v16, v16, v19 :: v_dual_add_f32 v23, v21, v17
	v_dual_sub_f32 v20, v22, v20 :: v_dual_sub_f32 v19, v23, v21
	s_delay_alu instid0(VALU_DEP_1) | instskip(NEXT) | instid1(VALU_DEP_1)
	v_dual_add_f32 v16, v16, v20 :: v_dual_sub_f32 v17, v17, v19
	v_add_f32_e32 v16, v16, v17
	s_delay_alu instid0(VALU_DEP_1) | instskip(NEXT) | instid1(VALU_DEP_1)
	v_add_f32_e32 v16, v23, v16
	v_cndmask_b32_e32 v68, v16, v18, vcc_lo
.LBB83_32:                              ;   in Loop: Header=BB83_12 Depth=1
	s_or_b32 exec_lo, exec_lo, s15
	v_cvt_f32_f16_e32 v16, v7
	s_delay_alu instid0(VALU_DEP_1) | instskip(NEXT) | instid1(VALU_DEP_1)
	v_add_f32_e32 v69, s56, v16
	v_cmp_ge_f32_e32 vcc_lo, 0x41a00000, v69
	s_and_b32 s14, s66, vcc_lo
	s_delay_alu instid0(SALU_CYCLE_1)
	s_and_saveexec_b32 s15, s14
	s_cbranch_execz .LBB83_34
; %bb.33:                               ;   in Loop: Header=BB83_12 Depth=1
	v_mul_f32_e32 v16, 0x3fb8aa3b, v69
	v_cmp_ngt_f32_e32 vcc_lo, 0xc2ce8ed0, v69
	s_delay_alu instid0(VALU_DEP_2) | instskip(SKIP_1) | instid1(VALU_DEP_2)
	v_rndne_f32_e32 v17, v16
	v_fma_f32 v18, 0x3fb8aa3b, v69, -v16
	v_sub_f32_e32 v16, v16, v17
	s_delay_alu instid0(VALU_DEP_2) | instskip(SKIP_1) | instid1(VALU_DEP_2)
	v_fmac_f32_e32 v18, 0x32a5705f, v69
	v_cvt_i32_f32_e32 v17, v17
	v_add_f32_e32 v16, v16, v18
	s_delay_alu instid0(VALU_DEP_1) | instskip(SKIP_2) | instid1(VALU_DEP_1)
	v_exp_f32_e32 v16, v16
	s_waitcnt_depctr 0xfff
	v_ldexp_f32 v16, v16, v17
	v_cndmask_b32_e32 v16, 0, v16, vcc_lo
	v_cmp_nlt_f32_e32 vcc_lo, 0x42b17218, v69
	s_delay_alu instid0(VALU_DEP_2) | instskip(NEXT) | instid1(VALU_DEP_1)
	v_cndmask_b32_e32 v18, 0x7f800000, v16, vcc_lo
	v_add_f32_e32 v19, 1.0, v18
	s_delay_alu instid0(VALU_DEP_1) | instskip(NEXT) | instid1(VALU_DEP_1)
	v_cvt_f64_f32_e32 v[16:17], v19
	v_frexp_exp_i32_f64_e32 v16, v[16:17]
	v_frexp_mant_f32_e32 v17, v19
	s_delay_alu instid0(VALU_DEP_1) | instskip(SKIP_1) | instid1(VALU_DEP_1)
	v_cmp_gt_f32_e32 vcc_lo, 0x3f2aaaab, v17
	v_add_f32_e32 v17, -1.0, v19
	v_sub_f32_e32 v21, v17, v19
	v_sub_f32_e32 v17, v18, v17
	s_delay_alu instid0(VALU_DEP_2) | instskip(NEXT) | instid1(VALU_DEP_1)
	v_add_f32_e32 v21, 1.0, v21
	v_add_f32_e32 v17, v17, v21
	v_cmp_gt_f32_e64 s14, 0x33800000, v18
	v_subrev_co_ci_u32_e32 v16, vcc_lo, 0, v16, vcc_lo
	v_cmp_eq_f32_e32 vcc_lo, 0x7f800000, v18
	s_delay_alu instid0(VALU_DEP_2) | instskip(SKIP_2) | instid1(VALU_DEP_2)
	v_sub_nc_u32_e32 v20, 0, v16
	v_cvt_f32_i32_e32 v16, v16
	s_or_b32 vcc_lo, s14, vcc_lo
	v_ldexp_f32 v19, v19, v20
	v_ldexp_f32 v17, v17, v20
	s_delay_alu instid0(VALU_DEP_2) | instskip(NEXT) | instid1(VALU_DEP_1)
	v_add_f32_e32 v22, 1.0, v19
	v_dual_add_f32 v20, -1.0, v19 :: v_dual_add_f32 v21, -1.0, v22
	s_delay_alu instid0(VALU_DEP_1) | instskip(NEXT) | instid1(VALU_DEP_2)
	v_add_f32_e32 v23, 1.0, v20
	v_sub_f32_e32 v21, v19, v21
	s_delay_alu instid0(VALU_DEP_2) | instskip(NEXT) | instid1(VALU_DEP_2)
	v_sub_f32_e32 v19, v19, v23
	v_add_f32_e32 v21, v17, v21
	s_delay_alu instid0(VALU_DEP_2) | instskip(NEXT) | instid1(VALU_DEP_1)
	v_add_f32_e32 v17, v17, v19
	v_add_f32_e32 v24, v20, v17
	s_delay_alu instid0(VALU_DEP_1) | instskip(NEXT) | instid1(VALU_DEP_1)
	v_dual_add_f32 v23, v22, v21 :: v_dual_sub_f32 v20, v20, v24
	v_rcp_f32_e32 v19, v23
	v_sub_f32_e32 v22, v22, v23
	s_delay_alu instid0(VALU_DEP_1) | instskip(SKIP_2) | instid1(VALU_DEP_1)
	v_add_f32_e32 v21, v21, v22
	s_waitcnt_depctr 0xfff
	v_mul_f32_e32 v25, v24, v19
	v_mul_f32_e32 v26, v23, v25
	s_delay_alu instid0(VALU_DEP_1) | instskip(NEXT) | instid1(VALU_DEP_1)
	v_fma_f32 v22, v25, v23, -v26
	v_fmac_f32_e32 v22, v25, v21
	s_delay_alu instid0(VALU_DEP_1) | instskip(NEXT) | instid1(VALU_DEP_1)
	v_add_f32_e32 v27, v26, v22
	v_sub_f32_e32 v28, v24, v27
	s_delay_alu instid0(VALU_DEP_1) | instskip(SKIP_1) | instid1(VALU_DEP_2)
	v_sub_f32_e32 v24, v24, v28
	v_dual_add_f32 v17, v17, v20 :: v_dual_sub_f32 v20, v27, v26
	v_sub_f32_e32 v24, v24, v27
	s_delay_alu instid0(VALU_DEP_1) | instskip(NEXT) | instid1(VALU_DEP_1)
	v_dual_sub_f32 v20, v20, v22 :: v_dual_add_f32 v17, v17, v24
	v_add_f32_e32 v17, v20, v17
	s_delay_alu instid0(VALU_DEP_1) | instskip(NEXT) | instid1(VALU_DEP_1)
	v_add_f32_e32 v20, v28, v17
	v_mul_f32_e32 v22, v19, v20
	s_delay_alu instid0(VALU_DEP_1) | instskip(NEXT) | instid1(VALU_DEP_1)
	v_dual_sub_f32 v27, v28, v20 :: v_dual_mul_f32 v24, v23, v22
	v_add_f32_e32 v17, v17, v27
	s_delay_alu instid0(VALU_DEP_2) | instskip(NEXT) | instid1(VALU_DEP_1)
	v_fma_f32 v23, v22, v23, -v24
	v_fmac_f32_e32 v23, v22, v21
	s_delay_alu instid0(VALU_DEP_1) | instskip(NEXT) | instid1(VALU_DEP_1)
	v_add_f32_e32 v21, v24, v23
	v_sub_f32_e32 v26, v20, v21
	s_delay_alu instid0(VALU_DEP_1) | instskip(NEXT) | instid1(VALU_DEP_1)
	v_sub_f32_e32 v20, v20, v26
	v_sub_f32_e32 v20, v20, v21
	s_delay_alu instid0(VALU_DEP_1) | instskip(SKIP_2) | instid1(VALU_DEP_1)
	v_add_f32_e32 v17, v17, v20
	v_add_f32_e32 v20, v25, v22
	v_sub_f32_e32 v24, v21, v24
	v_sub_f32_e32 v21, v24, v23
	s_delay_alu instid0(VALU_DEP_1) | instskip(NEXT) | instid1(VALU_DEP_4)
	v_add_f32_e32 v17, v21, v17
	v_sub_f32_e32 v21, v20, v25
	s_delay_alu instid0(VALU_DEP_2) | instskip(NEXT) | instid1(VALU_DEP_2)
	v_add_f32_e32 v17, v26, v17
	v_sub_f32_e32 v21, v22, v21
	s_delay_alu instid0(VALU_DEP_2) | instskip(NEXT) | instid1(VALU_DEP_1)
	v_mul_f32_e32 v17, v19, v17
	v_add_f32_e32 v17, v21, v17
	s_delay_alu instid0(VALU_DEP_1) | instskip(NEXT) | instid1(VALU_DEP_1)
	v_add_f32_e32 v19, v20, v17
	v_mul_f32_e32 v21, v19, v19
	s_delay_alu instid0(VALU_DEP_1) | instskip(SKIP_1) | instid1(VALU_DEP_2)
	v_fmaak_f32 v22, s54, v21, 0x3ecc95a3
	v_mul_f32_e32 v23, v19, v21
	v_fmaak_f32 v21, v21, v22, 0x3f2aaada
	v_ldexp_f32 v22, v19, 1
	s_delay_alu instid0(VALU_DEP_2) | instskip(SKIP_1) | instid1(VALU_DEP_2)
	v_mul_f32_e32 v21, v23, v21
	v_sub_f32_e32 v19, v19, v20
	v_dual_mul_f32 v23, 0x3f317218, v16 :: v_dual_add_f32 v20, v22, v21
	s_delay_alu instid0(VALU_DEP_2) | instskip(NEXT) | instid1(VALU_DEP_2)
	v_sub_f32_e32 v17, v17, v19
	v_sub_f32_e32 v19, v20, v22
	s_delay_alu instid0(VALU_DEP_3) | instskip(NEXT) | instid1(VALU_DEP_3)
	v_fma_f32 v22, 0x3f317218, v16, -v23
	v_ldexp_f32 v17, v17, 1
	s_delay_alu instid0(VALU_DEP_2) | instskip(NEXT) | instid1(VALU_DEP_1)
	v_dual_sub_f32 v19, v21, v19 :: v_dual_fmac_f32 v22, 0xb102e308, v16
	v_dual_add_f32 v16, v17, v19 :: v_dual_add_f32 v17, v23, v22
	s_delay_alu instid0(VALU_DEP_1) | instskip(NEXT) | instid1(VALU_DEP_1)
	v_add_f32_e32 v19, v20, v16
	v_dual_add_f32 v21, v17, v19 :: v_dual_sub_f32 v20, v19, v20
	s_delay_alu instid0(VALU_DEP_1) | instskip(NEXT) | instid1(VALU_DEP_2)
	v_sub_f32_e32 v24, v21, v17
	v_dual_sub_f32 v23, v17, v23 :: v_dual_sub_f32 v16, v16, v20
	s_delay_alu instid0(VALU_DEP_1) | instskip(SKIP_1) | instid1(VALU_DEP_2)
	v_dual_sub_f32 v25, v21, v24 :: v_dual_sub_f32 v22, v22, v23
	v_sub_f32_e32 v19, v19, v24
	v_dual_sub_f32 v17, v17, v25 :: v_dual_add_f32 v20, v22, v16
	s_delay_alu instid0(VALU_DEP_1) | instskip(NEXT) | instid1(VALU_DEP_2)
	v_add_f32_e32 v17, v19, v17
	v_sub_f32_e32 v19, v20, v22
	s_delay_alu instid0(VALU_DEP_2) | instskip(NEXT) | instid1(VALU_DEP_2)
	v_add_f32_e32 v17, v20, v17
	v_sub_f32_e32 v20, v20, v19
	s_delay_alu instid0(VALU_DEP_2) | instskip(NEXT) | instid1(VALU_DEP_1)
	v_dual_sub_f32 v16, v16, v19 :: v_dual_add_f32 v23, v21, v17
	v_dual_sub_f32 v20, v22, v20 :: v_dual_sub_f32 v19, v23, v21
	s_delay_alu instid0(VALU_DEP_1) | instskip(NEXT) | instid1(VALU_DEP_1)
	v_dual_add_f32 v16, v16, v20 :: v_dual_sub_f32 v17, v17, v19
	v_add_f32_e32 v16, v16, v17
	s_delay_alu instid0(VALU_DEP_1) | instskip(NEXT) | instid1(VALU_DEP_1)
	v_add_f32_e32 v16, v23, v16
	v_cndmask_b32_e32 v69, v16, v18, vcc_lo
.LBB83_34:                              ;   in Loop: Header=BB83_12 Depth=1
	s_or_b32 exec_lo, exec_lo, s15
	v_lshrrev_b32_e32 v16, 16, v7
	s_delay_alu instid0(VALU_DEP_1) | instskip(NEXT) | instid1(VALU_DEP_1)
	v_cvt_f32_f16_e32 v16, v16
	v_add_f32_e32 v70, s56, v16
	s_delay_alu instid0(VALU_DEP_1) | instskip(SKIP_1) | instid1(SALU_CYCLE_1)
	v_cmp_ge_f32_e32 vcc_lo, 0x41a00000, v70
	s_and_b32 s14, s66, vcc_lo
	s_and_saveexec_b32 s15, s14
	s_cbranch_execz .LBB83_36
; %bb.35:                               ;   in Loop: Header=BB83_12 Depth=1
	v_mul_f32_e32 v16, 0x3fb8aa3b, v70
	v_cmp_ngt_f32_e32 vcc_lo, 0xc2ce8ed0, v70
	s_delay_alu instid0(VALU_DEP_2) | instskip(SKIP_1) | instid1(VALU_DEP_2)
	v_rndne_f32_e32 v17, v16
	v_fma_f32 v18, 0x3fb8aa3b, v70, -v16
	v_sub_f32_e32 v16, v16, v17
	s_delay_alu instid0(VALU_DEP_2) | instskip(SKIP_1) | instid1(VALU_DEP_2)
	v_fmac_f32_e32 v18, 0x32a5705f, v70
	v_cvt_i32_f32_e32 v17, v17
	v_add_f32_e32 v16, v16, v18
	s_delay_alu instid0(VALU_DEP_1) | instskip(SKIP_2) | instid1(VALU_DEP_1)
	v_exp_f32_e32 v16, v16
	s_waitcnt_depctr 0xfff
	v_ldexp_f32 v16, v16, v17
	v_cndmask_b32_e32 v16, 0, v16, vcc_lo
	v_cmp_nlt_f32_e32 vcc_lo, 0x42b17218, v70
	s_delay_alu instid0(VALU_DEP_2) | instskip(NEXT) | instid1(VALU_DEP_1)
	v_cndmask_b32_e32 v18, 0x7f800000, v16, vcc_lo
	v_add_f32_e32 v19, 1.0, v18
	s_delay_alu instid0(VALU_DEP_1) | instskip(NEXT) | instid1(VALU_DEP_1)
	v_cvt_f64_f32_e32 v[16:17], v19
	v_frexp_exp_i32_f64_e32 v16, v[16:17]
	v_frexp_mant_f32_e32 v17, v19
	s_delay_alu instid0(VALU_DEP_1) | instskip(SKIP_1) | instid1(VALU_DEP_1)
	v_cmp_gt_f32_e32 vcc_lo, 0x3f2aaaab, v17
	v_add_f32_e32 v17, -1.0, v19
	v_sub_f32_e32 v21, v17, v19
	v_sub_f32_e32 v17, v18, v17
	s_delay_alu instid0(VALU_DEP_2) | instskip(NEXT) | instid1(VALU_DEP_1)
	v_add_f32_e32 v21, 1.0, v21
	v_add_f32_e32 v17, v17, v21
	v_cmp_gt_f32_e64 s14, 0x33800000, v18
	v_subrev_co_ci_u32_e32 v16, vcc_lo, 0, v16, vcc_lo
	v_cmp_eq_f32_e32 vcc_lo, 0x7f800000, v18
	s_delay_alu instid0(VALU_DEP_2) | instskip(SKIP_2) | instid1(VALU_DEP_2)
	v_sub_nc_u32_e32 v20, 0, v16
	v_cvt_f32_i32_e32 v16, v16
	s_or_b32 vcc_lo, s14, vcc_lo
	v_ldexp_f32 v19, v19, v20
	v_ldexp_f32 v17, v17, v20
	s_delay_alu instid0(VALU_DEP_2) | instskip(NEXT) | instid1(VALU_DEP_1)
	v_add_f32_e32 v22, 1.0, v19
	v_dual_add_f32 v20, -1.0, v19 :: v_dual_add_f32 v21, -1.0, v22
	s_delay_alu instid0(VALU_DEP_1) | instskip(NEXT) | instid1(VALU_DEP_2)
	v_add_f32_e32 v23, 1.0, v20
	v_sub_f32_e32 v21, v19, v21
	s_delay_alu instid0(VALU_DEP_2) | instskip(NEXT) | instid1(VALU_DEP_2)
	v_sub_f32_e32 v19, v19, v23
	v_add_f32_e32 v21, v17, v21
	s_delay_alu instid0(VALU_DEP_2) | instskip(NEXT) | instid1(VALU_DEP_1)
	v_add_f32_e32 v17, v17, v19
	v_add_f32_e32 v24, v20, v17
	s_delay_alu instid0(VALU_DEP_1) | instskip(NEXT) | instid1(VALU_DEP_1)
	v_dual_add_f32 v23, v22, v21 :: v_dual_sub_f32 v20, v20, v24
	v_rcp_f32_e32 v19, v23
	v_sub_f32_e32 v22, v22, v23
	s_delay_alu instid0(VALU_DEP_1) | instskip(SKIP_2) | instid1(VALU_DEP_1)
	v_add_f32_e32 v21, v21, v22
	s_waitcnt_depctr 0xfff
	v_mul_f32_e32 v25, v24, v19
	v_mul_f32_e32 v26, v23, v25
	s_delay_alu instid0(VALU_DEP_1) | instskip(NEXT) | instid1(VALU_DEP_1)
	v_fma_f32 v22, v25, v23, -v26
	v_fmac_f32_e32 v22, v25, v21
	s_delay_alu instid0(VALU_DEP_1) | instskip(NEXT) | instid1(VALU_DEP_1)
	v_add_f32_e32 v27, v26, v22
	v_sub_f32_e32 v28, v24, v27
	s_delay_alu instid0(VALU_DEP_1) | instskip(SKIP_1) | instid1(VALU_DEP_2)
	v_sub_f32_e32 v24, v24, v28
	v_dual_add_f32 v17, v17, v20 :: v_dual_sub_f32 v20, v27, v26
	v_sub_f32_e32 v24, v24, v27
	s_delay_alu instid0(VALU_DEP_1) | instskip(NEXT) | instid1(VALU_DEP_1)
	v_dual_sub_f32 v20, v20, v22 :: v_dual_add_f32 v17, v17, v24
	v_add_f32_e32 v17, v20, v17
	s_delay_alu instid0(VALU_DEP_1) | instskip(NEXT) | instid1(VALU_DEP_1)
	v_add_f32_e32 v20, v28, v17
	v_mul_f32_e32 v22, v19, v20
	s_delay_alu instid0(VALU_DEP_1) | instskip(NEXT) | instid1(VALU_DEP_1)
	v_dual_sub_f32 v27, v28, v20 :: v_dual_mul_f32 v24, v23, v22
	v_add_f32_e32 v17, v17, v27
	s_delay_alu instid0(VALU_DEP_2) | instskip(NEXT) | instid1(VALU_DEP_1)
	v_fma_f32 v23, v22, v23, -v24
	v_fmac_f32_e32 v23, v22, v21
	s_delay_alu instid0(VALU_DEP_1) | instskip(NEXT) | instid1(VALU_DEP_1)
	v_add_f32_e32 v21, v24, v23
	v_sub_f32_e32 v26, v20, v21
	s_delay_alu instid0(VALU_DEP_1) | instskip(NEXT) | instid1(VALU_DEP_1)
	v_sub_f32_e32 v20, v20, v26
	v_sub_f32_e32 v20, v20, v21
	s_delay_alu instid0(VALU_DEP_1) | instskip(SKIP_2) | instid1(VALU_DEP_1)
	v_add_f32_e32 v17, v17, v20
	v_add_f32_e32 v20, v25, v22
	v_sub_f32_e32 v24, v21, v24
	v_sub_f32_e32 v21, v24, v23
	s_delay_alu instid0(VALU_DEP_1) | instskip(NEXT) | instid1(VALU_DEP_4)
	v_add_f32_e32 v17, v21, v17
	v_sub_f32_e32 v21, v20, v25
	s_delay_alu instid0(VALU_DEP_2) | instskip(NEXT) | instid1(VALU_DEP_2)
	v_add_f32_e32 v17, v26, v17
	v_sub_f32_e32 v21, v22, v21
	s_delay_alu instid0(VALU_DEP_2) | instskip(NEXT) | instid1(VALU_DEP_1)
	v_mul_f32_e32 v17, v19, v17
	v_add_f32_e32 v17, v21, v17
	s_delay_alu instid0(VALU_DEP_1) | instskip(NEXT) | instid1(VALU_DEP_1)
	v_add_f32_e32 v19, v20, v17
	v_mul_f32_e32 v21, v19, v19
	s_delay_alu instid0(VALU_DEP_1) | instskip(SKIP_1) | instid1(VALU_DEP_2)
	v_fmaak_f32 v22, s54, v21, 0x3ecc95a3
	v_mul_f32_e32 v23, v19, v21
	v_fmaak_f32 v21, v21, v22, 0x3f2aaada
	v_ldexp_f32 v22, v19, 1
	s_delay_alu instid0(VALU_DEP_2) | instskip(SKIP_1) | instid1(VALU_DEP_2)
	v_mul_f32_e32 v21, v23, v21
	v_sub_f32_e32 v19, v19, v20
	v_dual_mul_f32 v23, 0x3f317218, v16 :: v_dual_add_f32 v20, v22, v21
	s_delay_alu instid0(VALU_DEP_2) | instskip(NEXT) | instid1(VALU_DEP_2)
	v_sub_f32_e32 v17, v17, v19
	v_sub_f32_e32 v19, v20, v22
	s_delay_alu instid0(VALU_DEP_3) | instskip(NEXT) | instid1(VALU_DEP_3)
	v_fma_f32 v22, 0x3f317218, v16, -v23
	v_ldexp_f32 v17, v17, 1
	s_delay_alu instid0(VALU_DEP_2) | instskip(NEXT) | instid1(VALU_DEP_1)
	v_dual_sub_f32 v19, v21, v19 :: v_dual_fmac_f32 v22, 0xb102e308, v16
	v_dual_add_f32 v16, v17, v19 :: v_dual_add_f32 v17, v23, v22
	s_delay_alu instid0(VALU_DEP_1) | instskip(NEXT) | instid1(VALU_DEP_1)
	v_add_f32_e32 v19, v20, v16
	v_dual_add_f32 v21, v17, v19 :: v_dual_sub_f32 v20, v19, v20
	s_delay_alu instid0(VALU_DEP_1) | instskip(NEXT) | instid1(VALU_DEP_2)
	v_sub_f32_e32 v24, v21, v17
	v_dual_sub_f32 v23, v17, v23 :: v_dual_sub_f32 v16, v16, v20
	s_delay_alu instid0(VALU_DEP_1) | instskip(SKIP_1) | instid1(VALU_DEP_2)
	v_dual_sub_f32 v25, v21, v24 :: v_dual_sub_f32 v22, v22, v23
	v_sub_f32_e32 v19, v19, v24
	v_dual_sub_f32 v17, v17, v25 :: v_dual_add_f32 v20, v22, v16
	s_delay_alu instid0(VALU_DEP_1) | instskip(NEXT) | instid1(VALU_DEP_2)
	v_add_f32_e32 v17, v19, v17
	v_sub_f32_e32 v19, v20, v22
	s_delay_alu instid0(VALU_DEP_2) | instskip(NEXT) | instid1(VALU_DEP_2)
	v_add_f32_e32 v17, v20, v17
	v_sub_f32_e32 v20, v20, v19
	s_delay_alu instid0(VALU_DEP_2) | instskip(NEXT) | instid1(VALU_DEP_1)
	v_dual_sub_f32 v16, v16, v19 :: v_dual_add_f32 v23, v21, v17
	v_dual_sub_f32 v20, v22, v20 :: v_dual_sub_f32 v19, v23, v21
	s_delay_alu instid0(VALU_DEP_1) | instskip(NEXT) | instid1(VALU_DEP_1)
	v_dual_add_f32 v16, v16, v20 :: v_dual_sub_f32 v17, v17, v19
	v_add_f32_e32 v16, v16, v17
	s_delay_alu instid0(VALU_DEP_1) | instskip(NEXT) | instid1(VALU_DEP_1)
	v_add_f32_e32 v16, v23, v16
	v_cndmask_b32_e32 v70, v16, v18, vcc_lo
.LBB83_36:                              ;   in Loop: Header=BB83_12 Depth=1
	s_or_b32 exec_lo, exec_lo, s15
	s_waitcnt lgkmcnt(0)
	v_cvt_f32_f16_e32 v16, v0
	s_delay_alu instid0(VALU_DEP_1) | instskip(NEXT) | instid1(VALU_DEP_1)
	v_add_f32_e32 v71, s56, v16
	v_cmp_ge_f32_e32 vcc_lo, 0x41a00000, v71
	s_and_b32 s14, s66, vcc_lo
	s_delay_alu instid0(SALU_CYCLE_1)
	s_and_saveexec_b32 s15, s14
	s_cbranch_execz .LBB83_38
; %bb.37:                               ;   in Loop: Header=BB83_12 Depth=1
	v_mul_f32_e32 v16, 0x3fb8aa3b, v71
	v_cmp_ngt_f32_e32 vcc_lo, 0xc2ce8ed0, v71
	s_delay_alu instid0(VALU_DEP_2) | instskip(SKIP_1) | instid1(VALU_DEP_2)
	v_rndne_f32_e32 v17, v16
	v_fma_f32 v18, 0x3fb8aa3b, v71, -v16
	v_sub_f32_e32 v16, v16, v17
	s_delay_alu instid0(VALU_DEP_2) | instskip(SKIP_1) | instid1(VALU_DEP_2)
	v_fmac_f32_e32 v18, 0x32a5705f, v71
	v_cvt_i32_f32_e32 v17, v17
	v_add_f32_e32 v16, v16, v18
	s_delay_alu instid0(VALU_DEP_1) | instskip(SKIP_2) | instid1(VALU_DEP_1)
	v_exp_f32_e32 v16, v16
	s_waitcnt_depctr 0xfff
	v_ldexp_f32 v16, v16, v17
	v_cndmask_b32_e32 v16, 0, v16, vcc_lo
	v_cmp_nlt_f32_e32 vcc_lo, 0x42b17218, v71
	s_delay_alu instid0(VALU_DEP_2) | instskip(NEXT) | instid1(VALU_DEP_1)
	v_cndmask_b32_e32 v18, 0x7f800000, v16, vcc_lo
	v_add_f32_e32 v19, 1.0, v18
	s_delay_alu instid0(VALU_DEP_1) | instskip(NEXT) | instid1(VALU_DEP_1)
	v_cvt_f64_f32_e32 v[16:17], v19
	v_frexp_exp_i32_f64_e32 v16, v[16:17]
	v_frexp_mant_f32_e32 v17, v19
	s_delay_alu instid0(VALU_DEP_1) | instskip(SKIP_1) | instid1(VALU_DEP_1)
	v_cmp_gt_f32_e32 vcc_lo, 0x3f2aaaab, v17
	v_add_f32_e32 v17, -1.0, v19
	v_sub_f32_e32 v21, v17, v19
	v_sub_f32_e32 v17, v18, v17
	s_delay_alu instid0(VALU_DEP_2) | instskip(NEXT) | instid1(VALU_DEP_1)
	v_add_f32_e32 v21, 1.0, v21
	v_add_f32_e32 v17, v17, v21
	v_cmp_gt_f32_e64 s14, 0x33800000, v18
	v_subrev_co_ci_u32_e32 v16, vcc_lo, 0, v16, vcc_lo
	v_cmp_eq_f32_e32 vcc_lo, 0x7f800000, v18
	s_delay_alu instid0(VALU_DEP_2) | instskip(SKIP_2) | instid1(VALU_DEP_2)
	v_sub_nc_u32_e32 v20, 0, v16
	v_cvt_f32_i32_e32 v16, v16
	s_or_b32 vcc_lo, s14, vcc_lo
	v_ldexp_f32 v19, v19, v20
	v_ldexp_f32 v17, v17, v20
	s_delay_alu instid0(VALU_DEP_2) | instskip(NEXT) | instid1(VALU_DEP_1)
	v_add_f32_e32 v22, 1.0, v19
	v_dual_add_f32 v20, -1.0, v19 :: v_dual_add_f32 v21, -1.0, v22
	s_delay_alu instid0(VALU_DEP_1) | instskip(NEXT) | instid1(VALU_DEP_2)
	v_add_f32_e32 v23, 1.0, v20
	v_sub_f32_e32 v21, v19, v21
	s_delay_alu instid0(VALU_DEP_2) | instskip(NEXT) | instid1(VALU_DEP_2)
	v_sub_f32_e32 v19, v19, v23
	v_add_f32_e32 v21, v17, v21
	s_delay_alu instid0(VALU_DEP_2) | instskip(NEXT) | instid1(VALU_DEP_1)
	v_add_f32_e32 v17, v17, v19
	v_add_f32_e32 v24, v20, v17
	s_delay_alu instid0(VALU_DEP_1) | instskip(NEXT) | instid1(VALU_DEP_1)
	v_dual_add_f32 v23, v22, v21 :: v_dual_sub_f32 v20, v20, v24
	v_rcp_f32_e32 v19, v23
	v_sub_f32_e32 v22, v22, v23
	s_delay_alu instid0(VALU_DEP_1) | instskip(SKIP_2) | instid1(VALU_DEP_1)
	v_add_f32_e32 v21, v21, v22
	s_waitcnt_depctr 0xfff
	v_mul_f32_e32 v25, v24, v19
	v_mul_f32_e32 v26, v23, v25
	s_delay_alu instid0(VALU_DEP_1) | instskip(NEXT) | instid1(VALU_DEP_1)
	v_fma_f32 v22, v25, v23, -v26
	v_fmac_f32_e32 v22, v25, v21
	s_delay_alu instid0(VALU_DEP_1) | instskip(NEXT) | instid1(VALU_DEP_1)
	v_add_f32_e32 v27, v26, v22
	v_sub_f32_e32 v28, v24, v27
	s_delay_alu instid0(VALU_DEP_1) | instskip(SKIP_1) | instid1(VALU_DEP_2)
	v_sub_f32_e32 v24, v24, v28
	v_dual_add_f32 v17, v17, v20 :: v_dual_sub_f32 v20, v27, v26
	v_sub_f32_e32 v24, v24, v27
	s_delay_alu instid0(VALU_DEP_1) | instskip(NEXT) | instid1(VALU_DEP_1)
	v_dual_sub_f32 v20, v20, v22 :: v_dual_add_f32 v17, v17, v24
	v_add_f32_e32 v17, v20, v17
	s_delay_alu instid0(VALU_DEP_1) | instskip(NEXT) | instid1(VALU_DEP_1)
	v_add_f32_e32 v20, v28, v17
	v_mul_f32_e32 v22, v19, v20
	s_delay_alu instid0(VALU_DEP_1) | instskip(NEXT) | instid1(VALU_DEP_1)
	v_dual_sub_f32 v27, v28, v20 :: v_dual_mul_f32 v24, v23, v22
	v_add_f32_e32 v17, v17, v27
	s_delay_alu instid0(VALU_DEP_2) | instskip(NEXT) | instid1(VALU_DEP_1)
	v_fma_f32 v23, v22, v23, -v24
	v_fmac_f32_e32 v23, v22, v21
	s_delay_alu instid0(VALU_DEP_1) | instskip(NEXT) | instid1(VALU_DEP_1)
	v_add_f32_e32 v21, v24, v23
	v_sub_f32_e32 v26, v20, v21
	s_delay_alu instid0(VALU_DEP_1) | instskip(NEXT) | instid1(VALU_DEP_1)
	v_sub_f32_e32 v20, v20, v26
	v_sub_f32_e32 v20, v20, v21
	s_delay_alu instid0(VALU_DEP_1) | instskip(SKIP_2) | instid1(VALU_DEP_1)
	v_add_f32_e32 v17, v17, v20
	v_add_f32_e32 v20, v25, v22
	v_sub_f32_e32 v24, v21, v24
	v_sub_f32_e32 v21, v24, v23
	s_delay_alu instid0(VALU_DEP_1) | instskip(NEXT) | instid1(VALU_DEP_4)
	v_add_f32_e32 v17, v21, v17
	v_sub_f32_e32 v21, v20, v25
	s_delay_alu instid0(VALU_DEP_2) | instskip(NEXT) | instid1(VALU_DEP_2)
	v_add_f32_e32 v17, v26, v17
	v_sub_f32_e32 v21, v22, v21
	s_delay_alu instid0(VALU_DEP_2) | instskip(NEXT) | instid1(VALU_DEP_1)
	v_mul_f32_e32 v17, v19, v17
	v_add_f32_e32 v17, v21, v17
	s_delay_alu instid0(VALU_DEP_1) | instskip(NEXT) | instid1(VALU_DEP_1)
	v_add_f32_e32 v19, v20, v17
	v_mul_f32_e32 v21, v19, v19
	s_delay_alu instid0(VALU_DEP_1) | instskip(SKIP_1) | instid1(VALU_DEP_2)
	v_fmaak_f32 v22, s54, v21, 0x3ecc95a3
	v_mul_f32_e32 v23, v19, v21
	v_fmaak_f32 v21, v21, v22, 0x3f2aaada
	v_ldexp_f32 v22, v19, 1
	s_delay_alu instid0(VALU_DEP_2) | instskip(SKIP_1) | instid1(VALU_DEP_2)
	v_mul_f32_e32 v21, v23, v21
	v_sub_f32_e32 v19, v19, v20
	v_dual_mul_f32 v23, 0x3f317218, v16 :: v_dual_add_f32 v20, v22, v21
	s_delay_alu instid0(VALU_DEP_2) | instskip(NEXT) | instid1(VALU_DEP_2)
	v_sub_f32_e32 v17, v17, v19
	v_sub_f32_e32 v19, v20, v22
	s_delay_alu instid0(VALU_DEP_3) | instskip(NEXT) | instid1(VALU_DEP_3)
	v_fma_f32 v22, 0x3f317218, v16, -v23
	v_ldexp_f32 v17, v17, 1
	s_delay_alu instid0(VALU_DEP_2) | instskip(NEXT) | instid1(VALU_DEP_1)
	v_dual_sub_f32 v19, v21, v19 :: v_dual_fmac_f32 v22, 0xb102e308, v16
	v_dual_add_f32 v16, v17, v19 :: v_dual_add_f32 v17, v23, v22
	s_delay_alu instid0(VALU_DEP_1) | instskip(NEXT) | instid1(VALU_DEP_1)
	v_add_f32_e32 v19, v20, v16
	v_dual_add_f32 v21, v17, v19 :: v_dual_sub_f32 v20, v19, v20
	s_delay_alu instid0(VALU_DEP_1) | instskip(NEXT) | instid1(VALU_DEP_2)
	v_sub_f32_e32 v24, v21, v17
	v_dual_sub_f32 v23, v17, v23 :: v_dual_sub_f32 v16, v16, v20
	s_delay_alu instid0(VALU_DEP_1) | instskip(SKIP_1) | instid1(VALU_DEP_2)
	v_dual_sub_f32 v25, v21, v24 :: v_dual_sub_f32 v22, v22, v23
	v_sub_f32_e32 v19, v19, v24
	v_dual_sub_f32 v17, v17, v25 :: v_dual_add_f32 v20, v22, v16
	s_delay_alu instid0(VALU_DEP_1) | instskip(NEXT) | instid1(VALU_DEP_2)
	v_add_f32_e32 v17, v19, v17
	v_sub_f32_e32 v19, v20, v22
	s_delay_alu instid0(VALU_DEP_2) | instskip(NEXT) | instid1(VALU_DEP_2)
	v_add_f32_e32 v17, v20, v17
	v_sub_f32_e32 v20, v20, v19
	s_delay_alu instid0(VALU_DEP_2) | instskip(NEXT) | instid1(VALU_DEP_1)
	v_dual_sub_f32 v16, v16, v19 :: v_dual_add_f32 v23, v21, v17
	v_dual_sub_f32 v20, v22, v20 :: v_dual_sub_f32 v19, v23, v21
	s_delay_alu instid0(VALU_DEP_1) | instskip(NEXT) | instid1(VALU_DEP_1)
	v_dual_add_f32 v16, v16, v20 :: v_dual_sub_f32 v17, v17, v19
	v_add_f32_e32 v16, v16, v17
	s_delay_alu instid0(VALU_DEP_1) | instskip(NEXT) | instid1(VALU_DEP_1)
	v_add_f32_e32 v16, v23, v16
	v_cndmask_b32_e32 v71, v16, v18, vcc_lo
.LBB83_38:                              ;   in Loop: Header=BB83_12 Depth=1
	s_or_b32 exec_lo, exec_lo, s15
	v_lshrrev_b32_e32 v16, 16, v0
	s_delay_alu instid0(VALU_DEP_1) | instskip(NEXT) | instid1(VALU_DEP_1)
	v_cvt_f32_f16_e32 v16, v16
	v_add_f32_e32 v72, s56, v16
	s_delay_alu instid0(VALU_DEP_1) | instskip(SKIP_1) | instid1(SALU_CYCLE_1)
	v_cmp_ge_f32_e32 vcc_lo, 0x41a00000, v72
	s_and_b32 s14, s66, vcc_lo
	s_and_saveexec_b32 s15, s14
	s_cbranch_execz .LBB83_40
; %bb.39:                               ;   in Loop: Header=BB83_12 Depth=1
	v_mul_f32_e32 v16, 0x3fb8aa3b, v72
	v_cmp_ngt_f32_e32 vcc_lo, 0xc2ce8ed0, v72
	s_delay_alu instid0(VALU_DEP_2) | instskip(SKIP_1) | instid1(VALU_DEP_2)
	v_rndne_f32_e32 v17, v16
	v_fma_f32 v18, 0x3fb8aa3b, v72, -v16
	v_sub_f32_e32 v16, v16, v17
	s_delay_alu instid0(VALU_DEP_2) | instskip(SKIP_1) | instid1(VALU_DEP_2)
	v_fmac_f32_e32 v18, 0x32a5705f, v72
	v_cvt_i32_f32_e32 v17, v17
	v_add_f32_e32 v16, v16, v18
	s_delay_alu instid0(VALU_DEP_1) | instskip(SKIP_2) | instid1(VALU_DEP_1)
	v_exp_f32_e32 v16, v16
	s_waitcnt_depctr 0xfff
	v_ldexp_f32 v16, v16, v17
	v_cndmask_b32_e32 v16, 0, v16, vcc_lo
	v_cmp_nlt_f32_e32 vcc_lo, 0x42b17218, v72
	s_delay_alu instid0(VALU_DEP_2) | instskip(NEXT) | instid1(VALU_DEP_1)
	v_cndmask_b32_e32 v18, 0x7f800000, v16, vcc_lo
	v_add_f32_e32 v19, 1.0, v18
	s_delay_alu instid0(VALU_DEP_1) | instskip(NEXT) | instid1(VALU_DEP_1)
	v_cvt_f64_f32_e32 v[16:17], v19
	v_frexp_exp_i32_f64_e32 v16, v[16:17]
	v_frexp_mant_f32_e32 v17, v19
	s_delay_alu instid0(VALU_DEP_1) | instskip(SKIP_1) | instid1(VALU_DEP_1)
	v_cmp_gt_f32_e32 vcc_lo, 0x3f2aaaab, v17
	v_add_f32_e32 v17, -1.0, v19
	v_sub_f32_e32 v21, v17, v19
	v_sub_f32_e32 v17, v18, v17
	s_delay_alu instid0(VALU_DEP_2) | instskip(NEXT) | instid1(VALU_DEP_1)
	v_add_f32_e32 v21, 1.0, v21
	v_add_f32_e32 v17, v17, v21
	v_cmp_gt_f32_e64 s14, 0x33800000, v18
	v_subrev_co_ci_u32_e32 v16, vcc_lo, 0, v16, vcc_lo
	v_cmp_eq_f32_e32 vcc_lo, 0x7f800000, v18
	s_delay_alu instid0(VALU_DEP_2) | instskip(SKIP_2) | instid1(VALU_DEP_2)
	v_sub_nc_u32_e32 v20, 0, v16
	v_cvt_f32_i32_e32 v16, v16
	s_or_b32 vcc_lo, s14, vcc_lo
	v_ldexp_f32 v19, v19, v20
	v_ldexp_f32 v17, v17, v20
	s_delay_alu instid0(VALU_DEP_2) | instskip(NEXT) | instid1(VALU_DEP_1)
	v_add_f32_e32 v22, 1.0, v19
	v_dual_add_f32 v20, -1.0, v19 :: v_dual_add_f32 v21, -1.0, v22
	s_delay_alu instid0(VALU_DEP_1) | instskip(NEXT) | instid1(VALU_DEP_2)
	v_add_f32_e32 v23, 1.0, v20
	v_sub_f32_e32 v21, v19, v21
	s_delay_alu instid0(VALU_DEP_2) | instskip(NEXT) | instid1(VALU_DEP_2)
	v_sub_f32_e32 v19, v19, v23
	v_add_f32_e32 v21, v17, v21
	s_delay_alu instid0(VALU_DEP_2) | instskip(NEXT) | instid1(VALU_DEP_1)
	v_add_f32_e32 v17, v17, v19
	v_add_f32_e32 v24, v20, v17
	s_delay_alu instid0(VALU_DEP_1) | instskip(NEXT) | instid1(VALU_DEP_1)
	v_dual_add_f32 v23, v22, v21 :: v_dual_sub_f32 v20, v20, v24
	v_rcp_f32_e32 v19, v23
	v_sub_f32_e32 v22, v22, v23
	s_delay_alu instid0(VALU_DEP_1) | instskip(SKIP_2) | instid1(VALU_DEP_1)
	v_add_f32_e32 v21, v21, v22
	s_waitcnt_depctr 0xfff
	v_mul_f32_e32 v25, v24, v19
	v_mul_f32_e32 v26, v23, v25
	s_delay_alu instid0(VALU_DEP_1) | instskip(NEXT) | instid1(VALU_DEP_1)
	v_fma_f32 v22, v25, v23, -v26
	v_fmac_f32_e32 v22, v25, v21
	s_delay_alu instid0(VALU_DEP_1) | instskip(NEXT) | instid1(VALU_DEP_1)
	v_add_f32_e32 v27, v26, v22
	v_sub_f32_e32 v28, v24, v27
	s_delay_alu instid0(VALU_DEP_1) | instskip(SKIP_1) | instid1(VALU_DEP_2)
	v_sub_f32_e32 v24, v24, v28
	v_dual_add_f32 v17, v17, v20 :: v_dual_sub_f32 v20, v27, v26
	v_sub_f32_e32 v24, v24, v27
	s_delay_alu instid0(VALU_DEP_1) | instskip(NEXT) | instid1(VALU_DEP_1)
	v_dual_sub_f32 v20, v20, v22 :: v_dual_add_f32 v17, v17, v24
	v_add_f32_e32 v17, v20, v17
	s_delay_alu instid0(VALU_DEP_1) | instskip(NEXT) | instid1(VALU_DEP_1)
	v_add_f32_e32 v20, v28, v17
	v_mul_f32_e32 v22, v19, v20
	s_delay_alu instid0(VALU_DEP_1) | instskip(NEXT) | instid1(VALU_DEP_1)
	v_dual_sub_f32 v27, v28, v20 :: v_dual_mul_f32 v24, v23, v22
	v_add_f32_e32 v17, v17, v27
	s_delay_alu instid0(VALU_DEP_2) | instskip(NEXT) | instid1(VALU_DEP_1)
	v_fma_f32 v23, v22, v23, -v24
	v_fmac_f32_e32 v23, v22, v21
	s_delay_alu instid0(VALU_DEP_1) | instskip(NEXT) | instid1(VALU_DEP_1)
	v_add_f32_e32 v21, v24, v23
	v_sub_f32_e32 v26, v20, v21
	s_delay_alu instid0(VALU_DEP_1) | instskip(NEXT) | instid1(VALU_DEP_1)
	v_sub_f32_e32 v20, v20, v26
	v_sub_f32_e32 v20, v20, v21
	s_delay_alu instid0(VALU_DEP_1) | instskip(SKIP_2) | instid1(VALU_DEP_1)
	v_add_f32_e32 v17, v17, v20
	v_add_f32_e32 v20, v25, v22
	v_sub_f32_e32 v24, v21, v24
	v_sub_f32_e32 v21, v24, v23
	s_delay_alu instid0(VALU_DEP_1) | instskip(NEXT) | instid1(VALU_DEP_4)
	v_add_f32_e32 v17, v21, v17
	v_sub_f32_e32 v21, v20, v25
	s_delay_alu instid0(VALU_DEP_2) | instskip(NEXT) | instid1(VALU_DEP_2)
	v_add_f32_e32 v17, v26, v17
	v_sub_f32_e32 v21, v22, v21
	s_delay_alu instid0(VALU_DEP_2) | instskip(NEXT) | instid1(VALU_DEP_1)
	v_mul_f32_e32 v17, v19, v17
	v_add_f32_e32 v17, v21, v17
	s_delay_alu instid0(VALU_DEP_1) | instskip(NEXT) | instid1(VALU_DEP_1)
	v_add_f32_e32 v19, v20, v17
	v_mul_f32_e32 v21, v19, v19
	s_delay_alu instid0(VALU_DEP_1) | instskip(SKIP_1) | instid1(VALU_DEP_2)
	v_fmaak_f32 v22, s54, v21, 0x3ecc95a3
	v_mul_f32_e32 v23, v19, v21
	v_fmaak_f32 v21, v21, v22, 0x3f2aaada
	v_ldexp_f32 v22, v19, 1
	s_delay_alu instid0(VALU_DEP_2) | instskip(SKIP_1) | instid1(VALU_DEP_2)
	v_mul_f32_e32 v21, v23, v21
	v_sub_f32_e32 v19, v19, v20
	v_dual_mul_f32 v23, 0x3f317218, v16 :: v_dual_add_f32 v20, v22, v21
	s_delay_alu instid0(VALU_DEP_2) | instskip(NEXT) | instid1(VALU_DEP_2)
	v_sub_f32_e32 v17, v17, v19
	v_sub_f32_e32 v19, v20, v22
	s_delay_alu instid0(VALU_DEP_3) | instskip(NEXT) | instid1(VALU_DEP_3)
	v_fma_f32 v22, 0x3f317218, v16, -v23
	v_ldexp_f32 v17, v17, 1
	s_delay_alu instid0(VALU_DEP_2) | instskip(NEXT) | instid1(VALU_DEP_1)
	v_dual_sub_f32 v19, v21, v19 :: v_dual_fmac_f32 v22, 0xb102e308, v16
	v_dual_add_f32 v16, v17, v19 :: v_dual_add_f32 v17, v23, v22
	s_delay_alu instid0(VALU_DEP_1) | instskip(NEXT) | instid1(VALU_DEP_1)
	v_add_f32_e32 v19, v20, v16
	v_dual_add_f32 v21, v17, v19 :: v_dual_sub_f32 v20, v19, v20
	s_delay_alu instid0(VALU_DEP_1) | instskip(NEXT) | instid1(VALU_DEP_2)
	v_sub_f32_e32 v24, v21, v17
	v_dual_sub_f32 v23, v17, v23 :: v_dual_sub_f32 v16, v16, v20
	s_delay_alu instid0(VALU_DEP_1) | instskip(SKIP_1) | instid1(VALU_DEP_2)
	v_dual_sub_f32 v25, v21, v24 :: v_dual_sub_f32 v22, v22, v23
	v_sub_f32_e32 v19, v19, v24
	v_dual_sub_f32 v17, v17, v25 :: v_dual_add_f32 v20, v22, v16
	s_delay_alu instid0(VALU_DEP_1) | instskip(NEXT) | instid1(VALU_DEP_2)
	v_add_f32_e32 v17, v19, v17
	v_sub_f32_e32 v19, v20, v22
	s_delay_alu instid0(VALU_DEP_2) | instskip(NEXT) | instid1(VALU_DEP_2)
	v_add_f32_e32 v17, v20, v17
	v_sub_f32_e32 v20, v20, v19
	s_delay_alu instid0(VALU_DEP_2) | instskip(NEXT) | instid1(VALU_DEP_1)
	v_dual_sub_f32 v16, v16, v19 :: v_dual_add_f32 v23, v21, v17
	v_dual_sub_f32 v20, v22, v20 :: v_dual_sub_f32 v19, v23, v21
	s_delay_alu instid0(VALU_DEP_1) | instskip(NEXT) | instid1(VALU_DEP_1)
	v_dual_add_f32 v16, v16, v20 :: v_dual_sub_f32 v17, v17, v19
	v_add_f32_e32 v16, v16, v17
	s_delay_alu instid0(VALU_DEP_1) | instskip(NEXT) | instid1(VALU_DEP_1)
	v_add_f32_e32 v16, v23, v16
	v_cndmask_b32_e32 v72, v16, v18, vcc_lo
.LBB83_40:                              ;   in Loop: Header=BB83_12 Depth=1
	s_or_b32 exec_lo, exec_lo, s15
	v_cvt_f32_f16_e32 v16, v1
	s_delay_alu instid0(VALU_DEP_1) | instskip(NEXT) | instid1(VALU_DEP_1)
	v_add_f32_e32 v73, s56, v16
	v_cmp_ge_f32_e32 vcc_lo, 0x41a00000, v73
	s_and_b32 s14, s66, vcc_lo
	s_delay_alu instid0(SALU_CYCLE_1)
	s_and_saveexec_b32 s15, s14
	s_cbranch_execz .LBB83_42
; %bb.41:                               ;   in Loop: Header=BB83_12 Depth=1
	v_mul_f32_e32 v16, 0x3fb8aa3b, v73
	v_cmp_ngt_f32_e32 vcc_lo, 0xc2ce8ed0, v73
	s_delay_alu instid0(VALU_DEP_2) | instskip(SKIP_1) | instid1(VALU_DEP_2)
	v_rndne_f32_e32 v17, v16
	v_fma_f32 v18, 0x3fb8aa3b, v73, -v16
	v_sub_f32_e32 v16, v16, v17
	s_delay_alu instid0(VALU_DEP_2) | instskip(SKIP_1) | instid1(VALU_DEP_2)
	v_fmac_f32_e32 v18, 0x32a5705f, v73
	v_cvt_i32_f32_e32 v17, v17
	v_add_f32_e32 v16, v16, v18
	s_delay_alu instid0(VALU_DEP_1) | instskip(SKIP_2) | instid1(VALU_DEP_1)
	v_exp_f32_e32 v16, v16
	s_waitcnt_depctr 0xfff
	v_ldexp_f32 v16, v16, v17
	v_cndmask_b32_e32 v16, 0, v16, vcc_lo
	v_cmp_nlt_f32_e32 vcc_lo, 0x42b17218, v73
	s_delay_alu instid0(VALU_DEP_2) | instskip(NEXT) | instid1(VALU_DEP_1)
	v_cndmask_b32_e32 v18, 0x7f800000, v16, vcc_lo
	v_add_f32_e32 v19, 1.0, v18
	s_delay_alu instid0(VALU_DEP_1) | instskip(NEXT) | instid1(VALU_DEP_1)
	v_cvt_f64_f32_e32 v[16:17], v19
	v_frexp_exp_i32_f64_e32 v16, v[16:17]
	v_frexp_mant_f32_e32 v17, v19
	s_delay_alu instid0(VALU_DEP_1) | instskip(SKIP_1) | instid1(VALU_DEP_1)
	v_cmp_gt_f32_e32 vcc_lo, 0x3f2aaaab, v17
	v_add_f32_e32 v17, -1.0, v19
	v_sub_f32_e32 v21, v17, v19
	v_sub_f32_e32 v17, v18, v17
	s_delay_alu instid0(VALU_DEP_2) | instskip(NEXT) | instid1(VALU_DEP_1)
	v_add_f32_e32 v21, 1.0, v21
	v_add_f32_e32 v17, v17, v21
	v_cmp_gt_f32_e64 s14, 0x33800000, v18
	v_subrev_co_ci_u32_e32 v16, vcc_lo, 0, v16, vcc_lo
	v_cmp_eq_f32_e32 vcc_lo, 0x7f800000, v18
	s_delay_alu instid0(VALU_DEP_2) | instskip(SKIP_2) | instid1(VALU_DEP_2)
	v_sub_nc_u32_e32 v20, 0, v16
	v_cvt_f32_i32_e32 v16, v16
	s_or_b32 vcc_lo, s14, vcc_lo
	v_ldexp_f32 v19, v19, v20
	v_ldexp_f32 v17, v17, v20
	s_delay_alu instid0(VALU_DEP_2) | instskip(NEXT) | instid1(VALU_DEP_1)
	v_add_f32_e32 v22, 1.0, v19
	v_dual_add_f32 v20, -1.0, v19 :: v_dual_add_f32 v21, -1.0, v22
	s_delay_alu instid0(VALU_DEP_1) | instskip(NEXT) | instid1(VALU_DEP_2)
	v_add_f32_e32 v23, 1.0, v20
	v_sub_f32_e32 v21, v19, v21
	s_delay_alu instid0(VALU_DEP_2) | instskip(NEXT) | instid1(VALU_DEP_2)
	v_sub_f32_e32 v19, v19, v23
	v_add_f32_e32 v21, v17, v21
	s_delay_alu instid0(VALU_DEP_2) | instskip(NEXT) | instid1(VALU_DEP_1)
	v_add_f32_e32 v17, v17, v19
	v_add_f32_e32 v24, v20, v17
	s_delay_alu instid0(VALU_DEP_1) | instskip(NEXT) | instid1(VALU_DEP_1)
	v_dual_add_f32 v23, v22, v21 :: v_dual_sub_f32 v20, v20, v24
	v_rcp_f32_e32 v19, v23
	v_sub_f32_e32 v22, v22, v23
	s_delay_alu instid0(VALU_DEP_1) | instskip(SKIP_2) | instid1(VALU_DEP_1)
	v_add_f32_e32 v21, v21, v22
	s_waitcnt_depctr 0xfff
	v_mul_f32_e32 v25, v24, v19
	v_mul_f32_e32 v26, v23, v25
	s_delay_alu instid0(VALU_DEP_1) | instskip(NEXT) | instid1(VALU_DEP_1)
	v_fma_f32 v22, v25, v23, -v26
	v_fmac_f32_e32 v22, v25, v21
	s_delay_alu instid0(VALU_DEP_1) | instskip(NEXT) | instid1(VALU_DEP_1)
	v_add_f32_e32 v27, v26, v22
	v_sub_f32_e32 v28, v24, v27
	s_delay_alu instid0(VALU_DEP_1) | instskip(SKIP_1) | instid1(VALU_DEP_2)
	v_sub_f32_e32 v24, v24, v28
	v_dual_add_f32 v17, v17, v20 :: v_dual_sub_f32 v20, v27, v26
	v_sub_f32_e32 v24, v24, v27
	s_delay_alu instid0(VALU_DEP_1) | instskip(NEXT) | instid1(VALU_DEP_1)
	v_dual_sub_f32 v20, v20, v22 :: v_dual_add_f32 v17, v17, v24
	v_add_f32_e32 v17, v20, v17
	s_delay_alu instid0(VALU_DEP_1) | instskip(NEXT) | instid1(VALU_DEP_1)
	v_add_f32_e32 v20, v28, v17
	v_mul_f32_e32 v22, v19, v20
	s_delay_alu instid0(VALU_DEP_1) | instskip(NEXT) | instid1(VALU_DEP_1)
	v_dual_sub_f32 v27, v28, v20 :: v_dual_mul_f32 v24, v23, v22
	v_add_f32_e32 v17, v17, v27
	s_delay_alu instid0(VALU_DEP_2) | instskip(NEXT) | instid1(VALU_DEP_1)
	v_fma_f32 v23, v22, v23, -v24
	v_fmac_f32_e32 v23, v22, v21
	s_delay_alu instid0(VALU_DEP_1) | instskip(NEXT) | instid1(VALU_DEP_1)
	v_add_f32_e32 v21, v24, v23
	v_sub_f32_e32 v26, v20, v21
	s_delay_alu instid0(VALU_DEP_1) | instskip(NEXT) | instid1(VALU_DEP_1)
	v_sub_f32_e32 v20, v20, v26
	v_sub_f32_e32 v20, v20, v21
	s_delay_alu instid0(VALU_DEP_1) | instskip(SKIP_2) | instid1(VALU_DEP_1)
	v_add_f32_e32 v17, v17, v20
	v_add_f32_e32 v20, v25, v22
	v_sub_f32_e32 v24, v21, v24
	v_sub_f32_e32 v21, v24, v23
	s_delay_alu instid0(VALU_DEP_1) | instskip(NEXT) | instid1(VALU_DEP_4)
	v_add_f32_e32 v17, v21, v17
	v_sub_f32_e32 v21, v20, v25
	s_delay_alu instid0(VALU_DEP_2) | instskip(NEXT) | instid1(VALU_DEP_2)
	v_add_f32_e32 v17, v26, v17
	v_sub_f32_e32 v21, v22, v21
	s_delay_alu instid0(VALU_DEP_2) | instskip(NEXT) | instid1(VALU_DEP_1)
	v_mul_f32_e32 v17, v19, v17
	v_add_f32_e32 v17, v21, v17
	s_delay_alu instid0(VALU_DEP_1) | instskip(NEXT) | instid1(VALU_DEP_1)
	v_add_f32_e32 v19, v20, v17
	v_mul_f32_e32 v21, v19, v19
	s_delay_alu instid0(VALU_DEP_1) | instskip(SKIP_1) | instid1(VALU_DEP_2)
	v_fmaak_f32 v22, s54, v21, 0x3ecc95a3
	v_mul_f32_e32 v23, v19, v21
	v_fmaak_f32 v21, v21, v22, 0x3f2aaada
	v_ldexp_f32 v22, v19, 1
	s_delay_alu instid0(VALU_DEP_2) | instskip(SKIP_1) | instid1(VALU_DEP_2)
	v_mul_f32_e32 v21, v23, v21
	v_sub_f32_e32 v19, v19, v20
	v_dual_mul_f32 v23, 0x3f317218, v16 :: v_dual_add_f32 v20, v22, v21
	s_delay_alu instid0(VALU_DEP_2) | instskip(NEXT) | instid1(VALU_DEP_2)
	v_sub_f32_e32 v17, v17, v19
	v_sub_f32_e32 v19, v20, v22
	s_delay_alu instid0(VALU_DEP_3) | instskip(NEXT) | instid1(VALU_DEP_3)
	v_fma_f32 v22, 0x3f317218, v16, -v23
	v_ldexp_f32 v17, v17, 1
	s_delay_alu instid0(VALU_DEP_2) | instskip(NEXT) | instid1(VALU_DEP_1)
	v_dual_sub_f32 v19, v21, v19 :: v_dual_fmac_f32 v22, 0xb102e308, v16
	v_dual_add_f32 v16, v17, v19 :: v_dual_add_f32 v17, v23, v22
	s_delay_alu instid0(VALU_DEP_1) | instskip(NEXT) | instid1(VALU_DEP_1)
	v_add_f32_e32 v19, v20, v16
	v_dual_add_f32 v21, v17, v19 :: v_dual_sub_f32 v20, v19, v20
	s_delay_alu instid0(VALU_DEP_1) | instskip(NEXT) | instid1(VALU_DEP_2)
	v_sub_f32_e32 v24, v21, v17
	v_dual_sub_f32 v23, v17, v23 :: v_dual_sub_f32 v16, v16, v20
	s_delay_alu instid0(VALU_DEP_1) | instskip(SKIP_1) | instid1(VALU_DEP_2)
	v_dual_sub_f32 v25, v21, v24 :: v_dual_sub_f32 v22, v22, v23
	v_sub_f32_e32 v19, v19, v24
	v_dual_sub_f32 v17, v17, v25 :: v_dual_add_f32 v20, v22, v16
	s_delay_alu instid0(VALU_DEP_1) | instskip(NEXT) | instid1(VALU_DEP_2)
	v_add_f32_e32 v17, v19, v17
	v_sub_f32_e32 v19, v20, v22
	s_delay_alu instid0(VALU_DEP_2) | instskip(NEXT) | instid1(VALU_DEP_2)
	v_add_f32_e32 v17, v20, v17
	v_sub_f32_e32 v20, v20, v19
	s_delay_alu instid0(VALU_DEP_2) | instskip(NEXT) | instid1(VALU_DEP_1)
	v_dual_sub_f32 v16, v16, v19 :: v_dual_add_f32 v23, v21, v17
	v_dual_sub_f32 v20, v22, v20 :: v_dual_sub_f32 v19, v23, v21
	s_delay_alu instid0(VALU_DEP_1) | instskip(NEXT) | instid1(VALU_DEP_1)
	v_dual_add_f32 v16, v16, v20 :: v_dual_sub_f32 v17, v17, v19
	v_add_f32_e32 v16, v16, v17
	s_delay_alu instid0(VALU_DEP_1) | instskip(NEXT) | instid1(VALU_DEP_1)
	v_add_f32_e32 v16, v23, v16
	v_cndmask_b32_e32 v73, v16, v18, vcc_lo
.LBB83_42:                              ;   in Loop: Header=BB83_12 Depth=1
	s_or_b32 exec_lo, exec_lo, s15
	v_lshrrev_b32_e32 v16, 16, v1
	s_delay_alu instid0(VALU_DEP_1) | instskip(NEXT) | instid1(VALU_DEP_1)
	v_cvt_f32_f16_e32 v16, v16
	v_add_f32_e32 v74, s56, v16
	s_delay_alu instid0(VALU_DEP_1) | instskip(SKIP_1) | instid1(SALU_CYCLE_1)
	v_cmp_ge_f32_e32 vcc_lo, 0x41a00000, v74
	s_and_b32 s14, s66, vcc_lo
	s_and_saveexec_b32 s15, s14
	s_cbranch_execz .LBB83_44
; %bb.43:                               ;   in Loop: Header=BB83_12 Depth=1
	v_mul_f32_e32 v16, 0x3fb8aa3b, v74
	v_cmp_ngt_f32_e32 vcc_lo, 0xc2ce8ed0, v74
	s_delay_alu instid0(VALU_DEP_2) | instskip(SKIP_1) | instid1(VALU_DEP_2)
	v_rndne_f32_e32 v17, v16
	v_fma_f32 v18, 0x3fb8aa3b, v74, -v16
	v_sub_f32_e32 v16, v16, v17
	s_delay_alu instid0(VALU_DEP_2) | instskip(SKIP_1) | instid1(VALU_DEP_2)
	v_fmac_f32_e32 v18, 0x32a5705f, v74
	v_cvt_i32_f32_e32 v17, v17
	v_add_f32_e32 v16, v16, v18
	s_delay_alu instid0(VALU_DEP_1) | instskip(SKIP_2) | instid1(VALU_DEP_1)
	v_exp_f32_e32 v16, v16
	s_waitcnt_depctr 0xfff
	v_ldexp_f32 v16, v16, v17
	v_cndmask_b32_e32 v16, 0, v16, vcc_lo
	v_cmp_nlt_f32_e32 vcc_lo, 0x42b17218, v74
	s_delay_alu instid0(VALU_DEP_2) | instskip(NEXT) | instid1(VALU_DEP_1)
	v_cndmask_b32_e32 v18, 0x7f800000, v16, vcc_lo
	v_add_f32_e32 v19, 1.0, v18
	s_delay_alu instid0(VALU_DEP_1) | instskip(NEXT) | instid1(VALU_DEP_1)
	v_cvt_f64_f32_e32 v[16:17], v19
	v_frexp_exp_i32_f64_e32 v16, v[16:17]
	v_frexp_mant_f32_e32 v17, v19
	s_delay_alu instid0(VALU_DEP_1) | instskip(SKIP_1) | instid1(VALU_DEP_1)
	v_cmp_gt_f32_e32 vcc_lo, 0x3f2aaaab, v17
	v_add_f32_e32 v17, -1.0, v19
	v_sub_f32_e32 v21, v17, v19
	v_sub_f32_e32 v17, v18, v17
	s_delay_alu instid0(VALU_DEP_2) | instskip(NEXT) | instid1(VALU_DEP_1)
	v_add_f32_e32 v21, 1.0, v21
	v_add_f32_e32 v17, v17, v21
	v_cmp_gt_f32_e64 s14, 0x33800000, v18
	v_subrev_co_ci_u32_e32 v16, vcc_lo, 0, v16, vcc_lo
	v_cmp_eq_f32_e32 vcc_lo, 0x7f800000, v18
	s_delay_alu instid0(VALU_DEP_2) | instskip(SKIP_2) | instid1(VALU_DEP_2)
	v_sub_nc_u32_e32 v20, 0, v16
	v_cvt_f32_i32_e32 v16, v16
	s_or_b32 vcc_lo, s14, vcc_lo
	v_ldexp_f32 v19, v19, v20
	v_ldexp_f32 v17, v17, v20
	s_delay_alu instid0(VALU_DEP_2) | instskip(NEXT) | instid1(VALU_DEP_1)
	v_add_f32_e32 v22, 1.0, v19
	v_dual_add_f32 v20, -1.0, v19 :: v_dual_add_f32 v21, -1.0, v22
	s_delay_alu instid0(VALU_DEP_1) | instskip(NEXT) | instid1(VALU_DEP_2)
	v_add_f32_e32 v23, 1.0, v20
	v_sub_f32_e32 v21, v19, v21
	s_delay_alu instid0(VALU_DEP_2) | instskip(NEXT) | instid1(VALU_DEP_2)
	v_sub_f32_e32 v19, v19, v23
	v_add_f32_e32 v21, v17, v21
	s_delay_alu instid0(VALU_DEP_2) | instskip(NEXT) | instid1(VALU_DEP_1)
	v_add_f32_e32 v17, v17, v19
	v_add_f32_e32 v24, v20, v17
	s_delay_alu instid0(VALU_DEP_1) | instskip(NEXT) | instid1(VALU_DEP_1)
	v_dual_add_f32 v23, v22, v21 :: v_dual_sub_f32 v20, v20, v24
	v_rcp_f32_e32 v19, v23
	v_sub_f32_e32 v22, v22, v23
	s_delay_alu instid0(VALU_DEP_1) | instskip(SKIP_2) | instid1(VALU_DEP_1)
	v_add_f32_e32 v21, v21, v22
	s_waitcnt_depctr 0xfff
	v_mul_f32_e32 v25, v24, v19
	v_mul_f32_e32 v26, v23, v25
	s_delay_alu instid0(VALU_DEP_1) | instskip(NEXT) | instid1(VALU_DEP_1)
	v_fma_f32 v22, v25, v23, -v26
	v_fmac_f32_e32 v22, v25, v21
	s_delay_alu instid0(VALU_DEP_1) | instskip(NEXT) | instid1(VALU_DEP_1)
	v_add_f32_e32 v27, v26, v22
	v_sub_f32_e32 v28, v24, v27
	s_delay_alu instid0(VALU_DEP_1) | instskip(SKIP_1) | instid1(VALU_DEP_2)
	v_sub_f32_e32 v24, v24, v28
	v_dual_add_f32 v17, v17, v20 :: v_dual_sub_f32 v20, v27, v26
	v_sub_f32_e32 v24, v24, v27
	s_delay_alu instid0(VALU_DEP_1) | instskip(NEXT) | instid1(VALU_DEP_1)
	v_dual_sub_f32 v20, v20, v22 :: v_dual_add_f32 v17, v17, v24
	v_add_f32_e32 v17, v20, v17
	s_delay_alu instid0(VALU_DEP_1) | instskip(NEXT) | instid1(VALU_DEP_1)
	v_add_f32_e32 v20, v28, v17
	v_mul_f32_e32 v22, v19, v20
	s_delay_alu instid0(VALU_DEP_1) | instskip(NEXT) | instid1(VALU_DEP_1)
	v_dual_sub_f32 v27, v28, v20 :: v_dual_mul_f32 v24, v23, v22
	v_add_f32_e32 v17, v17, v27
	s_delay_alu instid0(VALU_DEP_2) | instskip(NEXT) | instid1(VALU_DEP_1)
	v_fma_f32 v23, v22, v23, -v24
	v_fmac_f32_e32 v23, v22, v21
	s_delay_alu instid0(VALU_DEP_1) | instskip(NEXT) | instid1(VALU_DEP_1)
	v_add_f32_e32 v21, v24, v23
	v_sub_f32_e32 v26, v20, v21
	s_delay_alu instid0(VALU_DEP_1) | instskip(NEXT) | instid1(VALU_DEP_1)
	v_sub_f32_e32 v20, v20, v26
	v_sub_f32_e32 v20, v20, v21
	s_delay_alu instid0(VALU_DEP_1) | instskip(SKIP_2) | instid1(VALU_DEP_1)
	v_add_f32_e32 v17, v17, v20
	v_add_f32_e32 v20, v25, v22
	v_sub_f32_e32 v24, v21, v24
	v_sub_f32_e32 v21, v24, v23
	s_delay_alu instid0(VALU_DEP_1) | instskip(NEXT) | instid1(VALU_DEP_4)
	v_add_f32_e32 v17, v21, v17
	v_sub_f32_e32 v21, v20, v25
	s_delay_alu instid0(VALU_DEP_2) | instskip(NEXT) | instid1(VALU_DEP_2)
	v_add_f32_e32 v17, v26, v17
	v_sub_f32_e32 v21, v22, v21
	s_delay_alu instid0(VALU_DEP_2) | instskip(NEXT) | instid1(VALU_DEP_1)
	v_mul_f32_e32 v17, v19, v17
	v_add_f32_e32 v17, v21, v17
	s_delay_alu instid0(VALU_DEP_1) | instskip(NEXT) | instid1(VALU_DEP_1)
	v_add_f32_e32 v19, v20, v17
	v_mul_f32_e32 v21, v19, v19
	s_delay_alu instid0(VALU_DEP_1) | instskip(SKIP_1) | instid1(VALU_DEP_2)
	v_fmaak_f32 v22, s54, v21, 0x3ecc95a3
	v_mul_f32_e32 v23, v19, v21
	v_fmaak_f32 v21, v21, v22, 0x3f2aaada
	v_ldexp_f32 v22, v19, 1
	s_delay_alu instid0(VALU_DEP_2) | instskip(SKIP_1) | instid1(VALU_DEP_2)
	v_mul_f32_e32 v21, v23, v21
	v_sub_f32_e32 v19, v19, v20
	v_dual_mul_f32 v23, 0x3f317218, v16 :: v_dual_add_f32 v20, v22, v21
	s_delay_alu instid0(VALU_DEP_2) | instskip(NEXT) | instid1(VALU_DEP_2)
	v_sub_f32_e32 v17, v17, v19
	v_sub_f32_e32 v19, v20, v22
	s_delay_alu instid0(VALU_DEP_3) | instskip(NEXT) | instid1(VALU_DEP_3)
	v_fma_f32 v22, 0x3f317218, v16, -v23
	v_ldexp_f32 v17, v17, 1
	s_delay_alu instid0(VALU_DEP_2) | instskip(NEXT) | instid1(VALU_DEP_1)
	v_dual_sub_f32 v19, v21, v19 :: v_dual_fmac_f32 v22, 0xb102e308, v16
	v_dual_add_f32 v16, v17, v19 :: v_dual_add_f32 v17, v23, v22
	s_delay_alu instid0(VALU_DEP_1) | instskip(NEXT) | instid1(VALU_DEP_1)
	v_add_f32_e32 v19, v20, v16
	v_dual_add_f32 v21, v17, v19 :: v_dual_sub_f32 v20, v19, v20
	s_delay_alu instid0(VALU_DEP_1) | instskip(NEXT) | instid1(VALU_DEP_2)
	v_sub_f32_e32 v24, v21, v17
	v_dual_sub_f32 v23, v17, v23 :: v_dual_sub_f32 v16, v16, v20
	s_delay_alu instid0(VALU_DEP_1) | instskip(SKIP_1) | instid1(VALU_DEP_2)
	v_dual_sub_f32 v25, v21, v24 :: v_dual_sub_f32 v22, v22, v23
	v_sub_f32_e32 v19, v19, v24
	v_dual_sub_f32 v17, v17, v25 :: v_dual_add_f32 v20, v22, v16
	s_delay_alu instid0(VALU_DEP_1) | instskip(NEXT) | instid1(VALU_DEP_2)
	v_add_f32_e32 v17, v19, v17
	v_sub_f32_e32 v19, v20, v22
	s_delay_alu instid0(VALU_DEP_2) | instskip(NEXT) | instid1(VALU_DEP_2)
	v_add_f32_e32 v17, v20, v17
	v_sub_f32_e32 v20, v20, v19
	s_delay_alu instid0(VALU_DEP_2) | instskip(NEXT) | instid1(VALU_DEP_1)
	v_dual_sub_f32 v16, v16, v19 :: v_dual_add_f32 v23, v21, v17
	v_dual_sub_f32 v20, v22, v20 :: v_dual_sub_f32 v19, v23, v21
	s_delay_alu instid0(VALU_DEP_1) | instskip(NEXT) | instid1(VALU_DEP_1)
	v_dual_add_f32 v16, v16, v20 :: v_dual_sub_f32 v17, v17, v19
	v_add_f32_e32 v16, v16, v17
	s_delay_alu instid0(VALU_DEP_1) | instskip(NEXT) | instid1(VALU_DEP_1)
	v_add_f32_e32 v16, v23, v16
	v_cndmask_b32_e32 v74, v16, v18, vcc_lo
.LBB83_44:                              ;   in Loop: Header=BB83_12 Depth=1
	s_or_b32 exec_lo, exec_lo, s15
	v_cvt_f32_f16_e32 v16, v2
	s_delay_alu instid0(VALU_DEP_1) | instskip(NEXT) | instid1(VALU_DEP_1)
	v_add_f32_e32 v75, s56, v16
	v_cmp_ge_f32_e32 vcc_lo, 0x41a00000, v75
	s_and_b32 s14, s66, vcc_lo
	s_delay_alu instid0(SALU_CYCLE_1)
	s_and_saveexec_b32 s15, s14
	s_cbranch_execz .LBB83_46
; %bb.45:                               ;   in Loop: Header=BB83_12 Depth=1
	v_mul_f32_e32 v16, 0x3fb8aa3b, v75
	v_cmp_ngt_f32_e32 vcc_lo, 0xc2ce8ed0, v75
	s_delay_alu instid0(VALU_DEP_2) | instskip(SKIP_1) | instid1(VALU_DEP_2)
	v_rndne_f32_e32 v17, v16
	v_fma_f32 v18, 0x3fb8aa3b, v75, -v16
	v_sub_f32_e32 v16, v16, v17
	s_delay_alu instid0(VALU_DEP_2) | instskip(SKIP_1) | instid1(VALU_DEP_2)
	v_fmac_f32_e32 v18, 0x32a5705f, v75
	v_cvt_i32_f32_e32 v17, v17
	v_add_f32_e32 v16, v16, v18
	s_delay_alu instid0(VALU_DEP_1) | instskip(SKIP_2) | instid1(VALU_DEP_1)
	v_exp_f32_e32 v16, v16
	s_waitcnt_depctr 0xfff
	v_ldexp_f32 v16, v16, v17
	v_cndmask_b32_e32 v16, 0, v16, vcc_lo
	v_cmp_nlt_f32_e32 vcc_lo, 0x42b17218, v75
	s_delay_alu instid0(VALU_DEP_2) | instskip(NEXT) | instid1(VALU_DEP_1)
	v_cndmask_b32_e32 v18, 0x7f800000, v16, vcc_lo
	v_add_f32_e32 v19, 1.0, v18
	s_delay_alu instid0(VALU_DEP_1) | instskip(NEXT) | instid1(VALU_DEP_1)
	v_cvt_f64_f32_e32 v[16:17], v19
	v_frexp_exp_i32_f64_e32 v16, v[16:17]
	v_frexp_mant_f32_e32 v17, v19
	s_delay_alu instid0(VALU_DEP_1) | instskip(SKIP_1) | instid1(VALU_DEP_1)
	v_cmp_gt_f32_e32 vcc_lo, 0x3f2aaaab, v17
	v_add_f32_e32 v17, -1.0, v19
	v_sub_f32_e32 v21, v17, v19
	v_sub_f32_e32 v17, v18, v17
	s_delay_alu instid0(VALU_DEP_2) | instskip(NEXT) | instid1(VALU_DEP_1)
	v_add_f32_e32 v21, 1.0, v21
	v_add_f32_e32 v17, v17, v21
	v_cmp_gt_f32_e64 s14, 0x33800000, v18
	v_subrev_co_ci_u32_e32 v16, vcc_lo, 0, v16, vcc_lo
	v_cmp_eq_f32_e32 vcc_lo, 0x7f800000, v18
	s_delay_alu instid0(VALU_DEP_2) | instskip(SKIP_2) | instid1(VALU_DEP_2)
	v_sub_nc_u32_e32 v20, 0, v16
	v_cvt_f32_i32_e32 v16, v16
	s_or_b32 vcc_lo, s14, vcc_lo
	v_ldexp_f32 v19, v19, v20
	v_ldexp_f32 v17, v17, v20
	s_delay_alu instid0(VALU_DEP_2) | instskip(NEXT) | instid1(VALU_DEP_1)
	v_add_f32_e32 v22, 1.0, v19
	v_dual_add_f32 v20, -1.0, v19 :: v_dual_add_f32 v21, -1.0, v22
	s_delay_alu instid0(VALU_DEP_1) | instskip(NEXT) | instid1(VALU_DEP_2)
	v_add_f32_e32 v23, 1.0, v20
	v_sub_f32_e32 v21, v19, v21
	s_delay_alu instid0(VALU_DEP_2) | instskip(NEXT) | instid1(VALU_DEP_2)
	v_sub_f32_e32 v19, v19, v23
	v_add_f32_e32 v21, v17, v21
	s_delay_alu instid0(VALU_DEP_2) | instskip(NEXT) | instid1(VALU_DEP_1)
	v_add_f32_e32 v17, v17, v19
	v_add_f32_e32 v24, v20, v17
	s_delay_alu instid0(VALU_DEP_1) | instskip(NEXT) | instid1(VALU_DEP_1)
	v_dual_add_f32 v23, v22, v21 :: v_dual_sub_f32 v20, v20, v24
	v_rcp_f32_e32 v19, v23
	v_sub_f32_e32 v22, v22, v23
	s_delay_alu instid0(VALU_DEP_1) | instskip(SKIP_2) | instid1(VALU_DEP_1)
	v_add_f32_e32 v21, v21, v22
	s_waitcnt_depctr 0xfff
	v_mul_f32_e32 v25, v24, v19
	v_mul_f32_e32 v26, v23, v25
	s_delay_alu instid0(VALU_DEP_1) | instskip(NEXT) | instid1(VALU_DEP_1)
	v_fma_f32 v22, v25, v23, -v26
	v_fmac_f32_e32 v22, v25, v21
	s_delay_alu instid0(VALU_DEP_1) | instskip(NEXT) | instid1(VALU_DEP_1)
	v_add_f32_e32 v27, v26, v22
	v_sub_f32_e32 v28, v24, v27
	s_delay_alu instid0(VALU_DEP_1) | instskip(SKIP_1) | instid1(VALU_DEP_2)
	v_sub_f32_e32 v24, v24, v28
	v_dual_add_f32 v17, v17, v20 :: v_dual_sub_f32 v20, v27, v26
	v_sub_f32_e32 v24, v24, v27
	s_delay_alu instid0(VALU_DEP_1) | instskip(NEXT) | instid1(VALU_DEP_1)
	v_dual_sub_f32 v20, v20, v22 :: v_dual_add_f32 v17, v17, v24
	v_add_f32_e32 v17, v20, v17
	s_delay_alu instid0(VALU_DEP_1) | instskip(NEXT) | instid1(VALU_DEP_1)
	v_add_f32_e32 v20, v28, v17
	v_mul_f32_e32 v22, v19, v20
	s_delay_alu instid0(VALU_DEP_1) | instskip(NEXT) | instid1(VALU_DEP_1)
	v_dual_sub_f32 v27, v28, v20 :: v_dual_mul_f32 v24, v23, v22
	v_add_f32_e32 v17, v17, v27
	s_delay_alu instid0(VALU_DEP_2) | instskip(NEXT) | instid1(VALU_DEP_1)
	v_fma_f32 v23, v22, v23, -v24
	v_fmac_f32_e32 v23, v22, v21
	s_delay_alu instid0(VALU_DEP_1) | instskip(NEXT) | instid1(VALU_DEP_1)
	v_add_f32_e32 v21, v24, v23
	v_sub_f32_e32 v26, v20, v21
	s_delay_alu instid0(VALU_DEP_1) | instskip(NEXT) | instid1(VALU_DEP_1)
	v_sub_f32_e32 v20, v20, v26
	v_sub_f32_e32 v20, v20, v21
	s_delay_alu instid0(VALU_DEP_1) | instskip(SKIP_2) | instid1(VALU_DEP_1)
	v_add_f32_e32 v17, v17, v20
	v_add_f32_e32 v20, v25, v22
	v_sub_f32_e32 v24, v21, v24
	v_sub_f32_e32 v21, v24, v23
	s_delay_alu instid0(VALU_DEP_1) | instskip(NEXT) | instid1(VALU_DEP_4)
	v_add_f32_e32 v17, v21, v17
	v_sub_f32_e32 v21, v20, v25
	s_delay_alu instid0(VALU_DEP_2) | instskip(NEXT) | instid1(VALU_DEP_2)
	v_add_f32_e32 v17, v26, v17
	v_sub_f32_e32 v21, v22, v21
	s_delay_alu instid0(VALU_DEP_2) | instskip(NEXT) | instid1(VALU_DEP_1)
	v_mul_f32_e32 v17, v19, v17
	v_add_f32_e32 v17, v21, v17
	s_delay_alu instid0(VALU_DEP_1) | instskip(NEXT) | instid1(VALU_DEP_1)
	v_add_f32_e32 v19, v20, v17
	v_mul_f32_e32 v21, v19, v19
	s_delay_alu instid0(VALU_DEP_1) | instskip(SKIP_1) | instid1(VALU_DEP_2)
	v_fmaak_f32 v22, s54, v21, 0x3ecc95a3
	v_mul_f32_e32 v23, v19, v21
	v_fmaak_f32 v21, v21, v22, 0x3f2aaada
	v_ldexp_f32 v22, v19, 1
	s_delay_alu instid0(VALU_DEP_2) | instskip(SKIP_1) | instid1(VALU_DEP_2)
	v_mul_f32_e32 v21, v23, v21
	v_sub_f32_e32 v19, v19, v20
	v_dual_mul_f32 v23, 0x3f317218, v16 :: v_dual_add_f32 v20, v22, v21
	s_delay_alu instid0(VALU_DEP_2) | instskip(NEXT) | instid1(VALU_DEP_2)
	v_sub_f32_e32 v17, v17, v19
	v_sub_f32_e32 v19, v20, v22
	s_delay_alu instid0(VALU_DEP_3) | instskip(NEXT) | instid1(VALU_DEP_3)
	v_fma_f32 v22, 0x3f317218, v16, -v23
	v_ldexp_f32 v17, v17, 1
	s_delay_alu instid0(VALU_DEP_2) | instskip(NEXT) | instid1(VALU_DEP_1)
	v_dual_sub_f32 v19, v21, v19 :: v_dual_fmac_f32 v22, 0xb102e308, v16
	v_dual_add_f32 v16, v17, v19 :: v_dual_add_f32 v17, v23, v22
	s_delay_alu instid0(VALU_DEP_1) | instskip(NEXT) | instid1(VALU_DEP_1)
	v_add_f32_e32 v19, v20, v16
	v_dual_add_f32 v21, v17, v19 :: v_dual_sub_f32 v20, v19, v20
	s_delay_alu instid0(VALU_DEP_1) | instskip(NEXT) | instid1(VALU_DEP_2)
	v_sub_f32_e32 v24, v21, v17
	v_dual_sub_f32 v23, v17, v23 :: v_dual_sub_f32 v16, v16, v20
	s_delay_alu instid0(VALU_DEP_1) | instskip(SKIP_1) | instid1(VALU_DEP_2)
	v_dual_sub_f32 v25, v21, v24 :: v_dual_sub_f32 v22, v22, v23
	v_sub_f32_e32 v19, v19, v24
	v_dual_sub_f32 v17, v17, v25 :: v_dual_add_f32 v20, v22, v16
	s_delay_alu instid0(VALU_DEP_1) | instskip(NEXT) | instid1(VALU_DEP_2)
	v_add_f32_e32 v17, v19, v17
	v_sub_f32_e32 v19, v20, v22
	s_delay_alu instid0(VALU_DEP_2) | instskip(NEXT) | instid1(VALU_DEP_2)
	v_add_f32_e32 v17, v20, v17
	v_sub_f32_e32 v20, v20, v19
	s_delay_alu instid0(VALU_DEP_2) | instskip(NEXT) | instid1(VALU_DEP_1)
	v_dual_sub_f32 v16, v16, v19 :: v_dual_add_f32 v23, v21, v17
	v_dual_sub_f32 v20, v22, v20 :: v_dual_sub_f32 v19, v23, v21
	s_delay_alu instid0(VALU_DEP_1) | instskip(NEXT) | instid1(VALU_DEP_1)
	v_dual_add_f32 v16, v16, v20 :: v_dual_sub_f32 v17, v17, v19
	v_add_f32_e32 v16, v16, v17
	s_delay_alu instid0(VALU_DEP_1) | instskip(NEXT) | instid1(VALU_DEP_1)
	v_add_f32_e32 v16, v23, v16
	v_cndmask_b32_e32 v75, v16, v18, vcc_lo
.LBB83_46:                              ;   in Loop: Header=BB83_12 Depth=1
	s_or_b32 exec_lo, exec_lo, s15
	v_lshrrev_b32_e32 v16, 16, v2
	s_delay_alu instid0(VALU_DEP_1) | instskip(NEXT) | instid1(VALU_DEP_1)
	v_cvt_f32_f16_e32 v16, v16
	v_add_f32_e32 v76, s56, v16
	s_delay_alu instid0(VALU_DEP_1) | instskip(SKIP_1) | instid1(SALU_CYCLE_1)
	v_cmp_ge_f32_e32 vcc_lo, 0x41a00000, v76
	s_and_b32 s14, s66, vcc_lo
	s_and_saveexec_b32 s15, s14
	s_cbranch_execz .LBB83_48
; %bb.47:                               ;   in Loop: Header=BB83_12 Depth=1
	v_mul_f32_e32 v16, 0x3fb8aa3b, v76
	v_cmp_ngt_f32_e32 vcc_lo, 0xc2ce8ed0, v76
	s_delay_alu instid0(VALU_DEP_2) | instskip(SKIP_1) | instid1(VALU_DEP_2)
	v_rndne_f32_e32 v17, v16
	v_fma_f32 v18, 0x3fb8aa3b, v76, -v16
	v_sub_f32_e32 v16, v16, v17
	s_delay_alu instid0(VALU_DEP_2) | instskip(SKIP_1) | instid1(VALU_DEP_2)
	v_fmac_f32_e32 v18, 0x32a5705f, v76
	v_cvt_i32_f32_e32 v17, v17
	v_add_f32_e32 v16, v16, v18
	s_delay_alu instid0(VALU_DEP_1) | instskip(SKIP_2) | instid1(VALU_DEP_1)
	v_exp_f32_e32 v16, v16
	s_waitcnt_depctr 0xfff
	v_ldexp_f32 v16, v16, v17
	v_cndmask_b32_e32 v16, 0, v16, vcc_lo
	v_cmp_nlt_f32_e32 vcc_lo, 0x42b17218, v76
	s_delay_alu instid0(VALU_DEP_2) | instskip(NEXT) | instid1(VALU_DEP_1)
	v_cndmask_b32_e32 v18, 0x7f800000, v16, vcc_lo
	v_add_f32_e32 v19, 1.0, v18
	s_delay_alu instid0(VALU_DEP_1) | instskip(NEXT) | instid1(VALU_DEP_1)
	v_cvt_f64_f32_e32 v[16:17], v19
	v_frexp_exp_i32_f64_e32 v16, v[16:17]
	v_frexp_mant_f32_e32 v17, v19
	s_delay_alu instid0(VALU_DEP_1) | instskip(SKIP_1) | instid1(VALU_DEP_1)
	v_cmp_gt_f32_e32 vcc_lo, 0x3f2aaaab, v17
	v_add_f32_e32 v17, -1.0, v19
	v_sub_f32_e32 v21, v17, v19
	v_sub_f32_e32 v17, v18, v17
	s_delay_alu instid0(VALU_DEP_2) | instskip(NEXT) | instid1(VALU_DEP_1)
	v_add_f32_e32 v21, 1.0, v21
	v_add_f32_e32 v17, v17, v21
	v_cmp_gt_f32_e64 s14, 0x33800000, v18
	v_subrev_co_ci_u32_e32 v16, vcc_lo, 0, v16, vcc_lo
	v_cmp_eq_f32_e32 vcc_lo, 0x7f800000, v18
	s_delay_alu instid0(VALU_DEP_2) | instskip(SKIP_2) | instid1(VALU_DEP_2)
	v_sub_nc_u32_e32 v20, 0, v16
	v_cvt_f32_i32_e32 v16, v16
	s_or_b32 vcc_lo, s14, vcc_lo
	v_ldexp_f32 v19, v19, v20
	v_ldexp_f32 v17, v17, v20
	s_delay_alu instid0(VALU_DEP_2) | instskip(NEXT) | instid1(VALU_DEP_1)
	v_add_f32_e32 v22, 1.0, v19
	v_dual_add_f32 v20, -1.0, v19 :: v_dual_add_f32 v21, -1.0, v22
	s_delay_alu instid0(VALU_DEP_1) | instskip(NEXT) | instid1(VALU_DEP_2)
	v_add_f32_e32 v23, 1.0, v20
	v_sub_f32_e32 v21, v19, v21
	s_delay_alu instid0(VALU_DEP_2) | instskip(NEXT) | instid1(VALU_DEP_2)
	v_sub_f32_e32 v19, v19, v23
	v_add_f32_e32 v21, v17, v21
	s_delay_alu instid0(VALU_DEP_2) | instskip(NEXT) | instid1(VALU_DEP_1)
	v_add_f32_e32 v17, v17, v19
	v_add_f32_e32 v24, v20, v17
	s_delay_alu instid0(VALU_DEP_1) | instskip(NEXT) | instid1(VALU_DEP_1)
	v_dual_add_f32 v23, v22, v21 :: v_dual_sub_f32 v20, v20, v24
	v_rcp_f32_e32 v19, v23
	v_sub_f32_e32 v22, v22, v23
	s_delay_alu instid0(VALU_DEP_1) | instskip(SKIP_2) | instid1(VALU_DEP_1)
	v_add_f32_e32 v21, v21, v22
	s_waitcnt_depctr 0xfff
	v_mul_f32_e32 v25, v24, v19
	v_mul_f32_e32 v26, v23, v25
	s_delay_alu instid0(VALU_DEP_1) | instskip(NEXT) | instid1(VALU_DEP_1)
	v_fma_f32 v22, v25, v23, -v26
	v_fmac_f32_e32 v22, v25, v21
	s_delay_alu instid0(VALU_DEP_1) | instskip(NEXT) | instid1(VALU_DEP_1)
	v_add_f32_e32 v27, v26, v22
	v_sub_f32_e32 v28, v24, v27
	s_delay_alu instid0(VALU_DEP_1) | instskip(SKIP_1) | instid1(VALU_DEP_2)
	v_sub_f32_e32 v24, v24, v28
	v_dual_add_f32 v17, v17, v20 :: v_dual_sub_f32 v20, v27, v26
	v_sub_f32_e32 v24, v24, v27
	s_delay_alu instid0(VALU_DEP_1) | instskip(NEXT) | instid1(VALU_DEP_1)
	v_dual_sub_f32 v20, v20, v22 :: v_dual_add_f32 v17, v17, v24
	v_add_f32_e32 v17, v20, v17
	s_delay_alu instid0(VALU_DEP_1) | instskip(NEXT) | instid1(VALU_DEP_1)
	v_add_f32_e32 v20, v28, v17
	v_mul_f32_e32 v22, v19, v20
	s_delay_alu instid0(VALU_DEP_1) | instskip(NEXT) | instid1(VALU_DEP_1)
	v_dual_sub_f32 v27, v28, v20 :: v_dual_mul_f32 v24, v23, v22
	v_add_f32_e32 v17, v17, v27
	s_delay_alu instid0(VALU_DEP_2) | instskip(NEXT) | instid1(VALU_DEP_1)
	v_fma_f32 v23, v22, v23, -v24
	v_fmac_f32_e32 v23, v22, v21
	s_delay_alu instid0(VALU_DEP_1) | instskip(NEXT) | instid1(VALU_DEP_1)
	v_add_f32_e32 v21, v24, v23
	v_sub_f32_e32 v26, v20, v21
	s_delay_alu instid0(VALU_DEP_1) | instskip(NEXT) | instid1(VALU_DEP_1)
	v_sub_f32_e32 v20, v20, v26
	v_sub_f32_e32 v20, v20, v21
	s_delay_alu instid0(VALU_DEP_1) | instskip(SKIP_2) | instid1(VALU_DEP_1)
	v_add_f32_e32 v17, v17, v20
	v_add_f32_e32 v20, v25, v22
	v_sub_f32_e32 v24, v21, v24
	v_sub_f32_e32 v21, v24, v23
	s_delay_alu instid0(VALU_DEP_1) | instskip(NEXT) | instid1(VALU_DEP_4)
	v_add_f32_e32 v17, v21, v17
	v_sub_f32_e32 v21, v20, v25
	s_delay_alu instid0(VALU_DEP_2) | instskip(NEXT) | instid1(VALU_DEP_2)
	v_add_f32_e32 v17, v26, v17
	v_sub_f32_e32 v21, v22, v21
	s_delay_alu instid0(VALU_DEP_2) | instskip(NEXT) | instid1(VALU_DEP_1)
	v_mul_f32_e32 v17, v19, v17
	v_add_f32_e32 v17, v21, v17
	s_delay_alu instid0(VALU_DEP_1) | instskip(NEXT) | instid1(VALU_DEP_1)
	v_add_f32_e32 v19, v20, v17
	v_mul_f32_e32 v21, v19, v19
	s_delay_alu instid0(VALU_DEP_1) | instskip(SKIP_1) | instid1(VALU_DEP_2)
	v_fmaak_f32 v22, s54, v21, 0x3ecc95a3
	v_mul_f32_e32 v23, v19, v21
	v_fmaak_f32 v21, v21, v22, 0x3f2aaada
	v_ldexp_f32 v22, v19, 1
	s_delay_alu instid0(VALU_DEP_2) | instskip(SKIP_1) | instid1(VALU_DEP_2)
	v_mul_f32_e32 v21, v23, v21
	v_sub_f32_e32 v19, v19, v20
	v_dual_mul_f32 v23, 0x3f317218, v16 :: v_dual_add_f32 v20, v22, v21
	s_delay_alu instid0(VALU_DEP_2) | instskip(NEXT) | instid1(VALU_DEP_2)
	v_sub_f32_e32 v17, v17, v19
	v_sub_f32_e32 v19, v20, v22
	s_delay_alu instid0(VALU_DEP_3) | instskip(NEXT) | instid1(VALU_DEP_3)
	v_fma_f32 v22, 0x3f317218, v16, -v23
	v_ldexp_f32 v17, v17, 1
	s_delay_alu instid0(VALU_DEP_2) | instskip(NEXT) | instid1(VALU_DEP_1)
	v_dual_sub_f32 v19, v21, v19 :: v_dual_fmac_f32 v22, 0xb102e308, v16
	v_dual_add_f32 v16, v17, v19 :: v_dual_add_f32 v17, v23, v22
	s_delay_alu instid0(VALU_DEP_1) | instskip(NEXT) | instid1(VALU_DEP_1)
	v_add_f32_e32 v19, v20, v16
	v_dual_add_f32 v21, v17, v19 :: v_dual_sub_f32 v20, v19, v20
	s_delay_alu instid0(VALU_DEP_1) | instskip(NEXT) | instid1(VALU_DEP_2)
	v_sub_f32_e32 v24, v21, v17
	v_dual_sub_f32 v23, v17, v23 :: v_dual_sub_f32 v16, v16, v20
	s_delay_alu instid0(VALU_DEP_1) | instskip(SKIP_1) | instid1(VALU_DEP_2)
	v_dual_sub_f32 v25, v21, v24 :: v_dual_sub_f32 v22, v22, v23
	v_sub_f32_e32 v19, v19, v24
	v_dual_sub_f32 v17, v17, v25 :: v_dual_add_f32 v20, v22, v16
	s_delay_alu instid0(VALU_DEP_1) | instskip(NEXT) | instid1(VALU_DEP_2)
	v_add_f32_e32 v17, v19, v17
	v_sub_f32_e32 v19, v20, v22
	s_delay_alu instid0(VALU_DEP_2) | instskip(NEXT) | instid1(VALU_DEP_2)
	v_add_f32_e32 v17, v20, v17
	v_sub_f32_e32 v20, v20, v19
	s_delay_alu instid0(VALU_DEP_2) | instskip(NEXT) | instid1(VALU_DEP_1)
	v_dual_sub_f32 v16, v16, v19 :: v_dual_add_f32 v23, v21, v17
	v_dual_sub_f32 v20, v22, v20 :: v_dual_sub_f32 v19, v23, v21
	s_delay_alu instid0(VALU_DEP_1) | instskip(NEXT) | instid1(VALU_DEP_1)
	v_dual_add_f32 v16, v16, v20 :: v_dual_sub_f32 v17, v17, v19
	v_add_f32_e32 v16, v16, v17
	s_delay_alu instid0(VALU_DEP_1) | instskip(NEXT) | instid1(VALU_DEP_1)
	v_add_f32_e32 v16, v23, v16
	v_cndmask_b32_e32 v76, v16, v18, vcc_lo
.LBB83_48:                              ;   in Loop: Header=BB83_12 Depth=1
	s_or_b32 exec_lo, exec_lo, s15
	v_cvt_f32_f16_e32 v16, v3
	s_delay_alu instid0(VALU_DEP_1) | instskip(NEXT) | instid1(VALU_DEP_1)
	v_add_f32_e32 v77, s56, v16
	v_cmp_ge_f32_e32 vcc_lo, 0x41a00000, v77
	s_and_b32 s14, s66, vcc_lo
	s_delay_alu instid0(SALU_CYCLE_1)
	s_and_saveexec_b32 s15, s14
	s_cbranch_execz .LBB83_50
; %bb.49:                               ;   in Loop: Header=BB83_12 Depth=1
	v_mul_f32_e32 v16, 0x3fb8aa3b, v77
	v_cmp_ngt_f32_e32 vcc_lo, 0xc2ce8ed0, v77
	s_delay_alu instid0(VALU_DEP_2) | instskip(SKIP_1) | instid1(VALU_DEP_2)
	v_rndne_f32_e32 v17, v16
	v_fma_f32 v18, 0x3fb8aa3b, v77, -v16
	v_sub_f32_e32 v16, v16, v17
	s_delay_alu instid0(VALU_DEP_2) | instskip(SKIP_1) | instid1(VALU_DEP_2)
	v_fmac_f32_e32 v18, 0x32a5705f, v77
	v_cvt_i32_f32_e32 v17, v17
	v_add_f32_e32 v16, v16, v18
	s_delay_alu instid0(VALU_DEP_1) | instskip(SKIP_2) | instid1(VALU_DEP_1)
	v_exp_f32_e32 v16, v16
	s_waitcnt_depctr 0xfff
	v_ldexp_f32 v16, v16, v17
	v_cndmask_b32_e32 v16, 0, v16, vcc_lo
	v_cmp_nlt_f32_e32 vcc_lo, 0x42b17218, v77
	s_delay_alu instid0(VALU_DEP_2) | instskip(NEXT) | instid1(VALU_DEP_1)
	v_cndmask_b32_e32 v18, 0x7f800000, v16, vcc_lo
	v_add_f32_e32 v19, 1.0, v18
	s_delay_alu instid0(VALU_DEP_1) | instskip(NEXT) | instid1(VALU_DEP_1)
	v_cvt_f64_f32_e32 v[16:17], v19
	v_frexp_exp_i32_f64_e32 v16, v[16:17]
	v_frexp_mant_f32_e32 v17, v19
	s_delay_alu instid0(VALU_DEP_1) | instskip(SKIP_1) | instid1(VALU_DEP_1)
	v_cmp_gt_f32_e32 vcc_lo, 0x3f2aaaab, v17
	v_add_f32_e32 v17, -1.0, v19
	v_sub_f32_e32 v21, v17, v19
	v_sub_f32_e32 v17, v18, v17
	s_delay_alu instid0(VALU_DEP_2) | instskip(NEXT) | instid1(VALU_DEP_1)
	v_add_f32_e32 v21, 1.0, v21
	v_add_f32_e32 v17, v17, v21
	v_cmp_gt_f32_e64 s14, 0x33800000, v18
	v_subrev_co_ci_u32_e32 v16, vcc_lo, 0, v16, vcc_lo
	v_cmp_eq_f32_e32 vcc_lo, 0x7f800000, v18
	s_delay_alu instid0(VALU_DEP_2) | instskip(SKIP_2) | instid1(VALU_DEP_2)
	v_sub_nc_u32_e32 v20, 0, v16
	v_cvt_f32_i32_e32 v16, v16
	s_or_b32 vcc_lo, s14, vcc_lo
	v_ldexp_f32 v19, v19, v20
	v_ldexp_f32 v17, v17, v20
	s_delay_alu instid0(VALU_DEP_2) | instskip(NEXT) | instid1(VALU_DEP_1)
	v_add_f32_e32 v22, 1.0, v19
	v_dual_add_f32 v20, -1.0, v19 :: v_dual_add_f32 v21, -1.0, v22
	s_delay_alu instid0(VALU_DEP_1) | instskip(NEXT) | instid1(VALU_DEP_2)
	v_add_f32_e32 v23, 1.0, v20
	v_sub_f32_e32 v21, v19, v21
	s_delay_alu instid0(VALU_DEP_2) | instskip(NEXT) | instid1(VALU_DEP_2)
	v_sub_f32_e32 v19, v19, v23
	v_add_f32_e32 v21, v17, v21
	s_delay_alu instid0(VALU_DEP_2) | instskip(NEXT) | instid1(VALU_DEP_1)
	v_add_f32_e32 v17, v17, v19
	v_add_f32_e32 v24, v20, v17
	s_delay_alu instid0(VALU_DEP_1) | instskip(NEXT) | instid1(VALU_DEP_1)
	v_dual_add_f32 v23, v22, v21 :: v_dual_sub_f32 v20, v20, v24
	v_rcp_f32_e32 v19, v23
	v_sub_f32_e32 v22, v22, v23
	s_delay_alu instid0(VALU_DEP_1) | instskip(SKIP_2) | instid1(VALU_DEP_1)
	v_add_f32_e32 v21, v21, v22
	s_waitcnt_depctr 0xfff
	v_mul_f32_e32 v25, v24, v19
	v_mul_f32_e32 v26, v23, v25
	s_delay_alu instid0(VALU_DEP_1) | instskip(NEXT) | instid1(VALU_DEP_1)
	v_fma_f32 v22, v25, v23, -v26
	v_fmac_f32_e32 v22, v25, v21
	s_delay_alu instid0(VALU_DEP_1) | instskip(NEXT) | instid1(VALU_DEP_1)
	v_add_f32_e32 v27, v26, v22
	v_sub_f32_e32 v28, v24, v27
	s_delay_alu instid0(VALU_DEP_1) | instskip(SKIP_1) | instid1(VALU_DEP_2)
	v_sub_f32_e32 v24, v24, v28
	v_dual_add_f32 v17, v17, v20 :: v_dual_sub_f32 v20, v27, v26
	v_sub_f32_e32 v24, v24, v27
	s_delay_alu instid0(VALU_DEP_1) | instskip(NEXT) | instid1(VALU_DEP_1)
	v_dual_sub_f32 v20, v20, v22 :: v_dual_add_f32 v17, v17, v24
	v_add_f32_e32 v17, v20, v17
	s_delay_alu instid0(VALU_DEP_1) | instskip(NEXT) | instid1(VALU_DEP_1)
	v_add_f32_e32 v20, v28, v17
	v_mul_f32_e32 v22, v19, v20
	s_delay_alu instid0(VALU_DEP_1) | instskip(NEXT) | instid1(VALU_DEP_1)
	v_dual_sub_f32 v27, v28, v20 :: v_dual_mul_f32 v24, v23, v22
	v_add_f32_e32 v17, v17, v27
	s_delay_alu instid0(VALU_DEP_2) | instskip(NEXT) | instid1(VALU_DEP_1)
	v_fma_f32 v23, v22, v23, -v24
	v_fmac_f32_e32 v23, v22, v21
	s_delay_alu instid0(VALU_DEP_1) | instskip(NEXT) | instid1(VALU_DEP_1)
	v_add_f32_e32 v21, v24, v23
	v_sub_f32_e32 v26, v20, v21
	s_delay_alu instid0(VALU_DEP_1) | instskip(NEXT) | instid1(VALU_DEP_1)
	v_sub_f32_e32 v20, v20, v26
	v_sub_f32_e32 v20, v20, v21
	s_delay_alu instid0(VALU_DEP_1) | instskip(SKIP_2) | instid1(VALU_DEP_1)
	v_add_f32_e32 v17, v17, v20
	v_add_f32_e32 v20, v25, v22
	v_sub_f32_e32 v24, v21, v24
	v_sub_f32_e32 v21, v24, v23
	s_delay_alu instid0(VALU_DEP_1) | instskip(NEXT) | instid1(VALU_DEP_4)
	v_add_f32_e32 v17, v21, v17
	v_sub_f32_e32 v21, v20, v25
	s_delay_alu instid0(VALU_DEP_2) | instskip(NEXT) | instid1(VALU_DEP_2)
	v_add_f32_e32 v17, v26, v17
	v_sub_f32_e32 v21, v22, v21
	s_delay_alu instid0(VALU_DEP_2) | instskip(NEXT) | instid1(VALU_DEP_1)
	v_mul_f32_e32 v17, v19, v17
	v_add_f32_e32 v17, v21, v17
	s_delay_alu instid0(VALU_DEP_1) | instskip(NEXT) | instid1(VALU_DEP_1)
	v_add_f32_e32 v19, v20, v17
	v_mul_f32_e32 v21, v19, v19
	s_delay_alu instid0(VALU_DEP_1) | instskip(SKIP_1) | instid1(VALU_DEP_2)
	v_fmaak_f32 v22, s54, v21, 0x3ecc95a3
	v_mul_f32_e32 v23, v19, v21
	v_fmaak_f32 v21, v21, v22, 0x3f2aaada
	v_ldexp_f32 v22, v19, 1
	s_delay_alu instid0(VALU_DEP_2) | instskip(SKIP_1) | instid1(VALU_DEP_2)
	v_mul_f32_e32 v21, v23, v21
	v_sub_f32_e32 v19, v19, v20
	v_dual_mul_f32 v23, 0x3f317218, v16 :: v_dual_add_f32 v20, v22, v21
	s_delay_alu instid0(VALU_DEP_2) | instskip(NEXT) | instid1(VALU_DEP_2)
	v_sub_f32_e32 v17, v17, v19
	v_sub_f32_e32 v19, v20, v22
	s_delay_alu instid0(VALU_DEP_3) | instskip(NEXT) | instid1(VALU_DEP_3)
	v_fma_f32 v22, 0x3f317218, v16, -v23
	v_ldexp_f32 v17, v17, 1
	s_delay_alu instid0(VALU_DEP_2) | instskip(NEXT) | instid1(VALU_DEP_1)
	v_dual_sub_f32 v19, v21, v19 :: v_dual_fmac_f32 v22, 0xb102e308, v16
	v_dual_add_f32 v16, v17, v19 :: v_dual_add_f32 v17, v23, v22
	s_delay_alu instid0(VALU_DEP_1) | instskip(NEXT) | instid1(VALU_DEP_1)
	v_add_f32_e32 v19, v20, v16
	v_dual_add_f32 v21, v17, v19 :: v_dual_sub_f32 v20, v19, v20
	s_delay_alu instid0(VALU_DEP_1) | instskip(NEXT) | instid1(VALU_DEP_2)
	v_sub_f32_e32 v24, v21, v17
	v_dual_sub_f32 v23, v17, v23 :: v_dual_sub_f32 v16, v16, v20
	s_delay_alu instid0(VALU_DEP_1) | instskip(SKIP_1) | instid1(VALU_DEP_2)
	v_dual_sub_f32 v25, v21, v24 :: v_dual_sub_f32 v22, v22, v23
	v_sub_f32_e32 v19, v19, v24
	v_dual_sub_f32 v17, v17, v25 :: v_dual_add_f32 v20, v22, v16
	s_delay_alu instid0(VALU_DEP_1) | instskip(NEXT) | instid1(VALU_DEP_2)
	v_add_f32_e32 v17, v19, v17
	v_sub_f32_e32 v19, v20, v22
	s_delay_alu instid0(VALU_DEP_2) | instskip(NEXT) | instid1(VALU_DEP_2)
	v_add_f32_e32 v17, v20, v17
	v_sub_f32_e32 v20, v20, v19
	s_delay_alu instid0(VALU_DEP_2) | instskip(NEXT) | instid1(VALU_DEP_1)
	v_dual_sub_f32 v16, v16, v19 :: v_dual_add_f32 v23, v21, v17
	v_dual_sub_f32 v20, v22, v20 :: v_dual_sub_f32 v19, v23, v21
	s_delay_alu instid0(VALU_DEP_1) | instskip(NEXT) | instid1(VALU_DEP_1)
	v_dual_add_f32 v16, v16, v20 :: v_dual_sub_f32 v17, v17, v19
	v_add_f32_e32 v16, v16, v17
	s_delay_alu instid0(VALU_DEP_1) | instskip(NEXT) | instid1(VALU_DEP_1)
	v_add_f32_e32 v16, v23, v16
	v_cndmask_b32_e32 v77, v16, v18, vcc_lo
.LBB83_50:                              ;   in Loop: Header=BB83_12 Depth=1
	s_or_b32 exec_lo, exec_lo, s15
	v_lshrrev_b32_e32 v16, 16, v3
	s_delay_alu instid0(VALU_DEP_1) | instskip(NEXT) | instid1(VALU_DEP_1)
	v_cvt_f32_f16_e32 v16, v16
	v_add_f32_e32 v87, s56, v16
	s_delay_alu instid0(VALU_DEP_1) | instskip(SKIP_1) | instid1(SALU_CYCLE_1)
	v_cmp_ge_f32_e32 vcc_lo, 0x41a00000, v87
	s_and_b32 s14, s66, vcc_lo
	s_and_saveexec_b32 s15, s14
	s_cbranch_execz .LBB83_52
; %bb.51:                               ;   in Loop: Header=BB83_12 Depth=1
	v_mul_f32_e32 v16, 0x3fb8aa3b, v87
	v_cmp_ngt_f32_e32 vcc_lo, 0xc2ce8ed0, v87
	s_delay_alu instid0(VALU_DEP_2) | instskip(SKIP_1) | instid1(VALU_DEP_2)
	v_rndne_f32_e32 v17, v16
	v_fma_f32 v18, 0x3fb8aa3b, v87, -v16
	v_sub_f32_e32 v16, v16, v17
	s_delay_alu instid0(VALU_DEP_2) | instskip(SKIP_1) | instid1(VALU_DEP_2)
	v_fmac_f32_e32 v18, 0x32a5705f, v87
	v_cvt_i32_f32_e32 v17, v17
	v_add_f32_e32 v16, v16, v18
	s_delay_alu instid0(VALU_DEP_1) | instskip(SKIP_2) | instid1(VALU_DEP_1)
	v_exp_f32_e32 v16, v16
	s_waitcnt_depctr 0xfff
	v_ldexp_f32 v16, v16, v17
	v_cndmask_b32_e32 v16, 0, v16, vcc_lo
	v_cmp_nlt_f32_e32 vcc_lo, 0x42b17218, v87
	s_delay_alu instid0(VALU_DEP_2) | instskip(NEXT) | instid1(VALU_DEP_1)
	v_cndmask_b32_e32 v18, 0x7f800000, v16, vcc_lo
	v_add_f32_e32 v19, 1.0, v18
	s_delay_alu instid0(VALU_DEP_1) | instskip(NEXT) | instid1(VALU_DEP_1)
	v_cvt_f64_f32_e32 v[16:17], v19
	v_frexp_exp_i32_f64_e32 v16, v[16:17]
	v_frexp_mant_f32_e32 v17, v19
	s_delay_alu instid0(VALU_DEP_1) | instskip(SKIP_1) | instid1(VALU_DEP_1)
	v_cmp_gt_f32_e32 vcc_lo, 0x3f2aaaab, v17
	v_add_f32_e32 v17, -1.0, v19
	v_sub_f32_e32 v21, v17, v19
	v_sub_f32_e32 v17, v18, v17
	s_delay_alu instid0(VALU_DEP_2) | instskip(NEXT) | instid1(VALU_DEP_1)
	v_add_f32_e32 v21, 1.0, v21
	v_add_f32_e32 v17, v17, v21
	v_cmp_gt_f32_e64 s14, 0x33800000, v18
	v_subrev_co_ci_u32_e32 v16, vcc_lo, 0, v16, vcc_lo
	v_cmp_eq_f32_e32 vcc_lo, 0x7f800000, v18
	s_delay_alu instid0(VALU_DEP_2) | instskip(SKIP_2) | instid1(VALU_DEP_2)
	v_sub_nc_u32_e32 v20, 0, v16
	v_cvt_f32_i32_e32 v16, v16
	s_or_b32 vcc_lo, s14, vcc_lo
	v_ldexp_f32 v19, v19, v20
	v_ldexp_f32 v17, v17, v20
	s_delay_alu instid0(VALU_DEP_2) | instskip(NEXT) | instid1(VALU_DEP_1)
	v_add_f32_e32 v22, 1.0, v19
	v_dual_add_f32 v20, -1.0, v19 :: v_dual_add_f32 v21, -1.0, v22
	s_delay_alu instid0(VALU_DEP_1) | instskip(NEXT) | instid1(VALU_DEP_2)
	v_add_f32_e32 v23, 1.0, v20
	v_sub_f32_e32 v21, v19, v21
	s_delay_alu instid0(VALU_DEP_2) | instskip(NEXT) | instid1(VALU_DEP_2)
	v_sub_f32_e32 v19, v19, v23
	v_add_f32_e32 v21, v17, v21
	s_delay_alu instid0(VALU_DEP_2) | instskip(NEXT) | instid1(VALU_DEP_1)
	v_add_f32_e32 v17, v17, v19
	v_add_f32_e32 v24, v20, v17
	s_delay_alu instid0(VALU_DEP_1) | instskip(NEXT) | instid1(VALU_DEP_1)
	v_dual_add_f32 v23, v22, v21 :: v_dual_sub_f32 v20, v20, v24
	v_rcp_f32_e32 v19, v23
	v_sub_f32_e32 v22, v22, v23
	s_delay_alu instid0(VALU_DEP_1) | instskip(SKIP_2) | instid1(VALU_DEP_1)
	v_add_f32_e32 v21, v21, v22
	s_waitcnt_depctr 0xfff
	v_mul_f32_e32 v25, v24, v19
	v_mul_f32_e32 v26, v23, v25
	s_delay_alu instid0(VALU_DEP_1) | instskip(NEXT) | instid1(VALU_DEP_1)
	v_fma_f32 v22, v25, v23, -v26
	v_fmac_f32_e32 v22, v25, v21
	s_delay_alu instid0(VALU_DEP_1) | instskip(NEXT) | instid1(VALU_DEP_1)
	v_add_f32_e32 v27, v26, v22
	v_sub_f32_e32 v28, v24, v27
	s_delay_alu instid0(VALU_DEP_1) | instskip(SKIP_1) | instid1(VALU_DEP_2)
	v_sub_f32_e32 v24, v24, v28
	v_dual_add_f32 v17, v17, v20 :: v_dual_sub_f32 v20, v27, v26
	v_sub_f32_e32 v24, v24, v27
	s_delay_alu instid0(VALU_DEP_1) | instskip(NEXT) | instid1(VALU_DEP_1)
	v_dual_sub_f32 v20, v20, v22 :: v_dual_add_f32 v17, v17, v24
	v_add_f32_e32 v17, v20, v17
	s_delay_alu instid0(VALU_DEP_1) | instskip(NEXT) | instid1(VALU_DEP_1)
	v_add_f32_e32 v20, v28, v17
	v_mul_f32_e32 v22, v19, v20
	s_delay_alu instid0(VALU_DEP_1) | instskip(NEXT) | instid1(VALU_DEP_1)
	v_dual_sub_f32 v27, v28, v20 :: v_dual_mul_f32 v24, v23, v22
	v_add_f32_e32 v17, v17, v27
	s_delay_alu instid0(VALU_DEP_2) | instskip(NEXT) | instid1(VALU_DEP_1)
	v_fma_f32 v23, v22, v23, -v24
	v_fmac_f32_e32 v23, v22, v21
	s_delay_alu instid0(VALU_DEP_1) | instskip(NEXT) | instid1(VALU_DEP_1)
	v_add_f32_e32 v21, v24, v23
	v_sub_f32_e32 v26, v20, v21
	s_delay_alu instid0(VALU_DEP_1) | instskip(NEXT) | instid1(VALU_DEP_1)
	v_sub_f32_e32 v20, v20, v26
	v_sub_f32_e32 v20, v20, v21
	s_delay_alu instid0(VALU_DEP_1) | instskip(SKIP_2) | instid1(VALU_DEP_1)
	v_add_f32_e32 v17, v17, v20
	v_add_f32_e32 v20, v25, v22
	v_sub_f32_e32 v24, v21, v24
	v_sub_f32_e32 v21, v24, v23
	s_delay_alu instid0(VALU_DEP_1) | instskip(NEXT) | instid1(VALU_DEP_4)
	v_add_f32_e32 v17, v21, v17
	v_sub_f32_e32 v21, v20, v25
	s_delay_alu instid0(VALU_DEP_2) | instskip(NEXT) | instid1(VALU_DEP_2)
	v_add_f32_e32 v17, v26, v17
	v_sub_f32_e32 v21, v22, v21
	s_delay_alu instid0(VALU_DEP_2) | instskip(NEXT) | instid1(VALU_DEP_1)
	v_mul_f32_e32 v17, v19, v17
	v_add_f32_e32 v17, v21, v17
	s_delay_alu instid0(VALU_DEP_1) | instskip(NEXT) | instid1(VALU_DEP_1)
	v_add_f32_e32 v19, v20, v17
	v_mul_f32_e32 v21, v19, v19
	s_delay_alu instid0(VALU_DEP_1) | instskip(SKIP_1) | instid1(VALU_DEP_2)
	v_fmaak_f32 v22, s54, v21, 0x3ecc95a3
	v_mul_f32_e32 v23, v19, v21
	v_fmaak_f32 v21, v21, v22, 0x3f2aaada
	v_ldexp_f32 v22, v19, 1
	s_delay_alu instid0(VALU_DEP_2) | instskip(SKIP_1) | instid1(VALU_DEP_2)
	v_mul_f32_e32 v21, v23, v21
	v_sub_f32_e32 v19, v19, v20
	v_dual_mul_f32 v23, 0x3f317218, v16 :: v_dual_add_f32 v20, v22, v21
	s_delay_alu instid0(VALU_DEP_2) | instskip(NEXT) | instid1(VALU_DEP_2)
	v_sub_f32_e32 v17, v17, v19
	v_sub_f32_e32 v19, v20, v22
	s_delay_alu instid0(VALU_DEP_3) | instskip(NEXT) | instid1(VALU_DEP_3)
	v_fma_f32 v22, 0x3f317218, v16, -v23
	v_ldexp_f32 v17, v17, 1
	s_delay_alu instid0(VALU_DEP_2) | instskip(NEXT) | instid1(VALU_DEP_1)
	v_dual_sub_f32 v19, v21, v19 :: v_dual_fmac_f32 v22, 0xb102e308, v16
	v_dual_add_f32 v16, v17, v19 :: v_dual_add_f32 v17, v23, v22
	s_delay_alu instid0(VALU_DEP_1) | instskip(NEXT) | instid1(VALU_DEP_1)
	v_add_f32_e32 v19, v20, v16
	v_dual_add_f32 v21, v17, v19 :: v_dual_sub_f32 v20, v19, v20
	s_delay_alu instid0(VALU_DEP_1) | instskip(NEXT) | instid1(VALU_DEP_2)
	v_sub_f32_e32 v24, v21, v17
	v_dual_sub_f32 v23, v17, v23 :: v_dual_sub_f32 v16, v16, v20
	s_delay_alu instid0(VALU_DEP_1) | instskip(SKIP_1) | instid1(VALU_DEP_2)
	v_dual_sub_f32 v25, v21, v24 :: v_dual_sub_f32 v22, v22, v23
	v_sub_f32_e32 v19, v19, v24
	v_dual_sub_f32 v17, v17, v25 :: v_dual_add_f32 v20, v22, v16
	s_delay_alu instid0(VALU_DEP_1) | instskip(NEXT) | instid1(VALU_DEP_2)
	v_add_f32_e32 v17, v19, v17
	v_sub_f32_e32 v19, v20, v22
	s_delay_alu instid0(VALU_DEP_2) | instskip(NEXT) | instid1(VALU_DEP_2)
	v_add_f32_e32 v17, v20, v17
	v_sub_f32_e32 v20, v20, v19
	s_delay_alu instid0(VALU_DEP_2) | instskip(NEXT) | instid1(VALU_DEP_1)
	v_dual_sub_f32 v16, v16, v19 :: v_dual_add_f32 v23, v21, v17
	v_dual_sub_f32 v20, v22, v20 :: v_dual_sub_f32 v19, v23, v21
	s_delay_alu instid0(VALU_DEP_1) | instskip(NEXT) | instid1(VALU_DEP_1)
	v_dual_add_f32 v16, v16, v20 :: v_dual_sub_f32 v17, v17, v19
	v_add_f32_e32 v16, v16, v17
	s_delay_alu instid0(VALU_DEP_1) | instskip(NEXT) | instid1(VALU_DEP_1)
	v_add_f32_e32 v16, v23, v16
	v_cndmask_b32_e32 v87, v16, v18, vcc_lo
.LBB83_52:                              ;   in Loop: Header=BB83_12 Depth=1
	s_or_b32 exec_lo, exec_lo, s15
	v_lshrrev_b32_e32 v18, 16, v10
	v_lshrrev_b32_e32 v20, 16, v11
	v_lshrrev_b32_e32 v19, 16, v9
	v_lshrrev_b32_e32 v21, 16, v8
	v_lshrrev_b32_e32 v24, 16, v15
	v_lshrrev_b32_e32 v26, 16, v14
	v_lshrrev_b32_e32 v28, 16, v13
	v_lshrrev_b32_e32 v30, 16, v12
	v_cvt_f32_f16_e32 v16, v11
	v_cvt_f32_f16_e32 v17, v10
	v_cvt_f32_f16_e32 v18, v18
	v_cvt_f32_f16_e32 v19, v19
	v_cvt_f32_f16_e32 v23, v20
	v_cvt_f32_f16_e32 v20, v9
	v_cvt_f32_f16_e32 v21, v21
	v_cvt_f32_f16_e32 v22, v8
	v_cvt_f32_f16_e32 v24, v24
	v_cvt_f32_f16_e32 v25, v15
	v_cvt_f32_f16_e32 v26, v26
	v_cvt_f32_f16_e32 v27, v14
	v_cvt_f32_f16_e32 v28, v28
	v_cvt_f32_f16_e32 v29, v13
	v_cvt_f32_f16_e32 v30, v30
	v_cvt_f32_f16_e32 v31, v12
	v_dual_mul_f32 v78, s57, v16 :: v_dual_mul_f32 v79, s57, v18
	v_dual_mul_f32 v80, s57, v17 :: v_dual_mul_f32 v81, s57, v19
	;; [unrolled: 1-line block ×6, first 2 shown]
	v_mul_f32_e32 v90, s57, v27
	v_dual_mul_f32 v92, s57, v28 :: v_dual_mul_f32 v89, s57, v23
	v_mul_f32_e32 v94, s57, v30
	s_lshl_b32 s38, s71, 10
	s_and_b32 vcc_lo, exec_lo, s67
	s_barrier
	buffer_gl0_inv
	s_cbranch_vccz .LBB83_11
; %bb.53:                               ;   in Loop: Header=BB83_12 Depth=1
	v_dual_mul_f32 v95, v87, v23 :: v_dual_mul_f32 v100, v77, v16
	v_add_co_u32 v23, s14, s41, v61
	s_delay_alu instid0(VALU_DEP_1) | instskip(SKIP_1) | instid1(VALU_DEP_1)
	v_add_co_ci_u32_e64 v32, null, s61, 0, s14
	v_add_co_u32 v33, s14, s45, v61
	v_add_co_ci_u32_e64 v99, null, s62, 0, s14
	s_delay_alu instid0(VALU_DEP_4) | instskip(NEXT) | instid1(VALU_DEP_4)
	v_add_co_u32 v96, vcc_lo, v23, v62
	v_add_co_ci_u32_e32 v97, vcc_lo, 0, v32, vcc_lo
	s_delay_alu instid0(VALU_DEP_4)
	v_add_co_u32 v98, vcc_lo, v33, v62
	s_sub_i32 s25, s34, s38
	v_add_co_ci_u32_e32 v99, vcc_lo, 0, v99, vcc_lo
	v_cmp_gt_u32_e32 vcc_lo, s25, v40
	s_cmp_lg_u32 s71, 0
	v_cmp_gt_u32_e64 s16, s25, v47
	s_cselect_b32 s39, -1, 0
	s_cmp_eq_u32 s71, s69
	v_cmp_gt_u32_e64 s17, s25, v48
	s_cselect_b32 s72, -1, 0
	s_or_b32 s14, s68, vcc_lo
	v_cmp_gt_u32_e32 vcc_lo, s25, v46
	v_cmp_gt_u32_e64 s18, s25, v49
	v_cmp_gt_u32_e64 s19, s25, v50
	v_cmp_gt_u32_e64 s21, s25, v52
	v_cmp_gt_u32_e64 s22, s25, v53
	s_or_b32 s15, s68, vcc_lo
	v_cmp_gt_u32_e32 vcc_lo, s25, v51
	v_cmp_gt_u32_e64 s23, s25, v54
	v_cmp_gt_u32_e64 s24, s25, v55
	;; [unrolled: 1-line block ×4, first 2 shown]
	s_or_b32 s20, s68, vcc_lo
	v_cmp_gt_u32_e32 vcc_lo, s25, v56
	v_cmp_gt_u32_e64 s28, s25, v59
	v_cmp_gt_u32_e64 s29, s25, v60
	v_dual_mul_f32 v101, v76, v18 :: v_dual_mul_f32 v102, v75, v17
	v_dual_mul_f32 v103, v74, v19 :: v_dual_mul_f32 v104, v73, v20
	;; [unrolled: 1-line block ×7, first 2 shown]
	s_mov_b32 s52, 0
	s_or_b32 s16, s68, s16
	s_or_b32 s17, s68, s17
	;; [unrolled: 1-line block ×8, first 2 shown]
	s_or_b32 s25, s68, vcc_lo
	s_or_b32 s26, s68, s26
	s_or_b32 s27, s68, s27
	;; [unrolled: 1-line block ×4, first 2 shown]
	s_mov_b32 s42, s52
	s_mov_b32 s46, s52
	;; [unrolled: 1-line block ×5, first 2 shown]
	s_branch .LBB83_55
.LBB83_54:                              ;   in Loop: Header=BB83_55 Depth=2
	s_or_b32 exec_lo, exec_lo, s30
	v_cndmask_b32_e64 v25, v144, v27, s13
	v_cndmask_b32_e64 v26, v143, v26, s13
	s_add_i32 s73, s73, -1
	s_add_i32 s74, s74, 8
	s_add_i32 s48, s48, s50
	v_fma_f32 v25, v25, v115, v31
	v_mul_f32_e32 v26, v26, v115
	s_add_i32 s46, s46, s44
	s_add_i32 s42, s42, s40
	;; [unrolled: 1-line block ×3, first 2 shown]
	v_cndmask_b32_e64 v25, v25, v31, s12
	v_cndmask_b32_e64 v26, v26, v115, s12
	s_cmp_eq_u32 s73, 0
	s_waitcnt lgkmcnt(0)
	s_delay_alu instid0(VALU_DEP_1) | instskip(NEXT) | instid1(VALU_DEP_1)
	v_fmac_f32_e32 v25, v24, v26
	v_fmac_f32_e32 v28, v25, v117
	s_delay_alu instid0(VALU_DEP_1) | instskip(NEXT) | instid1(VALU_DEP_1)
	v_fmac_f32_e32 v29, v28, v119
	v_fmac_f32_e32 v30, v29, v121
	v_fma_mix_f32 v93, v25, v20, v93 op_sel_hi:[0,1,0]
	s_delay_alu instid0(VALU_DEP_2) | instskip(SKIP_1) | instid1(VALU_DEP_2)
	v_fmac_f32_e32 v116, v30, v123
	v_fma_mix_f32 v92, v30, v21, v92 op_sel:[0,1,0] op_sel_hi:[0,1,0]
	v_fmac_f32_e32 v118, v116, v124
	v_fma_mix_f32 v90, v116, v22, v90 op_sel_hi:[0,1,0]
	s_delay_alu instid0(VALU_DEP_2) | instskip(SKIP_1) | instid1(VALU_DEP_2)
	v_fmac_f32_e32 v120, v118, v126
	v_fma_mix_f32 v91, v29, v21, v91 op_sel_hi:[0,1,0]
	v_fmac_f32_e32 v122, v120, v129
	v_fma_mix_f32 v86, v120, v23, v86 op_sel_hi:[0,1,0]
	s_delay_alu instid0(VALU_DEP_2) | instskip(SKIP_1) | instid1(VALU_DEP_2)
	v_fmac_f32_e32 v125, v122, v130
	v_fma_mix_f32 v94, v28, v20, v94 op_sel:[0,1,0] op_sel_hi:[0,1,0]
	v_fmac_f32_e32 v127, v125, v131
	v_fma_mix_f32 v88, v118, v22, v88 op_sel:[0,1,0] op_sel_hi:[0,1,0]
	v_fma_mix_f32 v84, v125, v16, v84 op_sel_hi:[0,1,0]
	s_delay_alu instid0(VALU_DEP_3) | instskip(SKIP_1) | instid1(VALU_DEP_2)
	v_fmac_f32_e32 v128, v127, v132
	v_fma_mix_f32 v83, v127, v16, v83 op_sel:[0,1,0] op_sel_hi:[0,1,0]
	v_fmac_f32_e32 v133, v128, v139
	v_fma_mix_f32 v82, v128, v17, v82 op_sel_hi:[0,1,0]
	s_delay_alu instid0(VALU_DEP_2) | instskip(NEXT) | instid1(VALU_DEP_1)
	v_fmac_f32_e32 v134, v133, v136
	v_fmac_f32_e32 v135, v134, v138
	v_fma_mix_f32 v85, v122, v23, v85 op_sel:[0,1,0] op_sel_hi:[0,1,0]
	v_fma_mix_f32 v80, v134, v18, v80 op_sel_hi:[0,1,0]
	s_delay_alu instid0(VALU_DEP_3) | instskip(SKIP_1) | instid1(VALU_DEP_2)
	v_fmac_f32_e32 v137, v135, v141
	v_fma_mix_f32 v79, v135, v18, v79 op_sel:[0,1,0] op_sel_hi:[0,1,0]
	v_fmac_f32_e32 v140, v137, v142
	v_fma_mix_f32 v81, v133, v17, v81 op_sel:[0,1,0] op_sel_hi:[0,1,0]
	v_fma_mix_f32 v78, v137, v19, v78 op_sel_hi:[0,1,0]
	s_delay_alu instid0(VALU_DEP_3)
	v_fma_mix_f32 v89, v140, v19, v89 op_sel:[0,1,0] op_sel_hi:[0,1,0]
	s_cbranch_scc1 .LBB83_11
.LBB83_55:                              ;   Parent Loop BB83_12 Depth=1
                                        ; =>  This Inner Loop Header: Depth=2
	s_lshl_b64 s[30:31], s[52:53], 2
	s_mov_b32 s43, s53
	s_add_u32 s30, s60, s30
	s_addc_u32 s31, s51, s31
	s_lshl_b64 s[76:77], s[42:43], 1
	s_mov_b32 s47, s53
	v_add_co_u32 v20, vcc_lo, v96, s76
	v_add_co_ci_u32_e32 v21, vcc_lo, s77, v97, vcc_lo
	s_lshl_b64 s[76:77], s[46:47], 1
	s_clause 0x1
	global_load_b128 v[16:19], v[20:21], off
	global_load_b128 v[20:23], v[20:21], off offset:512
	v_add_co_u32 v24, vcc_lo, v98, s76
	v_add_co_ci_u32_e32 v25, vcc_lo, s77, v99, vcc_lo
	global_load_b32 v115, v34, s[30:31]
	s_and_not1_b32 vcc_lo, exec_lo, s39
	s_waitcnt vmcnt(2)
	ds_store_b128 v35, v[16:19]
	s_waitcnt vmcnt(1)
	ds_store_b128 v36, v[20:23] offset:512
	; wave barrier
	s_clause 0x1
	global_load_b128 v[16:19], v[24:25], off
	global_load_b128 v[20:23], v[24:25], off offset:512
	ds_load_b128 v[28:31], v37
	ds_load_b128 v[24:27], v37 offset:16
	s_waitcnt vmcnt(1)
	ds_store_b128 v35, v[16:19] offset:2112
	s_waitcnt vmcnt(0)
	ds_store_b128 v38, v[20:23] offset:512
	; wave barrier
	ds_load_b128 v[20:23], v37 offset:2112
	ds_load_b128 v[16:19], v39 offset:16
	s_cbranch_vccnz .LBB83_57
; %bb.56:                               ;   in Loop: Header=BB83_55 Depth=2
	v_mov_b32_e32 v32, s74
	ds_load_b64 v[32:33], v32
	s_cbranch_execz .LBB83_58
	s_branch .LBB83_61
.LBB83_57:                              ;   in Loop: Header=BB83_55 Depth=2
                                        ; implicit-def: $vgpr32
.LBB83_58:                              ;   in Loop: Header=BB83_55 Depth=2
	s_waitcnt lgkmcnt(0)
	v_mov_b32_e32 v33, 0
	s_and_not1_b32 vcc_lo, exec_lo, s33
	s_cbranch_vccnz .LBB83_60
; %bb.59:                               ;   in Loop: Header=BB83_55 Depth=2
	s_mov_b32 s49, s53
	s_delay_alu instid0(SALU_CYCLE_1) | instskip(NEXT) | instid1(SALU_CYCLE_1)
	s_lshl_b64 s[30:31], s[48:49], 1
	s_add_u32 s30, s63, s30
	s_addc_u32 s31, s64, s31
	global_load_u16 v32, v34, s[30:31]
	s_waitcnt vmcnt(0)
	v_cvt_f32_f16_e32 v33, v32
.LBB83_60:                              ;   in Loop: Header=BB83_55 Depth=2
	v_mov_b32_e32 v32, 1.0
.LBB83_61:                              ;   in Loop: Header=BB83_55 Depth=2
	s_waitcnt lgkmcnt(5)
	v_lshrrev_b32_e32 v116, 16, v28
	v_cvt_f32_f16_e32 v28, v28
	v_mul_f32_e32 v137, 0x3fb8aa3b, v115
	v_lshrrev_b32_e32 v115, 16, v29
	v_lshrrev_b32_e32 v117, 16, v30
	v_cvt_f32_f16_e32 v120, v30
	v_mul_f32_e32 v28, v114, v28
	s_waitcnt lgkmcnt(4)
	v_lshrrev_b32_e32 v30, 16, v24
	v_cvt_f32_f16_e32 v118, v115
	v_lshrrev_b32_e32 v115, 16, v31
	v_cvt_f32_f16_e32 v125, v31
	v_cvt_f32_f16_e32 v122, v117
	;; [unrolled: 1-line block ×3, first 2 shown]
	v_lshrrev_b32_e32 v30, 16, v25
	v_cvt_f32_f16_e32 v126, v115
	v_mul_f32_e32 v115, v137, v64
	v_mul_f32_e32 v117, v137, v65
	v_cvt_f32_f16_e32 v116, v116
	v_cvt_f32_f16_e64 v133, v30
	v_lshrrev_b32_e32 v30, 16, v26
	v_cmp_gt_f32_e64 s30, 0xc2fc0000, v115
	v_cvt_f32_f16_e32 v29, v29
	v_mul_f32_e32 v124, v137, v68
	v_cvt_f32_f16_e32 v25, v25
	v_cvt_f32_f16_e64 v135, v30
	v_cndmask_b32_e64 v115, 0, 0x42800000, s30
	v_lshrrev_b32_e32 v30, 16, v27
	s_delay_alu instid0(VALU_DEP_4) | instskip(SKIP_1) | instid1(VALU_DEP_4)
	v_dual_mul_f32 v128, v137, v70 :: v_dual_mul_f32 v25, v104, v25
	v_cvt_f32_f16_e32 v24, v24
	v_fmac_f32_e32 v115, v137, v64
	s_delay_alu instid0(VALU_DEP_4) | instskip(NEXT) | instid1(VALU_DEP_4)
	v_cvt_f32_f16_e64 v140, v30
	v_cmp_gt_f32_e64 s31, 0xc2fc0000, v128
	v_cvt_f32_f16_e32 v27, v27
	v_mul_f32_e32 v122, v109, v122
	v_exp_f32_e32 v119, v115
	v_mul_f32_e32 v31, v137, v63
	v_mul_f32_e32 v115, v137, v66
	v_cndmask_b32_e64 v128, 0, 0x42800000, s31
	v_mul_f32_e32 v131, v137, v73
	v_mul_f32_e32 v138, v137, v75
	v_cmp_gt_f32_e32 vcc_lo, 0xc2fc0000, v31
	v_mul_f32_e32 v139, v137, v76
	v_fmac_f32_e32 v128, v137, v70
	v_cvt_f32_f16_e32 v26, v26
	v_mul_f32_e32 v127, v105, v127
	v_cndmask_b32_e64 v31, 0, 0x42800000, vcc_lo
	v_cndmask_b32_e64 v30, 1.0, 0x1f800000, vcc_lo
	v_cmp_gt_f32_e32 vcc_lo, 0xc2fc0000, v117
	v_mul_f32_e32 v26, v102, v26
	v_exp_f32_e32 v128, v128
	v_fmac_f32_e32 v31, v137, v63
	v_cndmask_b32_e64 v127, 0, v127, s23
	v_cndmask_b32_e64 v117, 0, 0x42800000, vcc_lo
	v_dual_mul_f32 v29, v112, v29 :: v_dual_mul_f32 v24, v106, v24
	s_delay_alu instid0(VALU_DEP_4) | instskip(SKIP_1) | instid1(VALU_DEP_3)
	v_exp_f32_e32 v31, v31
	v_mul_f32_e32 v27, v100, v27
	v_fmac_f32_e32 v117, v137, v65
	s_delay_alu instid0(VALU_DEP_3)
	v_cndmask_b32_e64 v29, 0, v29, s16
	s_waitcnt_depctr 0xfff
	v_mul_f32_e32 v30, v31, v30
	v_cndmask_b32_e64 v31, 0, v28, s14
	v_cndmask_b32_e64 v28, 1.0, 0x1f800000, s30
	v_cmp_gt_f32_e64 s30, 0xc2fc0000, v115
	s_delay_alu instid0(VALU_DEP_4) | instskip(SKIP_1) | instid1(VALU_DEP_4)
	v_cndmask_b32_e64 v115, 1.0, v30, s14
	v_mul_f32_e32 v30, v113, v116
	v_mul_f32_e32 v116, v119, v28
	v_exp_f32_e32 v119, v117
	v_mul_f32_e32 v117, v137, v67
	v_cndmask_b32_e64 v121, 0, 0x42800000, s30
	v_cndmask_b32_e64 v28, 0, v30, s15
	v_cndmask_b32_e64 v30, 1.0, 0x1f800000, vcc_lo
	s_delay_alu instid0(VALU_DEP_4) | instskip(SKIP_3) | instid1(TRANS32_DEP_1)
	v_cmp_gt_f32_e32 vcc_lo, 0xc2fc0000, v117
	v_cndmask_b32_e64 v117, 1.0, v116, s15
	v_cndmask_b32_e64 v116, 1.0, 0x1f800000, s30
	v_cmp_gt_f32_e64 s30, 0xc2fc0000, v124
	v_mul_f32_e32 v30, v119, v30
	v_cndmask_b32_e64 v123, 0, 0x42800000, vcc_lo
	s_delay_alu instid0(VALU_DEP_3) | instskip(SKIP_1) | instid1(VALU_DEP_3)
	v_cndmask_b32_e64 v129, 1.0, 0x1f800000, s30
	v_fmac_f32_e32 v121, v137, v66
	v_fmac_f32_e32 v123, v137, v67
	v_cndmask_b32_e64 v119, 1.0, v30, s16
	v_mul_f32_e32 v30, v111, v118
	v_mul_f32_e32 v124, v137, v69
	v_exp_f32_e32 v121, v121
	v_exp_f32_e32 v118, v123
	v_cndmask_b32_e64 v123, 0, 0x42800000, s30
	v_cndmask_b32_e64 v30, 0, v30, s17
	s_delay_alu instid0(VALU_DEP_2) | instskip(SKIP_2) | instid1(VALU_DEP_1)
	v_fmac_f32_e32 v123, v137, v68
	s_waitcnt_depctr 0xfff
	v_mul_f32_e32 v116, v121, v116
	v_cndmask_b32_e64 v121, 1.0, v116, s17
	v_cndmask_b32_e64 v116, 1.0, 0x1f800000, vcc_lo
	v_cmp_gt_f32_e32 vcc_lo, 0xc2fc0000, v124
	s_delay_alu instid0(VALU_DEP_2) | instskip(SKIP_3) | instid1(VALU_DEP_3)
	v_mul_f32_e32 v118, v118, v116
	v_cndmask_b32_e64 v124, 0, 0x42800000, vcc_lo
	v_mul_f32_e32 v116, v110, v120
	v_exp_f32_e32 v120, v123
	v_cndmask_b32_e64 v123, 1.0, v118, s18
	s_delay_alu instid0(VALU_DEP_3) | instskip(SKIP_3) | instid1(VALU_DEP_4)
	v_fmac_f32_e32 v124, v137, v69
	v_cndmask_b32_e64 v118, 0, v122, s19
	v_cndmask_b32_e64 v122, 1.0, 0x1f800000, vcc_lo
	v_cndmask_b32_e64 v116, 0, v116, s18
	v_exp_f32_e32 v130, v124
	s_delay_alu instid0(TRANS32_DEP_2) | instskip(NEXT) | instid1(VALU_DEP_1)
	v_dual_mul_f32 v120, v120, v129 :: v_dual_mul_f32 v129, v137, v71
	v_cndmask_b32_e64 v124, 1.0, v120, s19
	v_mul_f32_e32 v120, v108, v125
	v_cndmask_b32_e64 v125, 1.0, 0x1f800000, s31
	s_delay_alu instid0(VALU_DEP_4)
	v_cmp_gt_f32_e32 vcc_lo, 0xc2fc0000, v129
	s_waitcnt_depctr 0xfff
	v_mul_f32_e32 v122, v130, v122
	v_mul_f32_e32 v129, v107, v126
	v_cmp_gt_f32_e64 s31, 0xc2fc0000, v131
	v_mul_f32_e32 v125, v128, v125
	v_cndmask_b32_e64 v130, 0, 0x42800000, vcc_lo
	v_mul_f32_e32 v128, v137, v72
	v_mul_f32_e32 v131, v137, v74
	v_cndmask_b32_e64 v126, 1.0, v122, s20
	v_cndmask_b32_e64 v122, 0, v129, s21
	v_fmac_f32_e32 v130, v137, v71
	v_cmp_gt_f32_e64 s30, 0xc2fc0000, v128
	v_cndmask_b32_e64 v129, 1.0, v125, s21
	v_cndmask_b32_e64 v132, 1.0, 0x1f800000, vcc_lo
	v_cmp_gt_f32_e32 vcc_lo, 0xc2fc0000, v131
	v_exp_f32_e32 v125, v130
	v_cndmask_b32_e64 v128, 0, 0x42800000, s30
	v_cndmask_b32_e64 v130, 0, 0x42800000, s31
	v_cndmask_b32_e64 v134, 1.0, 0x1f800000, s30
	v_cndmask_b32_e64 v131, 0, 0x42800000, vcc_lo
	v_cmp_gt_f32_e64 s30, 0xc2fc0000, v139
	v_fmac_f32_e32 v128, v137, v72
	v_fmac_f32_e32 v130, v137, v73
	v_cndmask_b32_e64 v120, 0, v120, s20
	v_fmac_f32_e32 v131, v137, v74
	v_mul_f32_e32 v132, v125, v132
	v_exp_f32_e32 v128, v128
	v_cndmask_b32_e64 v125, 0, v24, s22
	v_exp_f32_e32 v24, v130
	v_exp_f32_e32 v136, v131
	v_cndmask_b32_e64 v130, 1.0, v132, s22
	v_cndmask_b32_e64 v132, 1.0, 0x1f800000, s31
	s_delay_alu instid0(TRANS32_DEP_3)
	v_mul_f32_e32 v128, v128, v134
	v_cndmask_b32_e64 v134, 1.0, 0x1f800000, vcc_lo
	s_waitcnt_depctr 0xfff
	v_mul_f32_e32 v24, v24, v132
	v_cmp_gt_f32_e32 vcc_lo, 0xc2fc0000, v138
	v_fma_f32 v138, v117, v31, v28
	v_cndmask_b32_e64 v131, 1.0, v128, s23
	v_cndmask_b32_e64 v128, 0, v25, s24
	v_cndmask_b32_e64 v132, 1.0, v24, s24
	v_dual_mul_f32 v24, v136, v134 :: v_dual_mul_f32 v25, v103, v133
	v_cndmask_b32_e64 v134, 0, 0x42800000, vcc_lo
	v_mul_f32_e32 v136, v117, v115
	s_delay_alu instid0(VALU_DEP_3) | instskip(NEXT) | instid1(VALU_DEP_4)
	v_cndmask_b32_e64 v139, 1.0, v24, s25
	v_cndmask_b32_e64 v133, 0, v25, s25
	s_delay_alu instid0(VALU_DEP_4) | instskip(NEXT) | instid1(VALU_DEP_4)
	v_fmac_f32_e32 v134, v137, v75
	v_mul_f32_e32 v25, v136, v119
	v_fma_f32 v136, v138, v119, v29
	v_cndmask_b32_e64 v24, 1.0, 0x1f800000, vcc_lo
	v_cndmask_b32_e64 v138, 0, 0x42800000, s30
	v_exp_f32_e32 v134, v134
	v_mul_f32_e32 v25, v25, v121
	v_fma_f32 v136, v136, v121, v30
	s_delay_alu instid0(VALU_DEP_3) | instskip(NEXT) | instid1(VALU_DEP_3)
	v_fmac_f32_e32 v138, v137, v76
	v_mul_f32_e32 v25, v25, v123
	s_delay_alu instid0(VALU_DEP_3) | instskip(NEXT) | instid1(VALU_DEP_3)
	v_fma_f32 v136, v136, v123, v116
	v_exp_f32_e32 v138, v138
	s_delay_alu instid0(TRANS32_DEP_2) | instskip(NEXT) | instid1(VALU_DEP_3)
	v_mul_f32_e32 v24, v134, v24
	v_mul_f32_e32 v25, v25, v124
	s_delay_alu instid0(VALU_DEP_3)
	v_fma_f32 v141, v136, v124, v118
	v_cndmask_b32_e64 v134, 0, v26, s26
	v_cndmask_b32_e64 v26, 1.0, 0x1f800000, s30
	v_cndmask_b32_e64 v136, 1.0, v24, s26
	v_mul_f32_e32 v24, v25, v126
	v_fma_f32 v25, v141, v126, v120
	s_delay_alu instid0(TRANS32_DEP_1) | instid1(VALU_DEP_4)
	v_mul_f32_e32 v26, v138, v26
	s_delay_alu instid0(VALU_DEP_3) | instskip(NEXT) | instid1(VALU_DEP_3)
	v_mul_f32_e32 v24, v24, v129
	v_fma_f32 v25, v25, v129, v122
	s_delay_alu instid0(VALU_DEP_2) | instskip(NEXT) | instid1(VALU_DEP_2)
	v_mul_f32_e32 v24, v24, v130
	v_fma_f32 v25, v25, v130, v125
	s_delay_alu instid0(VALU_DEP_2) | instskip(NEXT) | instid1(VALU_DEP_2)
	;; [unrolled: 3-line block ×3, first 2 shown]
	v_dual_mul_f32 v24, v24, v132 :: v_dual_mul_f32 v141, v137, v77
	v_fma_f32 v25, v25, v132, v128
	s_delay_alu instid0(VALU_DEP_2) | instskip(NEXT) | instid1(VALU_DEP_3)
	v_mul_f32_e32 v24, v24, v139
	v_cmp_gt_f32_e32 vcc_lo, 0xc2fc0000, v141
	v_mul_f32_e32 v141, v137, v87
	s_delay_alu instid0(VALU_DEP_4) | instskip(NEXT) | instid1(VALU_DEP_4)
	v_fma_f32 v25, v25, v139, v133
	v_mul_f32_e32 v24, v24, v136
	v_cndmask_b32_e64 v138, 0, 0x42800000, vcc_lo
	s_delay_alu instid0(VALU_DEP_4) | instskip(NEXT) | instid1(VALU_DEP_4)
	v_cmp_gt_f32_e64 s30, 0xc2fc0000, v141
	v_fma_f32 v25, v25, v136, v134
	s_delay_alu instid0(VALU_DEP_3) | instskip(NEXT) | instid1(VALU_DEP_3)
	v_fmac_f32_e32 v138, v137, v77
	v_cndmask_b32_e64 v141, 0, 0x42800000, s30
	s_delay_alu instid0(VALU_DEP_2) | instskip(NEXT) | instid1(VALU_DEP_1)
	v_exp_f32_e32 v142, v138
	v_fmac_f32_e32 v141, v137, v87
	v_cndmask_b32_e64 v138, 1.0, v26, s27
	v_cndmask_b32_e64 v26, 1.0, 0x1f800000, vcc_lo
	v_mul_f32_e32 v135, v101, v135
	v_cndmask_b32_e64 v137, 0, v27, s28
	v_exp_f32_e32 v143, v141
	v_cndmask_b32_e64 v27, 1.0, 0x1f800000, s30
	v_mul_f32_e32 v24, v24, v138
	s_delay_alu instid0(TRANS32_DEP_2) | instskip(SKIP_1) | instid1(VALU_DEP_2)
	v_mul_f32_e32 v26, v142, v26
	v_cndmask_b32_e64 v135, 0, v135, s27
	v_cndmask_b32_e64 v141, 1.0, v26, s28
	v_mul_f32_e32 v26, v95, v140
	s_delay_alu instid0(TRANS32_DEP_1) | instskip(NEXT) | instid1(VALU_DEP_4)
	v_mul_f32_e32 v27, v143, v27
	v_fma_f32 v25, v25, v138, v135
	s_delay_alu instid0(VALU_DEP_4) | instskip(NEXT) | instid1(VALU_DEP_4)
	v_mul_f32_e32 v24, v24, v141
	v_cndmask_b32_e64 v140, 0, v26, s29
	s_delay_alu instid0(VALU_DEP_4) | instskip(NEXT) | instid1(VALU_DEP_4)
	v_cndmask_b32_e64 v142, 1.0, v27, s29
	v_fma_f32 v25, v25, v141, v137
	s_delay_alu instid0(VALU_DEP_2) | instskip(NEXT) | instid1(VALU_DEP_2)
	v_mul_f32_e32 v24, v24, v142
	v_fma_f32 v25, v25, v142, v140
	s_delay_alu instid0(VALU_DEP_2) | instskip(NEXT) | instid1(VALU_DEP_2)
	v_mov_b32_dpp v27, v24 row_shr:1 row_mask:0xf bank_mask:0xf
	v_mov_b32_dpp v26, v25 row_shr:1 row_mask:0xf bank_mask:0xf
	s_and_saveexec_b32 s30, s2
; %bb.62:                               ;   in Loop: Header=BB83_55 Depth=2
	s_delay_alu instid0(VALU_DEP_2) | instskip(NEXT) | instid1(VALU_DEP_1)
	v_mul_f32_e32 v27, v24, v27
	v_dual_fmac_f32 v25, v24, v26 :: v_dual_mov_b32 v24, v27
; %bb.63:                               ;   in Loop: Header=BB83_55 Depth=2
	s_or_b32 exec_lo, exec_lo, s30
	s_delay_alu instid0(VALU_DEP_1) | instskip(NEXT) | instid1(VALU_DEP_2)
	v_mov_b32_dpp v26, v24 row_shr:2 row_mask:0xf bank_mask:0xf
	v_mov_b32_dpp v27, v25 row_shr:2 row_mask:0xf bank_mask:0xf
	s_and_saveexec_b32 s30, s3
; %bb.64:                               ;   in Loop: Header=BB83_55 Depth=2
	s_delay_alu instid0(VALU_DEP_1) | instskip(NEXT) | instid1(VALU_DEP_3)
	v_fmac_f32_e32 v25, v24, v27
	v_mul_f32_e32 v24, v24, v26
; %bb.65:                               ;   in Loop: Header=BB83_55 Depth=2
	s_or_b32 exec_lo, exec_lo, s30
	s_delay_alu instid0(VALU_DEP_1) | instskip(NEXT) | instid1(VALU_DEP_3)
	v_mov_b32_dpp v26, v24 row_shr:4 row_mask:0xf bank_mask:0xf
	v_mov_b32_dpp v27, v25 row_shr:4 row_mask:0xf bank_mask:0xf
	s_and_saveexec_b32 s30, s4
; %bb.66:                               ;   in Loop: Header=BB83_55 Depth=2
	s_delay_alu instid0(VALU_DEP_1) | instskip(NEXT) | instid1(VALU_DEP_3)
	v_fmac_f32_e32 v25, v24, v27
	v_mul_f32_e32 v24, v24, v26
; %bb.67:                               ;   in Loop: Header=BB83_55 Depth=2
	s_or_b32 exec_lo, exec_lo, s30
	s_delay_alu instid0(VALU_DEP_1) | instskip(NEXT) | instid1(VALU_DEP_3)
	v_mov_b32_dpp v26, v24 row_shr:8 row_mask:0xf bank_mask:0xf
	v_mov_b32_dpp v27, v25 row_shr:8 row_mask:0xf bank_mask:0xf
	s_and_saveexec_b32 s30, s5
; %bb.68:                               ;   in Loop: Header=BB83_55 Depth=2
	s_delay_alu instid0(VALU_DEP_1) | instskip(NEXT) | instid1(VALU_DEP_3)
	v_fmac_f32_e32 v25, v24, v27
	v_mul_f32_e32 v24, v24, v26
; %bb.69:                               ;   in Loop: Header=BB83_55 Depth=2
	s_or_b32 exec_lo, exec_lo, s30
	ds_swizzle_b32 v27, v24 offset:swizzle(BROADCAST,32,15)
	ds_swizzle_b32 v26, v25 offset:swizzle(BROADCAST,32,15)
	s_and_saveexec_b32 s30, s6
	s_cbranch_execz .LBB83_71
; %bb.70:                               ;   in Loop: Header=BB83_55 Depth=2
	s_waitcnt lgkmcnt(1)
	v_mul_f32_e32 v27, v24, v27
	s_waitcnt lgkmcnt(0)
	s_delay_alu instid0(VALU_DEP_1)
	v_dual_fmac_f32 v25, v24, v26 :: v_dual_mov_b32 v24, v27
.LBB83_71:                              ;   in Loop: Header=BB83_55 Depth=2
	s_or_b32 exec_lo, exec_lo, s30
	s_and_saveexec_b32 s30, s7
	s_cbranch_execz .LBB83_73
; %bb.72:                               ;   in Loop: Header=BB83_55 Depth=2
	ds_store_b64 v41, v[24:25] offset:4224
.LBB83_73:                              ;   in Loop: Header=BB83_55 Depth=2
	s_or_b32 exec_lo, exec_lo, s30
	s_waitcnt lgkmcnt(0)
	s_waitcnt_vscnt null, 0x0
	s_barrier
	buffer_gl0_inv
	s_and_saveexec_b32 s30, s8
	s_cbranch_execz .LBB83_75
; %bb.74:                               ;   in Loop: Header=BB83_55 Depth=2
	ds_load_b64 v[26:27], v42 offset:4224
	s_waitcnt lgkmcnt(0)
	v_mov_b32_dpp v143, v26 row_shr:1 row_mask:0xf bank_mask:0xf
	v_mov_b32_dpp v144, v27 row_shr:1 row_mask:0xf bank_mask:0xf
	s_delay_alu instid0(VALU_DEP_2) | instskip(NEXT) | instid1(VALU_DEP_2)
	v_mul_f32_e32 v143, v26, v143
	v_fma_f32 v144, v26, v144, v27
	s_delay_alu instid0(VALU_DEP_2) | instskip(NEXT) | instid1(VALU_DEP_2)
	v_cndmask_b32_e64 v26, v143, v26, s9
	v_cndmask_b32_e64 v27, v144, v27, s9
	ds_store_b64 v42, v[26:27] offset:4224
.LBB83_75:                              ;   in Loop: Header=BB83_55 Depth=2
	s_or_b32 exec_lo, exec_lo, s30
	s_waitcnt lgkmcnt(0)
	s_barrier
	buffer_gl0_inv
                                        ; implicit-def: $vgpr27
	s_and_saveexec_b32 s30, s11
	s_cbranch_execz .LBB83_77
; %bb.76:                               ;   in Loop: Header=BB83_55 Depth=2
	ds_load_b64 v[26:27], v41 offset:4216
	s_waitcnt lgkmcnt(0)
	v_mul_f32_e32 v143, v24, v26
	s_delay_alu instid0(VALU_DEP_1)
	v_dual_fmac_f32 v25, v24, v27 :: v_dual_mov_b32 v24, v143
.LBB83_77:                              ;   in Loop: Header=BB83_55 Depth=2
	s_or_b32 exec_lo, exec_lo, s30
	ds_bpermute_b32 v143, v43, v24
	ds_bpermute_b32 v144, v43, v25
	s_and_saveexec_b32 s30, s10
	s_cbranch_execz .LBB83_81
; %bb.78:                               ;   in Loop: Header=BB83_55 Depth=2
	ds_load_b64 v[24:25], v34 offset:4232
	s_and_saveexec_b32 s31, s12
	s_cbranch_execz .LBB83_80
; %bb.79:                               ;   in Loop: Header=BB83_55 Depth=2
	ds_store_b64 v34, v[32:33] offset:4232
.LBB83_80:                              ;   in Loop: Header=BB83_55 Depth=2
	s_or_b32 exec_lo, exec_lo, s31
	s_waitcnt lgkmcnt(0)
	v_fmac_f32_e32 v25, v33, v24
	s_delay_alu instid0(VALU_DEP_1)
	v_dual_mul_f32 v32, v32, v24 :: v_dual_mov_b32 v33, v25
.LBB83_81:                              ;   in Loop: Header=BB83_55 Depth=2
	s_or_b32 exec_lo, exec_lo, s30
	s_waitcnt lgkmcnt(0)
	s_barrier
	buffer_gl0_inv
	ds_load_b32 v24, v34 offset:4236
	s_and_saveexec_b32 s30, s12
	s_cbranch_execz .LBB83_54
; %bb.82:                               ;   in Loop: Header=BB83_55 Depth=2
	v_mov_b32_e32 v25, s74
	s_and_not1_b32 vcc_lo, exec_lo, s72
	ds_store_b64 v25, v[32:33]
	s_cbranch_vccnz .LBB83_54
; %bb.83:                               ;   in Loop: Header=BB83_55 Depth=2
	s_mov_b32 s49, s53
	v_cvt_f16_f32_e32 v25, v33
	s_lshl_b64 s[76:77], s[48:49], 1
	s_delay_alu instid0(SALU_CYCLE_1)
	s_add_u32 s76, s63, s76
	s_addc_u32 s77, s64, s77
	global_store_b16 v34, v25, s[76:77]
	s_branch .LBB83_54
.LBB83_84:
	s_nop 0
	s_sendmsg sendmsg(MSG_DEALLOC_VGPRS)
	s_endpgm
	.section	.rodata,"a",@progbits
	.p2align	6, 0x0
	.amdhsa_kernel _Z25selective_scan_fwd_kernelI32Selective_Scan_fwd_kernel_traitsILi64ELi16ELi1ELb1ELb1ELb1ELb0ELb0EN3c104HalfEfS2_EEv13SSMParamsBase
		.amdhsa_group_segment_fixed_size 0
		.amdhsa_private_segment_fixed_size 0
		.amdhsa_kernarg_size 248
		.amdhsa_user_sgpr_count 14
		.amdhsa_user_sgpr_dispatch_ptr 0
		.amdhsa_user_sgpr_queue_ptr 0
		.amdhsa_user_sgpr_kernarg_segment_ptr 1
		.amdhsa_user_sgpr_dispatch_id 0
		.amdhsa_user_sgpr_private_segment_size 0
		.amdhsa_wavefront_size32 1
		.amdhsa_uses_dynamic_stack 0
		.amdhsa_enable_private_segment 0
		.amdhsa_system_sgpr_workgroup_id_x 1
		.amdhsa_system_sgpr_workgroup_id_y 1
		.amdhsa_system_sgpr_workgroup_id_z 0
		.amdhsa_system_sgpr_workgroup_info 0
		.amdhsa_system_vgpr_workitem_id 0
		.amdhsa_next_free_vgpr 145
		.amdhsa_next_free_sgpr 78
		.amdhsa_reserve_vcc 1
		.amdhsa_float_round_mode_32 0
		.amdhsa_float_round_mode_16_64 0
		.amdhsa_float_denorm_mode_32 3
		.amdhsa_float_denorm_mode_16_64 3
		.amdhsa_dx10_clamp 1
		.amdhsa_ieee_mode 1
		.amdhsa_fp16_overflow 0
		.amdhsa_workgroup_processor_mode 1
		.amdhsa_memory_ordered 1
		.amdhsa_forward_progress 0
		.amdhsa_shared_vgpr_count 0
		.amdhsa_exception_fp_ieee_invalid_op 0
		.amdhsa_exception_fp_denorm_src 0
		.amdhsa_exception_fp_ieee_div_zero 0
		.amdhsa_exception_fp_ieee_overflow 0
		.amdhsa_exception_fp_ieee_underflow 0
		.amdhsa_exception_fp_ieee_inexact 0
		.amdhsa_exception_int_div_zero 0
	.end_amdhsa_kernel
	.section	.text._Z25selective_scan_fwd_kernelI32Selective_Scan_fwd_kernel_traitsILi64ELi16ELi1ELb1ELb1ELb1ELb0ELb0EN3c104HalfEfS2_EEv13SSMParamsBase,"axG",@progbits,_Z25selective_scan_fwd_kernelI32Selective_Scan_fwd_kernel_traitsILi64ELi16ELi1ELb1ELb1ELb1ELb0ELb0EN3c104HalfEfS2_EEv13SSMParamsBase,comdat
.Lfunc_end83:
	.size	_Z25selective_scan_fwd_kernelI32Selective_Scan_fwd_kernel_traitsILi64ELi16ELi1ELb1ELb1ELb1ELb0ELb0EN3c104HalfEfS2_EEv13SSMParamsBase, .Lfunc_end83-_Z25selective_scan_fwd_kernelI32Selective_Scan_fwd_kernel_traitsILi64ELi16ELi1ELb1ELb1ELb1ELb0ELb0EN3c104HalfEfS2_EEv13SSMParamsBase
                                        ; -- End function
	.section	.AMDGPU.csdata,"",@progbits
; Kernel info:
; codeLenInByte = 17728
; NumSgprs: 80
; NumVgprs: 145
; ScratchSize: 0
; MemoryBound: 1
; FloatMode: 240
; IeeeMode: 1
; LDSByteSize: 0 bytes/workgroup (compile time only)
; SGPRBlocks: 9
; VGPRBlocks: 18
; NumSGPRsForWavesPerEU: 80
; NumVGPRsForWavesPerEU: 145
; Occupancy: 9
; WaveLimiterHint : 1
; COMPUTE_PGM_RSRC2:SCRATCH_EN: 0
; COMPUTE_PGM_RSRC2:USER_SGPR: 14
; COMPUTE_PGM_RSRC2:TRAP_HANDLER: 0
; COMPUTE_PGM_RSRC2:TGID_X_EN: 1
; COMPUTE_PGM_RSRC2:TGID_Y_EN: 1
; COMPUTE_PGM_RSRC2:TGID_Z_EN: 0
; COMPUTE_PGM_RSRC2:TIDIG_COMP_CNT: 0
	.section	.text._Z25selective_scan_fwd_kernelI32Selective_Scan_fwd_kernel_traitsILi64ELi16ELi1ELb0ELb1ELb1ELb1ELb1EN3c104HalfEfS2_EEv13SSMParamsBase,"axG",@progbits,_Z25selective_scan_fwd_kernelI32Selective_Scan_fwd_kernel_traitsILi64ELi16ELi1ELb0ELb1ELb1ELb1ELb1EN3c104HalfEfS2_EEv13SSMParamsBase,comdat
	.protected	_Z25selective_scan_fwd_kernelI32Selective_Scan_fwd_kernel_traitsILi64ELi16ELi1ELb0ELb1ELb1ELb1ELb1EN3c104HalfEfS2_EEv13SSMParamsBase ; -- Begin function _Z25selective_scan_fwd_kernelI32Selective_Scan_fwd_kernel_traitsILi64ELi16ELi1ELb0ELb1ELb1ELb1ELb1EN3c104HalfEfS2_EEv13SSMParamsBase
	.globl	_Z25selective_scan_fwd_kernelI32Selective_Scan_fwd_kernel_traitsILi64ELi16ELi1ELb0ELb1ELb1ELb1ELb1EN3c104HalfEfS2_EEv13SSMParamsBase
	.p2align	8
	.type	_Z25selective_scan_fwd_kernelI32Selective_Scan_fwd_kernel_traitsILi64ELi16ELi1ELb0ELb1ELb1ELb1ELb1EN3c104HalfEfS2_EEv13SSMParamsBase,@function
_Z25selective_scan_fwd_kernelI32Selective_Scan_fwd_kernel_traitsILi64ELi16ELi1ELb0ELb1ELb1ELb1ELb1EN3c104HalfEfS2_EEv13SSMParamsBase: ; @_Z25selective_scan_fwd_kernelI32Selective_Scan_fwd_kernel_traitsILi64ELi16ELi1ELb0ELb1ELb1ELb1ELb1EN3c104HalfEfS2_EEv13SSMParamsBase
; %bb.0:
	s_clause 0x2
	s_load_b32 s11, s[0:1], 0x18
	s_load_b256 s[36:43], s[0:1], 0xc8
	s_load_b128 s[4:7], s[0:1], 0xe8
	s_mov_b32 s12, s15
	s_ashr_i32 s15, s14, 31
	s_mov_b32 s47, 0
	s_lshl_b64 s[8:9], s[14:15], 2
	s_waitcnt lgkmcnt(0)
	s_abs_i32 s10, s11
	s_add_u32 s2, s42, s8
	v_cvt_f32_u32_e32 v1, s10
	s_addc_u32 s3, s43, s9
	s_cmp_eq_u64 s[6:7], 0
	s_delay_alu instid0(VALU_DEP_1) | instskip(SKIP_2) | instid1(VALU_DEP_1)
	v_rcp_iflag_f32_e32 v1, v1
	s_waitcnt_depctr 0xfff
	v_mul_f32_e32 v1, 0x4f7ffffe, v1
	v_cvt_u32_f32_e32 v1, v1
	s_delay_alu instid0(VALU_DEP_1)
	v_readfirstlane_b32 s33, v1
	s_cbranch_scc1 .LBB84_2
; %bb.1:
	v_mov_b32_e32 v1, 0
	s_add_u32 s6, s6, s14
	s_addc_u32 s7, s7, s15
	global_load_u8 v1, v1, s[6:7]
	s_waitcnt vmcnt(0)
	v_and_b32_e32 v1, 1, v1
	s_delay_alu instid0(VALU_DEP_1)
	v_cmp_eq_u32_e64 s47, 1, v1
.LBB84_2:
	s_load_b64 s[6:7], s[0:1], 0x20
	s_cmp_eq_u64 s[4:5], 0
	s_cbranch_scc1 .LBB84_4
; %bb.3:
	s_add_u32 s4, s4, s8
	s_addc_u32 s5, s5, s9
	s_load_b32 s14, s[4:5], 0x0
	s_waitcnt lgkmcnt(0)
	s_ashr_i32 s15, s14, 31
.LBB84_4:
	s_waitcnt lgkmcnt(0)
	s_cmp_eq_u64 s[6:7], s[14:15]
	s_cbranch_scc1 .LBB84_300
; %bb.5:
	s_load_b512 s[16:31], s[0:1], 0x88
	s_load_b64 s[34:35], s[2:3], 0x0
	s_mov_b32 s66, 0
	s_mov_b32 s67, 0
	s_waitcnt lgkmcnt(0)
	s_cmp_eq_u64 s[22:23], 0
	s_cbranch_scc1 .LBB84_7
; %bb.6:
	s_ashr_i32 s13, s12, 31
	s_delay_alu instid0(SALU_CYCLE_1) | instskip(NEXT) | instid1(SALU_CYCLE_1)
	s_lshl_b64 s[2:3], s[12:13], 2
	s_add_u32 s2, s22, s2
	s_addc_u32 s3, s23, s3
	s_load_b32 s67, s[2:3], 0x0
.LBB84_7:
	s_cmp_eq_u64 s[28:29], 0
	s_cbranch_scc1 .LBB84_9
; %bb.8:
	s_ashr_i32 s13, s12, 31
	s_delay_alu instid0(SALU_CYCLE_1) | instskip(NEXT) | instid1(SALU_CYCLE_1)
	s_lshl_b64 s[2:3], s[12:13], 2
	s_add_u32 s2, s28, s2
	s_addc_u32 s3, s29, s3
	s_load_b32 s66, s[2:3], 0x0
.LBB84_9:
	s_sub_i32 s68, s35, s34
	s_delay_alu instid0(SALU_CYCLE_1)
	s_cmp_lt_i32 s68, 1
	s_cbranch_scc1 .LBB84_300
; %bb.10:
	s_sub_i32 s2, 0, s10
	s_load_b256 s[48:55], s[0:1], 0x4c
	s_mul_i32 s2, s2, s33
	s_abs_i32 s3, s12
	s_mul_hi_u32 s2, s33, s2
	s_ashr_i32 s5, s11, 31
	s_add_i32 s33, s33, s2
	s_ashr_i32 s2, s12, 31
	s_mul_hi_u32 s4, s3, s33
	s_xor_b32 s5, s2, s5
	s_mul_i32 s6, s4, s10
	s_load_b256 s[56:63], s[0:1], 0x2c
	s_sub_i32 s2, s3, s6
	s_add_i32 s3, s4, 1
	s_sub_i32 s6, s2, s10
	s_cmp_ge_u32 s2, s10
	s_mov_b32 s65, 0
	s_cselect_b32 s3, s3, s4
	s_cselect_b32 s2, s6, s2
	s_add_i32 s4, s3, 1
	s_cmp_ge_u32 s2, s10
	s_waitcnt lgkmcnt(0)
	s_mul_i32 s64, s34, s50
	s_cselect_b32 s4, s4, s3
	s_lshl_b64 s[2:3], s[64:65], 1
	s_xor_b32 s4, s4, s5
	s_mul_i32 s64, s51, s12
	s_sub_i32 s6, s4, s5
	s_add_u32 s4, s24, s2
	s_addc_u32 s5, s25, s3
	s_lshl_b64 s[2:3], s[64:65], 1
	s_mul_i32 s64, s34, s52
	s_add_u32 s63, s4, s2
	s_addc_u32 s69, s5, s3
	s_lshl_b64 s[2:3], s[64:65], 1
	s_mul_i32 s64, s53, s12
	;; [unrolled: 4-line block ×3, first 2 shown]
	s_add_u32 s70, s4, s2
	s_addc_u32 s56, s5, s3
	s_load_b64 s[4:5], s[0:1], 0x7c
	v_dual_mov_b32 v21, 0 :: v_dual_lshlrev_b32 v18, 4, v0
	s_lshl_b64 s[2:3], s[64:65], 2
	s_mul_i32 s64, s34, s58
	s_add_u32 s71, s16, s2
	v_mbcnt_lo_u32_b32 v19, -1, 0
	v_and_b32_e32 v1, 0x200, v18
	s_addc_u32 s72, s17, s3
	s_lshl_b64 s[2:3], s[64:65], 1
	s_mul_i32 s64, s6, s61
	s_add_u32 s7, s18, s2
	s_addc_u32 s8, s19, s3
	s_clause 0x3
	s_load_b128 s[16:19], s[0:1], 0x6c
	s_load_b32 s74, s[0:1], 0x84
	s_load_b32 s77, s[0:1], 0xc
	;; [unrolled: 1-line block ×3, first 2 shown]
	v_or_b32_e32 v20, v19, v1
	s_lshl_b64 s[2:3], s[64:65], 1
	s_mul_i32 s64, s34, s62
	s_add_u32 s61, s7, s2
	s_addc_u32 s62, s8, s3
	s_lshl_b64 s[2:3], s[64:65], 1
	s_mul_i32 s64, s6, s49
	v_or_b32_e32 v24, 0x60, v20
	v_and_b32_e32 v14, 32, v0
	s_add_u32 s7, s20, s2
	s_addc_u32 s6, s21, s3
	s_lshl_b64 s[2:3], s[64:65], 1
	s_waitcnt lgkmcnt(0)
	s_mul_i32 s64, s14, s4
	s_add_u32 s49, s7, s2
	s_addc_u32 s73, s6, s3
	s_lshl_b64 s[2:3], s[64:65], 1
	v_or_b32_e32 v26, 0xa0, v20
	v_or_b32_e32 v28, 0xe0, v20
	;; [unrolled: 1-line block ×5, first 2 shown]
	v_lshrrev_b32_e32 v2, 5, v24
	v_or_b32_e32 v36, 0x1e0, v20
	v_or_b32_e32 v16, v19, v14
	s_mul_i32 s64, s5, s12
	s_add_u32 s4, s36, s2
	s_addc_u32 s5, s37, s3
	s_lshl_b64 s[2:3], s[64:65], 1
	v_or_b32_e32 v23, 64, v20
	s_add_u32 s75, s4, s2
	v_or_b32_e32 v25, 0x80, v20
	v_or_b32_e32 v27, 0xc0, v20
	;; [unrolled: 1-line block ×6, first 2 shown]
	v_and_b32_e32 v2, 18, v2
	v_lshrrev_b32_e32 v5, 5, v26
	v_lshrrev_b32_e32 v8, 5, v28
	;; [unrolled: 1-line block ×6, first 2 shown]
	v_lshrrev_b16 v50, 1, v16
	s_addc_u32 s76, s5, s3
	s_add_i32 s2, s68, 0x7ff
	v_lshrrev_b32_e32 v3, 5, v1
	s_lshr_b32 s78, s2, 11
	s_bitcmp1_b32 s0, 0
	v_lshrrev_b32_e32 v4, 5, v23
	v_lshrrev_b32_e32 v6, 5, v25
	v_add_lshl_u32 v2, v2, v20, 1
	v_and_b32_e32 v5, 20, v5
	v_lshrrev_b32_e32 v7, 5, v27
	v_and_b32_e32 v8, 22, v8
	v_lshrrev_b32_e32 v10, 5, v29
	;; [unrolled: 2-line block ×5, first 2 shown]
	v_and_b32_e32 v51, 30, v49
	v_lshlrev_b32_e32 v16, 4, v16
	v_and_b32_e32 v52, 30, v50
	s_cselect_b32 s79, -1, 0
	s_cmp_gt_i32 s77, 0
	v_add_lshl_u32 v3, v3, v20, 1
	s_cselect_b32 s80, -1, 0
	s_add_i32 s0, 0, 0x840
	v_add_lshl_u32 v4, v4, v20, 1
	v_add_lshl_u32 v6, v6, v20, 1
	v_add_nc_u32_e32 v39, 0, v2
	v_add_lshl_u32 v5, v5, v20, 1
	v_add_lshl_u32 v7, v7, v20, 1
	;; [unrolled: 1-line block ×12, first 2 shown]
	v_add_nc_u32_e32 v55, s0, v2
	v_and_b32_e32 v2, 15, v19
	s_and_b32 s1, s68, 0x3ff
	v_add_nc_u32_e32 v51, 0, v67
	v_add_nc_u32_e32 v53, s0, v3
	;; [unrolled: 1-line block ×15, first 2 shown]
	s_cmp_eq_u32 s1, 0
	v_add_nc_u32_e32 v68, s0, v16
	v_cmp_ne_u32_e64 s0, 0, v2
	v_cmp_lt_u32_e64 s1, 1, v2
	v_cmp_lt_u32_e64 s2, 3, v2
	;; [unrolled: 1-line block ×3, first 2 shown]
	v_add_nc_u32_e32 v2, -1, v19
	v_add_nc_u32_e32 v37, 0, v3
	v_lshrrev_b32_e32 v3, 2, v0
	s_mul_i32 s64, s34, s16
	v_add_nc_u32_e32 v41, 0, v5
	v_or_b32_e32 v5, 31, v14
	v_cmp_gt_i32_e32 vcc_lo, 0, v2
	s_cselect_b32 s81, -1, 0
	s_lshl_b64 s[14:15], s[64:65], 1
	v_and_b32_e32 v3, 8, v3
	s_add_i32 s82, s78, -1
	v_cndmask_b32_e32 v2, v2, v19, vcc_lo
	s_mul_i32 s64, s17, s12
	s_add_u32 s13, s30, s14
	s_addc_u32 s16, s31, s15
	s_lshl_b64 s[14:15], s[64:65], 1
	v_cmp_eq_u32_e64 s5, v5, v0
	v_cmp_gt_u32_e64 s6, 2, v0
	v_lshl_add_u32 v70, v0, 3, 0
	v_cmp_gt_u32_e64 s8, 32, v0
	v_cmp_lt_u32_e64 s9, 31, v0
	v_cmp_eq_u32_e64 s10, 0, v0
	s_mul_i32 s64, s34, s54
	v_lshlrev_b32_e32 v0, 1, v19
	s_add_u32 s13, s13, s14
	v_add_nc_u32_e32 v69, 0, v3
	v_and_b32_e32 v3, 1, v19
	s_addc_u32 s16, s16, s15
	s_lshl_b64 s[14:15], s[64:65], 1
	v_add_nc_u32_e32 v38, 0, v4
	v_and_b32_e32 v4, 16, v19
	s_mul_i32 s64, s55, s12
	s_add_u32 s17, s38, s14
	v_lshlrev_b32_e32 v71, 2, v2
	s_addc_u32 s20, s39, s15
	s_lshl_b64 s[14:15], s[64:65], 1
	v_add_co_u32 v2, s13, s13, v0
	s_mul_i32 s64, s34, s18
	v_cmp_eq_u32_e64 s7, 0, v3
	v_add_co_ci_u32_e64 v3, null, s16, 0, s13
	s_add_u32 s16, s17, s14
	v_cmp_ne_u32_e64 s4, 0, v4
	s_addc_u32 s17, s20, s15
	s_lshl_b64 s[14:15], s[64:65], 1
	v_lshlrev_b32_e32 v4, 1, v1
	s_mul_i32 s64, s19, s12
	s_add_u32 s14, s40, s14
	s_addc_u32 s15, s41, s15
	s_lshl_b64 s[12:13], s[64:65], 1
	v_add_co_u32 v72, vcc_lo, v2, v4
	s_add_u32 s12, s14, s12
	v_add_co_u32 v2, s14, s16, v0
	v_add_co_ci_u32_e32 v73, vcc_lo, 0, v3, vcc_lo
	v_add_co_ci_u32_e64 v3, null, s17, 0, s14
	s_addc_u32 s13, s15, s13
	v_add_co_u32 v0, s12, s12, v0
	s_delay_alu instid0(VALU_DEP_1) | instskip(SKIP_2) | instid1(VALU_DEP_4)
	v_add_co_ci_u32_e64 v5, null, s13, 0, s12
	v_add_co_u32 v74, vcc_lo, v2, v4
	v_add_co_ci_u32_e32 v75, vcc_lo, 0, v3, vcc_lo
	v_add_co_u32 v76, vcc_lo, v0, v4
	v_or_b32_e32 v22, 32, v20
	v_add_nc_u32_e32 v40, 0, v6
	v_add_nc_u32_e32 v42, 0, v7
	;; [unrolled: 1-line block ×11, first 2 shown]
	v_cmp_eq_u32_e64 s11, 0, v19
	v_add_co_ci_u32_e32 v77, vcc_lo, 0, v5, vcc_lo
	v_or_b32_e32 v78, 1, v18
	v_or_b32_e32 v79, 2, v18
	;; [unrolled: 1-line block ×15, first 2 shown]
	v_lshlrev_b32_e32 v93, 1, v1
	s_mov_b32 s83, 0x3e9b6dac
	s_add_i32 s84, 0, 0x1090
	s_mov_b32 s85, 0xbfb8aa3b
	s_mov_b32 s86, 0xb2a5705f
	;; [unrolled: 1-line block ×3, first 2 shown]
	s_branch .LBB84_12
.LBB84_11:                              ;   in Loop: Header=BB84_12 Depth=1
	s_or_b32 exec_lo, exec_lo, s12
	s_add_u32 s70, s70, 0x800
	s_addc_u32 s56, s56, 0
	s_add_u32 s63, s63, 0x800
	s_addc_u32 s69, s69, 0
	;; [unrolled: 2-line block ×4, first 2 shown]
	s_add_i32 s87, s87, 1
	s_delay_alu instid0(SALU_CYCLE_1)
	s_cmp_lg_u32 s87, s78
	s_cbranch_scc0 .LBB84_300
.LBB84_12:                              ; =>This Loop Header: Depth=1
                                        ;     Child Loop BB84_109 Depth 2
	s_waitcnt lgkmcnt(14)
	v_lshlrev_b32_e32 v16, 1, v19
	s_lshl_b32 s50, s87, 10
	s_waitcnt lgkmcnt(0)
	v_mov_b32_e32 v2, 0
	s_sub_i32 s40, s68, s50
	v_add_co_u32 v0, s12, s63, v16
	s_delay_alu instid0(VALU_DEP_1) | instskip(SKIP_1) | instid1(VALU_DEP_3)
	v_add_co_ci_u32_e64 v1, null, s69, 0, s12
	v_cmp_gt_u32_e64 s12, s40, v20
	v_add_co_u32 v0, vcc_lo, v0, v93
	s_delay_alu instid0(VALU_DEP_3)
	v_add_co_ci_u32_e32 v1, vcc_lo, 0, v1, vcc_lo
	s_waitcnt_vscnt null, 0x0
	s_barrier
	buffer_gl0_inv
	s_and_saveexec_b32 s13, s12
	s_cbranch_execz .LBB84_14
; %bb.13:                               ;   in Loop: Header=BB84_12 Depth=1
	global_load_u16 v2, v[0:1], off
.LBB84_14:                              ;   in Loop: Header=BB84_12 Depth=1
	s_or_b32 exec_lo, exec_lo, s13
	v_cmp_gt_u32_e64 s13, s40, v22
	v_dual_mov_b32 v3, 0 :: v_dual_mov_b32 v4, 0
	s_delay_alu instid0(VALU_DEP_2)
	s_and_saveexec_b32 s14, s13
	s_cbranch_execz .LBB84_16
; %bb.15:                               ;   in Loop: Header=BB84_12 Depth=1
	global_load_u16 v4, v[0:1], off offset:64
.LBB84_16:                              ;   in Loop: Header=BB84_12 Depth=1
	s_or_b32 exec_lo, exec_lo, s14
	v_cmp_gt_u32_e64 s14, s40, v23
	s_delay_alu instid0(VALU_DEP_1)
	s_and_saveexec_b32 s15, s14
	s_cbranch_execz .LBB84_18
; %bb.17:                               ;   in Loop: Header=BB84_12 Depth=1
	global_load_u16 v3, v[0:1], off offset:128
.LBB84_18:                              ;   in Loop: Header=BB84_12 Depth=1
	s_or_b32 exec_lo, exec_lo, s15
	v_cmp_gt_u32_e64 s15, s40, v24
	v_dual_mov_b32 v5, 0 :: v_dual_mov_b32 v6, 0
	s_delay_alu instid0(VALU_DEP_2)
	s_and_saveexec_b32 s16, s15
	s_cbranch_execz .LBB84_20
; %bb.19:                               ;   in Loop: Header=BB84_12 Depth=1
	global_load_u16 v6, v[0:1], off offset:192
.LBB84_20:                              ;   in Loop: Header=BB84_12 Depth=1
	s_or_b32 exec_lo, exec_lo, s16
	v_cmp_gt_u32_e64 s16, s40, v25
	s_delay_alu instid0(VALU_DEP_1)
	s_and_saveexec_b32 s17, s16
	s_cbranch_execz .LBB84_22
; %bb.21:                               ;   in Loop: Header=BB84_12 Depth=1
	global_load_u16 v5, v[0:1], off offset:256
.LBB84_22:                              ;   in Loop: Header=BB84_12 Depth=1
	;; [unrolled: 17-line block ×3, first 2 shown]
	s_or_b32 exec_lo, exec_lo, s19
	v_cmp_gt_u32_e64 s19, s40, v28
	v_mov_b32_e32 v9, 0
	v_mov_b32_e32 v11, 0
	s_delay_alu instid0(VALU_DEP_3)
	s_and_saveexec_b32 s20, s19
	s_cbranch_execz .LBB84_28
; %bb.27:                               ;   in Loop: Header=BB84_12 Depth=1
	global_load_u16 v11, v[0:1], off offset:448
.LBB84_28:                              ;   in Loop: Header=BB84_12 Depth=1
	s_or_b32 exec_lo, exec_lo, s20
	v_cmp_gt_u32_e64 s20, s40, v29
	s_delay_alu instid0(VALU_DEP_1)
	s_and_saveexec_b32 s21, s20
	s_cbranch_execz .LBB84_30
; %bb.29:                               ;   in Loop: Header=BB84_12 Depth=1
	global_load_u16 v9, v[0:1], off offset:512
.LBB84_30:                              ;   in Loop: Header=BB84_12 Depth=1
	s_or_b32 exec_lo, exec_lo, s21
	v_cmp_gt_u32_e64 s21, s40, v30
	v_dual_mov_b32 v12, 0 :: v_dual_mov_b32 v13, 0
	s_delay_alu instid0(VALU_DEP_2)
	s_and_saveexec_b32 s22, s21
	s_cbranch_execz .LBB84_32
; %bb.31:                               ;   in Loop: Header=BB84_12 Depth=1
	global_load_u16 v13, v[0:1], off offset:576
.LBB84_32:                              ;   in Loop: Header=BB84_12 Depth=1
	s_or_b32 exec_lo, exec_lo, s22
	v_cmp_gt_u32_e64 s22, s40, v31
	s_delay_alu instid0(VALU_DEP_1)
	s_and_saveexec_b32 s23, s22
	s_cbranch_execz .LBB84_34
; %bb.33:                               ;   in Loop: Header=BB84_12 Depth=1
	global_load_u16 v12, v[0:1], off offset:640
.LBB84_34:                              ;   in Loop: Header=BB84_12 Depth=1
	s_or_b32 exec_lo, exec_lo, s23
	v_cmp_gt_u32_e64 s23, s40, v32
	v_dual_mov_b32 v14, 0 :: v_dual_mov_b32 v15, 0
	s_delay_alu instid0(VALU_DEP_2)
	s_and_saveexec_b32 s24, s23
	s_cbranch_execz .LBB84_36
; %bb.35:                               ;   in Loop: Header=BB84_12 Depth=1
	global_load_u16 v15, v[0:1], off offset:704
.LBB84_36:                              ;   in Loop: Header=BB84_12 Depth=1
	s_or_b32 exec_lo, exec_lo, s24
	v_cmp_gt_u32_e64 s24, s40, v33
	s_delay_alu instid0(VALU_DEP_1)
	s_and_saveexec_b32 s25, s24
	s_cbranch_execz .LBB84_38
; %bb.37:                               ;   in Loop: Header=BB84_12 Depth=1
	global_load_u16 v14, v[0:1], off offset:768
.LBB84_38:                              ;   in Loop: Header=BB84_12 Depth=1
	s_or_b32 exec_lo, exec_lo, s25
	v_cmp_gt_u32_e64 s25, s40, v34
	v_dual_mov_b32 v17, 0 :: v_dual_mov_b32 v94, 0
	s_delay_alu instid0(VALU_DEP_2)
	s_and_saveexec_b32 s26, s25
	s_cbranch_execz .LBB84_40
; %bb.39:                               ;   in Loop: Header=BB84_12 Depth=1
	global_load_u16 v94, v[0:1], off offset:832
.LBB84_40:                              ;   in Loop: Header=BB84_12 Depth=1
	s_or_b32 exec_lo, exec_lo, s26
	v_cmp_gt_u32_e64 s26, s40, v35
	s_delay_alu instid0(VALU_DEP_1)
	s_and_saveexec_b32 s27, s26
	s_cbranch_execz .LBB84_42
; %bb.41:                               ;   in Loop: Header=BB84_12 Depth=1
	global_load_u16 v17, v[0:1], off offset:896
.LBB84_42:                              ;   in Loop: Header=BB84_12 Depth=1
	s_or_b32 exec_lo, exec_lo, s27
	v_cmp_gt_u32_e64 s27, s40, v36
	v_dual_mov_b32 v10, 0 :: v_dual_mov_b32 v95, 0
	s_delay_alu instid0(VALU_DEP_2)
	s_and_saveexec_b32 s28, s27
	s_cbranch_execz .LBB84_44
; %bb.43:                               ;   in Loop: Header=BB84_12 Depth=1
	global_load_u16 v95, v[0:1], off offset:960
.LBB84_44:                              ;   in Loop: Header=BB84_12 Depth=1
	s_or_b32 exec_lo, exec_lo, s28
	s_waitcnt vmcnt(0)
	ds_store_b16 v37, v2
	ds_store_b16 v37, v4 offset:64
	ds_store_b16 v38, v3 offset:128
	;; [unrolled: 1-line block ×15, first 2 shown]
	; wave barrier
	ds_load_b128 v[0:3], v52
	ds_load_b128 v[4:7], v52 offset:16
	v_add_co_u32 v8, s28, s70, v16
	s_delay_alu instid0(VALU_DEP_1) | instskip(SKIP_1) | instid1(VALU_DEP_2)
	v_add_co_ci_u32_e64 v9, null, s56, 0, s28
	s_waitcnt lgkmcnt(0)
	v_add_co_u32 v8, vcc_lo, v8, v93
	s_delay_alu instid0(VALU_DEP_2)
	v_add_co_ci_u32_e32 v9, vcc_lo, 0, v9, vcc_lo
	s_barrier
	buffer_gl0_inv
	s_and_saveexec_b32 s28, s12
	s_cbranch_execz .LBB84_46
; %bb.45:                               ;   in Loop: Header=BB84_12 Depth=1
	global_load_u16 v10, v[8:9], off
.LBB84_46:                              ;   in Loop: Header=BB84_12 Depth=1
	s_or_b32 exec_lo, exec_lo, s28
	v_dual_mov_b32 v11, 0 :: v_dual_mov_b32 v12, 0
	s_and_saveexec_b32 s28, s13
	s_cbranch_execz .LBB84_48
; %bb.47:                               ;   in Loop: Header=BB84_12 Depth=1
	global_load_u16 v12, v[8:9], off offset:64
.LBB84_48:                              ;   in Loop: Header=BB84_12 Depth=1
	s_or_b32 exec_lo, exec_lo, s28
	s_and_saveexec_b32 s28, s14
	s_cbranch_execz .LBB84_50
; %bb.49:                               ;   in Loop: Header=BB84_12 Depth=1
	global_load_u16 v11, v[8:9], off offset:128
.LBB84_50:                              ;   in Loop: Header=BB84_12 Depth=1
	s_or_b32 exec_lo, exec_lo, s28
	v_dual_mov_b32 v13, 0 :: v_dual_mov_b32 v14, 0
	s_and_saveexec_b32 s28, s15
	s_cbranch_execz .LBB84_52
; %bb.51:                               ;   in Loop: Header=BB84_12 Depth=1
	global_load_u16 v14, v[8:9], off offset:192
.LBB84_52:                              ;   in Loop: Header=BB84_12 Depth=1
	s_or_b32 exec_lo, exec_lo, s28
	s_and_saveexec_b32 s28, s16
	s_cbranch_execz .LBB84_54
; %bb.53:                               ;   in Loop: Header=BB84_12 Depth=1
	global_load_u16 v13, v[8:9], off offset:256
.LBB84_54:                              ;   in Loop: Header=BB84_12 Depth=1
	s_or_b32 exec_lo, exec_lo, s28
	v_mov_b32_e32 v15, 0
	v_mov_b32_e32 v17, 0
	s_and_saveexec_b32 s28, s17
	s_cbranch_execz .LBB84_56
; %bb.55:                               ;   in Loop: Header=BB84_12 Depth=1
	global_load_u16 v17, v[8:9], off offset:320
.LBB84_56:                              ;   in Loop: Header=BB84_12 Depth=1
	s_or_b32 exec_lo, exec_lo, s28
	s_and_saveexec_b32 s28, s18
	s_cbranch_execz .LBB84_58
; %bb.57:                               ;   in Loop: Header=BB84_12 Depth=1
	global_load_u16 v15, v[8:9], off offset:384
.LBB84_58:                              ;   in Loop: Header=BB84_12 Depth=1
	s_or_b32 exec_lo, exec_lo, s28
	v_dual_mov_b32 v94, 0 :: v_dual_mov_b32 v95, 0
	s_and_saveexec_b32 s28, s19
	s_cbranch_execz .LBB84_60
; %bb.59:                               ;   in Loop: Header=BB84_12 Depth=1
	global_load_u16 v95, v[8:9], off offset:448
.LBB84_60:                              ;   in Loop: Header=BB84_12 Depth=1
	s_or_b32 exec_lo, exec_lo, s28
	s_and_saveexec_b32 s28, s20
	s_cbranch_execz .LBB84_62
; %bb.61:                               ;   in Loop: Header=BB84_12 Depth=1
	global_load_u16 v94, v[8:9], off offset:512
.LBB84_62:                              ;   in Loop: Header=BB84_12 Depth=1
	s_or_b32 exec_lo, exec_lo, s28
	v_dual_mov_b32 v96, 0 :: v_dual_mov_b32 v97, 0
	;; [unrolled: 13-line block ×4, first 2 shown]
	s_and_saveexec_b32 s28, s25
	s_cbranch_execnz .LBB84_267
; %bb.71:                               ;   in Loop: Header=BB84_12 Depth=1
	s_or_b32 exec_lo, exec_lo, s28
	s_and_saveexec_b32 s28, s26
	s_cbranch_execnz .LBB84_268
.LBB84_72:                              ;   in Loop: Header=BB84_12 Depth=1
	s_or_b32 exec_lo, exec_lo, s28
	v_mov_b32_e32 v102, 0
	s_and_saveexec_b32 s28, s27
	s_cbranch_execz .LBB84_74
.LBB84_73:                              ;   in Loop: Header=BB84_12 Depth=1
	global_load_u16 v102, v[8:9], off offset:960
.LBB84_74:                              ;   in Loop: Header=BB84_12 Depth=1
	s_or_b32 exec_lo, exec_lo, s28
	s_waitcnt vmcnt(0)
	ds_store_b16 v37, v10
	ds_store_b16 v37, v12 offset:64
	ds_store_b16 v38, v11 offset:128
	;; [unrolled: 1-line block ×15, first 2 shown]
	; wave barrier
	ds_load_b128 v[12:15], v52
	ds_load_b128 v[8:11], v52 offset:16
	s_waitcnt lgkmcnt(1)
	v_cvt_f32_f16_e32 v17, v12
	s_delay_alu instid0(VALU_DEP_1) | instskip(NEXT) | instid1(VALU_DEP_1)
	v_add_f32_e32 v94, s66, v17
	v_cmp_ge_f32_e32 vcc_lo, 0x41a00000, v94
	s_and_b32 s28, s79, vcc_lo
	s_delay_alu instid0(SALU_CYCLE_1)
	s_and_saveexec_b32 s29, s28
	s_cbranch_execz .LBB84_76
; %bb.75:                               ;   in Loop: Header=BB84_12 Depth=1
	v_mul_f32_e32 v17, 0x3fb8aa3b, v94
	v_cmp_ngt_f32_e32 vcc_lo, 0xc2ce8ed0, v94
	s_delay_alu instid0(VALU_DEP_2) | instskip(SKIP_1) | instid1(VALU_DEP_1)
	v_rndne_f32_e32 v95, v17
	v_fma_f32 v96, 0x3fb8aa3b, v94, -v17
	v_dual_sub_f32 v17, v17, v95 :: v_dual_fmac_f32 v96, 0x32a5705f, v94
	v_cvt_i32_f32_e32 v95, v95
	s_delay_alu instid0(VALU_DEP_2) | instskip(NEXT) | instid1(VALU_DEP_1)
	v_add_f32_e32 v17, v17, v96
	v_exp_f32_e32 v17, v17
	s_waitcnt_depctr 0xfff
	v_ldexp_f32 v17, v17, v95
	s_delay_alu instid0(VALU_DEP_1) | instskip(SKIP_1) | instid1(VALU_DEP_2)
	v_cndmask_b32_e32 v17, 0, v17, vcc_lo
	v_cmp_nlt_f32_e32 vcc_lo, 0x42b17218, v94
	v_cndmask_b32_e32 v17, 0x7f800000, v17, vcc_lo
	s_delay_alu instid0(VALU_DEP_1) | instskip(NEXT) | instid1(VALU_DEP_1)
	v_add_f32_e32 v96, 1.0, v17
	v_cvt_f64_f32_e32 v[94:95], v96
	s_delay_alu instid0(VALU_DEP_1) | instskip(SKIP_1) | instid1(VALU_DEP_1)
	v_frexp_exp_i32_f64_e32 v94, v[94:95]
	v_frexp_mant_f32_e32 v95, v96
	v_cmp_gt_f32_e32 vcc_lo, 0x3f2aaaab, v95
	v_add_f32_e32 v95, -1.0, v96
	s_delay_alu instid0(VALU_DEP_1) | instskip(NEXT) | instid1(VALU_DEP_1)
	v_dual_sub_f32 v98, v95, v96 :: v_dual_sub_f32 v95, v17, v95
	v_add_f32_e32 v98, 1.0, v98
	v_subrev_co_ci_u32_e32 v94, vcc_lo, 0, v94, vcc_lo
	s_delay_alu instid0(VALU_DEP_1) | instskip(SKIP_1) | instid1(VALU_DEP_2)
	v_sub_nc_u32_e32 v97, 0, v94
	v_cvt_f32_i32_e32 v94, v94
	v_ldexp_f32 v96, v96, v97
	v_add_f32_e32 v95, v95, v98
	s_delay_alu instid0(VALU_DEP_1) | instskip(NEXT) | instid1(VALU_DEP_3)
	v_ldexp_f32 v95, v95, v97
	v_add_f32_e32 v99, 1.0, v96
	s_delay_alu instid0(VALU_DEP_1) | instskip(NEXT) | instid1(VALU_DEP_1)
	v_add_f32_e32 v98, -1.0, v99
	v_sub_f32_e32 v98, v96, v98
	v_cmp_eq_f32_e32 vcc_lo, 0x7f800000, v17
	v_cmp_gt_f32_e64 s28, 0x33800000, v17
	s_delay_alu instid0(VALU_DEP_3) | instskip(NEXT) | instid1(VALU_DEP_2)
	v_dual_add_f32 v98, v95, v98 :: v_dual_add_f32 v97, -1.0, v96
	s_or_b32 vcc_lo, s28, vcc_lo
	s_delay_alu instid0(VALU_DEP_1) | instskip(NEXT) | instid1(VALU_DEP_1)
	v_add_f32_e32 v100, 1.0, v97
	v_sub_f32_e32 v96, v96, v100
	s_delay_alu instid0(VALU_DEP_3) | instskip(NEXT) | instid1(VALU_DEP_1)
	v_add_f32_e32 v100, v99, v98
	v_sub_f32_e32 v99, v99, v100
	s_delay_alu instid0(VALU_DEP_3) | instskip(SKIP_1) | instid1(VALU_DEP_2)
	v_add_f32_e32 v95, v95, v96
	v_rcp_f32_e32 v96, v100
	v_add_f32_e32 v98, v98, v99
	s_delay_alu instid0(VALU_DEP_2) | instskip(NEXT) | instid1(VALU_DEP_1)
	v_add_f32_e32 v101, v97, v95
	v_sub_f32_e32 v97, v97, v101
	s_waitcnt_depctr 0xfff
	v_dual_mul_f32 v102, v101, v96 :: v_dual_add_f32 v95, v95, v97
	s_delay_alu instid0(VALU_DEP_1) | instskip(NEXT) | instid1(VALU_DEP_1)
	v_mul_f32_e32 v103, v100, v102
	v_fma_f32 v99, v102, v100, -v103
	s_delay_alu instid0(VALU_DEP_1) | instskip(NEXT) | instid1(VALU_DEP_1)
	v_fmac_f32_e32 v99, v102, v98
	v_add_f32_e32 v104, v103, v99
	s_delay_alu instid0(VALU_DEP_1) | instskip(NEXT) | instid1(VALU_DEP_1)
	v_sub_f32_e32 v105, v101, v104
	v_sub_f32_e32 v101, v101, v105
	;; [unrolled: 1-line block ×3, first 2 shown]
	s_delay_alu instid0(VALU_DEP_2) | instskip(NEXT) | instid1(VALU_DEP_2)
	v_sub_f32_e32 v101, v101, v104
	v_sub_f32_e32 v97, v97, v99
	s_delay_alu instid0(VALU_DEP_2) | instskip(NEXT) | instid1(VALU_DEP_1)
	v_add_f32_e32 v95, v95, v101
	v_add_f32_e32 v95, v97, v95
	s_delay_alu instid0(VALU_DEP_1) | instskip(NEXT) | instid1(VALU_DEP_1)
	v_add_f32_e32 v97, v105, v95
	v_mul_f32_e32 v99, v96, v97
	s_delay_alu instid0(VALU_DEP_1) | instskip(NEXT) | instid1(VALU_DEP_1)
	v_dual_sub_f32 v104, v105, v97 :: v_dual_mul_f32 v101, v100, v99
	v_add_f32_e32 v95, v95, v104
	s_delay_alu instid0(VALU_DEP_2) | instskip(NEXT) | instid1(VALU_DEP_1)
	v_fma_f32 v100, v99, v100, -v101
	v_fmac_f32_e32 v100, v99, v98
	s_delay_alu instid0(VALU_DEP_1) | instskip(NEXT) | instid1(VALU_DEP_1)
	v_add_f32_e32 v98, v101, v100
	v_sub_f32_e32 v103, v97, v98
	v_sub_f32_e32 v101, v98, v101
	s_delay_alu instid0(VALU_DEP_2) | instskip(NEXT) | instid1(VALU_DEP_1)
	v_sub_f32_e32 v97, v97, v103
	v_sub_f32_e32 v97, v97, v98
	s_delay_alu instid0(VALU_DEP_1) | instskip(SKIP_1) | instid1(VALU_DEP_1)
	v_dual_sub_f32 v98, v101, v100 :: v_dual_add_f32 v95, v95, v97
	v_add_f32_e32 v97, v102, v99
	v_dual_add_f32 v95, v98, v95 :: v_dual_sub_f32 v98, v97, v102
	s_delay_alu instid0(VALU_DEP_1) | instskip(NEXT) | instid1(VALU_DEP_1)
	v_add_f32_e32 v95, v103, v95
	v_dual_sub_f32 v98, v99, v98 :: v_dual_mul_f32 v95, v96, v95
	s_delay_alu instid0(VALU_DEP_1) | instskip(NEXT) | instid1(VALU_DEP_1)
	v_add_f32_e32 v95, v98, v95
	v_add_f32_e32 v96, v97, v95
	s_delay_alu instid0(VALU_DEP_1) | instskip(NEXT) | instid1(VALU_DEP_1)
	v_mul_f32_e32 v98, v96, v96
	v_fmaak_f32 v99, s83, v98, 0x3ecc95a3
	v_mul_f32_e32 v100, v96, v98
	s_delay_alu instid0(VALU_DEP_2) | instskip(SKIP_2) | instid1(VALU_DEP_3)
	v_fmaak_f32 v98, v98, v99, 0x3f2aaada
	v_ldexp_f32 v99, v96, 1
	v_sub_f32_e32 v96, v96, v97
	v_mul_f32_e32 v98, v100, v98
	s_delay_alu instid0(VALU_DEP_2) | instskip(NEXT) | instid1(VALU_DEP_2)
	v_dual_mul_f32 v100, 0x3f317218, v94 :: v_dual_sub_f32 v95, v95, v96
	v_add_f32_e32 v97, v99, v98
	s_delay_alu instid0(VALU_DEP_2) | instskip(NEXT) | instid1(VALU_DEP_2)
	v_ldexp_f32 v95, v95, 1
	v_sub_f32_e32 v96, v97, v99
	s_delay_alu instid0(VALU_DEP_4) | instskip(NEXT) | instid1(VALU_DEP_1)
	v_fma_f32 v99, 0x3f317218, v94, -v100
	v_dual_sub_f32 v96, v98, v96 :: v_dual_fmac_f32 v99, 0xb102e308, v94
	s_delay_alu instid0(VALU_DEP_1) | instskip(NEXT) | instid1(VALU_DEP_1)
	v_dual_add_f32 v94, v95, v96 :: v_dual_add_f32 v95, v100, v99
	v_add_f32_e32 v96, v97, v94
	s_delay_alu instid0(VALU_DEP_2) | instskip(NEXT) | instid1(VALU_DEP_2)
	v_sub_f32_e32 v100, v95, v100
	v_dual_add_f32 v98, v95, v96 :: v_dual_sub_f32 v97, v96, v97
	s_delay_alu instid0(VALU_DEP_2) | instskip(NEXT) | instid1(VALU_DEP_2)
	v_sub_f32_e32 v99, v99, v100
	v_sub_f32_e32 v101, v98, v95
	s_delay_alu instid0(VALU_DEP_3) | instskip(NEXT) | instid1(VALU_DEP_2)
	v_sub_f32_e32 v94, v94, v97
	v_sub_f32_e32 v102, v98, v101
	s_delay_alu instid0(VALU_DEP_2) | instskip(NEXT) | instid1(VALU_DEP_2)
	v_dual_sub_f32 v96, v96, v101 :: v_dual_add_f32 v97, v99, v94
	v_sub_f32_e32 v95, v95, v102
	s_delay_alu instid0(VALU_DEP_1) | instskip(NEXT) | instid1(VALU_DEP_3)
	v_add_f32_e32 v95, v96, v95
	v_sub_f32_e32 v96, v97, v99
	s_delay_alu instid0(VALU_DEP_2) | instskip(NEXT) | instid1(VALU_DEP_2)
	v_add_f32_e32 v95, v97, v95
	v_sub_f32_e32 v97, v97, v96
	v_sub_f32_e32 v94, v94, v96
	s_delay_alu instid0(VALU_DEP_2) | instskip(NEXT) | instid1(VALU_DEP_1)
	v_dual_add_f32 v100, v98, v95 :: v_dual_sub_f32 v97, v99, v97
	v_sub_f32_e32 v96, v100, v98
	s_delay_alu instid0(VALU_DEP_1) | instskip(NEXT) | instid1(VALU_DEP_1)
	v_dual_add_f32 v94, v94, v97 :: v_dual_sub_f32 v95, v95, v96
	v_add_f32_e32 v94, v94, v95
	s_delay_alu instid0(VALU_DEP_1) | instskip(NEXT) | instid1(VALU_DEP_1)
	v_add_f32_e32 v94, v100, v94
	v_cndmask_b32_e32 v94, v94, v17, vcc_lo
.LBB84_76:                              ;   in Loop: Header=BB84_12 Depth=1
	s_or_b32 exec_lo, exec_lo, s29
	v_lshrrev_b32_e32 v12, 16, v12
	s_delay_alu instid0(VALU_DEP_1) | instskip(NEXT) | instid1(VALU_DEP_1)
	v_cvt_f32_f16_e32 v12, v12
	v_add_f32_e32 v95, s66, v12
	s_delay_alu instid0(VALU_DEP_1) | instskip(SKIP_1) | instid1(SALU_CYCLE_1)
	v_cmp_ge_f32_e32 vcc_lo, 0x41a00000, v95
	s_and_b32 s28, s79, vcc_lo
	s_and_saveexec_b32 s29, s28
	s_cbranch_execz .LBB84_78
; %bb.77:                               ;   in Loop: Header=BB84_12 Depth=1
	v_mul_f32_e32 v12, 0x3fb8aa3b, v95
	v_cmp_ngt_f32_e32 vcc_lo, 0xc2ce8ed0, v95
	s_delay_alu instid0(VALU_DEP_2) | instskip(SKIP_1) | instid1(VALU_DEP_2)
	v_rndne_f32_e32 v17, v12
	v_fma_f32 v96, 0x3fb8aa3b, v95, -v12
	v_sub_f32_e32 v12, v12, v17
	s_delay_alu instid0(VALU_DEP_2) | instskip(SKIP_1) | instid1(VALU_DEP_2)
	v_fmac_f32_e32 v96, 0x32a5705f, v95
	v_cvt_i32_f32_e32 v17, v17
	v_add_f32_e32 v12, v12, v96
	s_delay_alu instid0(VALU_DEP_1) | instskip(SKIP_2) | instid1(VALU_DEP_1)
	v_exp_f32_e32 v12, v12
	s_waitcnt_depctr 0xfff
	v_ldexp_f32 v12, v12, v17
	v_cndmask_b32_e32 v12, 0, v12, vcc_lo
	v_cmp_nlt_f32_e32 vcc_lo, 0x42b17218, v95
	s_delay_alu instid0(VALU_DEP_2) | instskip(NEXT) | instid1(VALU_DEP_1)
	v_cndmask_b32_e32 v12, 0x7f800000, v12, vcc_lo
	v_add_f32_e32 v17, 1.0, v12
	s_delay_alu instid0(VALU_DEP_1) | instskip(NEXT) | instid1(VALU_DEP_1)
	v_cvt_f64_f32_e32 v[95:96], v17
	v_frexp_exp_i32_f64_e32 v95, v[95:96]
	v_frexp_mant_f32_e32 v96, v17
	s_delay_alu instid0(VALU_DEP_1) | instskip(SKIP_1) | instid1(VALU_DEP_1)
	v_cmp_gt_f32_e32 vcc_lo, 0x3f2aaaab, v96
	v_add_f32_e32 v96, -1.0, v17
	v_sub_f32_e32 v98, v96, v17
	v_sub_f32_e32 v96, v12, v96
	s_delay_alu instid0(VALU_DEP_2) | instskip(NEXT) | instid1(VALU_DEP_1)
	v_add_f32_e32 v98, 1.0, v98
	v_add_f32_e32 v96, v96, v98
	v_subrev_co_ci_u32_e32 v95, vcc_lo, 0, v95, vcc_lo
	s_delay_alu instid0(VALU_DEP_1) | instskip(SKIP_1) | instid1(VALU_DEP_2)
	v_sub_nc_u32_e32 v97, 0, v95
	v_cvt_f32_i32_e32 v95, v95
	v_ldexp_f32 v17, v17, v97
	v_ldexp_f32 v96, v96, v97
	s_delay_alu instid0(VALU_DEP_2) | instskip(NEXT) | instid1(VALU_DEP_1)
	v_add_f32_e32 v99, 1.0, v17
	v_dual_add_f32 v97, -1.0, v17 :: v_dual_add_f32 v98, -1.0, v99
	s_delay_alu instid0(VALU_DEP_1) | instskip(NEXT) | instid1(VALU_DEP_2)
	v_add_f32_e32 v100, 1.0, v97
	v_sub_f32_e32 v98, v17, v98
	s_delay_alu instid0(VALU_DEP_2) | instskip(NEXT) | instid1(VALU_DEP_1)
	v_sub_f32_e32 v17, v17, v100
	v_add_f32_e32 v17, v96, v17
	s_delay_alu instid0(VALU_DEP_1) | instskip(SKIP_2) | instid1(VALU_DEP_3)
	v_add_f32_e32 v101, v97, v17
	v_cmp_eq_f32_e32 vcc_lo, 0x7f800000, v12
	v_cmp_gt_f32_e64 s28, 0x33800000, v12
	v_dual_sub_f32 v97, v97, v101 :: v_dual_add_f32 v98, v96, v98
	s_delay_alu instid0(VALU_DEP_2) | instskip(NEXT) | instid1(VALU_DEP_1)
	s_or_b32 vcc_lo, s28, vcc_lo
	v_dual_add_f32 v17, v17, v97 :: v_dual_add_f32 v100, v99, v98
	s_delay_alu instid0(VALU_DEP_1) | instskip(SKIP_1) | instid1(VALU_DEP_1)
	v_rcp_f32_e32 v96, v100
	v_sub_f32_e32 v99, v99, v100
	v_add_f32_e32 v98, v98, v99
	s_waitcnt_depctr 0xfff
	v_mul_f32_e32 v102, v101, v96
	s_delay_alu instid0(VALU_DEP_1) | instskip(NEXT) | instid1(VALU_DEP_1)
	v_mul_f32_e32 v103, v100, v102
	v_fma_f32 v99, v102, v100, -v103
	s_delay_alu instid0(VALU_DEP_1) | instskip(NEXT) | instid1(VALU_DEP_1)
	v_fmac_f32_e32 v99, v102, v98
	v_add_f32_e32 v104, v103, v99
	s_delay_alu instid0(VALU_DEP_1) | instskip(SKIP_1) | instid1(VALU_DEP_2)
	v_sub_f32_e32 v105, v101, v104
	v_sub_f32_e32 v97, v104, v103
	v_sub_f32_e32 v101, v101, v105
	s_delay_alu instid0(VALU_DEP_2) | instskip(NEXT) | instid1(VALU_DEP_2)
	v_sub_f32_e32 v97, v97, v99
	v_sub_f32_e32 v101, v101, v104
	s_delay_alu instid0(VALU_DEP_1) | instskip(NEXT) | instid1(VALU_DEP_1)
	v_add_f32_e32 v17, v17, v101
	v_add_f32_e32 v17, v97, v17
	s_delay_alu instid0(VALU_DEP_1) | instskip(NEXT) | instid1(VALU_DEP_1)
	v_add_f32_e32 v97, v105, v17
	v_mul_f32_e32 v99, v96, v97
	s_delay_alu instid0(VALU_DEP_1) | instskip(NEXT) | instid1(VALU_DEP_1)
	v_mul_f32_e32 v101, v100, v99
	v_fma_f32 v100, v99, v100, -v101
	s_delay_alu instid0(VALU_DEP_1) | instskip(SKIP_1) | instid1(VALU_DEP_2)
	v_fmac_f32_e32 v100, v99, v98
	v_sub_f32_e32 v104, v105, v97
	v_add_f32_e32 v98, v101, v100
	s_delay_alu instid0(VALU_DEP_2) | instskip(NEXT) | instid1(VALU_DEP_2)
	v_add_f32_e32 v17, v17, v104
	v_sub_f32_e32 v103, v97, v98
	s_delay_alu instid0(VALU_DEP_1) | instskip(NEXT) | instid1(VALU_DEP_1)
	v_sub_f32_e32 v97, v97, v103
	v_sub_f32_e32 v97, v97, v98
	s_delay_alu instid0(VALU_DEP_1) | instskip(SKIP_2) | instid1(VALU_DEP_1)
	v_add_f32_e32 v17, v17, v97
	v_add_f32_e32 v97, v102, v99
	v_sub_f32_e32 v101, v98, v101
	v_sub_f32_e32 v98, v101, v100
	s_delay_alu instid0(VALU_DEP_1) | instskip(NEXT) | instid1(VALU_DEP_1)
	v_dual_add_f32 v17, v98, v17 :: v_dual_sub_f32 v98, v97, v102
	v_add_f32_e32 v17, v103, v17
	s_delay_alu instid0(VALU_DEP_1) | instskip(NEXT) | instid1(VALU_DEP_1)
	v_dual_sub_f32 v98, v99, v98 :: v_dual_mul_f32 v17, v96, v17
	v_add_f32_e32 v17, v98, v17
	s_delay_alu instid0(VALU_DEP_1) | instskip(NEXT) | instid1(VALU_DEP_1)
	v_add_f32_e32 v96, v97, v17
	v_mul_f32_e32 v98, v96, v96
	s_delay_alu instid0(VALU_DEP_1) | instskip(SKIP_1) | instid1(VALU_DEP_2)
	v_fmaak_f32 v99, s83, v98, 0x3ecc95a3
	v_mul_f32_e32 v100, v96, v98
	v_fmaak_f32 v98, v98, v99, 0x3f2aaada
	v_ldexp_f32 v99, v96, 1
	s_delay_alu instid0(VALU_DEP_2) | instskip(SKIP_1) | instid1(VALU_DEP_2)
	v_mul_f32_e32 v98, v100, v98
	v_sub_f32_e32 v96, v96, v97
	v_dual_mul_f32 v100, 0x3f317218, v95 :: v_dual_add_f32 v97, v99, v98
	s_delay_alu instid0(VALU_DEP_2) | instskip(NEXT) | instid1(VALU_DEP_2)
	v_sub_f32_e32 v17, v17, v96
	v_sub_f32_e32 v96, v97, v99
	s_delay_alu instid0(VALU_DEP_3) | instskip(NEXT) | instid1(VALU_DEP_3)
	v_fma_f32 v99, 0x3f317218, v95, -v100
	v_ldexp_f32 v17, v17, 1
	s_delay_alu instid0(VALU_DEP_2) | instskip(NEXT) | instid1(VALU_DEP_1)
	v_dual_sub_f32 v96, v98, v96 :: v_dual_fmac_f32 v99, 0xb102e308, v95
	v_add_f32_e32 v17, v17, v96
	s_delay_alu instid0(VALU_DEP_1) | instskip(NEXT) | instid1(VALU_DEP_1)
	v_dual_add_f32 v95, v100, v99 :: v_dual_add_f32 v96, v97, v17
	v_sub_f32_e32 v100, v95, v100
	s_delay_alu instid0(VALU_DEP_2) | instskip(NEXT) | instid1(VALU_DEP_2)
	v_dual_add_f32 v98, v95, v96 :: v_dual_sub_f32 v97, v96, v97
	v_sub_f32_e32 v99, v99, v100
	s_delay_alu instid0(VALU_DEP_2) | instskip(NEXT) | instid1(VALU_DEP_1)
	v_sub_f32_e32 v101, v98, v95
	v_sub_f32_e32 v102, v98, v101
	;; [unrolled: 1-line block ×4, first 2 shown]
	s_delay_alu instid0(VALU_DEP_1) | instskip(NEXT) | instid1(VALU_DEP_4)
	v_add_f32_e32 v97, v99, v17
	v_sub_f32_e32 v95, v95, v102
	s_delay_alu instid0(VALU_DEP_1) | instskip(NEXT) | instid1(VALU_DEP_3)
	v_add_f32_e32 v95, v96, v95
	v_sub_f32_e32 v96, v97, v99
	s_delay_alu instid0(VALU_DEP_2) | instskip(NEXT) | instid1(VALU_DEP_2)
	v_add_f32_e32 v95, v97, v95
	v_sub_f32_e32 v97, v97, v96
	s_delay_alu instid0(VALU_DEP_2) | instskip(NEXT) | instid1(VALU_DEP_1)
	v_dual_sub_f32 v17, v17, v96 :: v_dual_add_f32 v100, v98, v95
	v_dual_sub_f32 v96, v100, v98 :: v_dual_sub_f32 v97, v99, v97
	s_delay_alu instid0(VALU_DEP_1) | instskip(NEXT) | instid1(VALU_DEP_2)
	v_sub_f32_e32 v95, v95, v96
	v_add_f32_e32 v17, v17, v97
	s_delay_alu instid0(VALU_DEP_1) | instskip(NEXT) | instid1(VALU_DEP_1)
	v_add_f32_e32 v17, v17, v95
	v_add_f32_e32 v17, v100, v17
	s_delay_alu instid0(VALU_DEP_1)
	v_cndmask_b32_e32 v95, v17, v12, vcc_lo
.LBB84_78:                              ;   in Loop: Header=BB84_12 Depth=1
	s_or_b32 exec_lo, exec_lo, s29
	v_cvt_f32_f16_e32 v12, v13
	s_delay_alu instid0(VALU_DEP_1) | instskip(NEXT) | instid1(VALU_DEP_1)
	v_add_f32_e32 v96, s66, v12
	v_cmp_ge_f32_e32 vcc_lo, 0x41a00000, v96
	s_and_b32 s28, s79, vcc_lo
	s_delay_alu instid0(SALU_CYCLE_1)
	s_and_saveexec_b32 s29, s28
	s_cbranch_execz .LBB84_80
; %bb.79:                               ;   in Loop: Header=BB84_12 Depth=1
	v_mul_f32_e32 v12, 0x3fb8aa3b, v96
	v_cmp_ngt_f32_e32 vcc_lo, 0xc2ce8ed0, v96
	s_delay_alu instid0(VALU_DEP_2) | instskip(SKIP_1) | instid1(VALU_DEP_1)
	v_rndne_f32_e32 v17, v12
	v_fma_f32 v97, 0x3fb8aa3b, v96, -v12
	v_dual_sub_f32 v12, v12, v17 :: v_dual_fmac_f32 v97, 0x32a5705f, v96
	v_cvt_i32_f32_e32 v17, v17
	s_delay_alu instid0(VALU_DEP_2) | instskip(NEXT) | instid1(VALU_DEP_1)
	v_add_f32_e32 v12, v12, v97
	v_exp_f32_e32 v12, v12
	s_waitcnt_depctr 0xfff
	v_ldexp_f32 v12, v12, v17
	s_delay_alu instid0(VALU_DEP_1) | instskip(SKIP_1) | instid1(VALU_DEP_2)
	v_cndmask_b32_e32 v12, 0, v12, vcc_lo
	v_cmp_nlt_f32_e32 vcc_lo, 0x42b17218, v96
	v_cndmask_b32_e32 v12, 0x7f800000, v12, vcc_lo
	s_delay_alu instid0(VALU_DEP_1) | instskip(NEXT) | instid1(VALU_DEP_1)
	v_add_f32_e32 v17, 1.0, v12
	v_cvt_f64_f32_e32 v[96:97], v17
	s_delay_alu instid0(VALU_DEP_1) | instskip(SKIP_1) | instid1(VALU_DEP_1)
	v_frexp_exp_i32_f64_e32 v96, v[96:97]
	v_frexp_mant_f32_e32 v97, v17
	v_cmp_gt_f32_e32 vcc_lo, 0x3f2aaaab, v97
	v_add_f32_e32 v97, -1.0, v17
	s_delay_alu instid0(VALU_DEP_1) | instskip(SKIP_1) | instid1(VALU_DEP_2)
	v_sub_f32_e32 v99, v97, v17
	v_sub_f32_e32 v97, v12, v97
	v_add_f32_e32 v99, 1.0, v99
	s_delay_alu instid0(VALU_DEP_1) | instskip(SKIP_3) | instid1(VALU_DEP_2)
	v_add_f32_e32 v97, v97, v99
	v_cmp_gt_f32_e64 s28, 0x33800000, v12
	v_subrev_co_ci_u32_e32 v96, vcc_lo, 0, v96, vcc_lo
	v_cmp_eq_f32_e32 vcc_lo, 0x7f800000, v12
	v_sub_nc_u32_e32 v98, 0, v96
	v_cvt_f32_i32_e32 v96, v96
	s_or_b32 vcc_lo, s28, vcc_lo
	s_delay_alu instid0(VALU_DEP_2) | instskip(SKIP_1) | instid1(VALU_DEP_2)
	v_ldexp_f32 v17, v17, v98
	v_ldexp_f32 v97, v97, v98
	v_add_f32_e32 v100, 1.0, v17
	s_delay_alu instid0(VALU_DEP_1) | instskip(NEXT) | instid1(VALU_DEP_1)
	v_dual_add_f32 v98, -1.0, v17 :: v_dual_add_f32 v99, -1.0, v100
	v_add_f32_e32 v101, 1.0, v98
	s_delay_alu instid0(VALU_DEP_2) | instskip(NEXT) | instid1(VALU_DEP_2)
	v_sub_f32_e32 v99, v17, v99
	v_sub_f32_e32 v17, v17, v101
	s_delay_alu instid0(VALU_DEP_1) | instskip(NEXT) | instid1(VALU_DEP_1)
	v_add_f32_e32 v17, v97, v17
	v_dual_add_f32 v102, v98, v17 :: v_dual_add_f32 v99, v97, v99
	s_delay_alu instid0(VALU_DEP_1) | instskip(NEXT) | instid1(VALU_DEP_1)
	v_dual_sub_f32 v98, v98, v102 :: v_dual_add_f32 v101, v100, v99
	v_rcp_f32_e32 v97, v101
	v_sub_f32_e32 v100, v100, v101
	s_delay_alu instid0(VALU_DEP_1) | instskip(SKIP_2) | instid1(VALU_DEP_1)
	v_add_f32_e32 v99, v99, v100
	s_waitcnt_depctr 0xfff
	v_mul_f32_e32 v103, v102, v97
	v_mul_f32_e32 v104, v101, v103
	s_delay_alu instid0(VALU_DEP_1) | instskip(NEXT) | instid1(VALU_DEP_1)
	v_fma_f32 v100, v103, v101, -v104
	v_fmac_f32_e32 v100, v103, v99
	s_delay_alu instid0(VALU_DEP_1) | instskip(NEXT) | instid1(VALU_DEP_1)
	v_add_f32_e32 v105, v104, v100
	v_sub_f32_e32 v106, v102, v105
	s_delay_alu instid0(VALU_DEP_1) | instskip(SKIP_2) | instid1(VALU_DEP_3)
	v_sub_f32_e32 v102, v102, v106
	v_add_f32_e32 v17, v17, v98
	v_sub_f32_e32 v98, v105, v104
	v_sub_f32_e32 v102, v102, v105
	s_delay_alu instid0(VALU_DEP_1) | instskip(NEXT) | instid1(VALU_DEP_1)
	v_dual_sub_f32 v98, v98, v100 :: v_dual_add_f32 v17, v17, v102
	v_add_f32_e32 v17, v98, v17
	s_delay_alu instid0(VALU_DEP_1) | instskip(NEXT) | instid1(VALU_DEP_1)
	v_add_f32_e32 v98, v106, v17
	v_mul_f32_e32 v100, v97, v98
	s_delay_alu instid0(VALU_DEP_1) | instskip(NEXT) | instid1(VALU_DEP_1)
	v_dual_sub_f32 v105, v106, v98 :: v_dual_mul_f32 v102, v101, v100
	v_add_f32_e32 v17, v17, v105
	s_delay_alu instid0(VALU_DEP_2) | instskip(NEXT) | instid1(VALU_DEP_1)
	v_fma_f32 v101, v100, v101, -v102
	v_fmac_f32_e32 v101, v100, v99
	s_delay_alu instid0(VALU_DEP_1) | instskip(NEXT) | instid1(VALU_DEP_1)
	v_add_f32_e32 v99, v102, v101
	v_sub_f32_e32 v104, v98, v99
	s_delay_alu instid0(VALU_DEP_1) | instskip(NEXT) | instid1(VALU_DEP_1)
	v_sub_f32_e32 v98, v98, v104
	v_sub_f32_e32 v98, v98, v99
	s_delay_alu instid0(VALU_DEP_1) | instskip(SKIP_1) | instid1(VALU_DEP_1)
	v_dual_add_f32 v17, v17, v98 :: v_dual_add_f32 v98, v103, v100
	v_sub_f32_e32 v102, v99, v102
	v_sub_f32_e32 v99, v102, v101
	s_delay_alu instid0(VALU_DEP_1) | instskip(NEXT) | instid1(VALU_DEP_4)
	v_add_f32_e32 v17, v99, v17
	v_sub_f32_e32 v99, v98, v103
	s_delay_alu instid0(VALU_DEP_2) | instskip(NEXT) | instid1(VALU_DEP_2)
	v_add_f32_e32 v17, v104, v17
	v_sub_f32_e32 v99, v100, v99
	s_delay_alu instid0(VALU_DEP_2) | instskip(NEXT) | instid1(VALU_DEP_1)
	v_mul_f32_e32 v17, v97, v17
	v_add_f32_e32 v17, v99, v17
	s_delay_alu instid0(VALU_DEP_1) | instskip(NEXT) | instid1(VALU_DEP_1)
	v_add_f32_e32 v97, v98, v17
	v_mul_f32_e32 v99, v97, v97
	s_delay_alu instid0(VALU_DEP_1) | instskip(SKIP_1) | instid1(VALU_DEP_2)
	v_fmaak_f32 v100, s83, v99, 0x3ecc95a3
	v_mul_f32_e32 v101, v97, v99
	v_fmaak_f32 v99, v99, v100, 0x3f2aaada
	v_ldexp_f32 v100, v97, 1
	v_sub_f32_e32 v97, v97, v98
	s_delay_alu instid0(VALU_DEP_3) | instskip(SKIP_1) | instid1(VALU_DEP_2)
	v_mul_f32_e32 v99, v101, v99
	v_mul_f32_e32 v101, 0x3f317218, v96
	v_dual_sub_f32 v17, v17, v97 :: v_dual_add_f32 v98, v100, v99
	s_delay_alu instid0(VALU_DEP_1) | instskip(NEXT) | instid1(VALU_DEP_2)
	v_ldexp_f32 v17, v17, 1
	v_sub_f32_e32 v97, v98, v100
	s_delay_alu instid0(VALU_DEP_4) | instskip(NEXT) | instid1(VALU_DEP_1)
	v_fma_f32 v100, 0x3f317218, v96, -v101
	v_dual_sub_f32 v97, v99, v97 :: v_dual_fmac_f32 v100, 0xb102e308, v96
	s_delay_alu instid0(VALU_DEP_1) | instskip(NEXT) | instid1(VALU_DEP_1)
	v_add_f32_e32 v17, v17, v97
	v_dual_add_f32 v96, v101, v100 :: v_dual_add_f32 v97, v98, v17
	s_delay_alu instid0(VALU_DEP_1) | instskip(NEXT) | instid1(VALU_DEP_2)
	v_sub_f32_e32 v101, v96, v101
	v_dual_add_f32 v99, v96, v97 :: v_dual_sub_f32 v98, v97, v98
	s_delay_alu instid0(VALU_DEP_2) | instskip(NEXT) | instid1(VALU_DEP_2)
	v_sub_f32_e32 v100, v100, v101
	v_dual_sub_f32 v102, v99, v96 :: v_dual_sub_f32 v17, v17, v98
	s_delay_alu instid0(VALU_DEP_1) | instskip(NEXT) | instid1(VALU_DEP_2)
	v_sub_f32_e32 v103, v99, v102
	v_dual_sub_f32 v97, v97, v102 :: v_dual_add_f32 v98, v100, v17
	s_delay_alu instid0(VALU_DEP_2) | instskip(NEXT) | instid1(VALU_DEP_1)
	v_sub_f32_e32 v96, v96, v103
	v_add_f32_e32 v96, v97, v96
	s_delay_alu instid0(VALU_DEP_3) | instskip(NEXT) | instid1(VALU_DEP_2)
	v_sub_f32_e32 v97, v98, v100
	v_add_f32_e32 v96, v98, v96
	s_delay_alu instid0(VALU_DEP_2) | instskip(SKIP_1) | instid1(VALU_DEP_2)
	v_sub_f32_e32 v98, v98, v97
	v_sub_f32_e32 v17, v17, v97
	v_dual_add_f32 v101, v99, v96 :: v_dual_sub_f32 v98, v100, v98
	s_delay_alu instid0(VALU_DEP_1) | instskip(NEXT) | instid1(VALU_DEP_1)
	v_sub_f32_e32 v97, v101, v99
	v_dual_add_f32 v17, v17, v98 :: v_dual_sub_f32 v96, v96, v97
	s_delay_alu instid0(VALU_DEP_1) | instskip(NEXT) | instid1(VALU_DEP_1)
	v_add_f32_e32 v17, v17, v96
	v_add_f32_e32 v17, v101, v17
	s_delay_alu instid0(VALU_DEP_1)
	v_cndmask_b32_e32 v96, v17, v12, vcc_lo
.LBB84_80:                              ;   in Loop: Header=BB84_12 Depth=1
	s_or_b32 exec_lo, exec_lo, s29
	v_lshrrev_b32_e32 v12, 16, v13
	s_delay_alu instid0(VALU_DEP_1) | instskip(NEXT) | instid1(VALU_DEP_1)
	v_cvt_f32_f16_e32 v12, v12
	v_add_f32_e32 v97, s66, v12
	s_delay_alu instid0(VALU_DEP_1) | instskip(SKIP_1) | instid1(SALU_CYCLE_1)
	v_cmp_ge_f32_e32 vcc_lo, 0x41a00000, v97
	s_and_b32 s28, s79, vcc_lo
	s_and_saveexec_b32 s29, s28
	s_cbranch_execz .LBB84_82
; %bb.81:                               ;   in Loop: Header=BB84_12 Depth=1
	v_mul_f32_e32 v12, 0x3fb8aa3b, v97
	v_cmp_ngt_f32_e32 vcc_lo, 0xc2ce8ed0, v97
	s_delay_alu instid0(VALU_DEP_2) | instskip(SKIP_1) | instid1(VALU_DEP_2)
	v_rndne_f32_e32 v13, v12
	v_fma_f32 v17, 0x3fb8aa3b, v97, -v12
	v_sub_f32_e32 v12, v12, v13
	s_delay_alu instid0(VALU_DEP_2) | instskip(SKIP_1) | instid1(VALU_DEP_2)
	v_fmac_f32_e32 v17, 0x32a5705f, v97
	v_cvt_i32_f32_e32 v13, v13
	v_add_f32_e32 v12, v12, v17
	s_delay_alu instid0(VALU_DEP_1) | instskip(SKIP_2) | instid1(VALU_DEP_1)
	v_exp_f32_e32 v12, v12
	s_waitcnt_depctr 0xfff
	v_ldexp_f32 v12, v12, v13
	v_cndmask_b32_e32 v12, 0, v12, vcc_lo
	v_cmp_nlt_f32_e32 vcc_lo, 0x42b17218, v97
	s_delay_alu instid0(VALU_DEP_2) | instskip(NEXT) | instid1(VALU_DEP_1)
	v_cndmask_b32_e32 v17, 0x7f800000, v12, vcc_lo
	v_add_f32_e32 v97, 1.0, v17
	s_delay_alu instid0(VALU_DEP_1) | instskip(NEXT) | instid1(VALU_DEP_1)
	v_cvt_f64_f32_e32 v[12:13], v97
	v_frexp_exp_i32_f64_e32 v12, v[12:13]
	v_frexp_mant_f32_e32 v13, v97
	s_delay_alu instid0(VALU_DEP_1) | instskip(SKIP_1) | instid1(VALU_DEP_1)
	v_cmp_gt_f32_e32 vcc_lo, 0x3f2aaaab, v13
	v_add_f32_e32 v13, -1.0, v97
	v_sub_f32_e32 v99, v13, v97
	s_delay_alu instid0(VALU_DEP_1) | instskip(SKIP_1) | instid1(VALU_DEP_1)
	v_add_f32_e32 v99, 1.0, v99
	v_subrev_co_ci_u32_e32 v12, vcc_lo, 0, v12, vcc_lo
	v_sub_nc_u32_e32 v98, 0, v12
	v_cvt_f32_i32_e32 v12, v12
	s_delay_alu instid0(VALU_DEP_2) | instskip(NEXT) | instid1(VALU_DEP_1)
	v_ldexp_f32 v97, v97, v98
	v_add_f32_e32 v100, 1.0, v97
	v_sub_f32_e32 v13, v17, v13
	v_cmp_eq_f32_e32 vcc_lo, 0x7f800000, v17
	v_cmp_gt_f32_e64 s28, 0x33800000, v17
	s_delay_alu instid0(VALU_DEP_3) | instskip(SKIP_1) | instid1(VALU_DEP_3)
	v_add_f32_e32 v13, v13, v99
	v_add_f32_e32 v99, -1.0, v100
	s_or_b32 vcc_lo, s28, vcc_lo
	s_delay_alu instid0(VALU_DEP_2) | instskip(NEXT) | instid1(VALU_DEP_2)
	v_ldexp_f32 v13, v13, v98
	v_dual_add_f32 v98, -1.0, v97 :: v_dual_sub_f32 v99, v97, v99
	s_delay_alu instid0(VALU_DEP_1) | instskip(NEXT) | instid1(VALU_DEP_2)
	v_add_f32_e32 v101, 1.0, v98
	v_add_f32_e32 v99, v13, v99
	s_delay_alu instid0(VALU_DEP_2) | instskip(NEXT) | instid1(VALU_DEP_1)
	v_sub_f32_e32 v97, v97, v101
	v_add_f32_e32 v13, v13, v97
	s_delay_alu instid0(VALU_DEP_1) | instskip(NEXT) | instid1(VALU_DEP_1)
	v_dual_add_f32 v102, v98, v13 :: v_dual_add_f32 v101, v100, v99
	v_sub_f32_e32 v98, v98, v102
	s_delay_alu instid0(VALU_DEP_2) | instskip(NEXT) | instid1(VALU_DEP_1)
	v_rcp_f32_e32 v97, v101
	v_dual_sub_f32 v100, v100, v101 :: v_dual_add_f32 v13, v13, v98
	s_delay_alu instid0(VALU_DEP_1) | instskip(SKIP_2) | instid1(VALU_DEP_1)
	v_add_f32_e32 v99, v99, v100
	s_waitcnt_depctr 0xfff
	v_mul_f32_e32 v103, v102, v97
	v_mul_f32_e32 v104, v101, v103
	s_delay_alu instid0(VALU_DEP_1) | instskip(NEXT) | instid1(VALU_DEP_1)
	v_fma_f32 v100, v103, v101, -v104
	v_fmac_f32_e32 v100, v103, v99
	s_delay_alu instid0(VALU_DEP_1) | instskip(NEXT) | instid1(VALU_DEP_1)
	v_add_f32_e32 v105, v104, v100
	v_sub_f32_e32 v106, v102, v105
	v_sub_f32_e32 v98, v105, v104
	s_delay_alu instid0(VALU_DEP_2) | instskip(NEXT) | instid1(VALU_DEP_2)
	v_sub_f32_e32 v102, v102, v106
	v_sub_f32_e32 v98, v98, v100
	s_delay_alu instid0(VALU_DEP_2) | instskip(NEXT) | instid1(VALU_DEP_1)
	v_sub_f32_e32 v102, v102, v105
	v_add_f32_e32 v13, v13, v102
	s_delay_alu instid0(VALU_DEP_1) | instskip(NEXT) | instid1(VALU_DEP_1)
	v_add_f32_e32 v13, v98, v13
	v_add_f32_e32 v98, v106, v13
	s_delay_alu instid0(VALU_DEP_1) | instskip(NEXT) | instid1(VALU_DEP_1)
	v_mul_f32_e32 v100, v97, v98
	v_dual_sub_f32 v105, v106, v98 :: v_dual_mul_f32 v102, v101, v100
	s_delay_alu instid0(VALU_DEP_1) | instskip(NEXT) | instid1(VALU_DEP_1)
	v_fma_f32 v101, v100, v101, -v102
	v_fmac_f32_e32 v101, v100, v99
	s_delay_alu instid0(VALU_DEP_1) | instskip(NEXT) | instid1(VALU_DEP_1)
	v_add_f32_e32 v99, v102, v101
	v_dual_add_f32 v13, v13, v105 :: v_dual_sub_f32 v104, v98, v99
	s_delay_alu instid0(VALU_DEP_1) | instskip(NEXT) | instid1(VALU_DEP_1)
	v_sub_f32_e32 v98, v98, v104
	v_sub_f32_e32 v98, v98, v99
	s_delay_alu instid0(VALU_DEP_1) | instskip(SKIP_1) | instid1(VALU_DEP_1)
	v_dual_add_f32 v13, v13, v98 :: v_dual_add_f32 v98, v103, v100
	v_sub_f32_e32 v102, v99, v102
	v_sub_f32_e32 v99, v102, v101
	s_delay_alu instid0(VALU_DEP_1) | instskip(NEXT) | instid1(VALU_DEP_4)
	v_add_f32_e32 v13, v99, v13
	v_sub_f32_e32 v99, v98, v103
	s_delay_alu instid0(VALU_DEP_2) | instskip(NEXT) | instid1(VALU_DEP_2)
	v_add_f32_e32 v13, v104, v13
	v_sub_f32_e32 v99, v100, v99
	s_delay_alu instid0(VALU_DEP_2) | instskip(NEXT) | instid1(VALU_DEP_1)
	v_mul_f32_e32 v13, v97, v13
	v_add_f32_e32 v13, v99, v13
	s_delay_alu instid0(VALU_DEP_1) | instskip(NEXT) | instid1(VALU_DEP_1)
	v_add_f32_e32 v97, v98, v13
	v_mul_f32_e32 v99, v97, v97
	s_delay_alu instid0(VALU_DEP_1) | instskip(SKIP_1) | instid1(VALU_DEP_2)
	v_fmaak_f32 v100, s83, v99, 0x3ecc95a3
	v_mul_f32_e32 v101, v97, v99
	v_fmaak_f32 v99, v99, v100, 0x3f2aaada
	v_ldexp_f32 v100, v97, 1
	v_sub_f32_e32 v97, v97, v98
	s_delay_alu instid0(VALU_DEP_3) | instskip(SKIP_1) | instid1(VALU_DEP_2)
	v_mul_f32_e32 v99, v101, v99
	v_mul_f32_e32 v101, 0x3f317218, v12
	v_dual_sub_f32 v13, v13, v97 :: v_dual_add_f32 v98, v100, v99
	s_delay_alu instid0(VALU_DEP_1) | instskip(NEXT) | instid1(VALU_DEP_2)
	v_ldexp_f32 v13, v13, 1
	v_sub_f32_e32 v97, v98, v100
	s_delay_alu instid0(VALU_DEP_4) | instskip(NEXT) | instid1(VALU_DEP_1)
	v_fma_f32 v100, 0x3f317218, v12, -v101
	v_dual_sub_f32 v97, v99, v97 :: v_dual_fmac_f32 v100, 0xb102e308, v12
	s_delay_alu instid0(VALU_DEP_1) | instskip(NEXT) | instid1(VALU_DEP_2)
	v_add_f32_e32 v12, v13, v97
	v_add_f32_e32 v13, v101, v100
	s_delay_alu instid0(VALU_DEP_2) | instskip(NEXT) | instid1(VALU_DEP_2)
	v_add_f32_e32 v97, v98, v12
	v_sub_f32_e32 v101, v13, v101
	s_delay_alu instid0(VALU_DEP_2) | instskip(SKIP_1) | instid1(VALU_DEP_3)
	v_add_f32_e32 v99, v13, v97
	v_sub_f32_e32 v98, v97, v98
	v_sub_f32_e32 v100, v100, v101
	s_delay_alu instid0(VALU_DEP_3) | instskip(NEXT) | instid1(VALU_DEP_3)
	v_sub_f32_e32 v102, v99, v13
	v_sub_f32_e32 v12, v12, v98
	s_delay_alu instid0(VALU_DEP_2) | instskip(NEXT) | instid1(VALU_DEP_2)
	v_sub_f32_e32 v103, v99, v102
	v_dual_sub_f32 v97, v97, v102 :: v_dual_add_f32 v98, v100, v12
	s_delay_alu instid0(VALU_DEP_2) | instskip(NEXT) | instid1(VALU_DEP_1)
	v_sub_f32_e32 v13, v13, v103
	v_add_f32_e32 v13, v97, v13
	s_delay_alu instid0(VALU_DEP_3) | instskip(NEXT) | instid1(VALU_DEP_2)
	v_sub_f32_e32 v97, v98, v100
	v_add_f32_e32 v13, v98, v13
	s_delay_alu instid0(VALU_DEP_2) | instskip(SKIP_1) | instid1(VALU_DEP_1)
	v_sub_f32_e32 v12, v12, v97
	v_sub_f32_e32 v98, v98, v97
	v_dual_add_f32 v101, v99, v13 :: v_dual_sub_f32 v98, v100, v98
	s_delay_alu instid0(VALU_DEP_1) | instskip(NEXT) | instid1(VALU_DEP_1)
	v_dual_sub_f32 v97, v101, v99 :: v_dual_add_f32 v12, v12, v98
	v_sub_f32_e32 v13, v13, v97
	s_delay_alu instid0(VALU_DEP_1) | instskip(NEXT) | instid1(VALU_DEP_1)
	v_add_f32_e32 v12, v12, v13
	v_add_f32_e32 v12, v101, v12
	s_delay_alu instid0(VALU_DEP_1)
	v_cndmask_b32_e32 v97, v12, v17, vcc_lo
.LBB84_82:                              ;   in Loop: Header=BB84_12 Depth=1
	s_or_b32 exec_lo, exec_lo, s29
	v_cvt_f32_f16_e32 v12, v14
	s_delay_alu instid0(VALU_DEP_1) | instskip(NEXT) | instid1(VALU_DEP_1)
	v_add_f32_e32 v98, s66, v12
	v_cmp_ge_f32_e32 vcc_lo, 0x41a00000, v98
	s_and_b32 s28, s79, vcc_lo
	s_delay_alu instid0(SALU_CYCLE_1)
	s_and_saveexec_b32 s29, s28
	s_cbranch_execz .LBB84_84
; %bb.83:                               ;   in Loop: Header=BB84_12 Depth=1
	v_mul_f32_e32 v12, 0x3fb8aa3b, v98
	v_cmp_ngt_f32_e32 vcc_lo, 0xc2ce8ed0, v98
	s_delay_alu instid0(VALU_DEP_2) | instskip(SKIP_1) | instid1(VALU_DEP_1)
	v_rndne_f32_e32 v13, v12
	v_fma_f32 v17, 0x3fb8aa3b, v98, -v12
	v_dual_sub_f32 v12, v12, v13 :: v_dual_fmac_f32 v17, 0x32a5705f, v98
	v_cvt_i32_f32_e32 v13, v13
	s_delay_alu instid0(VALU_DEP_2) | instskip(NEXT) | instid1(VALU_DEP_1)
	v_add_f32_e32 v12, v12, v17
	v_exp_f32_e32 v12, v12
	s_waitcnt_depctr 0xfff
	v_ldexp_f32 v12, v12, v13
	s_delay_alu instid0(VALU_DEP_1) | instskip(SKIP_1) | instid1(VALU_DEP_2)
	v_cndmask_b32_e32 v12, 0, v12, vcc_lo
	v_cmp_nlt_f32_e32 vcc_lo, 0x42b17218, v98
	v_cndmask_b32_e32 v17, 0x7f800000, v12, vcc_lo
	s_delay_alu instid0(VALU_DEP_1) | instskip(NEXT) | instid1(VALU_DEP_1)
	v_add_f32_e32 v98, 1.0, v17
	v_cvt_f64_f32_e32 v[12:13], v98
	s_delay_alu instid0(VALU_DEP_1) | instskip(SKIP_1) | instid1(VALU_DEP_1)
	v_frexp_exp_i32_f64_e32 v12, v[12:13]
	v_frexp_mant_f32_e32 v13, v98
	v_cmp_gt_f32_e32 vcc_lo, 0x3f2aaaab, v13
	v_add_f32_e32 v13, -1.0, v98
	s_delay_alu instid0(VALU_DEP_1) | instskip(SKIP_2) | instid1(VALU_DEP_3)
	v_sub_f32_e32 v100, v13, v98
	v_sub_f32_e32 v13, v17, v13
	v_cmp_gt_f32_e64 s28, 0x33800000, v17
	v_add_f32_e32 v100, 1.0, v100
	s_delay_alu instid0(VALU_DEP_1) | instskip(SKIP_2) | instid1(VALU_DEP_2)
	v_add_f32_e32 v13, v13, v100
	v_subrev_co_ci_u32_e32 v12, vcc_lo, 0, v12, vcc_lo
	v_cmp_eq_f32_e32 vcc_lo, 0x7f800000, v17
	v_sub_nc_u32_e32 v99, 0, v12
	v_cvt_f32_i32_e32 v12, v12
	s_or_b32 vcc_lo, s28, vcc_lo
	s_delay_alu instid0(VALU_DEP_2) | instskip(SKIP_1) | instid1(VALU_DEP_2)
	v_ldexp_f32 v98, v98, v99
	v_ldexp_f32 v13, v13, v99
	v_add_f32_e32 v99, -1.0, v98
	s_delay_alu instid0(VALU_DEP_1) | instskip(NEXT) | instid1(VALU_DEP_1)
	v_dual_add_f32 v101, 1.0, v98 :: v_dual_add_f32 v102, 1.0, v99
	v_add_f32_e32 v100, -1.0, v101
	s_delay_alu instid0(VALU_DEP_1) | instskip(NEXT) | instid1(VALU_DEP_3)
	v_sub_f32_e32 v100, v98, v100
	v_sub_f32_e32 v98, v98, v102
	s_delay_alu instid0(VALU_DEP_2) | instskip(NEXT) | instid1(VALU_DEP_2)
	v_add_f32_e32 v100, v13, v100
	v_add_f32_e32 v13, v13, v98
	s_delay_alu instid0(VALU_DEP_1) | instskip(NEXT) | instid1(VALU_DEP_1)
	v_dual_add_f32 v103, v99, v13 :: v_dual_add_f32 v102, v101, v100
	v_sub_f32_e32 v99, v99, v103
	s_delay_alu instid0(VALU_DEP_2) | instskip(SKIP_1) | instid1(VALU_DEP_1)
	v_rcp_f32_e32 v98, v102
	v_sub_f32_e32 v101, v101, v102
	v_dual_add_f32 v13, v13, v99 :: v_dual_add_f32 v100, v100, v101
	s_waitcnt_depctr 0xfff
	v_mul_f32_e32 v104, v103, v98
	s_delay_alu instid0(VALU_DEP_1) | instskip(NEXT) | instid1(VALU_DEP_1)
	v_mul_f32_e32 v105, v102, v104
	v_fma_f32 v101, v104, v102, -v105
	s_delay_alu instid0(VALU_DEP_1) | instskip(NEXT) | instid1(VALU_DEP_1)
	v_fmac_f32_e32 v101, v104, v100
	v_add_f32_e32 v106, v105, v101
	s_delay_alu instid0(VALU_DEP_1) | instskip(SKIP_1) | instid1(VALU_DEP_2)
	v_sub_f32_e32 v107, v103, v106
	v_sub_f32_e32 v99, v106, v105
	;; [unrolled: 1-line block ×3, first 2 shown]
	s_delay_alu instid0(VALU_DEP_2) | instskip(NEXT) | instid1(VALU_DEP_2)
	v_sub_f32_e32 v99, v99, v101
	v_sub_f32_e32 v103, v103, v106
	s_delay_alu instid0(VALU_DEP_1) | instskip(NEXT) | instid1(VALU_DEP_1)
	v_add_f32_e32 v13, v13, v103
	v_add_f32_e32 v13, v99, v13
	s_delay_alu instid0(VALU_DEP_1) | instskip(NEXT) | instid1(VALU_DEP_1)
	v_add_f32_e32 v99, v107, v13
	v_mul_f32_e32 v101, v98, v99
	s_delay_alu instid0(VALU_DEP_1) | instskip(NEXT) | instid1(VALU_DEP_1)
	v_dual_sub_f32 v106, v107, v99 :: v_dual_mul_f32 v103, v102, v101
	v_add_f32_e32 v13, v13, v106
	s_delay_alu instid0(VALU_DEP_2) | instskip(NEXT) | instid1(VALU_DEP_1)
	v_fma_f32 v102, v101, v102, -v103
	v_fmac_f32_e32 v102, v101, v100
	s_delay_alu instid0(VALU_DEP_1) | instskip(NEXT) | instid1(VALU_DEP_1)
	v_add_f32_e32 v100, v103, v102
	v_sub_f32_e32 v105, v99, v100
	s_delay_alu instid0(VALU_DEP_1) | instskip(NEXT) | instid1(VALU_DEP_1)
	v_sub_f32_e32 v99, v99, v105
	v_sub_f32_e32 v99, v99, v100
	s_delay_alu instid0(VALU_DEP_1) | instskip(SKIP_2) | instid1(VALU_DEP_1)
	v_add_f32_e32 v13, v13, v99
	v_add_f32_e32 v99, v104, v101
	v_sub_f32_e32 v103, v100, v103
	v_sub_f32_e32 v100, v103, v102
	s_delay_alu instid0(VALU_DEP_1) | instskip(NEXT) | instid1(VALU_DEP_1)
	v_dual_add_f32 v13, v100, v13 :: v_dual_sub_f32 v100, v99, v104
	v_add_f32_e32 v13, v105, v13
	s_delay_alu instid0(VALU_DEP_1) | instskip(NEXT) | instid1(VALU_DEP_1)
	v_dual_sub_f32 v100, v101, v100 :: v_dual_mul_f32 v13, v98, v13
	v_add_f32_e32 v13, v100, v13
	s_delay_alu instid0(VALU_DEP_1) | instskip(NEXT) | instid1(VALU_DEP_1)
	v_add_f32_e32 v98, v99, v13
	v_mul_f32_e32 v100, v98, v98
	s_delay_alu instid0(VALU_DEP_1) | instskip(SKIP_1) | instid1(VALU_DEP_2)
	v_fmaak_f32 v101, s83, v100, 0x3ecc95a3
	v_mul_f32_e32 v102, v98, v100
	v_fmaak_f32 v100, v100, v101, 0x3f2aaada
	v_ldexp_f32 v101, v98, 1
	v_sub_f32_e32 v98, v98, v99
	s_delay_alu instid0(VALU_DEP_3) | instskip(NEXT) | instid1(VALU_DEP_2)
	v_mul_f32_e32 v100, v102, v100
	v_dual_mul_f32 v102, 0x3f317218, v12 :: v_dual_sub_f32 v13, v13, v98
	s_delay_alu instid0(VALU_DEP_2) | instskip(NEXT) | instid1(VALU_DEP_2)
	v_add_f32_e32 v99, v101, v100
	v_ldexp_f32 v13, v13, 1
	s_delay_alu instid0(VALU_DEP_2) | instskip(NEXT) | instid1(VALU_DEP_4)
	v_sub_f32_e32 v98, v99, v101
	v_fma_f32 v101, 0x3f317218, v12, -v102
	s_delay_alu instid0(VALU_DEP_1) | instskip(NEXT) | instid1(VALU_DEP_1)
	v_dual_sub_f32 v98, v100, v98 :: v_dual_fmac_f32 v101, 0xb102e308, v12
	v_add_f32_e32 v12, v13, v98
	s_delay_alu instid0(VALU_DEP_1) | instskip(NEXT) | instid1(VALU_DEP_1)
	v_add_f32_e32 v98, v99, v12
	v_sub_f32_e32 v99, v98, v99
	s_delay_alu instid0(VALU_DEP_1) | instskip(NEXT) | instid1(VALU_DEP_1)
	v_dual_sub_f32 v12, v12, v99 :: v_dual_add_f32 v13, v102, v101
	v_add_f32_e32 v100, v13, v98
	s_delay_alu instid0(VALU_DEP_1) | instskip(NEXT) | instid1(VALU_DEP_1)
	v_dual_sub_f32 v102, v13, v102 :: v_dual_sub_f32 v103, v100, v13
	v_dual_sub_f32 v101, v101, v102 :: v_dual_sub_f32 v104, v100, v103
	s_delay_alu instid0(VALU_DEP_1) | instskip(NEXT) | instid1(VALU_DEP_2)
	v_dual_sub_f32 v98, v98, v103 :: v_dual_add_f32 v99, v101, v12
	v_sub_f32_e32 v13, v13, v104
	s_delay_alu instid0(VALU_DEP_1) | instskip(NEXT) | instid1(VALU_DEP_3)
	v_add_f32_e32 v13, v98, v13
	v_sub_f32_e32 v98, v99, v101
	s_delay_alu instid0(VALU_DEP_2) | instskip(NEXT) | instid1(VALU_DEP_2)
	v_add_f32_e32 v13, v99, v13
	v_sub_f32_e32 v99, v99, v98
	v_sub_f32_e32 v12, v12, v98
	s_delay_alu instid0(VALU_DEP_2) | instskip(NEXT) | instid1(VALU_DEP_1)
	v_dual_add_f32 v102, v100, v13 :: v_dual_sub_f32 v99, v101, v99
	v_sub_f32_e32 v98, v102, v100
	s_delay_alu instid0(VALU_DEP_1) | instskip(NEXT) | instid1(VALU_DEP_1)
	v_dual_add_f32 v12, v12, v99 :: v_dual_sub_f32 v13, v13, v98
	v_add_f32_e32 v12, v12, v13
	s_delay_alu instid0(VALU_DEP_1) | instskip(NEXT) | instid1(VALU_DEP_1)
	v_add_f32_e32 v12, v102, v12
	v_cndmask_b32_e32 v98, v12, v17, vcc_lo
.LBB84_84:                              ;   in Loop: Header=BB84_12 Depth=1
	s_or_b32 exec_lo, exec_lo, s29
	v_lshrrev_b32_e32 v12, 16, v14
	s_delay_alu instid0(VALU_DEP_1) | instskip(NEXT) | instid1(VALU_DEP_1)
	v_cvt_f32_f16_e32 v12, v12
	v_add_f32_e32 v99, s66, v12
	s_delay_alu instid0(VALU_DEP_1) | instskip(SKIP_1) | instid1(SALU_CYCLE_1)
	v_cmp_ge_f32_e32 vcc_lo, 0x41a00000, v99
	s_and_b32 s28, s79, vcc_lo
	s_and_saveexec_b32 s29, s28
	s_cbranch_execz .LBB84_86
; %bb.85:                               ;   in Loop: Header=BB84_12 Depth=1
	v_mul_f32_e32 v12, 0x3fb8aa3b, v99
	v_cmp_ngt_f32_e32 vcc_lo, 0xc2ce8ed0, v99
	s_delay_alu instid0(VALU_DEP_2) | instskip(SKIP_1) | instid1(VALU_DEP_2)
	v_rndne_f32_e32 v13, v12
	v_fma_f32 v14, 0x3fb8aa3b, v99, -v12
	v_sub_f32_e32 v12, v12, v13
	s_delay_alu instid0(VALU_DEP_2) | instskip(SKIP_1) | instid1(VALU_DEP_2)
	v_fmac_f32_e32 v14, 0x32a5705f, v99
	v_cvt_i32_f32_e32 v13, v13
	v_add_f32_e32 v12, v12, v14
	s_delay_alu instid0(VALU_DEP_1) | instskip(SKIP_2) | instid1(VALU_DEP_1)
	v_exp_f32_e32 v12, v12
	s_waitcnt_depctr 0xfff
	v_ldexp_f32 v12, v12, v13
	v_cndmask_b32_e32 v12, 0, v12, vcc_lo
	v_cmp_nlt_f32_e32 vcc_lo, 0x42b17218, v99
	s_delay_alu instid0(VALU_DEP_2) | instskip(NEXT) | instid1(VALU_DEP_1)
	v_cndmask_b32_e32 v14, 0x7f800000, v12, vcc_lo
	v_add_f32_e32 v17, 1.0, v14
	s_delay_alu instid0(VALU_DEP_1) | instskip(NEXT) | instid1(VALU_DEP_1)
	v_cvt_f64_f32_e32 v[12:13], v17
	v_frexp_exp_i32_f64_e32 v12, v[12:13]
	v_frexp_mant_f32_e32 v13, v17
	s_delay_alu instid0(VALU_DEP_1) | instskip(SKIP_1) | instid1(VALU_DEP_1)
	v_cmp_gt_f32_e32 vcc_lo, 0x3f2aaaab, v13
	v_add_f32_e32 v13, -1.0, v17
	v_sub_f32_e32 v100, v13, v17
	v_sub_f32_e32 v13, v14, v13
	v_subrev_co_ci_u32_e32 v12, vcc_lo, 0, v12, vcc_lo
	s_delay_alu instid0(VALU_DEP_1) | instskip(SKIP_1) | instid1(VALU_DEP_2)
	v_sub_nc_u32_e32 v99, 0, v12
	v_cvt_f32_i32_e32 v12, v12
	v_ldexp_f32 v17, v17, v99
	s_delay_alu instid0(VALU_DEP_1) | instskip(NEXT) | instid1(VALU_DEP_1)
	v_dual_add_f32 v100, 1.0, v100 :: v_dual_add_f32 v101, 1.0, v17
	v_dual_add_f32 v13, v13, v100 :: v_dual_add_f32 v100, -1.0, v101
	s_delay_alu instid0(VALU_DEP_1) | instskip(SKIP_4) | instid1(VALU_DEP_4)
	v_ldexp_f32 v13, v13, v99
	v_add_f32_e32 v99, -1.0, v17
	v_cmp_eq_f32_e32 vcc_lo, 0x7f800000, v14
	v_cmp_gt_f32_e64 s28, 0x33800000, v14
	v_sub_f32_e32 v100, v17, v100
	v_add_f32_e32 v102, 1.0, v99
	s_delay_alu instid0(VALU_DEP_3) | instskip(NEXT) | instid1(VALU_DEP_2)
	s_or_b32 vcc_lo, s28, vcc_lo
	v_add_f32_e32 v100, v13, v100
	s_delay_alu instid0(VALU_DEP_2) | instskip(NEXT) | instid1(VALU_DEP_1)
	v_sub_f32_e32 v17, v17, v102
	v_add_f32_e32 v13, v13, v17
	s_delay_alu instid0(VALU_DEP_1) | instskip(NEXT) | instid1(VALU_DEP_1)
	v_dual_add_f32 v103, v99, v13 :: v_dual_add_f32 v102, v101, v100
	v_sub_f32_e32 v99, v99, v103
	s_delay_alu instid0(VALU_DEP_2) | instskip(SKIP_1) | instid1(VALU_DEP_1)
	v_rcp_f32_e32 v17, v102
	v_sub_f32_e32 v101, v101, v102
	v_dual_add_f32 v13, v13, v99 :: v_dual_add_f32 v100, v100, v101
	s_waitcnt_depctr 0xfff
	v_mul_f32_e32 v104, v103, v17
	s_delay_alu instid0(VALU_DEP_1) | instskip(NEXT) | instid1(VALU_DEP_1)
	v_mul_f32_e32 v105, v102, v104
	v_fma_f32 v101, v104, v102, -v105
	s_delay_alu instid0(VALU_DEP_1) | instskip(NEXT) | instid1(VALU_DEP_1)
	v_fmac_f32_e32 v101, v104, v100
	v_add_f32_e32 v106, v105, v101
	s_delay_alu instid0(VALU_DEP_1) | instskip(NEXT) | instid1(VALU_DEP_1)
	v_sub_f32_e32 v107, v103, v106
	v_sub_f32_e32 v103, v103, v107
	;; [unrolled: 1-line block ×3, first 2 shown]
	s_delay_alu instid0(VALU_DEP_2) | instskip(NEXT) | instid1(VALU_DEP_2)
	v_sub_f32_e32 v103, v103, v106
	v_sub_f32_e32 v99, v99, v101
	s_delay_alu instid0(VALU_DEP_2) | instskip(NEXT) | instid1(VALU_DEP_1)
	v_add_f32_e32 v13, v13, v103
	v_add_f32_e32 v13, v99, v13
	s_delay_alu instid0(VALU_DEP_1) | instskip(NEXT) | instid1(VALU_DEP_1)
	v_add_f32_e32 v99, v107, v13
	v_mul_f32_e32 v101, v17, v99
	s_delay_alu instid0(VALU_DEP_1) | instskip(NEXT) | instid1(VALU_DEP_1)
	v_dual_sub_f32 v106, v107, v99 :: v_dual_mul_f32 v103, v102, v101
	v_add_f32_e32 v13, v13, v106
	s_delay_alu instid0(VALU_DEP_2) | instskip(NEXT) | instid1(VALU_DEP_1)
	v_fma_f32 v102, v101, v102, -v103
	v_fmac_f32_e32 v102, v101, v100
	s_delay_alu instid0(VALU_DEP_1) | instskip(NEXT) | instid1(VALU_DEP_1)
	v_add_f32_e32 v100, v103, v102
	v_sub_f32_e32 v105, v99, v100
	v_sub_f32_e32 v103, v100, v103
	s_delay_alu instid0(VALU_DEP_2) | instskip(NEXT) | instid1(VALU_DEP_1)
	v_sub_f32_e32 v99, v99, v105
	v_sub_f32_e32 v99, v99, v100
	s_delay_alu instid0(VALU_DEP_1) | instskip(SKIP_1) | instid1(VALU_DEP_1)
	v_dual_sub_f32 v100, v103, v102 :: v_dual_add_f32 v13, v13, v99
	v_add_f32_e32 v99, v104, v101
	v_dual_add_f32 v13, v100, v13 :: v_dual_sub_f32 v100, v99, v104
	s_delay_alu instid0(VALU_DEP_1) | instskip(NEXT) | instid1(VALU_DEP_2)
	v_add_f32_e32 v13, v105, v13
	v_sub_f32_e32 v100, v101, v100
	s_delay_alu instid0(VALU_DEP_2) | instskip(NEXT) | instid1(VALU_DEP_1)
	v_mul_f32_e32 v13, v17, v13
	v_add_f32_e32 v13, v100, v13
	s_delay_alu instid0(VALU_DEP_1) | instskip(NEXT) | instid1(VALU_DEP_1)
	v_add_f32_e32 v17, v99, v13
	v_mul_f32_e32 v100, v17, v17
	s_delay_alu instid0(VALU_DEP_1) | instskip(SKIP_1) | instid1(VALU_DEP_2)
	v_fmaak_f32 v101, s83, v100, 0x3ecc95a3
	v_mul_f32_e32 v102, v17, v100
	v_fmaak_f32 v100, v100, v101, 0x3f2aaada
	v_ldexp_f32 v101, v17, 1
	s_delay_alu instid0(VALU_DEP_2) | instskip(NEXT) | instid1(VALU_DEP_1)
	v_dual_sub_f32 v17, v17, v99 :: v_dual_mul_f32 v100, v102, v100
	v_dual_mul_f32 v102, 0x3f317218, v12 :: v_dual_sub_f32 v13, v13, v17
	s_delay_alu instid0(VALU_DEP_2) | instskip(NEXT) | instid1(VALU_DEP_2)
	v_add_f32_e32 v99, v101, v100
	v_ldexp_f32 v13, v13, 1
	s_delay_alu instid0(VALU_DEP_2) | instskip(NEXT) | instid1(VALU_DEP_4)
	v_sub_f32_e32 v17, v99, v101
	v_fma_f32 v101, 0x3f317218, v12, -v102
	s_delay_alu instid0(VALU_DEP_2) | instskip(NEXT) | instid1(VALU_DEP_1)
	v_sub_f32_e32 v17, v100, v17
	v_dual_fmac_f32 v101, 0xb102e308, v12 :: v_dual_add_f32 v12, v13, v17
	s_delay_alu instid0(VALU_DEP_1) | instskip(NEXT) | instid1(VALU_DEP_1)
	v_add_f32_e32 v13, v102, v101
	v_dual_add_f32 v17, v99, v12 :: v_dual_sub_f32 v102, v13, v102
	s_delay_alu instid0(VALU_DEP_1) | instskip(SKIP_1) | instid1(VALU_DEP_3)
	v_add_f32_e32 v100, v13, v17
	v_sub_f32_e32 v99, v17, v99
	v_sub_f32_e32 v101, v101, v102
	s_delay_alu instid0(VALU_DEP_3) | instskip(NEXT) | instid1(VALU_DEP_3)
	v_sub_f32_e32 v103, v100, v13
	v_sub_f32_e32 v12, v12, v99
	s_delay_alu instid0(VALU_DEP_2) | instskip(SKIP_1) | instid1(VALU_DEP_3)
	v_sub_f32_e32 v104, v100, v103
	v_sub_f32_e32 v17, v17, v103
	v_add_f32_e32 v99, v101, v12
	s_delay_alu instid0(VALU_DEP_3) | instskip(NEXT) | instid1(VALU_DEP_1)
	v_sub_f32_e32 v13, v13, v104
	v_add_f32_e32 v13, v17, v13
	s_delay_alu instid0(VALU_DEP_3) | instskip(NEXT) | instid1(VALU_DEP_2)
	v_sub_f32_e32 v17, v99, v101
	v_add_f32_e32 v13, v99, v13
	s_delay_alu instid0(VALU_DEP_2) | instskip(SKIP_1) | instid1(VALU_DEP_2)
	v_sub_f32_e32 v99, v99, v17
	v_sub_f32_e32 v12, v12, v17
	v_dual_add_f32 v102, v100, v13 :: v_dual_sub_f32 v99, v101, v99
	s_delay_alu instid0(VALU_DEP_1) | instskip(NEXT) | instid1(VALU_DEP_1)
	v_dual_sub_f32 v17, v102, v100 :: v_dual_add_f32 v12, v12, v99
	v_sub_f32_e32 v13, v13, v17
	s_delay_alu instid0(VALU_DEP_1) | instskip(NEXT) | instid1(VALU_DEP_1)
	v_add_f32_e32 v12, v12, v13
	v_add_f32_e32 v12, v102, v12
	s_delay_alu instid0(VALU_DEP_1)
	v_cndmask_b32_e32 v99, v12, v14, vcc_lo
.LBB84_86:                              ;   in Loop: Header=BB84_12 Depth=1
	s_or_b32 exec_lo, exec_lo, s29
	v_cvt_f32_f16_e32 v12, v15
	s_delay_alu instid0(VALU_DEP_1) | instskip(NEXT) | instid1(VALU_DEP_1)
	v_add_f32_e32 v100, s66, v12
	v_cmp_ge_f32_e32 vcc_lo, 0x41a00000, v100
	s_and_b32 s28, s79, vcc_lo
	s_delay_alu instid0(SALU_CYCLE_1)
	s_and_saveexec_b32 s29, s28
	s_cbranch_execz .LBB84_88
; %bb.87:                               ;   in Loop: Header=BB84_12 Depth=1
	v_mul_f32_e32 v12, 0x3fb8aa3b, v100
	v_cmp_ngt_f32_e32 vcc_lo, 0xc2ce8ed0, v100
	s_delay_alu instid0(VALU_DEP_2) | instskip(SKIP_1) | instid1(VALU_DEP_2)
	v_rndne_f32_e32 v13, v12
	v_fma_f32 v14, 0x3fb8aa3b, v100, -v12
	v_sub_f32_e32 v12, v12, v13
	s_delay_alu instid0(VALU_DEP_2) | instskip(SKIP_1) | instid1(VALU_DEP_2)
	v_fmac_f32_e32 v14, 0x32a5705f, v100
	v_cvt_i32_f32_e32 v13, v13
	v_add_f32_e32 v12, v12, v14
	s_delay_alu instid0(VALU_DEP_1) | instskip(SKIP_2) | instid1(VALU_DEP_1)
	v_exp_f32_e32 v12, v12
	s_waitcnt_depctr 0xfff
	v_ldexp_f32 v12, v12, v13
	v_cndmask_b32_e32 v12, 0, v12, vcc_lo
	v_cmp_nlt_f32_e32 vcc_lo, 0x42b17218, v100
	s_delay_alu instid0(VALU_DEP_2) | instskip(NEXT) | instid1(VALU_DEP_1)
	v_cndmask_b32_e32 v14, 0x7f800000, v12, vcc_lo
	v_add_f32_e32 v17, 1.0, v14
	s_delay_alu instid0(VALU_DEP_1) | instskip(NEXT) | instid1(VALU_DEP_1)
	v_cvt_f64_f32_e32 v[12:13], v17
	v_frexp_exp_i32_f64_e32 v12, v[12:13]
	v_frexp_mant_f32_e32 v13, v17
	s_delay_alu instid0(VALU_DEP_1) | instskip(SKIP_1) | instid1(VALU_DEP_1)
	v_cmp_gt_f32_e32 vcc_lo, 0x3f2aaaab, v13
	v_add_f32_e32 v13, -1.0, v17
	v_sub_f32_e32 v101, v13, v17
	s_delay_alu instid0(VALU_DEP_1) | instskip(SKIP_2) | instid1(VALU_DEP_2)
	v_add_f32_e32 v101, 1.0, v101
	v_sub_f32_e32 v13, v14, v13
	v_cmp_gt_f32_e64 s28, 0x33800000, v14
	v_add_f32_e32 v13, v13, v101
	v_subrev_co_ci_u32_e32 v12, vcc_lo, 0, v12, vcc_lo
	v_cmp_eq_f32_e32 vcc_lo, 0x7f800000, v14
	s_delay_alu instid0(VALU_DEP_2) | instskip(SKIP_2) | instid1(VALU_DEP_2)
	v_sub_nc_u32_e32 v100, 0, v12
	v_cvt_f32_i32_e32 v12, v12
	s_or_b32 vcc_lo, s28, vcc_lo
	v_ldexp_f32 v17, v17, v100
	v_ldexp_f32 v13, v13, v100
	s_delay_alu instid0(VALU_DEP_2) | instskip(NEXT) | instid1(VALU_DEP_1)
	v_add_f32_e32 v100, -1.0, v17
	v_dual_add_f32 v102, 1.0, v17 :: v_dual_add_f32 v103, 1.0, v100
	s_delay_alu instid0(VALU_DEP_1) | instskip(NEXT) | instid1(VALU_DEP_1)
	v_add_f32_e32 v101, -1.0, v102
	v_sub_f32_e32 v101, v17, v101
	s_delay_alu instid0(VALU_DEP_3) | instskip(NEXT) | instid1(VALU_DEP_2)
	v_sub_f32_e32 v17, v17, v103
	v_add_f32_e32 v101, v13, v101
	s_delay_alu instid0(VALU_DEP_2) | instskip(NEXT) | instid1(VALU_DEP_1)
	v_add_f32_e32 v13, v13, v17
	v_add_f32_e32 v104, v100, v13
	s_delay_alu instid0(VALU_DEP_1) | instskip(NEXT) | instid1(VALU_DEP_1)
	v_dual_sub_f32 v100, v100, v104 :: v_dual_add_f32 v103, v102, v101
	v_add_f32_e32 v13, v13, v100
	s_delay_alu instid0(VALU_DEP_2) | instskip(SKIP_1) | instid1(VALU_DEP_1)
	v_rcp_f32_e32 v17, v103
	v_sub_f32_e32 v102, v102, v103
	v_add_f32_e32 v101, v101, v102
	s_waitcnt_depctr 0xfff
	v_mul_f32_e32 v105, v104, v17
	s_delay_alu instid0(VALU_DEP_1) | instskip(NEXT) | instid1(VALU_DEP_1)
	v_mul_f32_e32 v106, v103, v105
	v_fma_f32 v102, v105, v103, -v106
	s_delay_alu instid0(VALU_DEP_1) | instskip(NEXT) | instid1(VALU_DEP_1)
	v_fmac_f32_e32 v102, v105, v101
	v_add_f32_e32 v107, v106, v102
	s_delay_alu instid0(VALU_DEP_1) | instskip(SKIP_1) | instid1(VALU_DEP_2)
	v_sub_f32_e32 v108, v104, v107
	v_sub_f32_e32 v100, v107, v106
	;; [unrolled: 1-line block ×3, first 2 shown]
	s_delay_alu instid0(VALU_DEP_1) | instskip(NEXT) | instid1(VALU_DEP_1)
	v_sub_f32_e32 v104, v104, v107
	v_dual_sub_f32 v100, v100, v102 :: v_dual_add_f32 v13, v13, v104
	s_delay_alu instid0(VALU_DEP_1) | instskip(NEXT) | instid1(VALU_DEP_1)
	v_add_f32_e32 v13, v100, v13
	v_add_f32_e32 v100, v108, v13
	s_delay_alu instid0(VALU_DEP_1) | instskip(NEXT) | instid1(VALU_DEP_1)
	v_mul_f32_e32 v102, v17, v100
	v_dual_sub_f32 v107, v108, v100 :: v_dual_mul_f32 v104, v103, v102
	s_delay_alu instid0(VALU_DEP_1) | instskip(NEXT) | instid1(VALU_DEP_2)
	v_add_f32_e32 v13, v13, v107
	v_fma_f32 v103, v102, v103, -v104
	s_delay_alu instid0(VALU_DEP_1) | instskip(NEXT) | instid1(VALU_DEP_1)
	v_fmac_f32_e32 v103, v102, v101
	v_add_f32_e32 v101, v104, v103
	s_delay_alu instid0(VALU_DEP_1) | instskip(NEXT) | instid1(VALU_DEP_1)
	v_sub_f32_e32 v106, v100, v101
	v_sub_f32_e32 v100, v100, v106
	s_delay_alu instid0(VALU_DEP_1) | instskip(NEXT) | instid1(VALU_DEP_1)
	v_sub_f32_e32 v100, v100, v101
	v_add_f32_e32 v13, v13, v100
	v_add_f32_e32 v100, v105, v102
	v_sub_f32_e32 v104, v101, v104
	s_delay_alu instid0(VALU_DEP_1) | instskip(NEXT) | instid1(VALU_DEP_1)
	v_sub_f32_e32 v101, v104, v103
	v_add_f32_e32 v13, v101, v13
	s_delay_alu instid0(VALU_DEP_4) | instskip(NEXT) | instid1(VALU_DEP_2)
	v_sub_f32_e32 v101, v100, v105
	v_add_f32_e32 v13, v106, v13
	s_delay_alu instid0(VALU_DEP_2) | instskip(NEXT) | instid1(VALU_DEP_2)
	v_sub_f32_e32 v101, v102, v101
	v_mul_f32_e32 v13, v17, v13
	s_delay_alu instid0(VALU_DEP_1) | instskip(NEXT) | instid1(VALU_DEP_1)
	v_add_f32_e32 v13, v101, v13
	v_add_f32_e32 v17, v100, v13
	s_delay_alu instid0(VALU_DEP_1) | instskip(NEXT) | instid1(VALU_DEP_1)
	v_mul_f32_e32 v101, v17, v17
	v_fmaak_f32 v102, s83, v101, 0x3ecc95a3
	v_mul_f32_e32 v103, v17, v101
	s_delay_alu instid0(VALU_DEP_2) | instskip(SKIP_1) | instid1(VALU_DEP_2)
	v_fmaak_f32 v101, v101, v102, 0x3f2aaada
	v_ldexp_f32 v102, v17, 1
	v_mul_f32_e32 v101, v103, v101
	s_delay_alu instid0(VALU_DEP_1) | instskip(NEXT) | instid1(VALU_DEP_1)
	v_dual_sub_f32 v17, v17, v100 :: v_dual_add_f32 v100, v102, v101
	v_sub_f32_e32 v13, v13, v17
	s_delay_alu instid0(VALU_DEP_2) | instskip(NEXT) | instid1(VALU_DEP_2)
	v_sub_f32_e32 v17, v100, v102
	v_ldexp_f32 v13, v13, 1
	s_delay_alu instid0(VALU_DEP_2) | instskip(SKIP_1) | instid1(VALU_DEP_1)
	v_sub_f32_e32 v17, v101, v17
	v_mul_f32_e32 v103, 0x3f317218, v12
	v_fma_f32 v102, 0x3f317218, v12, -v103
	s_delay_alu instid0(VALU_DEP_1) | instskip(NEXT) | instid1(VALU_DEP_1)
	v_fmac_f32_e32 v102, 0xb102e308, v12
	v_dual_add_f32 v12, v13, v17 :: v_dual_add_f32 v13, v103, v102
	s_delay_alu instid0(VALU_DEP_1) | instskip(NEXT) | instid1(VALU_DEP_1)
	v_add_f32_e32 v17, v100, v12
	v_add_f32_e32 v101, v13, v17
	v_sub_f32_e32 v100, v17, v100
	s_delay_alu instid0(VALU_DEP_2) | instskip(NEXT) | instid1(VALU_DEP_2)
	v_sub_f32_e32 v104, v101, v13
	v_dual_sub_f32 v12, v12, v100 :: v_dual_sub_f32 v103, v13, v103
	s_delay_alu instid0(VALU_DEP_2) | instskip(NEXT) | instid1(VALU_DEP_2)
	v_sub_f32_e32 v105, v101, v104
	v_dual_sub_f32 v17, v17, v104 :: v_dual_sub_f32 v102, v102, v103
	s_delay_alu instid0(VALU_DEP_1) | instskip(NEXT) | instid1(VALU_DEP_1)
	v_dual_sub_f32 v13, v13, v105 :: v_dual_add_f32 v100, v102, v12
	v_add_f32_e32 v13, v17, v13
	s_delay_alu instid0(VALU_DEP_2) | instskip(NEXT) | instid1(VALU_DEP_2)
	v_sub_f32_e32 v17, v100, v102
	v_add_f32_e32 v13, v100, v13
	s_delay_alu instid0(VALU_DEP_2) | instskip(SKIP_1) | instid1(VALU_DEP_2)
	v_sub_f32_e32 v100, v100, v17
	v_sub_f32_e32 v12, v12, v17
	v_dual_add_f32 v103, v101, v13 :: v_dual_sub_f32 v100, v102, v100
	s_delay_alu instid0(VALU_DEP_1) | instskip(NEXT) | instid1(VALU_DEP_1)
	v_dual_sub_f32 v17, v103, v101 :: v_dual_add_f32 v12, v12, v100
	v_sub_f32_e32 v13, v13, v17
	s_delay_alu instid0(VALU_DEP_1) | instskip(NEXT) | instid1(VALU_DEP_1)
	v_add_f32_e32 v12, v12, v13
	v_add_f32_e32 v12, v103, v12
	s_delay_alu instid0(VALU_DEP_1)
	v_cndmask_b32_e32 v100, v12, v14, vcc_lo
.LBB84_88:                              ;   in Loop: Header=BB84_12 Depth=1
	s_or_b32 exec_lo, exec_lo, s29
	v_lshrrev_b32_e32 v12, 16, v15
	s_delay_alu instid0(VALU_DEP_1) | instskip(NEXT) | instid1(VALU_DEP_1)
	v_cvt_f32_f16_e32 v12, v12
	v_add_f32_e32 v101, s66, v12
	s_delay_alu instid0(VALU_DEP_1) | instskip(SKIP_1) | instid1(SALU_CYCLE_1)
	v_cmp_ge_f32_e32 vcc_lo, 0x41a00000, v101
	s_and_b32 s28, s79, vcc_lo
	s_and_saveexec_b32 s29, s28
	s_cbranch_execz .LBB84_90
; %bb.89:                               ;   in Loop: Header=BB84_12 Depth=1
	v_mul_f32_e32 v12, 0x3fb8aa3b, v101
	v_cmp_ngt_f32_e32 vcc_lo, 0xc2ce8ed0, v101
	s_delay_alu instid0(VALU_DEP_2) | instskip(SKIP_1) | instid1(VALU_DEP_2)
	v_rndne_f32_e32 v13, v12
	v_fma_f32 v14, 0x3fb8aa3b, v101, -v12
	v_sub_f32_e32 v12, v12, v13
	s_delay_alu instid0(VALU_DEP_2) | instskip(SKIP_1) | instid1(VALU_DEP_2)
	v_fmac_f32_e32 v14, 0x32a5705f, v101
	v_cvt_i32_f32_e32 v13, v13
	v_add_f32_e32 v12, v12, v14
	s_delay_alu instid0(VALU_DEP_1) | instskip(SKIP_2) | instid1(VALU_DEP_1)
	v_exp_f32_e32 v12, v12
	s_waitcnt_depctr 0xfff
	v_ldexp_f32 v12, v12, v13
	v_cndmask_b32_e32 v12, 0, v12, vcc_lo
	v_cmp_nlt_f32_e32 vcc_lo, 0x42b17218, v101
	s_delay_alu instid0(VALU_DEP_2) | instskip(NEXT) | instid1(VALU_DEP_1)
	v_cndmask_b32_e32 v14, 0x7f800000, v12, vcc_lo
	v_add_f32_e32 v15, 1.0, v14
	s_delay_alu instid0(VALU_DEP_1) | instskip(NEXT) | instid1(VALU_DEP_1)
	v_cvt_f64_f32_e32 v[12:13], v15
	v_frexp_exp_i32_f64_e32 v12, v[12:13]
	v_frexp_mant_f32_e32 v13, v15
	s_delay_alu instid0(VALU_DEP_1) | instskip(SKIP_1) | instid1(VALU_DEP_1)
	v_cmp_gt_f32_e32 vcc_lo, 0x3f2aaaab, v13
	v_add_f32_e32 v13, -1.0, v15
	v_sub_f32_e32 v101, v13, v15
	v_sub_f32_e32 v13, v14, v13
	s_delay_alu instid0(VALU_DEP_2) | instskip(NEXT) | instid1(VALU_DEP_1)
	v_add_f32_e32 v101, 1.0, v101
	v_add_f32_e32 v13, v13, v101
	v_cmp_gt_f32_e64 s28, 0x33800000, v14
	v_subrev_co_ci_u32_e32 v12, vcc_lo, 0, v12, vcc_lo
	v_cmp_eq_f32_e32 vcc_lo, 0x7f800000, v14
	s_delay_alu instid0(VALU_DEP_2) | instskip(SKIP_2) | instid1(VALU_DEP_2)
	v_sub_nc_u32_e32 v17, 0, v12
	v_cvt_f32_i32_e32 v12, v12
	s_or_b32 vcc_lo, s28, vcc_lo
	v_ldexp_f32 v15, v15, v17
	v_ldexp_f32 v13, v13, v17
	s_delay_alu instid0(VALU_DEP_2) | instskip(SKIP_1) | instid1(VALU_DEP_2)
	v_add_f32_e32 v102, 1.0, v15
	v_add_f32_e32 v17, -1.0, v15
	v_add_f32_e32 v101, -1.0, v102
	s_delay_alu instid0(VALU_DEP_2) | instskip(NEXT) | instid1(VALU_DEP_2)
	v_add_f32_e32 v103, 1.0, v17
	v_sub_f32_e32 v101, v15, v101
	s_delay_alu instid0(VALU_DEP_2) | instskip(NEXT) | instid1(VALU_DEP_2)
	v_sub_f32_e32 v15, v15, v103
	v_add_f32_e32 v101, v13, v101
	s_delay_alu instid0(VALU_DEP_2) | instskip(NEXT) | instid1(VALU_DEP_1)
	v_add_f32_e32 v13, v13, v15
	v_add_f32_e32 v104, v17, v13
	s_delay_alu instid0(VALU_DEP_3) | instskip(NEXT) | instid1(VALU_DEP_1)
	v_add_f32_e32 v103, v102, v101
	v_rcp_f32_e32 v15, v103
	v_sub_f32_e32 v102, v102, v103
	s_delay_alu instid0(VALU_DEP_1) | instskip(SKIP_2) | instid1(VALU_DEP_1)
	v_add_f32_e32 v101, v101, v102
	s_waitcnt_depctr 0xfff
	v_mul_f32_e32 v105, v104, v15
	v_dual_mul_f32 v106, v103, v105 :: v_dual_sub_f32 v17, v17, v104
	s_delay_alu instid0(VALU_DEP_1) | instskip(NEXT) | instid1(VALU_DEP_2)
	v_fma_f32 v102, v105, v103, -v106
	v_add_f32_e32 v13, v13, v17
	s_delay_alu instid0(VALU_DEP_2) | instskip(NEXT) | instid1(VALU_DEP_1)
	v_fmac_f32_e32 v102, v105, v101
	v_add_f32_e32 v107, v106, v102
	s_delay_alu instid0(VALU_DEP_1) | instskip(NEXT) | instid1(VALU_DEP_1)
	v_dual_sub_f32 v108, v104, v107 :: v_dual_sub_f32 v17, v107, v106
	v_dual_sub_f32 v104, v104, v108 :: v_dual_sub_f32 v17, v17, v102
	s_delay_alu instid0(VALU_DEP_1) | instskip(NEXT) | instid1(VALU_DEP_1)
	v_sub_f32_e32 v104, v104, v107
	v_add_f32_e32 v13, v13, v104
	s_delay_alu instid0(VALU_DEP_1) | instskip(NEXT) | instid1(VALU_DEP_1)
	v_add_f32_e32 v13, v17, v13
	v_add_f32_e32 v17, v108, v13
	s_delay_alu instid0(VALU_DEP_1) | instskip(NEXT) | instid1(VALU_DEP_1)
	v_mul_f32_e32 v102, v15, v17
	v_dual_sub_f32 v107, v108, v17 :: v_dual_mul_f32 v104, v103, v102
	s_delay_alu instid0(VALU_DEP_1) | instskip(NEXT) | instid1(VALU_DEP_2)
	v_add_f32_e32 v13, v13, v107
	v_fma_f32 v103, v102, v103, -v104
	s_delay_alu instid0(VALU_DEP_1) | instskip(NEXT) | instid1(VALU_DEP_1)
	v_fmac_f32_e32 v103, v102, v101
	v_add_f32_e32 v101, v104, v103
	s_delay_alu instid0(VALU_DEP_1) | instskip(SKIP_1) | instid1(VALU_DEP_2)
	v_sub_f32_e32 v106, v17, v101
	v_sub_f32_e32 v104, v101, v104
	;; [unrolled: 1-line block ×3, first 2 shown]
	s_delay_alu instid0(VALU_DEP_1) | instskip(NEXT) | instid1(VALU_DEP_3)
	v_sub_f32_e32 v17, v17, v101
	v_sub_f32_e32 v101, v104, v103
	s_delay_alu instid0(VALU_DEP_2) | instskip(SKIP_1) | instid1(VALU_DEP_2)
	v_add_f32_e32 v13, v13, v17
	v_add_f32_e32 v17, v105, v102
	;; [unrolled: 1-line block ×3, first 2 shown]
	s_delay_alu instid0(VALU_DEP_2) | instskip(NEXT) | instid1(VALU_DEP_2)
	v_sub_f32_e32 v101, v17, v105
	v_add_f32_e32 v13, v106, v13
	s_delay_alu instid0(VALU_DEP_2) | instskip(NEXT) | instid1(VALU_DEP_2)
	v_sub_f32_e32 v101, v102, v101
	v_mul_f32_e32 v13, v15, v13
	s_delay_alu instid0(VALU_DEP_1) | instskip(NEXT) | instid1(VALU_DEP_1)
	v_add_f32_e32 v13, v101, v13
	v_add_f32_e32 v15, v17, v13
	s_delay_alu instid0(VALU_DEP_1) | instskip(NEXT) | instid1(VALU_DEP_1)
	v_mul_f32_e32 v101, v15, v15
	v_fmaak_f32 v102, s83, v101, 0x3ecc95a3
	v_mul_f32_e32 v103, v15, v101
	s_delay_alu instid0(VALU_DEP_2) | instskip(SKIP_2) | instid1(VALU_DEP_3)
	v_fmaak_f32 v101, v101, v102, 0x3f2aaada
	v_ldexp_f32 v102, v15, 1
	v_sub_f32_e32 v15, v15, v17
	v_mul_f32_e32 v101, v103, v101
	v_mul_f32_e32 v103, 0x3f317218, v12
	s_delay_alu instid0(VALU_DEP_3) | instskip(NEXT) | instid1(VALU_DEP_3)
	v_sub_f32_e32 v13, v13, v15
	v_add_f32_e32 v17, v102, v101
	s_delay_alu instid0(VALU_DEP_2) | instskip(NEXT) | instid1(VALU_DEP_2)
	v_ldexp_f32 v13, v13, 1
	v_sub_f32_e32 v15, v17, v102
	v_fma_f32 v102, 0x3f317218, v12, -v103
	s_delay_alu instid0(VALU_DEP_1) | instskip(NEXT) | instid1(VALU_DEP_1)
	v_dual_sub_f32 v15, v101, v15 :: v_dual_fmac_f32 v102, 0xb102e308, v12
	v_dual_add_f32 v12, v13, v15 :: v_dual_add_f32 v13, v103, v102
	s_delay_alu instid0(VALU_DEP_1) | instskip(NEXT) | instid1(VALU_DEP_1)
	v_add_f32_e32 v15, v17, v12
	v_add_f32_e32 v101, v13, v15
	v_sub_f32_e32 v17, v15, v17
	s_delay_alu instid0(VALU_DEP_2) | instskip(NEXT) | instid1(VALU_DEP_2)
	v_sub_f32_e32 v104, v101, v13
	v_dual_sub_f32 v103, v13, v103 :: v_dual_sub_f32 v12, v12, v17
	s_delay_alu instid0(VALU_DEP_1) | instskip(SKIP_1) | instid1(VALU_DEP_2)
	v_dual_sub_f32 v105, v101, v104 :: v_dual_sub_f32 v102, v102, v103
	v_sub_f32_e32 v15, v15, v104
	v_sub_f32_e32 v13, v13, v105
	s_delay_alu instid0(VALU_DEP_3) | instskip(NEXT) | instid1(VALU_DEP_2)
	v_add_f32_e32 v17, v102, v12
	v_add_f32_e32 v13, v15, v13
	s_delay_alu instid0(VALU_DEP_2) | instskip(NEXT) | instid1(VALU_DEP_2)
	v_sub_f32_e32 v15, v17, v102
	v_add_f32_e32 v13, v17, v13
	s_delay_alu instid0(VALU_DEP_2) | instskip(NEXT) | instid1(VALU_DEP_2)
	v_sub_f32_e32 v17, v17, v15
	v_dual_sub_f32 v12, v12, v15 :: v_dual_add_f32 v103, v101, v13
	s_delay_alu instid0(VALU_DEP_2) | instskip(NEXT) | instid1(VALU_DEP_2)
	v_sub_f32_e32 v17, v102, v17
	v_sub_f32_e32 v15, v103, v101
	s_delay_alu instid0(VALU_DEP_1) | instskip(NEXT) | instid1(VALU_DEP_1)
	v_dual_add_f32 v12, v12, v17 :: v_dual_sub_f32 v13, v13, v15
	v_add_f32_e32 v12, v12, v13
	s_delay_alu instid0(VALU_DEP_1) | instskip(NEXT) | instid1(VALU_DEP_1)
	v_add_f32_e32 v12, v103, v12
	v_cndmask_b32_e32 v101, v12, v14, vcc_lo
.LBB84_90:                              ;   in Loop: Header=BB84_12 Depth=1
	s_or_b32 exec_lo, exec_lo, s29
	s_waitcnt lgkmcnt(0)
	v_cvt_f32_f16_e32 v12, v8
	s_delay_alu instid0(VALU_DEP_1) | instskip(NEXT) | instid1(VALU_DEP_1)
	v_add_f32_e32 v104, s66, v12
	v_cmp_ge_f32_e32 vcc_lo, 0x41a00000, v104
	s_and_b32 s28, s79, vcc_lo
	s_delay_alu instid0(SALU_CYCLE_1)
	s_and_saveexec_b32 s29, s28
	s_cbranch_execz .LBB84_92
; %bb.91:                               ;   in Loop: Header=BB84_12 Depth=1
	v_mul_f32_e32 v12, 0x3fb8aa3b, v104
	v_cmp_ngt_f32_e32 vcc_lo, 0xc2ce8ed0, v104
	s_delay_alu instid0(VALU_DEP_2) | instskip(SKIP_1) | instid1(VALU_DEP_2)
	v_rndne_f32_e32 v13, v12
	v_fma_f32 v14, 0x3fb8aa3b, v104, -v12
	v_sub_f32_e32 v12, v12, v13
	s_delay_alu instid0(VALU_DEP_2) | instskip(SKIP_1) | instid1(VALU_DEP_2)
	v_fmac_f32_e32 v14, 0x32a5705f, v104
	v_cvt_i32_f32_e32 v13, v13
	v_add_f32_e32 v12, v12, v14
	s_delay_alu instid0(VALU_DEP_1) | instskip(SKIP_2) | instid1(VALU_DEP_1)
	v_exp_f32_e32 v12, v12
	s_waitcnt_depctr 0xfff
	v_ldexp_f32 v12, v12, v13
	v_cndmask_b32_e32 v12, 0, v12, vcc_lo
	v_cmp_nlt_f32_e32 vcc_lo, 0x42b17218, v104
	s_delay_alu instid0(VALU_DEP_2) | instskip(NEXT) | instid1(VALU_DEP_1)
	v_cndmask_b32_e32 v14, 0x7f800000, v12, vcc_lo
	v_add_f32_e32 v15, 1.0, v14
	s_delay_alu instid0(VALU_DEP_1) | instskip(NEXT) | instid1(VALU_DEP_1)
	v_cvt_f64_f32_e32 v[12:13], v15
	v_frexp_exp_i32_f64_e32 v12, v[12:13]
	v_frexp_mant_f32_e32 v13, v15
	s_delay_alu instid0(VALU_DEP_1) | instskip(SKIP_1) | instid1(VALU_DEP_1)
	v_cmp_gt_f32_e32 vcc_lo, 0x3f2aaaab, v13
	v_add_f32_e32 v13, -1.0, v15
	v_dual_sub_f32 v102, v13, v15 :: v_dual_sub_f32 v13, v14, v13
	s_delay_alu instid0(VALU_DEP_1) | instskip(NEXT) | instid1(VALU_DEP_1)
	v_add_f32_e32 v102, 1.0, v102
	v_add_f32_e32 v13, v13, v102
	v_subrev_co_ci_u32_e32 v12, vcc_lo, 0, v12, vcc_lo
	s_delay_alu instid0(VALU_DEP_1) | instskip(SKIP_1) | instid1(VALU_DEP_2)
	v_sub_nc_u32_e32 v17, 0, v12
	v_cvt_f32_i32_e32 v12, v12
	v_ldexp_f32 v15, v15, v17
	v_ldexp_f32 v13, v13, v17
	s_delay_alu instid0(VALU_DEP_2) | instskip(SKIP_3) | instid1(VALU_DEP_4)
	v_add_f32_e32 v103, 1.0, v15
	v_add_f32_e32 v17, -1.0, v15
	v_cmp_eq_f32_e32 vcc_lo, 0x7f800000, v14
	v_cmp_gt_f32_e64 s28, 0x33800000, v14
	v_add_f32_e32 v102, -1.0, v103
	s_delay_alu instid0(VALU_DEP_4) | instskip(NEXT) | instid1(VALU_DEP_3)
	v_add_f32_e32 v104, 1.0, v17
	s_or_b32 vcc_lo, s28, vcc_lo
	s_delay_alu instid0(VALU_DEP_2) | instskip(NEXT) | instid1(VALU_DEP_1)
	v_sub_f32_e32 v102, v15, v102
	v_dual_sub_f32 v15, v15, v104 :: v_dual_add_f32 v102, v13, v102
	s_delay_alu instid0(VALU_DEP_1) | instskip(NEXT) | instid1(VALU_DEP_1)
	v_add_f32_e32 v13, v13, v15
	v_dual_add_f32 v105, v17, v13 :: v_dual_add_f32 v104, v103, v102
	s_delay_alu instid0(VALU_DEP_1) | instskip(NEXT) | instid1(VALU_DEP_2)
	v_sub_f32_e32 v17, v17, v105
	v_rcp_f32_e32 v15, v104
	v_sub_f32_e32 v103, v103, v104
	s_delay_alu instid0(VALU_DEP_1) | instskip(SKIP_2) | instid1(VALU_DEP_1)
	v_dual_add_f32 v102, v102, v103 :: v_dual_add_f32 v13, v13, v17
	s_waitcnt_depctr 0xfff
	v_mul_f32_e32 v106, v105, v15
	v_mul_f32_e32 v107, v104, v106
	s_delay_alu instid0(VALU_DEP_1) | instskip(NEXT) | instid1(VALU_DEP_1)
	v_fma_f32 v103, v106, v104, -v107
	v_fmac_f32_e32 v103, v106, v102
	s_delay_alu instid0(VALU_DEP_1) | instskip(NEXT) | instid1(VALU_DEP_1)
	v_add_f32_e32 v108, v107, v103
	v_sub_f32_e32 v109, v105, v108
	s_delay_alu instid0(VALU_DEP_1) | instskip(SKIP_1) | instid1(VALU_DEP_2)
	v_sub_f32_e32 v105, v105, v109
	v_sub_f32_e32 v17, v108, v107
	;; [unrolled: 1-line block ×3, first 2 shown]
	s_delay_alu instid0(VALU_DEP_2) | instskip(NEXT) | instid1(VALU_DEP_2)
	v_sub_f32_e32 v17, v17, v103
	v_add_f32_e32 v13, v13, v105
	s_delay_alu instid0(VALU_DEP_1) | instskip(NEXT) | instid1(VALU_DEP_1)
	v_add_f32_e32 v13, v17, v13
	v_add_f32_e32 v17, v109, v13
	s_delay_alu instid0(VALU_DEP_1) | instskip(NEXT) | instid1(VALU_DEP_1)
	v_mul_f32_e32 v103, v15, v17
	v_dual_sub_f32 v108, v109, v17 :: v_dual_mul_f32 v105, v104, v103
	s_delay_alu instid0(VALU_DEP_1) | instskip(NEXT) | instid1(VALU_DEP_2)
	v_add_f32_e32 v13, v13, v108
	v_fma_f32 v104, v103, v104, -v105
	s_delay_alu instid0(VALU_DEP_1) | instskip(NEXT) | instid1(VALU_DEP_1)
	v_fmac_f32_e32 v104, v103, v102
	v_add_f32_e32 v102, v105, v104
	s_delay_alu instid0(VALU_DEP_1) | instskip(NEXT) | instid1(VALU_DEP_1)
	v_sub_f32_e32 v107, v17, v102
	v_sub_f32_e32 v17, v17, v107
	s_delay_alu instid0(VALU_DEP_1) | instskip(NEXT) | instid1(VALU_DEP_1)
	v_sub_f32_e32 v17, v17, v102
	v_add_f32_e32 v13, v13, v17
	v_add_f32_e32 v17, v106, v103
	v_sub_f32_e32 v105, v102, v105
	s_delay_alu instid0(VALU_DEP_1) | instskip(NEXT) | instid1(VALU_DEP_1)
	v_sub_f32_e32 v102, v105, v104
	v_dual_add_f32 v13, v102, v13 :: v_dual_sub_f32 v102, v17, v106
	s_delay_alu instid0(VALU_DEP_1) | instskip(NEXT) | instid1(VALU_DEP_2)
	v_add_f32_e32 v13, v107, v13
	v_sub_f32_e32 v102, v103, v102
	s_delay_alu instid0(VALU_DEP_2) | instskip(NEXT) | instid1(VALU_DEP_1)
	v_mul_f32_e32 v13, v15, v13
	v_add_f32_e32 v13, v102, v13
	s_delay_alu instid0(VALU_DEP_1) | instskip(NEXT) | instid1(VALU_DEP_1)
	v_add_f32_e32 v15, v17, v13
	v_mul_f32_e32 v102, v15, v15
	s_delay_alu instid0(VALU_DEP_1) | instskip(SKIP_1) | instid1(VALU_DEP_2)
	v_fmaak_f32 v103, s83, v102, 0x3ecc95a3
	v_mul_f32_e32 v104, v15, v102
	v_fmaak_f32 v102, v102, v103, 0x3f2aaada
	v_ldexp_f32 v103, v15, 1
	s_delay_alu instid0(VALU_DEP_2) | instskip(NEXT) | instid1(VALU_DEP_1)
	v_dual_sub_f32 v15, v15, v17 :: v_dual_mul_f32 v102, v104, v102
	v_dual_mul_f32 v104, 0x3f317218, v12 :: v_dual_sub_f32 v13, v13, v15
	s_delay_alu instid0(VALU_DEP_2) | instskip(NEXT) | instid1(VALU_DEP_2)
	v_add_f32_e32 v17, v103, v102
	v_ldexp_f32 v13, v13, 1
	s_delay_alu instid0(VALU_DEP_2) | instskip(NEXT) | instid1(VALU_DEP_4)
	v_sub_f32_e32 v15, v17, v103
	v_fma_f32 v103, 0x3f317218, v12, -v104
	s_delay_alu instid0(VALU_DEP_2) | instskip(NEXT) | instid1(VALU_DEP_1)
	v_sub_f32_e32 v15, v102, v15
	v_dual_fmac_f32 v103, 0xb102e308, v12 :: v_dual_add_f32 v12, v13, v15
	s_delay_alu instid0(VALU_DEP_1) | instskip(NEXT) | instid1(VALU_DEP_2)
	v_add_f32_e32 v13, v104, v103
	v_add_f32_e32 v15, v17, v12
	s_delay_alu instid0(VALU_DEP_2) | instskip(NEXT) | instid1(VALU_DEP_2)
	v_sub_f32_e32 v104, v13, v104
	v_dual_add_f32 v102, v13, v15 :: v_dual_sub_f32 v17, v15, v17
	s_delay_alu instid0(VALU_DEP_2) | instskip(NEXT) | instid1(VALU_DEP_2)
	v_sub_f32_e32 v103, v103, v104
	v_sub_f32_e32 v105, v102, v13
	s_delay_alu instid0(VALU_DEP_3) | instskip(NEXT) | instid1(VALU_DEP_2)
	v_sub_f32_e32 v12, v12, v17
	v_sub_f32_e32 v106, v102, v105
	;; [unrolled: 1-line block ×3, first 2 shown]
	s_delay_alu instid0(VALU_DEP_3) | instskip(NEXT) | instid1(VALU_DEP_3)
	v_add_f32_e32 v17, v103, v12
	v_sub_f32_e32 v13, v13, v106
	s_delay_alu instid0(VALU_DEP_1) | instskip(NEXT) | instid1(VALU_DEP_3)
	v_add_f32_e32 v13, v15, v13
	v_sub_f32_e32 v15, v17, v103
	s_delay_alu instid0(VALU_DEP_2) | instskip(NEXT) | instid1(VALU_DEP_2)
	v_add_f32_e32 v13, v17, v13
	v_sub_f32_e32 v17, v17, v15
	v_sub_f32_e32 v12, v12, v15
	s_delay_alu instid0(VALU_DEP_3) | instskip(NEXT) | instid1(VALU_DEP_3)
	v_add_f32_e32 v104, v102, v13
	v_sub_f32_e32 v17, v103, v17
	s_delay_alu instid0(VALU_DEP_2) | instskip(NEXT) | instid1(VALU_DEP_1)
	v_sub_f32_e32 v15, v104, v102
	v_dual_add_f32 v12, v12, v17 :: v_dual_sub_f32 v13, v13, v15
	s_delay_alu instid0(VALU_DEP_1) | instskip(NEXT) | instid1(VALU_DEP_1)
	v_add_f32_e32 v12, v12, v13
	v_add_f32_e32 v12, v104, v12
	s_delay_alu instid0(VALU_DEP_1)
	v_cndmask_b32_e32 v104, v12, v14, vcc_lo
.LBB84_92:                              ;   in Loop: Header=BB84_12 Depth=1
	s_or_b32 exec_lo, exec_lo, s29
	v_lshrrev_b32_e32 v8, 16, v8
	s_delay_alu instid0(VALU_DEP_1) | instskip(NEXT) | instid1(VALU_DEP_1)
	v_cvt_f32_f16_e32 v8, v8
	v_add_f32_e32 v115, s66, v8
	s_delay_alu instid0(VALU_DEP_1) | instskip(SKIP_1) | instid1(SALU_CYCLE_1)
	v_cmp_ge_f32_e32 vcc_lo, 0x41a00000, v115
	s_and_b32 s28, s79, vcc_lo
	s_and_saveexec_b32 s29, s28
	s_cbranch_execz .LBB84_94
; %bb.93:                               ;   in Loop: Header=BB84_12 Depth=1
	v_mul_f32_e32 v8, 0x3fb8aa3b, v115
	v_cmp_ngt_f32_e32 vcc_lo, 0xc2ce8ed0, v115
	s_delay_alu instid0(VALU_DEP_2) | instskip(SKIP_1) | instid1(VALU_DEP_1)
	v_rndne_f32_e32 v12, v8
	v_fma_f32 v13, 0x3fb8aa3b, v115, -v8
	v_dual_sub_f32 v8, v8, v12 :: v_dual_fmac_f32 v13, 0x32a5705f, v115
	v_cvt_i32_f32_e32 v12, v12
	s_delay_alu instid0(VALU_DEP_2) | instskip(NEXT) | instid1(VALU_DEP_1)
	v_add_f32_e32 v8, v8, v13
	v_exp_f32_e32 v8, v8
	s_waitcnt_depctr 0xfff
	v_ldexp_f32 v8, v8, v12
	s_delay_alu instid0(VALU_DEP_1) | instskip(SKIP_1) | instid1(VALU_DEP_2)
	v_cndmask_b32_e32 v8, 0, v8, vcc_lo
	v_cmp_nlt_f32_e32 vcc_lo, 0x42b17218, v115
	v_cndmask_b32_e32 v8, 0x7f800000, v8, vcc_lo
	s_delay_alu instid0(VALU_DEP_1) | instskip(NEXT) | instid1(VALU_DEP_1)
	v_add_f32_e32 v14, 1.0, v8
	v_cvt_f64_f32_e32 v[12:13], v14
	s_delay_alu instid0(VALU_DEP_1) | instskip(SKIP_1) | instid1(VALU_DEP_1)
	v_frexp_exp_i32_f64_e32 v12, v[12:13]
	v_frexp_mant_f32_e32 v13, v14
	v_cmp_gt_f32_e32 vcc_lo, 0x3f2aaaab, v13
	v_add_f32_e32 v13, -1.0, v14
	s_delay_alu instid0(VALU_DEP_1) | instskip(SKIP_1) | instid1(VALU_DEP_2)
	v_sub_f32_e32 v17, v13, v14
	v_sub_f32_e32 v13, v8, v13
	v_add_f32_e32 v17, 1.0, v17
	s_delay_alu instid0(VALU_DEP_1) | instskip(SKIP_3) | instid1(VALU_DEP_2)
	v_add_f32_e32 v13, v13, v17
	v_cmp_gt_f32_e64 s28, 0x33800000, v8
	v_subrev_co_ci_u32_e32 v12, vcc_lo, 0, v12, vcc_lo
	v_cmp_eq_f32_e32 vcc_lo, 0x7f800000, v8
	v_sub_nc_u32_e32 v15, 0, v12
	v_cvt_f32_i32_e32 v12, v12
	s_or_b32 vcc_lo, s28, vcc_lo
	s_delay_alu instid0(VALU_DEP_2) | instskip(SKIP_1) | instid1(VALU_DEP_2)
	v_ldexp_f32 v14, v14, v15
	v_ldexp_f32 v13, v13, v15
	v_add_f32_e32 v102, 1.0, v14
	v_add_f32_e32 v15, -1.0, v14
	s_delay_alu instid0(VALU_DEP_1) | instskip(NEXT) | instid1(VALU_DEP_3)
	v_add_f32_e32 v103, 1.0, v15
	v_add_f32_e32 v17, -1.0, v102
	s_delay_alu instid0(VALU_DEP_1) | instskip(NEXT) | instid1(VALU_DEP_1)
	v_sub_f32_e32 v17, v14, v17
	v_dual_sub_f32 v14, v14, v103 :: v_dual_add_f32 v17, v13, v17
	s_delay_alu instid0(VALU_DEP_1) | instskip(NEXT) | instid1(VALU_DEP_1)
	v_add_f32_e32 v103, v102, v17
	v_sub_f32_e32 v102, v102, v103
	s_delay_alu instid0(VALU_DEP_1) | instskip(NEXT) | instid1(VALU_DEP_4)
	v_add_f32_e32 v17, v17, v102
	v_add_f32_e32 v13, v13, v14
	v_rcp_f32_e32 v14, v103
	s_delay_alu instid0(VALU_DEP_1) | instskip(SKIP_2) | instid1(VALU_DEP_1)
	v_add_f32_e32 v105, v15, v13
	s_waitcnt_depctr 0xfff
	v_dual_sub_f32 v15, v15, v105 :: v_dual_mul_f32 v106, v105, v14
	v_mul_f32_e32 v107, v103, v106
	s_delay_alu instid0(VALU_DEP_1) | instskip(NEXT) | instid1(VALU_DEP_1)
	v_fma_f32 v102, v106, v103, -v107
	v_dual_fmac_f32 v102, v106, v17 :: v_dual_add_f32 v13, v13, v15
	s_delay_alu instid0(VALU_DEP_1) | instskip(NEXT) | instid1(VALU_DEP_1)
	v_add_f32_e32 v108, v107, v102
	v_sub_f32_e32 v109, v105, v108
	v_sub_f32_e32 v15, v108, v107
	s_delay_alu instid0(VALU_DEP_2) | instskip(NEXT) | instid1(VALU_DEP_2)
	v_sub_f32_e32 v105, v105, v109
	v_sub_f32_e32 v15, v15, v102
	s_delay_alu instid0(VALU_DEP_2) | instskip(NEXT) | instid1(VALU_DEP_1)
	v_sub_f32_e32 v105, v105, v108
	v_add_f32_e32 v13, v13, v105
	s_delay_alu instid0(VALU_DEP_1) | instskip(NEXT) | instid1(VALU_DEP_1)
	v_add_f32_e32 v13, v15, v13
	v_add_f32_e32 v15, v109, v13
	s_delay_alu instid0(VALU_DEP_1) | instskip(NEXT) | instid1(VALU_DEP_1)
	v_mul_f32_e32 v102, v14, v15
	v_dual_sub_f32 v108, v109, v15 :: v_dual_mul_f32 v105, v103, v102
	s_delay_alu instid0(VALU_DEP_1) | instskip(NEXT) | instid1(VALU_DEP_2)
	v_add_f32_e32 v13, v13, v108
	v_fma_f32 v103, v102, v103, -v105
	s_delay_alu instid0(VALU_DEP_1) | instskip(NEXT) | instid1(VALU_DEP_1)
	v_fmac_f32_e32 v103, v102, v17
	v_add_f32_e32 v17, v105, v103
	s_delay_alu instid0(VALU_DEP_1) | instskip(SKIP_1) | instid1(VALU_DEP_2)
	v_sub_f32_e32 v107, v15, v17
	v_sub_f32_e32 v105, v17, v105
	;; [unrolled: 1-line block ×3, first 2 shown]
	s_delay_alu instid0(VALU_DEP_1) | instskip(NEXT) | instid1(VALU_DEP_3)
	v_sub_f32_e32 v15, v15, v17
	v_sub_f32_e32 v17, v105, v103
	s_delay_alu instid0(VALU_DEP_2) | instskip(SKIP_1) | instid1(VALU_DEP_2)
	v_add_f32_e32 v13, v13, v15
	v_add_f32_e32 v15, v106, v102
	;; [unrolled: 1-line block ×3, first 2 shown]
	s_delay_alu instid0(VALU_DEP_2) | instskip(NEXT) | instid1(VALU_DEP_2)
	v_sub_f32_e32 v17, v15, v106
	v_add_f32_e32 v13, v107, v13
	s_delay_alu instid0(VALU_DEP_2) | instskip(NEXT) | instid1(VALU_DEP_2)
	v_sub_f32_e32 v17, v102, v17
	v_mul_f32_e32 v13, v14, v13
	s_delay_alu instid0(VALU_DEP_1) | instskip(NEXT) | instid1(VALU_DEP_1)
	v_add_f32_e32 v13, v17, v13
	v_add_f32_e32 v14, v15, v13
	s_delay_alu instid0(VALU_DEP_1) | instskip(NEXT) | instid1(VALU_DEP_1)
	v_mul_f32_e32 v17, v14, v14
	v_fmaak_f32 v102, s83, v17, 0x3ecc95a3
	v_mul_f32_e32 v103, v14, v17
	s_delay_alu instid0(VALU_DEP_2) | instskip(SKIP_1) | instid1(VALU_DEP_2)
	v_fmaak_f32 v17, v17, v102, 0x3f2aaada
	v_ldexp_f32 v102, v14, 1
	v_dual_sub_f32 v14, v14, v15 :: v_dual_mul_f32 v17, v103, v17
	v_mul_f32_e32 v103, 0x3f317218, v12
	s_delay_alu instid0(VALU_DEP_2) | instskip(NEXT) | instid1(VALU_DEP_3)
	v_sub_f32_e32 v13, v13, v14
	v_add_f32_e32 v15, v102, v17
	s_delay_alu instid0(VALU_DEP_2) | instskip(NEXT) | instid1(VALU_DEP_2)
	v_ldexp_f32 v13, v13, 1
	v_sub_f32_e32 v14, v15, v102
	v_fma_f32 v102, 0x3f317218, v12, -v103
	s_delay_alu instid0(VALU_DEP_2) | instskip(NEXT) | instid1(VALU_DEP_2)
	v_sub_f32_e32 v14, v17, v14
	v_fmac_f32_e32 v102, 0xb102e308, v12
	s_delay_alu instid0(VALU_DEP_2) | instskip(NEXT) | instid1(VALU_DEP_2)
	v_add_f32_e32 v12, v13, v14
	v_add_f32_e32 v13, v103, v102
	s_delay_alu instid0(VALU_DEP_1) | instskip(NEXT) | instid1(VALU_DEP_1)
	v_dual_add_f32 v14, v15, v12 :: v_dual_sub_f32 v103, v13, v103
	v_add_f32_e32 v17, v13, v14
	v_sub_f32_e32 v15, v14, v15
	s_delay_alu instid0(VALU_DEP_2) | instskip(NEXT) | instid1(VALU_DEP_2)
	v_dual_sub_f32 v102, v102, v103 :: v_dual_sub_f32 v105, v17, v13
	v_sub_f32_e32 v12, v12, v15
	s_delay_alu instid0(VALU_DEP_2) | instskip(SKIP_1) | instid1(VALU_DEP_3)
	v_sub_f32_e32 v106, v17, v105
	v_sub_f32_e32 v14, v14, v105
	v_add_f32_e32 v15, v102, v12
	s_delay_alu instid0(VALU_DEP_3) | instskip(NEXT) | instid1(VALU_DEP_1)
	v_sub_f32_e32 v13, v13, v106
	v_dual_add_f32 v13, v14, v13 :: v_dual_sub_f32 v14, v15, v102
	s_delay_alu instid0(VALU_DEP_1) | instskip(NEXT) | instid1(VALU_DEP_2)
	v_add_f32_e32 v13, v15, v13
	v_sub_f32_e32 v15, v15, v14
	s_delay_alu instid0(VALU_DEP_2) | instskip(NEXT) | instid1(VALU_DEP_1)
	v_dual_sub_f32 v12, v12, v14 :: v_dual_add_f32 v103, v17, v13
	v_dual_sub_f32 v15, v102, v15 :: v_dual_sub_f32 v14, v103, v17
	s_delay_alu instid0(VALU_DEP_1) | instskip(NEXT) | instid1(VALU_DEP_1)
	v_dual_add_f32 v12, v12, v15 :: v_dual_sub_f32 v13, v13, v14
	v_add_f32_e32 v12, v12, v13
	s_delay_alu instid0(VALU_DEP_1) | instskip(NEXT) | instid1(VALU_DEP_1)
	v_add_f32_e32 v12, v103, v12
	v_cndmask_b32_e32 v115, v12, v8, vcc_lo
.LBB84_94:                              ;   in Loop: Header=BB84_12 Depth=1
	s_or_b32 exec_lo, exec_lo, s29
	v_cvt_f32_f16_e32 v8, v9
	s_delay_alu instid0(VALU_DEP_1) | instskip(NEXT) | instid1(VALU_DEP_1)
	v_add_f32_e32 v118, s66, v8
	v_cmp_ge_f32_e32 vcc_lo, 0x41a00000, v118
	s_and_b32 s28, s79, vcc_lo
	s_delay_alu instid0(SALU_CYCLE_1)
	s_and_saveexec_b32 s29, s28
	s_cbranch_execz .LBB84_96
; %bb.95:                               ;   in Loop: Header=BB84_12 Depth=1
	v_mul_f32_e32 v8, 0x3fb8aa3b, v118
	v_cmp_ngt_f32_e32 vcc_lo, 0xc2ce8ed0, v118
	s_delay_alu instid0(VALU_DEP_2) | instskip(SKIP_1) | instid1(VALU_DEP_1)
	v_rndne_f32_e32 v12, v8
	v_fma_f32 v13, 0x3fb8aa3b, v118, -v8
	v_dual_sub_f32 v8, v8, v12 :: v_dual_fmac_f32 v13, 0x32a5705f, v118
	v_cvt_i32_f32_e32 v12, v12
	s_delay_alu instid0(VALU_DEP_2) | instskip(NEXT) | instid1(VALU_DEP_1)
	v_add_f32_e32 v8, v8, v13
	v_exp_f32_e32 v8, v8
	s_waitcnt_depctr 0xfff
	v_ldexp_f32 v8, v8, v12
	s_delay_alu instid0(VALU_DEP_1) | instskip(SKIP_1) | instid1(VALU_DEP_2)
	v_cndmask_b32_e32 v8, 0, v8, vcc_lo
	v_cmp_nlt_f32_e32 vcc_lo, 0x42b17218, v118
	v_cndmask_b32_e32 v8, 0x7f800000, v8, vcc_lo
	s_delay_alu instid0(VALU_DEP_1) | instskip(NEXT) | instid1(VALU_DEP_1)
	v_add_f32_e32 v14, 1.0, v8
	v_cvt_f64_f32_e32 v[12:13], v14
	s_delay_alu instid0(VALU_DEP_1) | instskip(SKIP_1) | instid1(VALU_DEP_1)
	v_frexp_exp_i32_f64_e32 v12, v[12:13]
	v_frexp_mant_f32_e32 v13, v14
	v_cmp_gt_f32_e32 vcc_lo, 0x3f2aaaab, v13
	v_add_f32_e32 v13, -1.0, v14
	s_delay_alu instid0(VALU_DEP_1) | instskip(SKIP_1) | instid1(VALU_DEP_2)
	v_sub_f32_e32 v17, v13, v14
	v_sub_f32_e32 v13, v8, v13
	v_add_f32_e32 v17, 1.0, v17
	s_delay_alu instid0(VALU_DEP_1) | instskip(SKIP_3) | instid1(VALU_DEP_2)
	v_add_f32_e32 v13, v13, v17
	v_cmp_gt_f32_e64 s28, 0x33800000, v8
	v_subrev_co_ci_u32_e32 v12, vcc_lo, 0, v12, vcc_lo
	v_cmp_eq_f32_e32 vcc_lo, 0x7f800000, v8
	v_sub_nc_u32_e32 v15, 0, v12
	v_cvt_f32_i32_e32 v12, v12
	s_or_b32 vcc_lo, s28, vcc_lo
	s_delay_alu instid0(VALU_DEP_2) | instskip(SKIP_1) | instid1(VALU_DEP_2)
	v_ldexp_f32 v14, v14, v15
	v_ldexp_f32 v13, v13, v15
	v_add_f32_e32 v102, 1.0, v14
	v_add_f32_e32 v15, -1.0, v14
	s_delay_alu instid0(VALU_DEP_1) | instskip(NEXT) | instid1(VALU_DEP_3)
	v_add_f32_e32 v103, 1.0, v15
	v_add_f32_e32 v17, -1.0, v102
	s_delay_alu instid0(VALU_DEP_1) | instskip(NEXT) | instid1(VALU_DEP_1)
	v_sub_f32_e32 v17, v14, v17
	v_dual_sub_f32 v14, v14, v103 :: v_dual_add_f32 v17, v13, v17
	s_delay_alu instid0(VALU_DEP_1) | instskip(NEXT) | instid1(VALU_DEP_1)
	v_add_f32_e32 v103, v102, v17
	v_sub_f32_e32 v102, v102, v103
	s_delay_alu instid0(VALU_DEP_1) | instskip(NEXT) | instid1(VALU_DEP_4)
	v_add_f32_e32 v17, v17, v102
	v_add_f32_e32 v13, v13, v14
	v_rcp_f32_e32 v14, v103
	s_delay_alu instid0(VALU_DEP_1) | instskip(SKIP_2) | instid1(VALU_DEP_1)
	v_add_f32_e32 v105, v15, v13
	s_waitcnt_depctr 0xfff
	v_dual_sub_f32 v15, v15, v105 :: v_dual_mul_f32 v106, v105, v14
	v_mul_f32_e32 v107, v103, v106
	s_delay_alu instid0(VALU_DEP_1) | instskip(NEXT) | instid1(VALU_DEP_1)
	v_fma_f32 v102, v106, v103, -v107
	v_dual_fmac_f32 v102, v106, v17 :: v_dual_add_f32 v13, v13, v15
	s_delay_alu instid0(VALU_DEP_1) | instskip(NEXT) | instid1(VALU_DEP_1)
	v_add_f32_e32 v108, v107, v102
	v_sub_f32_e32 v109, v105, v108
	v_sub_f32_e32 v15, v108, v107
	s_delay_alu instid0(VALU_DEP_2) | instskip(NEXT) | instid1(VALU_DEP_2)
	v_sub_f32_e32 v105, v105, v109
	v_sub_f32_e32 v15, v15, v102
	s_delay_alu instid0(VALU_DEP_2) | instskip(NEXT) | instid1(VALU_DEP_1)
	v_sub_f32_e32 v105, v105, v108
	v_add_f32_e32 v13, v13, v105
	s_delay_alu instid0(VALU_DEP_1) | instskip(NEXT) | instid1(VALU_DEP_1)
	v_add_f32_e32 v13, v15, v13
	v_add_f32_e32 v15, v109, v13
	s_delay_alu instid0(VALU_DEP_1) | instskip(NEXT) | instid1(VALU_DEP_1)
	v_mul_f32_e32 v102, v14, v15
	v_dual_sub_f32 v108, v109, v15 :: v_dual_mul_f32 v105, v103, v102
	s_delay_alu instid0(VALU_DEP_1) | instskip(NEXT) | instid1(VALU_DEP_2)
	v_add_f32_e32 v13, v13, v108
	v_fma_f32 v103, v102, v103, -v105
	s_delay_alu instid0(VALU_DEP_1) | instskip(NEXT) | instid1(VALU_DEP_1)
	v_fmac_f32_e32 v103, v102, v17
	v_add_f32_e32 v17, v105, v103
	s_delay_alu instid0(VALU_DEP_1) | instskip(SKIP_1) | instid1(VALU_DEP_2)
	v_sub_f32_e32 v107, v15, v17
	v_sub_f32_e32 v105, v17, v105
	v_sub_f32_e32 v15, v15, v107
	s_delay_alu instid0(VALU_DEP_1) | instskip(NEXT) | instid1(VALU_DEP_3)
	v_sub_f32_e32 v15, v15, v17
	v_sub_f32_e32 v17, v105, v103
	s_delay_alu instid0(VALU_DEP_2) | instskip(SKIP_1) | instid1(VALU_DEP_2)
	v_add_f32_e32 v13, v13, v15
	v_add_f32_e32 v15, v106, v102
	;; [unrolled: 1-line block ×3, first 2 shown]
	s_delay_alu instid0(VALU_DEP_2) | instskip(NEXT) | instid1(VALU_DEP_2)
	v_sub_f32_e32 v17, v15, v106
	v_add_f32_e32 v13, v107, v13
	s_delay_alu instid0(VALU_DEP_2) | instskip(NEXT) | instid1(VALU_DEP_2)
	v_sub_f32_e32 v17, v102, v17
	v_mul_f32_e32 v13, v14, v13
	s_delay_alu instid0(VALU_DEP_1) | instskip(NEXT) | instid1(VALU_DEP_1)
	v_add_f32_e32 v13, v17, v13
	v_add_f32_e32 v14, v15, v13
	s_delay_alu instid0(VALU_DEP_1) | instskip(NEXT) | instid1(VALU_DEP_1)
	v_mul_f32_e32 v17, v14, v14
	v_fmaak_f32 v102, s83, v17, 0x3ecc95a3
	v_mul_f32_e32 v103, v14, v17
	s_delay_alu instid0(VALU_DEP_2) | instskip(SKIP_1) | instid1(VALU_DEP_2)
	v_fmaak_f32 v17, v17, v102, 0x3f2aaada
	v_ldexp_f32 v102, v14, 1
	v_dual_sub_f32 v14, v14, v15 :: v_dual_mul_f32 v17, v103, v17
	v_mul_f32_e32 v103, 0x3f317218, v12
	s_delay_alu instid0(VALU_DEP_2) | instskip(NEXT) | instid1(VALU_DEP_3)
	v_sub_f32_e32 v13, v13, v14
	v_add_f32_e32 v15, v102, v17
	s_delay_alu instid0(VALU_DEP_2) | instskip(NEXT) | instid1(VALU_DEP_2)
	v_ldexp_f32 v13, v13, 1
	v_sub_f32_e32 v14, v15, v102
	v_fma_f32 v102, 0x3f317218, v12, -v103
	s_delay_alu instid0(VALU_DEP_2) | instskip(NEXT) | instid1(VALU_DEP_2)
	v_sub_f32_e32 v14, v17, v14
	v_fmac_f32_e32 v102, 0xb102e308, v12
	s_delay_alu instid0(VALU_DEP_2) | instskip(NEXT) | instid1(VALU_DEP_2)
	v_add_f32_e32 v12, v13, v14
	v_add_f32_e32 v13, v103, v102
	s_delay_alu instid0(VALU_DEP_1) | instskip(NEXT) | instid1(VALU_DEP_1)
	v_dual_add_f32 v14, v15, v12 :: v_dual_sub_f32 v103, v13, v103
	v_add_f32_e32 v17, v13, v14
	v_sub_f32_e32 v15, v14, v15
	s_delay_alu instid0(VALU_DEP_2) | instskip(NEXT) | instid1(VALU_DEP_2)
	v_dual_sub_f32 v102, v102, v103 :: v_dual_sub_f32 v105, v17, v13
	v_sub_f32_e32 v12, v12, v15
	s_delay_alu instid0(VALU_DEP_2) | instskip(SKIP_1) | instid1(VALU_DEP_3)
	v_sub_f32_e32 v106, v17, v105
	v_sub_f32_e32 v14, v14, v105
	v_add_f32_e32 v15, v102, v12
	s_delay_alu instid0(VALU_DEP_3) | instskip(NEXT) | instid1(VALU_DEP_1)
	v_sub_f32_e32 v13, v13, v106
	v_dual_add_f32 v13, v14, v13 :: v_dual_sub_f32 v14, v15, v102
	s_delay_alu instid0(VALU_DEP_1) | instskip(NEXT) | instid1(VALU_DEP_2)
	v_add_f32_e32 v13, v15, v13
	v_sub_f32_e32 v15, v15, v14
	s_delay_alu instid0(VALU_DEP_2) | instskip(NEXT) | instid1(VALU_DEP_1)
	v_dual_sub_f32 v12, v12, v14 :: v_dual_add_f32 v103, v17, v13
	v_dual_sub_f32 v15, v102, v15 :: v_dual_sub_f32 v14, v103, v17
	s_delay_alu instid0(VALU_DEP_1) | instskip(NEXT) | instid1(VALU_DEP_1)
	v_dual_add_f32 v12, v12, v15 :: v_dual_sub_f32 v13, v13, v14
	v_add_f32_e32 v12, v12, v13
	s_delay_alu instid0(VALU_DEP_1) | instskip(NEXT) | instid1(VALU_DEP_1)
	v_add_f32_e32 v12, v103, v12
	v_cndmask_b32_e32 v118, v12, v8, vcc_lo
.LBB84_96:                              ;   in Loop: Header=BB84_12 Depth=1
	s_or_b32 exec_lo, exec_lo, s29
	v_lshrrev_b32_e32 v8, 16, v9
	s_delay_alu instid0(VALU_DEP_1) | instskip(NEXT) | instid1(VALU_DEP_1)
	v_cvt_f32_f16_e32 v8, v8
	v_add_f32_e32 v121, s66, v8
	s_delay_alu instid0(VALU_DEP_1) | instskip(SKIP_1) | instid1(SALU_CYCLE_1)
	v_cmp_ge_f32_e32 vcc_lo, 0x41a00000, v121
	s_and_b32 s28, s79, vcc_lo
	s_and_saveexec_b32 s29, s28
	s_cbranch_execz .LBB84_98
; %bb.97:                               ;   in Loop: Header=BB84_12 Depth=1
	v_mul_f32_e32 v8, 0x3fb8aa3b, v121
	v_cmp_ngt_f32_e32 vcc_lo, 0xc2ce8ed0, v121
	s_delay_alu instid0(VALU_DEP_2) | instskip(SKIP_1) | instid1(VALU_DEP_2)
	v_rndne_f32_e32 v9, v8
	v_fma_f32 v12, 0x3fb8aa3b, v121, -v8
	v_sub_f32_e32 v8, v8, v9
	s_delay_alu instid0(VALU_DEP_2) | instskip(SKIP_1) | instid1(VALU_DEP_2)
	v_fmac_f32_e32 v12, 0x32a5705f, v121
	v_cvt_i32_f32_e32 v9, v9
	v_add_f32_e32 v8, v8, v12
	s_delay_alu instid0(VALU_DEP_1) | instskip(SKIP_2) | instid1(VALU_DEP_1)
	v_exp_f32_e32 v8, v8
	s_waitcnt_depctr 0xfff
	v_ldexp_f32 v8, v8, v9
	v_cndmask_b32_e32 v8, 0, v8, vcc_lo
	v_cmp_nlt_f32_e32 vcc_lo, 0x42b17218, v121
	s_delay_alu instid0(VALU_DEP_2) | instskip(NEXT) | instid1(VALU_DEP_1)
	v_cndmask_b32_e32 v12, 0x7f800000, v8, vcc_lo
	v_add_f32_e32 v13, 1.0, v12
	s_delay_alu instid0(VALU_DEP_1) | instskip(NEXT) | instid1(VALU_DEP_1)
	v_cvt_f64_f32_e32 v[8:9], v13
	v_frexp_exp_i32_f64_e32 v8, v[8:9]
	v_frexp_mant_f32_e32 v9, v13
	s_delay_alu instid0(VALU_DEP_1) | instskip(SKIP_1) | instid1(VALU_DEP_1)
	v_cmp_gt_f32_e32 vcc_lo, 0x3f2aaaab, v9
	v_add_f32_e32 v9, -1.0, v13
	v_sub_f32_e32 v15, v9, v13
	s_delay_alu instid0(VALU_DEP_1) | instskip(SKIP_1) | instid1(VALU_DEP_1)
	v_add_f32_e32 v15, 1.0, v15
	v_subrev_co_ci_u32_e32 v8, vcc_lo, 0, v8, vcc_lo
	v_sub_nc_u32_e32 v14, 0, v8
	v_cvt_f32_i32_e32 v8, v8
	s_delay_alu instid0(VALU_DEP_2) | instskip(NEXT) | instid1(VALU_DEP_1)
	v_ldexp_f32 v13, v13, v14
	v_add_f32_e32 v17, 1.0, v13
	v_sub_f32_e32 v9, v12, v9
	v_cmp_eq_f32_e32 vcc_lo, 0x7f800000, v12
	v_cmp_gt_f32_e64 s28, 0x33800000, v12
	s_delay_alu instid0(VALU_DEP_3) | instskip(SKIP_1) | instid1(VALU_DEP_3)
	v_add_f32_e32 v9, v9, v15
	v_add_f32_e32 v15, -1.0, v17
	s_or_b32 vcc_lo, s28, vcc_lo
	s_delay_alu instid0(VALU_DEP_2) | instskip(NEXT) | instid1(VALU_DEP_2)
	v_ldexp_f32 v9, v9, v14
	v_dual_add_f32 v14, -1.0, v13 :: v_dual_sub_f32 v15, v13, v15
	s_delay_alu instid0(VALU_DEP_1) | instskip(NEXT) | instid1(VALU_DEP_1)
	v_dual_add_f32 v102, 1.0, v14 :: v_dual_add_f32 v15, v9, v15
	v_sub_f32_e32 v13, v13, v102
	s_delay_alu instid0(VALU_DEP_1) | instskip(NEXT) | instid1(VALU_DEP_1)
	v_add_f32_e32 v9, v9, v13
	v_dual_add_f32 v102, v17, v15 :: v_dual_add_f32 v103, v14, v9
	s_delay_alu instid0(VALU_DEP_1) | instskip(NEXT) | instid1(VALU_DEP_1)
	v_rcp_f32_e32 v13, v102
	v_dual_sub_f32 v17, v17, v102 :: v_dual_sub_f32 v14, v14, v103
	s_delay_alu instid0(VALU_DEP_1) | instskip(SKIP_2) | instid1(VALU_DEP_1)
	v_add_f32_e32 v9, v9, v14
	s_waitcnt_depctr 0xfff
	v_mul_f32_e32 v105, v103, v13
	v_mul_f32_e32 v106, v102, v105
	v_add_f32_e32 v15, v15, v17
	s_delay_alu instid0(VALU_DEP_2) | instskip(NEXT) | instid1(VALU_DEP_1)
	v_fma_f32 v17, v105, v102, -v106
	v_fmac_f32_e32 v17, v105, v15
	s_delay_alu instid0(VALU_DEP_1) | instskip(NEXT) | instid1(VALU_DEP_1)
	v_add_f32_e32 v107, v106, v17
	v_sub_f32_e32 v108, v103, v107
	v_sub_f32_e32 v14, v107, v106
	s_delay_alu instid0(VALU_DEP_1) | instskip(NEXT) | instid1(VALU_DEP_1)
	v_dual_sub_f32 v103, v103, v108 :: v_dual_sub_f32 v14, v14, v17
	v_sub_f32_e32 v103, v103, v107
	s_delay_alu instid0(VALU_DEP_1) | instskip(NEXT) | instid1(VALU_DEP_1)
	v_add_f32_e32 v9, v9, v103
	v_add_f32_e32 v9, v14, v9
	s_delay_alu instid0(VALU_DEP_1) | instskip(NEXT) | instid1(VALU_DEP_1)
	v_add_f32_e32 v14, v108, v9
	v_mul_f32_e32 v17, v13, v14
	v_sub_f32_e32 v107, v108, v14
	s_delay_alu instid0(VALU_DEP_2) | instskip(NEXT) | instid1(VALU_DEP_2)
	v_mul_f32_e32 v103, v102, v17
	v_add_f32_e32 v9, v9, v107
	s_delay_alu instid0(VALU_DEP_2) | instskip(NEXT) | instid1(VALU_DEP_1)
	v_fma_f32 v102, v17, v102, -v103
	v_fmac_f32_e32 v102, v17, v15
	s_delay_alu instid0(VALU_DEP_1) | instskip(NEXT) | instid1(VALU_DEP_1)
	v_add_f32_e32 v15, v103, v102
	v_sub_f32_e32 v106, v14, v15
	s_delay_alu instid0(VALU_DEP_1) | instskip(NEXT) | instid1(VALU_DEP_1)
	v_dual_sub_f32 v103, v15, v103 :: v_dual_sub_f32 v14, v14, v106
	v_dual_sub_f32 v14, v14, v15 :: v_dual_sub_f32 v15, v103, v102
	s_delay_alu instid0(VALU_DEP_1) | instskip(SKIP_1) | instid1(VALU_DEP_2)
	v_add_f32_e32 v9, v9, v14
	v_add_f32_e32 v14, v105, v17
	;; [unrolled: 1-line block ×3, first 2 shown]
	s_delay_alu instid0(VALU_DEP_2) | instskip(NEXT) | instid1(VALU_DEP_2)
	v_sub_f32_e32 v15, v14, v105
	v_add_f32_e32 v9, v106, v9
	s_delay_alu instid0(VALU_DEP_2) | instskip(NEXT) | instid1(VALU_DEP_2)
	v_sub_f32_e32 v15, v17, v15
	v_mul_f32_e32 v9, v13, v9
	s_delay_alu instid0(VALU_DEP_1) | instskip(NEXT) | instid1(VALU_DEP_1)
	v_add_f32_e32 v9, v15, v9
	v_add_f32_e32 v13, v14, v9
	s_delay_alu instid0(VALU_DEP_1) | instskip(NEXT) | instid1(VALU_DEP_1)
	v_mul_f32_e32 v15, v13, v13
	v_fmaak_f32 v17, s83, v15, 0x3ecc95a3
	s_delay_alu instid0(VALU_DEP_1) | instskip(SKIP_2) | instid1(VALU_DEP_3)
	v_dual_mul_f32 v102, v13, v15 :: v_dual_fmaak_f32 v15, v15, v17, 0x3f2aaada
	v_ldexp_f32 v17, v13, 1
	v_sub_f32_e32 v13, v13, v14
	v_dual_mul_f32 v15, v102, v15 :: v_dual_mul_f32 v102, 0x3f317218, v8
	s_delay_alu instid0(VALU_DEP_2) | instskip(NEXT) | instid1(VALU_DEP_2)
	v_sub_f32_e32 v9, v9, v13
	v_add_f32_e32 v14, v17, v15
	s_delay_alu instid0(VALU_DEP_2) | instskip(NEXT) | instid1(VALU_DEP_2)
	v_ldexp_f32 v9, v9, 1
	v_sub_f32_e32 v13, v14, v17
	v_fma_f32 v17, 0x3f317218, v8, -v102
	s_delay_alu instid0(VALU_DEP_2) | instskip(NEXT) | instid1(VALU_DEP_1)
	v_sub_f32_e32 v13, v15, v13
	v_dual_fmac_f32 v17, 0xb102e308, v8 :: v_dual_add_f32 v8, v9, v13
	s_delay_alu instid0(VALU_DEP_1) | instskip(NEXT) | instid1(VALU_DEP_1)
	v_add_f32_e32 v9, v102, v17
	v_dual_add_f32 v13, v14, v8 :: v_dual_sub_f32 v102, v9, v102
	s_delay_alu instid0(VALU_DEP_1) | instskip(SKIP_1) | instid1(VALU_DEP_3)
	v_add_f32_e32 v15, v9, v13
	v_sub_f32_e32 v14, v13, v14
	v_sub_f32_e32 v17, v17, v102
	s_delay_alu instid0(VALU_DEP_2) | instskip(NEXT) | instid1(VALU_DEP_1)
	v_dual_sub_f32 v103, v15, v9 :: v_dual_sub_f32 v8, v8, v14
	v_sub_f32_e32 v105, v15, v103
	v_sub_f32_e32 v13, v13, v103
	s_delay_alu instid0(VALU_DEP_3) | instskip(NEXT) | instid1(VALU_DEP_3)
	v_add_f32_e32 v14, v17, v8
	v_sub_f32_e32 v9, v9, v105
	s_delay_alu instid0(VALU_DEP_1) | instskip(NEXT) | instid1(VALU_DEP_3)
	v_add_f32_e32 v9, v13, v9
	v_sub_f32_e32 v13, v14, v17
	s_delay_alu instid0(VALU_DEP_2) | instskip(NEXT) | instid1(VALU_DEP_2)
	v_add_f32_e32 v9, v14, v9
	v_sub_f32_e32 v14, v14, v13
	v_sub_f32_e32 v8, v8, v13
	s_delay_alu instid0(VALU_DEP_3) | instskip(NEXT) | instid1(VALU_DEP_1)
	v_add_f32_e32 v102, v15, v9
	v_dual_sub_f32 v14, v17, v14 :: v_dual_sub_f32 v13, v102, v15
	s_delay_alu instid0(VALU_DEP_1) | instskip(NEXT) | instid1(VALU_DEP_1)
	v_dual_add_f32 v8, v8, v14 :: v_dual_sub_f32 v9, v9, v13
	v_add_f32_e32 v8, v8, v9
	s_delay_alu instid0(VALU_DEP_1) | instskip(NEXT) | instid1(VALU_DEP_1)
	v_add_f32_e32 v8, v102, v8
	v_cndmask_b32_e32 v121, v8, v12, vcc_lo
.LBB84_98:                              ;   in Loop: Header=BB84_12 Depth=1
	s_or_b32 exec_lo, exec_lo, s29
	v_cvt_f32_f16_e32 v8, v10
	s_delay_alu instid0(VALU_DEP_1) | instskip(NEXT) | instid1(VALU_DEP_1)
	v_add_f32_e32 v122, s66, v8
	v_cmp_ge_f32_e32 vcc_lo, 0x41a00000, v122
	s_and_b32 s28, s79, vcc_lo
	s_delay_alu instid0(SALU_CYCLE_1)
	s_and_saveexec_b32 s29, s28
	s_cbranch_execz .LBB84_100
; %bb.99:                               ;   in Loop: Header=BB84_12 Depth=1
	v_mul_f32_e32 v8, 0x3fb8aa3b, v122
	v_cmp_ngt_f32_e32 vcc_lo, 0xc2ce8ed0, v122
	s_delay_alu instid0(VALU_DEP_2) | instskip(SKIP_1) | instid1(VALU_DEP_2)
	v_rndne_f32_e32 v9, v8
	v_fma_f32 v12, 0x3fb8aa3b, v122, -v8
	v_sub_f32_e32 v8, v8, v9
	s_delay_alu instid0(VALU_DEP_2) | instskip(SKIP_1) | instid1(VALU_DEP_2)
	v_fmac_f32_e32 v12, 0x32a5705f, v122
	v_cvt_i32_f32_e32 v9, v9
	v_add_f32_e32 v8, v8, v12
	s_delay_alu instid0(VALU_DEP_1) | instskip(SKIP_2) | instid1(VALU_DEP_1)
	v_exp_f32_e32 v8, v8
	s_waitcnt_depctr 0xfff
	v_ldexp_f32 v8, v8, v9
	v_cndmask_b32_e32 v8, 0, v8, vcc_lo
	v_cmp_nlt_f32_e32 vcc_lo, 0x42b17218, v122
	s_delay_alu instid0(VALU_DEP_2) | instskip(NEXT) | instid1(VALU_DEP_1)
	v_cndmask_b32_e32 v12, 0x7f800000, v8, vcc_lo
	v_add_f32_e32 v13, 1.0, v12
	s_delay_alu instid0(VALU_DEP_1) | instskip(NEXT) | instid1(VALU_DEP_1)
	v_cvt_f64_f32_e32 v[8:9], v13
	v_frexp_exp_i32_f64_e32 v8, v[8:9]
	v_frexp_mant_f32_e32 v9, v13
	s_delay_alu instid0(VALU_DEP_1) | instskip(SKIP_1) | instid1(VALU_DEP_1)
	v_cmp_gt_f32_e32 vcc_lo, 0x3f2aaaab, v9
	v_add_f32_e32 v9, -1.0, v13
	v_sub_f32_e32 v15, v9, v13
	s_delay_alu instid0(VALU_DEP_1) | instskip(SKIP_1) | instid1(VALU_DEP_1)
	v_add_f32_e32 v15, 1.0, v15
	v_subrev_co_ci_u32_e32 v8, vcc_lo, 0, v8, vcc_lo
	v_sub_nc_u32_e32 v14, 0, v8
	v_cvt_f32_i32_e32 v8, v8
	s_delay_alu instid0(VALU_DEP_2) | instskip(NEXT) | instid1(VALU_DEP_1)
	v_ldexp_f32 v13, v13, v14
	v_add_f32_e32 v17, 1.0, v13
	v_sub_f32_e32 v9, v12, v9
	v_cmp_eq_f32_e32 vcc_lo, 0x7f800000, v12
	v_cmp_gt_f32_e64 s28, 0x33800000, v12
	s_delay_alu instid0(VALU_DEP_3) | instskip(NEXT) | instid1(VALU_DEP_2)
	v_add_f32_e32 v9, v9, v15
	s_or_b32 vcc_lo, s28, vcc_lo
	s_delay_alu instid0(VALU_DEP_1) | instskip(SKIP_1) | instid1(VALU_DEP_1)
	v_ldexp_f32 v9, v9, v14
	v_add_f32_e32 v14, -1.0, v13
	v_dual_add_f32 v15, -1.0, v17 :: v_dual_add_f32 v102, 1.0, v14
	s_delay_alu instid0(VALU_DEP_1) | instskip(NEXT) | instid1(VALU_DEP_2)
	v_sub_f32_e32 v15, v13, v15
	v_sub_f32_e32 v13, v13, v102
	s_delay_alu instid0(VALU_DEP_2) | instskip(NEXT) | instid1(VALU_DEP_2)
	v_add_f32_e32 v15, v9, v15
	v_add_f32_e32 v9, v9, v13
	s_delay_alu instid0(VALU_DEP_1) | instskip(NEXT) | instid1(VALU_DEP_1)
	v_dual_add_f32 v102, v17, v15 :: v_dual_add_f32 v103, v14, v9
	v_rcp_f32_e32 v13, v102
	s_delay_alu instid0(VALU_DEP_1) | instskip(NEXT) | instid1(VALU_DEP_1)
	v_dual_sub_f32 v17, v17, v102 :: v_dual_sub_f32 v14, v14, v103
	v_add_f32_e32 v15, v15, v17
	s_delay_alu instid0(VALU_DEP_2) | instskip(SKIP_2) | instid1(VALU_DEP_1)
	v_add_f32_e32 v9, v9, v14
	s_waitcnt_depctr 0xfff
	v_mul_f32_e32 v105, v103, v13
	v_mul_f32_e32 v106, v102, v105
	s_delay_alu instid0(VALU_DEP_1) | instskip(NEXT) | instid1(VALU_DEP_1)
	v_fma_f32 v17, v105, v102, -v106
	v_fmac_f32_e32 v17, v105, v15
	s_delay_alu instid0(VALU_DEP_1) | instskip(NEXT) | instid1(VALU_DEP_1)
	v_add_f32_e32 v107, v106, v17
	v_sub_f32_e32 v108, v103, v107
	v_sub_f32_e32 v14, v107, v106
	s_delay_alu instid0(VALU_DEP_1) | instskip(NEXT) | instid1(VALU_DEP_1)
	v_dual_sub_f32 v103, v103, v108 :: v_dual_sub_f32 v14, v14, v17
	v_sub_f32_e32 v103, v103, v107
	s_delay_alu instid0(VALU_DEP_1) | instskip(NEXT) | instid1(VALU_DEP_1)
	v_add_f32_e32 v9, v9, v103
	v_add_f32_e32 v9, v14, v9
	s_delay_alu instid0(VALU_DEP_1) | instskip(NEXT) | instid1(VALU_DEP_1)
	v_add_f32_e32 v14, v108, v9
	v_mul_f32_e32 v17, v13, v14
	v_sub_f32_e32 v107, v108, v14
	s_delay_alu instid0(VALU_DEP_2) | instskip(NEXT) | instid1(VALU_DEP_2)
	v_mul_f32_e32 v103, v102, v17
	v_add_f32_e32 v9, v9, v107
	s_delay_alu instid0(VALU_DEP_2) | instskip(NEXT) | instid1(VALU_DEP_1)
	v_fma_f32 v102, v17, v102, -v103
	v_fmac_f32_e32 v102, v17, v15
	s_delay_alu instid0(VALU_DEP_1) | instskip(NEXT) | instid1(VALU_DEP_1)
	v_add_f32_e32 v15, v103, v102
	v_sub_f32_e32 v106, v14, v15
	s_delay_alu instid0(VALU_DEP_1) | instskip(NEXT) | instid1(VALU_DEP_1)
	v_dual_sub_f32 v103, v15, v103 :: v_dual_sub_f32 v14, v14, v106
	v_dual_sub_f32 v14, v14, v15 :: v_dual_sub_f32 v15, v103, v102
	s_delay_alu instid0(VALU_DEP_1) | instskip(SKIP_1) | instid1(VALU_DEP_2)
	v_add_f32_e32 v9, v9, v14
	v_add_f32_e32 v14, v105, v17
	;; [unrolled: 1-line block ×3, first 2 shown]
	s_delay_alu instid0(VALU_DEP_2) | instskip(NEXT) | instid1(VALU_DEP_2)
	v_sub_f32_e32 v15, v14, v105
	v_add_f32_e32 v9, v106, v9
	s_delay_alu instid0(VALU_DEP_2) | instskip(NEXT) | instid1(VALU_DEP_2)
	v_sub_f32_e32 v15, v17, v15
	v_mul_f32_e32 v9, v13, v9
	s_delay_alu instid0(VALU_DEP_1) | instskip(NEXT) | instid1(VALU_DEP_1)
	v_add_f32_e32 v9, v15, v9
	v_add_f32_e32 v13, v14, v9
	s_delay_alu instid0(VALU_DEP_1) | instskip(NEXT) | instid1(VALU_DEP_1)
	v_mul_f32_e32 v15, v13, v13
	v_fmaak_f32 v17, s83, v15, 0x3ecc95a3
	s_delay_alu instid0(VALU_DEP_1) | instskip(SKIP_2) | instid1(VALU_DEP_3)
	v_dual_mul_f32 v102, v13, v15 :: v_dual_fmaak_f32 v15, v15, v17, 0x3f2aaada
	v_ldexp_f32 v17, v13, 1
	v_sub_f32_e32 v13, v13, v14
	v_dual_mul_f32 v15, v102, v15 :: v_dual_mul_f32 v102, 0x3f317218, v8
	s_delay_alu instid0(VALU_DEP_2) | instskip(NEXT) | instid1(VALU_DEP_2)
	v_sub_f32_e32 v9, v9, v13
	v_add_f32_e32 v14, v17, v15
	s_delay_alu instid0(VALU_DEP_2) | instskip(NEXT) | instid1(VALU_DEP_2)
	v_ldexp_f32 v9, v9, 1
	v_sub_f32_e32 v13, v14, v17
	v_fma_f32 v17, 0x3f317218, v8, -v102
	s_delay_alu instid0(VALU_DEP_2) | instskip(NEXT) | instid1(VALU_DEP_1)
	v_sub_f32_e32 v13, v15, v13
	v_dual_fmac_f32 v17, 0xb102e308, v8 :: v_dual_add_f32 v8, v9, v13
	s_delay_alu instid0(VALU_DEP_1) | instskip(NEXT) | instid1(VALU_DEP_1)
	v_add_f32_e32 v9, v102, v17
	v_dual_add_f32 v13, v14, v8 :: v_dual_sub_f32 v102, v9, v102
	s_delay_alu instid0(VALU_DEP_1) | instskip(SKIP_1) | instid1(VALU_DEP_3)
	v_add_f32_e32 v15, v9, v13
	v_sub_f32_e32 v14, v13, v14
	v_sub_f32_e32 v17, v17, v102
	s_delay_alu instid0(VALU_DEP_2) | instskip(NEXT) | instid1(VALU_DEP_1)
	v_dual_sub_f32 v103, v15, v9 :: v_dual_sub_f32 v8, v8, v14
	v_sub_f32_e32 v105, v15, v103
	v_sub_f32_e32 v13, v13, v103
	s_delay_alu instid0(VALU_DEP_3) | instskip(NEXT) | instid1(VALU_DEP_3)
	v_add_f32_e32 v14, v17, v8
	v_sub_f32_e32 v9, v9, v105
	s_delay_alu instid0(VALU_DEP_1) | instskip(NEXT) | instid1(VALU_DEP_3)
	v_add_f32_e32 v9, v13, v9
	v_sub_f32_e32 v13, v14, v17
	s_delay_alu instid0(VALU_DEP_2) | instskip(NEXT) | instid1(VALU_DEP_2)
	v_add_f32_e32 v9, v14, v9
	v_sub_f32_e32 v14, v14, v13
	v_sub_f32_e32 v8, v8, v13
	s_delay_alu instid0(VALU_DEP_3) | instskip(NEXT) | instid1(VALU_DEP_1)
	v_add_f32_e32 v102, v15, v9
	v_dual_sub_f32 v14, v17, v14 :: v_dual_sub_f32 v13, v102, v15
	s_delay_alu instid0(VALU_DEP_1) | instskip(NEXT) | instid1(VALU_DEP_1)
	v_dual_add_f32 v8, v8, v14 :: v_dual_sub_f32 v9, v9, v13
	v_add_f32_e32 v8, v8, v9
	s_delay_alu instid0(VALU_DEP_1) | instskip(NEXT) | instid1(VALU_DEP_1)
	v_add_f32_e32 v8, v102, v8
	v_cndmask_b32_e32 v122, v8, v12, vcc_lo
.LBB84_100:                             ;   in Loop: Header=BB84_12 Depth=1
	s_or_b32 exec_lo, exec_lo, s29
	v_lshrrev_b32_e32 v8, 16, v10
	s_delay_alu instid0(VALU_DEP_1) | instskip(NEXT) | instid1(VALU_DEP_1)
	v_cvt_f32_f16_e32 v8, v8
	v_add_f32_e32 v123, s66, v8
	s_delay_alu instid0(VALU_DEP_1) | instskip(SKIP_1) | instid1(SALU_CYCLE_1)
	v_cmp_ge_f32_e32 vcc_lo, 0x41a00000, v123
	s_and_b32 s28, s79, vcc_lo
	s_and_saveexec_b32 s29, s28
	s_cbranch_execz .LBB84_102
; %bb.101:                              ;   in Loop: Header=BB84_12 Depth=1
	v_mul_f32_e32 v8, 0x3fb8aa3b, v123
	v_cmp_ngt_f32_e32 vcc_lo, 0xc2ce8ed0, v123
	s_delay_alu instid0(VALU_DEP_2) | instskip(SKIP_1) | instid1(VALU_DEP_2)
	v_rndne_f32_e32 v9, v8
	v_fma_f32 v10, 0x3fb8aa3b, v123, -v8
	v_sub_f32_e32 v8, v8, v9
	s_delay_alu instid0(VALU_DEP_2) | instskip(SKIP_1) | instid1(VALU_DEP_2)
	v_fmac_f32_e32 v10, 0x32a5705f, v123
	v_cvt_i32_f32_e32 v9, v9
	v_add_f32_e32 v8, v8, v10
	s_delay_alu instid0(VALU_DEP_1) | instskip(SKIP_2) | instid1(VALU_DEP_1)
	v_exp_f32_e32 v8, v8
	s_waitcnt_depctr 0xfff
	v_ldexp_f32 v8, v8, v9
	v_cndmask_b32_e32 v8, 0, v8, vcc_lo
	v_cmp_nlt_f32_e32 vcc_lo, 0x42b17218, v123
	s_delay_alu instid0(VALU_DEP_2) | instskip(NEXT) | instid1(VALU_DEP_1)
	v_cndmask_b32_e32 v10, 0x7f800000, v8, vcc_lo
	v_add_f32_e32 v12, 1.0, v10
	s_delay_alu instid0(VALU_DEP_1) | instskip(NEXT) | instid1(VALU_DEP_1)
	v_cvt_f64_f32_e32 v[8:9], v12
	v_frexp_exp_i32_f64_e32 v8, v[8:9]
	v_frexp_mant_f32_e32 v9, v12
	s_delay_alu instid0(VALU_DEP_1) | instskip(SKIP_1) | instid1(VALU_DEP_1)
	v_cmp_gt_f32_e32 vcc_lo, 0x3f2aaaab, v9
	v_add_f32_e32 v9, -1.0, v12
	v_dual_sub_f32 v14, v9, v12 :: v_dual_sub_f32 v9, v10, v9
	v_subrev_co_ci_u32_e32 v8, vcc_lo, 0, v8, vcc_lo
	s_delay_alu instid0(VALU_DEP_1) | instskip(SKIP_1) | instid1(VALU_DEP_2)
	v_sub_nc_u32_e32 v13, 0, v8
	v_cvt_f32_i32_e32 v8, v8
	v_ldexp_f32 v12, v12, v13
	s_delay_alu instid0(VALU_DEP_1) | instskip(NEXT) | instid1(VALU_DEP_1)
	v_dual_add_f32 v14, 1.0, v14 :: v_dual_add_f32 v15, 1.0, v12
	v_add_f32_e32 v9, v9, v14
	s_delay_alu instid0(VALU_DEP_1) | instskip(NEXT) | instid1(VALU_DEP_3)
	v_ldexp_f32 v9, v9, v13
	v_dual_add_f32 v13, -1.0, v12 :: v_dual_add_f32 v14, -1.0, v15
	s_delay_alu instid0(VALU_DEP_1) | instskip(NEXT) | instid1(VALU_DEP_1)
	v_dual_add_f32 v17, 1.0, v13 :: v_dual_sub_f32 v14, v12, v14
	v_sub_f32_e32 v12, v12, v17
	s_delay_alu instid0(VALU_DEP_2) | instskip(NEXT) | instid1(VALU_DEP_2)
	v_add_f32_e32 v14, v9, v14
	v_add_f32_e32 v9, v9, v12
	s_delay_alu instid0(VALU_DEP_2) | instskip(SKIP_2) | instid1(VALU_DEP_3)
	v_add_f32_e32 v17, v15, v14
	v_cmp_eq_f32_e32 vcc_lo, 0x7f800000, v10
	v_cmp_gt_f32_e64 s28, 0x33800000, v10
	v_rcp_f32_e32 v12, v17
	v_sub_f32_e32 v15, v15, v17
	s_delay_alu instid0(VALU_DEP_2) | instskip(NEXT) | instid1(VALU_DEP_1)
	s_or_b32 vcc_lo, s28, vcc_lo
	v_add_f32_e32 v14, v14, v15
	v_add_f32_e32 v102, v13, v9
	s_waitcnt_depctr 0xfff
	v_mul_f32_e32 v103, v102, v12
	s_delay_alu instid0(VALU_DEP_1) | instskip(NEXT) | instid1(VALU_DEP_1)
	v_mul_f32_e32 v105, v17, v103
	v_fma_f32 v15, v103, v17, -v105
	s_delay_alu instid0(VALU_DEP_1) | instskip(SKIP_1) | instid1(VALU_DEP_2)
	v_fmac_f32_e32 v15, v103, v14
	v_sub_f32_e32 v13, v13, v102
	v_add_f32_e32 v106, v105, v15
	s_delay_alu instid0(VALU_DEP_2) | instskip(NEXT) | instid1(VALU_DEP_2)
	v_add_f32_e32 v9, v9, v13
	v_sub_f32_e32 v107, v102, v106
	v_sub_f32_e32 v13, v106, v105
	s_delay_alu instid0(VALU_DEP_2) | instskip(NEXT) | instid1(VALU_DEP_1)
	v_sub_f32_e32 v102, v102, v107
	v_dual_sub_f32 v13, v13, v15 :: v_dual_sub_f32 v102, v102, v106
	s_delay_alu instid0(VALU_DEP_1) | instskip(NEXT) | instid1(VALU_DEP_1)
	v_add_f32_e32 v9, v9, v102
	v_add_f32_e32 v9, v13, v9
	s_delay_alu instid0(VALU_DEP_1) | instskip(NEXT) | instid1(VALU_DEP_1)
	v_add_f32_e32 v13, v107, v9
	v_mul_f32_e32 v15, v12, v13
	v_sub_f32_e32 v106, v107, v13
	s_delay_alu instid0(VALU_DEP_2) | instskip(NEXT) | instid1(VALU_DEP_1)
	v_mul_f32_e32 v102, v17, v15
	v_fma_f32 v17, v15, v17, -v102
	s_delay_alu instid0(VALU_DEP_1) | instskip(NEXT) | instid1(VALU_DEP_1)
	v_fmac_f32_e32 v17, v15, v14
	v_add_f32_e32 v14, v102, v17
	s_delay_alu instid0(VALU_DEP_1) | instskip(SKIP_2) | instid1(VALU_DEP_3)
	v_sub_f32_e32 v105, v13, v14
	v_sub_f32_e32 v102, v14, v102
	v_add_f32_e32 v9, v9, v106
	v_sub_f32_e32 v13, v13, v105
	s_delay_alu instid0(VALU_DEP_1) | instskip(NEXT) | instid1(VALU_DEP_1)
	v_dual_sub_f32 v13, v13, v14 :: v_dual_sub_f32 v14, v102, v17
	v_add_f32_e32 v9, v9, v13
	v_add_f32_e32 v13, v103, v15
	s_delay_alu instid0(VALU_DEP_1) | instskip(NEXT) | instid1(VALU_DEP_1)
	v_dual_add_f32 v9, v14, v9 :: v_dual_sub_f32 v14, v13, v103
	v_dual_add_f32 v9, v105, v9 :: v_dual_sub_f32 v14, v15, v14
	s_delay_alu instid0(VALU_DEP_1) | instskip(NEXT) | instid1(VALU_DEP_1)
	v_mul_f32_e32 v9, v12, v9
	v_add_f32_e32 v9, v14, v9
	s_delay_alu instid0(VALU_DEP_1) | instskip(NEXT) | instid1(VALU_DEP_1)
	v_add_f32_e32 v12, v13, v9
	v_mul_f32_e32 v14, v12, v12
	s_delay_alu instid0(VALU_DEP_1) | instskip(NEXT) | instid1(VALU_DEP_1)
	v_fmaak_f32 v15, s83, v14, 0x3ecc95a3
	v_dual_mul_f32 v17, v12, v14 :: v_dual_fmaak_f32 v14, v14, v15, 0x3f2aaada
	v_ldexp_f32 v15, v12, 1
	s_delay_alu instid0(VALU_DEP_2) | instskip(SKIP_1) | instid1(VALU_DEP_2)
	v_mul_f32_e32 v14, v17, v14
	v_dual_sub_f32 v12, v12, v13 :: v_dual_mul_f32 v17, 0x3f317218, v8
	v_add_f32_e32 v13, v15, v14
	s_delay_alu instid0(VALU_DEP_2) | instskip(NEXT) | instid1(VALU_DEP_2)
	v_sub_f32_e32 v9, v9, v12
	v_sub_f32_e32 v12, v13, v15
	s_delay_alu instid0(VALU_DEP_4) | instskip(NEXT) | instid1(VALU_DEP_3)
	v_fma_f32 v15, 0x3f317218, v8, -v17
	v_ldexp_f32 v9, v9, 1
	s_delay_alu instid0(VALU_DEP_3) | instskip(NEXT) | instid1(VALU_DEP_3)
	v_sub_f32_e32 v12, v14, v12
	v_fmac_f32_e32 v15, 0xb102e308, v8
	s_delay_alu instid0(VALU_DEP_2) | instskip(NEXT) | instid1(VALU_DEP_1)
	v_add_f32_e32 v8, v9, v12
	v_add_f32_e32 v12, v13, v8
	s_delay_alu instid0(VALU_DEP_1) | instskip(NEXT) | instid1(VALU_DEP_1)
	v_sub_f32_e32 v13, v12, v13
	v_dual_sub_f32 v8, v8, v13 :: v_dual_add_f32 v9, v17, v15
	s_delay_alu instid0(VALU_DEP_1) | instskip(NEXT) | instid1(VALU_DEP_1)
	v_add_f32_e32 v14, v9, v12
	v_sub_f32_e32 v102, v14, v9
	s_delay_alu instid0(VALU_DEP_1) | instskip(NEXT) | instid1(VALU_DEP_1)
	v_dual_sub_f32 v17, v9, v17 :: v_dual_sub_f32 v12, v12, v102
	v_sub_f32_e32 v15, v15, v17
	s_delay_alu instid0(VALU_DEP_1) | instskip(SKIP_1) | instid1(VALU_DEP_1)
	v_add_f32_e32 v13, v15, v8
	v_sub_f32_e32 v103, v14, v102
	v_sub_f32_e32 v9, v9, v103
	s_delay_alu instid0(VALU_DEP_1) | instskip(NEXT) | instid1(VALU_DEP_1)
	v_dual_add_f32 v9, v12, v9 :: v_dual_sub_f32 v12, v13, v15
	v_add_f32_e32 v9, v13, v9
	s_delay_alu instid0(VALU_DEP_2) | instskip(NEXT) | instid1(VALU_DEP_2)
	v_sub_f32_e32 v13, v13, v12
	v_dual_sub_f32 v8, v8, v12 :: v_dual_add_f32 v17, v14, v9
	s_delay_alu instid0(VALU_DEP_1) | instskip(NEXT) | instid1(VALU_DEP_1)
	v_dual_sub_f32 v13, v15, v13 :: v_dual_sub_f32 v12, v17, v14
	v_dual_add_f32 v8, v8, v13 :: v_dual_sub_f32 v9, v9, v12
	s_delay_alu instid0(VALU_DEP_1) | instskip(NEXT) | instid1(VALU_DEP_1)
	v_add_f32_e32 v8, v8, v9
	v_add_f32_e32 v8, v17, v8
	s_delay_alu instid0(VALU_DEP_1)
	v_cndmask_b32_e32 v123, v8, v10, vcc_lo
.LBB84_102:                             ;   in Loop: Header=BB84_12 Depth=1
	s_or_b32 exec_lo, exec_lo, s29
	v_cvt_f32_f16_e32 v8, v11
	s_delay_alu instid0(VALU_DEP_1) | instskip(NEXT) | instid1(VALU_DEP_1)
	v_add_f32_e32 v124, s66, v8
	v_cmp_ge_f32_e32 vcc_lo, 0x41a00000, v124
	s_and_b32 s28, s79, vcc_lo
	s_delay_alu instid0(SALU_CYCLE_1)
	s_and_saveexec_b32 s29, s28
	s_cbranch_execz .LBB84_104
; %bb.103:                              ;   in Loop: Header=BB84_12 Depth=1
	v_mul_f32_e32 v8, 0x3fb8aa3b, v124
	v_cmp_ngt_f32_e32 vcc_lo, 0xc2ce8ed0, v124
	s_delay_alu instid0(VALU_DEP_2) | instskip(SKIP_1) | instid1(VALU_DEP_2)
	v_rndne_f32_e32 v9, v8
	v_fma_f32 v10, 0x3fb8aa3b, v124, -v8
	v_sub_f32_e32 v8, v8, v9
	s_delay_alu instid0(VALU_DEP_2) | instskip(SKIP_1) | instid1(VALU_DEP_2)
	v_fmac_f32_e32 v10, 0x32a5705f, v124
	v_cvt_i32_f32_e32 v9, v9
	v_add_f32_e32 v8, v8, v10
	s_delay_alu instid0(VALU_DEP_1) | instskip(SKIP_2) | instid1(VALU_DEP_1)
	v_exp_f32_e32 v8, v8
	s_waitcnt_depctr 0xfff
	v_ldexp_f32 v8, v8, v9
	v_cndmask_b32_e32 v8, 0, v8, vcc_lo
	v_cmp_nlt_f32_e32 vcc_lo, 0x42b17218, v124
	s_delay_alu instid0(VALU_DEP_2) | instskip(NEXT) | instid1(VALU_DEP_1)
	v_cndmask_b32_e32 v10, 0x7f800000, v8, vcc_lo
	v_add_f32_e32 v12, 1.0, v10
	s_delay_alu instid0(VALU_DEP_1) | instskip(NEXT) | instid1(VALU_DEP_1)
	v_cvt_f64_f32_e32 v[8:9], v12
	v_frexp_exp_i32_f64_e32 v8, v[8:9]
	v_frexp_mant_f32_e32 v9, v12
	s_delay_alu instid0(VALU_DEP_1) | instskip(SKIP_1) | instid1(VALU_DEP_1)
	v_cmp_gt_f32_e32 vcc_lo, 0x3f2aaaab, v9
	v_add_f32_e32 v9, -1.0, v12
	v_dual_sub_f32 v14, v9, v12 :: v_dual_sub_f32 v9, v10, v9
	v_subrev_co_ci_u32_e32 v8, vcc_lo, 0, v8, vcc_lo
	s_delay_alu instid0(VALU_DEP_1) | instskip(SKIP_1) | instid1(VALU_DEP_2)
	v_sub_nc_u32_e32 v13, 0, v8
	v_cvt_f32_i32_e32 v8, v8
	v_ldexp_f32 v12, v12, v13
	s_delay_alu instid0(VALU_DEP_1) | instskip(NEXT) | instid1(VALU_DEP_1)
	v_dual_add_f32 v14, 1.0, v14 :: v_dual_add_f32 v15, 1.0, v12
	v_add_f32_e32 v9, v9, v14
	s_delay_alu instid0(VALU_DEP_1) | instskip(NEXT) | instid1(VALU_DEP_3)
	v_ldexp_f32 v9, v9, v13
	v_dual_add_f32 v13, -1.0, v12 :: v_dual_add_f32 v14, -1.0, v15
	s_delay_alu instid0(VALU_DEP_1) | instskip(NEXT) | instid1(VALU_DEP_1)
	v_dual_add_f32 v17, 1.0, v13 :: v_dual_sub_f32 v14, v12, v14
	v_sub_f32_e32 v12, v12, v17
	s_delay_alu instid0(VALU_DEP_2) | instskip(NEXT) | instid1(VALU_DEP_2)
	v_add_f32_e32 v14, v9, v14
	v_add_f32_e32 v9, v9, v12
	s_delay_alu instid0(VALU_DEP_2) | instskip(SKIP_2) | instid1(VALU_DEP_3)
	v_add_f32_e32 v17, v15, v14
	v_cmp_eq_f32_e32 vcc_lo, 0x7f800000, v10
	v_cmp_gt_f32_e64 s28, 0x33800000, v10
	v_rcp_f32_e32 v12, v17
	v_sub_f32_e32 v15, v15, v17
	s_delay_alu instid0(VALU_DEP_2) | instskip(NEXT) | instid1(VALU_DEP_1)
	s_or_b32 vcc_lo, s28, vcc_lo
	v_add_f32_e32 v14, v14, v15
	v_add_f32_e32 v102, v13, v9
	s_waitcnt_depctr 0xfff
	v_mul_f32_e32 v103, v102, v12
	s_delay_alu instid0(VALU_DEP_1) | instskip(NEXT) | instid1(VALU_DEP_1)
	v_mul_f32_e32 v105, v17, v103
	v_fma_f32 v15, v103, v17, -v105
	s_delay_alu instid0(VALU_DEP_1) | instskip(SKIP_1) | instid1(VALU_DEP_2)
	v_fmac_f32_e32 v15, v103, v14
	v_sub_f32_e32 v13, v13, v102
	v_add_f32_e32 v106, v105, v15
	s_delay_alu instid0(VALU_DEP_2) | instskip(NEXT) | instid1(VALU_DEP_2)
	v_add_f32_e32 v9, v9, v13
	v_sub_f32_e32 v107, v102, v106
	v_sub_f32_e32 v13, v106, v105
	s_delay_alu instid0(VALU_DEP_2) | instskip(NEXT) | instid1(VALU_DEP_1)
	v_sub_f32_e32 v102, v102, v107
	v_dual_sub_f32 v13, v13, v15 :: v_dual_sub_f32 v102, v102, v106
	s_delay_alu instid0(VALU_DEP_1) | instskip(NEXT) | instid1(VALU_DEP_1)
	v_add_f32_e32 v9, v9, v102
	v_add_f32_e32 v9, v13, v9
	s_delay_alu instid0(VALU_DEP_1) | instskip(NEXT) | instid1(VALU_DEP_1)
	v_add_f32_e32 v13, v107, v9
	v_mul_f32_e32 v15, v12, v13
	v_sub_f32_e32 v106, v107, v13
	s_delay_alu instid0(VALU_DEP_2) | instskip(NEXT) | instid1(VALU_DEP_1)
	v_mul_f32_e32 v102, v17, v15
	v_fma_f32 v17, v15, v17, -v102
	s_delay_alu instid0(VALU_DEP_1) | instskip(NEXT) | instid1(VALU_DEP_1)
	v_fmac_f32_e32 v17, v15, v14
	v_add_f32_e32 v14, v102, v17
	s_delay_alu instid0(VALU_DEP_1) | instskip(SKIP_2) | instid1(VALU_DEP_3)
	v_sub_f32_e32 v105, v13, v14
	v_sub_f32_e32 v102, v14, v102
	v_add_f32_e32 v9, v9, v106
	v_sub_f32_e32 v13, v13, v105
	s_delay_alu instid0(VALU_DEP_1) | instskip(NEXT) | instid1(VALU_DEP_1)
	v_dual_sub_f32 v13, v13, v14 :: v_dual_sub_f32 v14, v102, v17
	v_add_f32_e32 v9, v9, v13
	v_add_f32_e32 v13, v103, v15
	s_delay_alu instid0(VALU_DEP_1) | instskip(NEXT) | instid1(VALU_DEP_1)
	v_dual_add_f32 v9, v14, v9 :: v_dual_sub_f32 v14, v13, v103
	v_dual_add_f32 v9, v105, v9 :: v_dual_sub_f32 v14, v15, v14
	s_delay_alu instid0(VALU_DEP_1) | instskip(NEXT) | instid1(VALU_DEP_1)
	v_mul_f32_e32 v9, v12, v9
	v_add_f32_e32 v9, v14, v9
	s_delay_alu instid0(VALU_DEP_1) | instskip(NEXT) | instid1(VALU_DEP_1)
	v_add_f32_e32 v12, v13, v9
	v_mul_f32_e32 v14, v12, v12
	s_delay_alu instid0(VALU_DEP_1) | instskip(NEXT) | instid1(VALU_DEP_1)
	v_fmaak_f32 v15, s83, v14, 0x3ecc95a3
	v_dual_mul_f32 v17, v12, v14 :: v_dual_fmaak_f32 v14, v14, v15, 0x3f2aaada
	v_ldexp_f32 v15, v12, 1
	s_delay_alu instid0(VALU_DEP_2) | instskip(SKIP_1) | instid1(VALU_DEP_2)
	v_mul_f32_e32 v14, v17, v14
	v_dual_sub_f32 v12, v12, v13 :: v_dual_mul_f32 v17, 0x3f317218, v8
	v_add_f32_e32 v13, v15, v14
	s_delay_alu instid0(VALU_DEP_2) | instskip(NEXT) | instid1(VALU_DEP_2)
	v_sub_f32_e32 v9, v9, v12
	v_sub_f32_e32 v12, v13, v15
	s_delay_alu instid0(VALU_DEP_4) | instskip(NEXT) | instid1(VALU_DEP_3)
	v_fma_f32 v15, 0x3f317218, v8, -v17
	v_ldexp_f32 v9, v9, 1
	s_delay_alu instid0(VALU_DEP_3) | instskip(NEXT) | instid1(VALU_DEP_3)
	v_sub_f32_e32 v12, v14, v12
	v_fmac_f32_e32 v15, 0xb102e308, v8
	s_delay_alu instid0(VALU_DEP_2) | instskip(NEXT) | instid1(VALU_DEP_1)
	v_add_f32_e32 v8, v9, v12
	v_add_f32_e32 v12, v13, v8
	s_delay_alu instid0(VALU_DEP_1) | instskip(NEXT) | instid1(VALU_DEP_1)
	v_sub_f32_e32 v13, v12, v13
	v_dual_sub_f32 v8, v8, v13 :: v_dual_add_f32 v9, v17, v15
	s_delay_alu instid0(VALU_DEP_1) | instskip(NEXT) | instid1(VALU_DEP_1)
	v_add_f32_e32 v14, v9, v12
	v_sub_f32_e32 v102, v14, v9
	s_delay_alu instid0(VALU_DEP_1) | instskip(NEXT) | instid1(VALU_DEP_1)
	v_dual_sub_f32 v17, v9, v17 :: v_dual_sub_f32 v12, v12, v102
	v_sub_f32_e32 v15, v15, v17
	s_delay_alu instid0(VALU_DEP_1) | instskip(SKIP_1) | instid1(VALU_DEP_1)
	v_add_f32_e32 v13, v15, v8
	v_sub_f32_e32 v103, v14, v102
	v_sub_f32_e32 v9, v9, v103
	s_delay_alu instid0(VALU_DEP_1) | instskip(NEXT) | instid1(VALU_DEP_1)
	v_dual_add_f32 v9, v12, v9 :: v_dual_sub_f32 v12, v13, v15
	v_add_f32_e32 v9, v13, v9
	s_delay_alu instid0(VALU_DEP_2) | instskip(NEXT) | instid1(VALU_DEP_2)
	v_sub_f32_e32 v13, v13, v12
	v_dual_sub_f32 v8, v8, v12 :: v_dual_add_f32 v17, v14, v9
	s_delay_alu instid0(VALU_DEP_1) | instskip(NEXT) | instid1(VALU_DEP_1)
	v_dual_sub_f32 v13, v15, v13 :: v_dual_sub_f32 v12, v17, v14
	v_dual_add_f32 v8, v8, v13 :: v_dual_sub_f32 v9, v9, v12
	s_delay_alu instid0(VALU_DEP_1) | instskip(NEXT) | instid1(VALU_DEP_1)
	v_add_f32_e32 v8, v8, v9
	v_add_f32_e32 v8, v17, v8
	s_delay_alu instid0(VALU_DEP_1)
	v_cndmask_b32_e32 v124, v8, v10, vcc_lo
.LBB84_104:                             ;   in Loop: Header=BB84_12 Depth=1
	s_or_b32 exec_lo, exec_lo, s29
	v_lshrrev_b32_e32 v8, 16, v11
	s_delay_alu instid0(VALU_DEP_1) | instskip(NEXT) | instid1(VALU_DEP_1)
	v_cvt_f32_f16_e32 v8, v8
	v_add_f32_e32 v125, s66, v8
	s_delay_alu instid0(VALU_DEP_1) | instskip(SKIP_1) | instid1(SALU_CYCLE_1)
	v_cmp_ge_f32_e32 vcc_lo, 0x41a00000, v125
	s_and_b32 s28, s79, vcc_lo
	s_and_saveexec_b32 s29, s28
	s_cbranch_execz .LBB84_106
; %bb.105:                              ;   in Loop: Header=BB84_12 Depth=1
	v_mul_f32_e32 v8, 0x3fb8aa3b, v125
	v_cmp_ngt_f32_e32 vcc_lo, 0xc2ce8ed0, v125
	s_delay_alu instid0(VALU_DEP_2) | instskip(SKIP_1) | instid1(VALU_DEP_2)
	v_rndne_f32_e32 v9, v8
	v_fma_f32 v10, 0x3fb8aa3b, v125, -v8
	v_sub_f32_e32 v8, v8, v9
	s_delay_alu instid0(VALU_DEP_2) | instskip(SKIP_1) | instid1(VALU_DEP_2)
	v_fmac_f32_e32 v10, 0x32a5705f, v125
	v_cvt_i32_f32_e32 v9, v9
	v_add_f32_e32 v8, v8, v10
	s_delay_alu instid0(VALU_DEP_1) | instskip(SKIP_2) | instid1(VALU_DEP_1)
	v_exp_f32_e32 v8, v8
	s_waitcnt_depctr 0xfff
	v_ldexp_f32 v8, v8, v9
	v_cndmask_b32_e32 v8, 0, v8, vcc_lo
	v_cmp_nlt_f32_e32 vcc_lo, 0x42b17218, v125
	s_delay_alu instid0(VALU_DEP_2) | instskip(NEXT) | instid1(VALU_DEP_1)
	v_cndmask_b32_e32 v10, 0x7f800000, v8, vcc_lo
	v_add_f32_e32 v11, 1.0, v10
	s_delay_alu instid0(VALU_DEP_1) | instskip(NEXT) | instid1(VALU_DEP_1)
	v_cvt_f64_f32_e32 v[8:9], v11
	v_frexp_exp_i32_f64_e32 v8, v[8:9]
	v_frexp_mant_f32_e32 v9, v11
	s_delay_alu instid0(VALU_DEP_1) | instskip(SKIP_1) | instid1(VALU_DEP_1)
	v_cmp_gt_f32_e32 vcc_lo, 0x3f2aaaab, v9
	v_add_f32_e32 v9, -1.0, v11
	v_sub_f32_e32 v13, v9, v11
	v_sub_f32_e32 v9, v10, v9
	s_delay_alu instid0(VALU_DEP_2) | instskip(NEXT) | instid1(VALU_DEP_1)
	v_add_f32_e32 v13, 1.0, v13
	v_add_f32_e32 v9, v9, v13
	v_cmp_gt_f32_e64 s28, 0x33800000, v10
	v_subrev_co_ci_u32_e32 v8, vcc_lo, 0, v8, vcc_lo
	v_cmp_eq_f32_e32 vcc_lo, 0x7f800000, v10
	s_delay_alu instid0(VALU_DEP_2) | instskip(SKIP_2) | instid1(VALU_DEP_2)
	v_sub_nc_u32_e32 v12, 0, v8
	v_cvt_f32_i32_e32 v8, v8
	s_or_b32 vcc_lo, s28, vcc_lo
	v_ldexp_f32 v11, v11, v12
	v_ldexp_f32 v9, v9, v12
	s_delay_alu instid0(VALU_DEP_2) | instskip(NEXT) | instid1(VALU_DEP_1)
	v_add_f32_e32 v14, 1.0, v11
	v_dual_add_f32 v12, -1.0, v11 :: v_dual_add_f32 v13, -1.0, v14
	s_delay_alu instid0(VALU_DEP_1) | instskip(NEXT) | instid1(VALU_DEP_2)
	v_add_f32_e32 v15, 1.0, v12
	v_sub_f32_e32 v13, v11, v13
	s_delay_alu instid0(VALU_DEP_2) | instskip(NEXT) | instid1(VALU_DEP_2)
	v_sub_f32_e32 v11, v11, v15
	v_add_f32_e32 v13, v9, v13
	s_delay_alu instid0(VALU_DEP_2) | instskip(NEXT) | instid1(VALU_DEP_2)
	v_add_f32_e32 v9, v9, v11
	v_add_f32_e32 v15, v14, v13
	s_delay_alu instid0(VALU_DEP_1) | instskip(NEXT) | instid1(VALU_DEP_2)
	v_rcp_f32_e32 v11, v15
	v_dual_add_f32 v17, v12, v9 :: v_dual_sub_f32 v14, v14, v15
	s_delay_alu instid0(VALU_DEP_1) | instskip(SKIP_2) | instid1(VALU_DEP_1)
	v_dual_sub_f32 v12, v12, v17 :: v_dual_add_f32 v13, v13, v14
	s_waitcnt_depctr 0xfff
	v_mul_f32_e32 v102, v17, v11
	v_mul_f32_e32 v103, v15, v102
	s_delay_alu instid0(VALU_DEP_1) | instskip(NEXT) | instid1(VALU_DEP_1)
	v_fma_f32 v14, v102, v15, -v103
	v_dual_fmac_f32 v14, v102, v13 :: v_dual_add_f32 v9, v9, v12
	s_delay_alu instid0(VALU_DEP_1) | instskip(NEXT) | instid1(VALU_DEP_1)
	v_add_f32_e32 v105, v103, v14
	v_sub_f32_e32 v106, v17, v105
	v_sub_f32_e32 v12, v105, v103
	s_delay_alu instid0(VALU_DEP_2) | instskip(NEXT) | instid1(VALU_DEP_1)
	v_sub_f32_e32 v17, v17, v106
	v_dual_sub_f32 v12, v12, v14 :: v_dual_sub_f32 v17, v17, v105
	s_delay_alu instid0(VALU_DEP_1) | instskip(NEXT) | instid1(VALU_DEP_1)
	v_add_f32_e32 v9, v9, v17
	v_add_f32_e32 v9, v12, v9
	s_delay_alu instid0(VALU_DEP_1) | instskip(NEXT) | instid1(VALU_DEP_1)
	v_add_f32_e32 v12, v106, v9
	v_mul_f32_e32 v14, v11, v12
	v_sub_f32_e32 v105, v106, v12
	s_delay_alu instid0(VALU_DEP_2) | instskip(NEXT) | instid1(VALU_DEP_2)
	v_mul_f32_e32 v17, v15, v14
	v_add_f32_e32 v9, v9, v105
	s_delay_alu instid0(VALU_DEP_2) | instskip(NEXT) | instid1(VALU_DEP_1)
	v_fma_f32 v15, v14, v15, -v17
	v_fmac_f32_e32 v15, v14, v13
	s_delay_alu instid0(VALU_DEP_1) | instskip(NEXT) | instid1(VALU_DEP_1)
	v_add_f32_e32 v13, v17, v15
	v_sub_f32_e32 v103, v12, v13
	s_delay_alu instid0(VALU_DEP_1) | instskip(NEXT) | instid1(VALU_DEP_1)
	v_dual_sub_f32 v17, v13, v17 :: v_dual_sub_f32 v12, v12, v103
	v_dual_sub_f32 v12, v12, v13 :: v_dual_sub_f32 v13, v17, v15
	s_delay_alu instid0(VALU_DEP_1) | instskip(NEXT) | instid1(VALU_DEP_1)
	v_dual_add_f32 v9, v9, v12 :: v_dual_add_f32 v12, v102, v14
	v_add_f32_e32 v9, v13, v9
	s_delay_alu instid0(VALU_DEP_2) | instskip(NEXT) | instid1(VALU_DEP_2)
	v_sub_f32_e32 v13, v12, v102
	v_add_f32_e32 v9, v103, v9
	s_delay_alu instid0(VALU_DEP_2) | instskip(NEXT) | instid1(VALU_DEP_2)
	v_sub_f32_e32 v13, v14, v13
	v_mul_f32_e32 v9, v11, v9
	s_delay_alu instid0(VALU_DEP_1) | instskip(NEXT) | instid1(VALU_DEP_1)
	v_add_f32_e32 v9, v13, v9
	v_add_f32_e32 v11, v12, v9
	s_delay_alu instid0(VALU_DEP_1) | instskip(NEXT) | instid1(VALU_DEP_1)
	v_mul_f32_e32 v13, v11, v11
	v_fmaak_f32 v14, s83, v13, 0x3ecc95a3
	v_mul_f32_e32 v15, v11, v13
	s_delay_alu instid0(VALU_DEP_2) | instskip(SKIP_2) | instid1(VALU_DEP_3)
	v_fmaak_f32 v13, v13, v14, 0x3f2aaada
	v_ldexp_f32 v14, v11, 1
	v_sub_f32_e32 v11, v11, v12
	v_mul_f32_e32 v13, v15, v13
	v_mul_f32_e32 v15, 0x3f317218, v8
	s_delay_alu instid0(VALU_DEP_2) | instskip(NEXT) | instid1(VALU_DEP_1)
	v_dual_sub_f32 v9, v9, v11 :: v_dual_add_f32 v12, v14, v13
	v_ldexp_f32 v9, v9, 1
	s_delay_alu instid0(VALU_DEP_2) | instskip(NEXT) | instid1(VALU_DEP_4)
	v_sub_f32_e32 v11, v12, v14
	v_fma_f32 v14, 0x3f317218, v8, -v15
	s_delay_alu instid0(VALU_DEP_1) | instskip(NEXT) | instid1(VALU_DEP_1)
	v_dual_sub_f32 v11, v13, v11 :: v_dual_fmac_f32 v14, 0xb102e308, v8
	v_dual_add_f32 v8, v9, v11 :: v_dual_add_f32 v9, v15, v14
	s_delay_alu instid0(VALU_DEP_1) | instskip(NEXT) | instid1(VALU_DEP_2)
	v_add_f32_e32 v11, v12, v8
	v_sub_f32_e32 v15, v9, v15
	s_delay_alu instid0(VALU_DEP_2) | instskip(NEXT) | instid1(VALU_DEP_1)
	v_dual_add_f32 v13, v9, v11 :: v_dual_sub_f32 v12, v11, v12
	v_dual_sub_f32 v14, v14, v15 :: v_dual_sub_f32 v17, v13, v9
	s_delay_alu instid0(VALU_DEP_2) | instskip(NEXT) | instid1(VALU_DEP_2)
	v_sub_f32_e32 v8, v8, v12
	v_sub_f32_e32 v102, v13, v17
	s_delay_alu instid0(VALU_DEP_2) | instskip(NEXT) | instid1(VALU_DEP_2)
	v_dual_sub_f32 v11, v11, v17 :: v_dual_add_f32 v12, v14, v8
	v_sub_f32_e32 v9, v9, v102
	s_delay_alu instid0(VALU_DEP_1) | instskip(NEXT) | instid1(VALU_DEP_3)
	v_add_f32_e32 v9, v11, v9
	v_sub_f32_e32 v11, v12, v14
	s_delay_alu instid0(VALU_DEP_2) | instskip(NEXT) | instid1(VALU_DEP_2)
	v_add_f32_e32 v9, v12, v9
	v_sub_f32_e32 v12, v12, v11
	s_delay_alu instid0(VALU_DEP_2) | instskip(NEXT) | instid1(VALU_DEP_1)
	v_dual_sub_f32 v8, v8, v11 :: v_dual_add_f32 v15, v13, v9
	v_dual_sub_f32 v12, v14, v12 :: v_dual_sub_f32 v11, v15, v13
	s_delay_alu instid0(VALU_DEP_1) | instskip(NEXT) | instid1(VALU_DEP_1)
	v_dual_add_f32 v8, v8, v12 :: v_dual_sub_f32 v9, v9, v11
	v_add_f32_e32 v8, v8, v9
	s_delay_alu instid0(VALU_DEP_1) | instskip(NEXT) | instid1(VALU_DEP_1)
	v_add_f32_e32 v8, v15, v8
	v_cndmask_b32_e32 v125, v8, v10, vcc_lo
.LBB84_106:                             ;   in Loop: Header=BB84_12 Depth=1
	s_or_b32 exec_lo, exec_lo, s29
	v_lshrrev_b32_e32 v9, 16, v6
	v_lshrrev_b32_e32 v10, 16, v7
	;; [unrolled: 1-line block ×6, first 2 shown]
	v_cvt_f32_f16_e32 v8, v7
	v_cvt_f32_f16_e32 v7, v9
	;; [unrolled: 1-line block ×7, first 2 shown]
	v_lshrrev_b32_e32 v14, 16, v1
	v_lshrrev_b32_e32 v15, 16, v0
	v_cvt_f32_f16_e32 v6, v6
	v_cvt_f32_f16_e32 v5, v5
	;; [unrolled: 1-line block ×9, first 2 shown]
	v_dual_mul_f32 v106, s67, v8 :: v_dual_mul_f32 v107, s67, v6
	v_dual_mul_f32 v102, s67, v7 :: v_dual_mul_f32 v103, s67, v9
	;; [unrolled: 1-line block ×7, first 2 shown]
	v_mul_f32_e32 v113, s67, v15
	v_mul_f32_e32 v112, s67, v11
	s_and_b32 vcc_lo, exec_lo, s80
	s_barrier
	buffer_gl0_inv
	s_cbranch_vccz .LBB84_202
; %bb.107:                              ;   in Loop: Header=BB84_12 Depth=1
	v_dual_mul_f32 v126, v125, v11 :: v_dual_mul_f32 v131, v124, v8
	v_add_co_u32 v11, s28, s61, v16
	s_delay_alu instid0(VALU_DEP_1) | instskip(SKIP_1) | instid1(VALU_DEP_1)
	v_add_co_ci_u32_e64 v17, null, s62, 0, s28
	v_add_co_u32 v16, s28, s49, v16
	v_add_co_ci_u32_e64 v130, null, s73, 0, s28
	s_delay_alu instid0(VALU_DEP_4) | instskip(NEXT) | instid1(VALU_DEP_4)
	v_add_co_u32 v127, vcc_lo, v11, v93
	v_add_co_ci_u32_e32 v128, vcc_lo, 0, v17, vcc_lo
	s_delay_alu instid0(VALU_DEP_4) | instskip(NEXT) | instid1(VALU_DEP_4)
	v_add_co_u32 v129, vcc_lo, v16, v93
	v_add_co_ci_u32_e32 v130, vcc_lo, 0, v130, vcc_lo
	v_cmp_gt_u32_e32 vcc_lo, s40, v18
	s_cmp_lg_u32 s87, 0
	v_cmp_gt_u32_e64 s30, s40, v79
	s_cselect_b32 s51, -1, 0
	s_cmp_eq_u32 s87, s82
	v_cmp_gt_u32_e64 s31, s40, v80
	s_cselect_b32 s88, -1, 0
	s_or_b32 s28, s81, vcc_lo
	v_cmp_gt_u32_e32 vcc_lo, s40, v78
	v_cmp_gt_u32_e64 s33, s40, v81
	v_cmp_gt_u32_e64 s34, s40, v82
	v_cmp_gt_u32_e64 s36, s40, v84
	v_cmp_gt_u32_e64 s37, s40, v85
	s_or_b32 s29, s81, vcc_lo
	v_cmp_gt_u32_e32 vcc_lo, s40, v83
	v_cmp_gt_u32_e64 s38, s40, v86
	v_cmp_gt_u32_e64 s39, s40, v87
	;; [unrolled: 1-line block ×4, first 2 shown]
	s_or_b32 s35, s81, vcc_lo
	v_cmp_gt_u32_e32 vcc_lo, s40, v88
	v_cmp_gt_u32_e64 s43, s40, v91
	v_cmp_gt_u32_e64 s44, s40, v92
	v_dual_mul_f32 v132, v123, v7 :: v_dual_mul_f32 v133, v122, v6
	v_dual_mul_f32 v134, v121, v9 :: v_dual_mul_f32 v137, v104, v4
	;; [unrolled: 1-line block ×7, first 2 shown]
	s_mov_b32 s64, 0
	s_or_b32 s30, s81, s30
	s_or_b32 s31, s81, s31
	;; [unrolled: 1-line block ×8, first 2 shown]
	s_or_b32 s40, s81, vcc_lo
	s_or_b32 s41, s81, s41
	s_or_b32 s42, s81, s42
	;; [unrolled: 1-line block ×4, first 2 shown]
	s_mov_b32 s52, s64
	s_mov_b32 s54, s64
	;; [unrolled: 1-line block ×5, first 2 shown]
	s_branch .LBB84_109
.LBB84_108:                             ;   in Loop: Header=BB84_109 Depth=2
	s_or_b32 exec_lo, exec_lo, s45
	v_cndmask_b32_e64 v9, v175, v11, s11
	v_cndmask_b32_e64 v10, v174, v10, s11
	s_add_i32 s89, s89, -1
	s_add_i32 s90, s90, 8
	s_add_i32 s58, s58, s74
	v_fma_f32 v9, v9, v146, v15
	v_mul_f32_e32 v10, v10, v146
	s_add_i32 s54, s54, s48
	s_add_i32 s52, s52, s60
	;; [unrolled: 1-line block ×3, first 2 shown]
	v_cndmask_b32_e64 v9, v9, v15, s10
	v_cndmask_b32_e64 v10, v10, v146, s10
	s_cmp_eq_u32 s89, 0
	s_waitcnt lgkmcnt(0)
	s_delay_alu instid0(VALU_DEP_1) | instskip(NEXT) | instid1(VALU_DEP_1)
	v_fmac_f32_e32 v9, v8, v10
	v_fmac_f32_e32 v12, v9, v148
	s_delay_alu instid0(VALU_DEP_1) | instskip(NEXT) | instid1(VALU_DEP_1)
	v_fmac_f32_e32 v13, v12, v150
	v_fmac_f32_e32 v14, v13, v152
	v_fma_mix_f32 v120, v9, v4, v120 op_sel_hi:[0,1,0]
	s_delay_alu instid0(VALU_DEP_2) | instskip(SKIP_2) | instid1(VALU_DEP_3)
	v_fmac_f32_e32 v147, v14, v154
	v_fma_mix_f32 v113, v12, v4, v113 op_sel:[0,1,0] op_sel_hi:[0,1,0]
	v_fma_mix_f32 v114, v14, v5, v114 op_sel:[0,1,0] op_sel_hi:[0,1,0]
	v_fmac_f32_e32 v149, v147, v155
	v_fma_mix_f32 v117, v147, v6, v117 op_sel_hi:[0,1,0]
	s_delay_alu instid0(VALU_DEP_2) | instskip(SKIP_1) | instid1(VALU_DEP_2)
	v_fmac_f32_e32 v151, v149, v157
	v_fma_mix_f32 v110, v149, v6, v110 op_sel:[0,1,0] op_sel_hi:[0,1,0]
	v_fmac_f32_e32 v153, v151, v160
	s_delay_alu instid0(VALU_DEP_1) | instskip(SKIP_1) | instid1(VALU_DEP_2)
	v_fmac_f32_e32 v156, v153, v161
	v_fma_mix_f32 v119, v13, v5, v119 op_sel_hi:[0,1,0]
	v_fmac_f32_e32 v158, v156, v162
	v_fma_mix_f32 v116, v151, v7, v116 op_sel_hi:[0,1,0]
	v_fma_mix_f32 v111, v156, v0, v111 op_sel_hi:[0,1,0]
	s_delay_alu instid0(VALU_DEP_3) | instskip(SKIP_1) | instid1(VALU_DEP_2)
	v_fmac_f32_e32 v159, v158, v163
	v_fma_mix_f32 v105, v158, v0, v105 op_sel:[0,1,0] op_sel_hi:[0,1,0]
	v_fmac_f32_e32 v164, v159, v170
	v_fma_mix_f32 v108, v159, v1, v108 op_sel_hi:[0,1,0]
	s_delay_alu instid0(VALU_DEP_2) | instskip(NEXT) | instid1(VALU_DEP_1)
	v_fmac_f32_e32 v165, v164, v167
	v_fmac_f32_e32 v166, v165, v169
	v_fma_mix_f32 v109, v153, v7, v109 op_sel:[0,1,0] op_sel_hi:[0,1,0]
	s_delay_alu instid0(VALU_DEP_2) | instskip(SKIP_2) | instid1(VALU_DEP_3)
	v_fmac_f32_e32 v168, v166, v172
	v_fma_mix_f32 v107, v165, v2, v107 op_sel_hi:[0,1,0]
	v_fma_mix_f32 v102, v166, v2, v102 op_sel:[0,1,0] op_sel_hi:[0,1,0]
	v_fmac_f32_e32 v171, v168, v173
	v_fma_mix_f32 v103, v164, v1, v103 op_sel:[0,1,0] op_sel_hi:[0,1,0]
	v_fma_mix_f32 v106, v168, v3, v106 op_sel_hi:[0,1,0]
	s_delay_alu instid0(VALU_DEP_3)
	v_fma_mix_f32 v112, v171, v3, v112 op_sel:[0,1,0] op_sel_hi:[0,1,0]
	s_cbranch_scc1 .LBB84_202
.LBB84_109:                             ;   Parent Loop BB84_12 Depth=1
                                        ; =>  This Inner Loop Header: Depth=2
	s_lshl_b64 s[92:93], s[64:65], 2
	s_mov_b32 s53, s65
	s_add_u32 s92, s71, s92
	s_addc_u32 s93, s72, s93
	v_dual_mov_b32 v2, 0 :: v_dual_mov_b32 v3, 0
	global_load_b32 v146, v21, s[92:93]
	s_lshl_b64 s[92:93], s[52:53], 1
	s_delay_alu instid0(SALU_CYCLE_1)
	v_add_co_u32 v0, vcc_lo, v127, s92
	v_add_co_ci_u32_e32 v1, vcc_lo, s93, v128, vcc_lo
	s_and_saveexec_b32 s45, s12
	s_cbranch_execnz .LBB84_145
; %bb.110:                              ;   in Loop: Header=BB84_109 Depth=2
	s_or_b32 exec_lo, exec_lo, s45
	s_and_saveexec_b32 s45, s13
	s_cbranch_execnz .LBB84_146
.LBB84_111:                             ;   in Loop: Header=BB84_109 Depth=2
	s_or_b32 exec_lo, exec_lo, s45
	v_mov_b32_e32 v4, 0
	s_and_saveexec_b32 s45, s14
	s_cbranch_execnz .LBB84_147
.LBB84_112:                             ;   in Loop: Header=BB84_109 Depth=2
	s_or_b32 exec_lo, exec_lo, s45
	s_and_saveexec_b32 s45, s15
	s_cbranch_execnz .LBB84_148
.LBB84_113:                             ;   in Loop: Header=BB84_109 Depth=2
	s_or_b32 exec_lo, exec_lo, s45
	v_mov_b32_e32 v5, 0
	s_and_saveexec_b32 s45, s16
	s_cbranch_execnz .LBB84_149
.LBB84_114:                             ;   in Loop: Header=BB84_109 Depth=2
	s_or_b32 exec_lo, exec_lo, s45
	s_and_saveexec_b32 s45, s17
	s_cbranch_execnz .LBB84_150
.LBB84_115:                             ;   in Loop: Header=BB84_109 Depth=2
	s_or_b32 exec_lo, exec_lo, s45
	v_mov_b32_e32 v6, 0
	s_and_saveexec_b32 s45, s18
	s_cbranch_execnz .LBB84_151
.LBB84_116:                             ;   in Loop: Header=BB84_109 Depth=2
	s_or_b32 exec_lo, exec_lo, s45
	s_and_saveexec_b32 s45, s19
	s_cbranch_execnz .LBB84_152
.LBB84_117:                             ;   in Loop: Header=BB84_109 Depth=2
	s_or_b32 exec_lo, exec_lo, s45
	v_mov_b32_e32 v7, 0
	s_and_saveexec_b32 s45, s20
	s_cbranch_execnz .LBB84_153
.LBB84_118:                             ;   in Loop: Header=BB84_109 Depth=2
	s_or_b32 exec_lo, exec_lo, s45
	s_and_saveexec_b32 s45, s21
	s_cbranch_execnz .LBB84_154
.LBB84_119:                             ;   in Loop: Header=BB84_109 Depth=2
	s_or_b32 exec_lo, exec_lo, s45
	v_mov_b32_e32 v8, 0
	s_and_saveexec_b32 s45, s22
	s_cbranch_execnz .LBB84_155
.LBB84_120:                             ;   in Loop: Header=BB84_109 Depth=2
	s_or_b32 exec_lo, exec_lo, s45
	s_and_saveexec_b32 s45, s23
	s_cbranch_execnz .LBB84_156
.LBB84_121:                             ;   in Loop: Header=BB84_109 Depth=2
	s_or_b32 exec_lo, exec_lo, s45
	v_mov_b32_e32 v9, 0
	s_and_saveexec_b32 s45, s24
	s_cbranch_execnz .LBB84_157
.LBB84_122:                             ;   in Loop: Header=BB84_109 Depth=2
	s_or_b32 exec_lo, exec_lo, s45
	s_and_saveexec_b32 s45, s25
	s_cbranch_execnz .LBB84_158
.LBB84_123:                             ;   in Loop: Header=BB84_109 Depth=2
	s_or_b32 exec_lo, exec_lo, s45
	v_mov_b32_e32 v10, 0
	s_and_saveexec_b32 s45, s26
	s_cbranch_execnz .LBB84_159
.LBB84_124:                             ;   in Loop: Header=BB84_109 Depth=2
	s_or_b32 exec_lo, exec_lo, s45
	s_and_saveexec_b32 s45, s27
	s_cbranch_execz .LBB84_126
.LBB84_125:                             ;   in Loop: Header=BB84_109 Depth=2
	global_load_u16 v0, v[0:1], off offset:960
	s_waitcnt vmcnt(0)
	v_lshl_or_b32 v10, v0, 16, v10
.LBB84_126:                             ;   in Loop: Header=BB84_109 Depth=2
	s_or_b32 exec_lo, exec_lo, s45
	s_waitcnt vmcnt(0)
	ds_store_b16 v37, v3
	ds_store_b16 v37, v2 offset:64
	ds_store_b16 v38, v4 offset:128
	ds_store_b16_d16_hi v39, v4 offset:192
	ds_store_b16 v40, v5 offset:256
	ds_store_b16_d16_hi v41, v5 offset:320
	;; [unrolled: 2-line block ×7, first 2 shown]
	; wave barrier
	ds_load_b128 v[12:15], v52
	ds_load_b128 v[8:11], v52 offset:16
	s_mov_b32 s55, s65
	v_dual_mov_b32 v2, 0 :: v_dual_mov_b32 v3, 0
	s_lshl_b64 s[92:93], s[54:55], 1
	s_delay_alu instid0(SALU_CYCLE_1)
	v_add_co_u32 v0, vcc_lo, v129, s92
	v_add_co_ci_u32_e32 v1, vcc_lo, s93, v130, vcc_lo
	s_and_saveexec_b32 s45, s12
	s_cbranch_execnz .LBB84_160
; %bb.127:                              ;   in Loop: Header=BB84_109 Depth=2
	s_or_b32 exec_lo, exec_lo, s45
	s_and_saveexec_b32 s45, s13
	s_cbranch_execnz .LBB84_161
.LBB84_128:                             ;   in Loop: Header=BB84_109 Depth=2
	s_or_b32 exec_lo, exec_lo, s45
	v_mov_b32_e32 v4, 0
	s_and_saveexec_b32 s45, s14
	s_cbranch_execnz .LBB84_162
.LBB84_129:                             ;   in Loop: Header=BB84_109 Depth=2
	s_or_b32 exec_lo, exec_lo, s45
	s_and_saveexec_b32 s45, s15
	s_cbranch_execnz .LBB84_163
.LBB84_130:                             ;   in Loop: Header=BB84_109 Depth=2
	s_or_b32 exec_lo, exec_lo, s45
	v_mov_b32_e32 v5, 0
	s_and_saveexec_b32 s45, s16
	s_cbranch_execnz .LBB84_164
.LBB84_131:                             ;   in Loop: Header=BB84_109 Depth=2
	s_or_b32 exec_lo, exec_lo, s45
	s_and_saveexec_b32 s45, s17
	s_cbranch_execnz .LBB84_165
.LBB84_132:                             ;   in Loop: Header=BB84_109 Depth=2
	s_or_b32 exec_lo, exec_lo, s45
	v_mov_b32_e32 v6, 0
	s_and_saveexec_b32 s45, s18
	s_cbranch_execnz .LBB84_166
.LBB84_133:                             ;   in Loop: Header=BB84_109 Depth=2
	s_or_b32 exec_lo, exec_lo, s45
	s_and_saveexec_b32 s45, s19
	s_cbranch_execnz .LBB84_167
.LBB84_134:                             ;   in Loop: Header=BB84_109 Depth=2
	s_or_b32 exec_lo, exec_lo, s45
	v_mov_b32_e32 v7, 0
	s_and_saveexec_b32 s45, s20
	s_cbranch_execnz .LBB84_168
.LBB84_135:                             ;   in Loop: Header=BB84_109 Depth=2
	s_or_b32 exec_lo, exec_lo, s45
	s_and_saveexec_b32 s45, s21
	s_cbranch_execnz .LBB84_169
.LBB84_136:                             ;   in Loop: Header=BB84_109 Depth=2
	s_or_b32 exec_lo, exec_lo, s45
	v_mov_b32_e32 v16, 0
	s_and_saveexec_b32 s45, s22
	s_cbranch_execnz .LBB84_170
.LBB84_137:                             ;   in Loop: Header=BB84_109 Depth=2
	s_or_b32 exec_lo, exec_lo, s45
	s_and_saveexec_b32 s45, s23
	s_cbranch_execnz .LBB84_171
.LBB84_138:                             ;   in Loop: Header=BB84_109 Depth=2
	s_or_b32 exec_lo, exec_lo, s45
	v_mov_b32_e32 v17, 0
	s_and_saveexec_b32 s45, s24
	s_cbranch_execnz .LBB84_172
.LBB84_139:                             ;   in Loop: Header=BB84_109 Depth=2
	s_or_b32 exec_lo, exec_lo, s45
	s_and_saveexec_b32 s45, s25
	s_cbranch_execnz .LBB84_173
.LBB84_140:                             ;   in Loop: Header=BB84_109 Depth=2
	s_or_b32 exec_lo, exec_lo, s45
	v_mov_b32_e32 v147, 0
	s_and_saveexec_b32 s45, s26
	s_cbranch_execnz .LBB84_174
.LBB84_141:                             ;   in Loop: Header=BB84_109 Depth=2
	s_or_b32 exec_lo, exec_lo, s45
	s_and_saveexec_b32 s45, s27
	s_cbranch_execz .LBB84_143
.LBB84_142:                             ;   in Loop: Header=BB84_109 Depth=2
	global_load_u16 v0, v[0:1], off offset:960
	s_waitcnt vmcnt(0)
	v_lshl_or_b32 v147, v0, 16, v147
.LBB84_143:                             ;   in Loop: Header=BB84_109 Depth=2
	s_or_b32 exec_lo, exec_lo, s45
	s_waitcnt vmcnt(0)
	ds_store_b16 v37, v3 offset:2112
	ds_store_b16 v53, v2 offset:64
	;; [unrolled: 1-line block ×3, first 2 shown]
	ds_store_b16_d16_hi v55, v4 offset:192
	ds_store_b16 v56, v5 offset:256
	ds_store_b16_d16_hi v57, v5 offset:320
	ds_store_b16 v58, v6 offset:384
	;; [unrolled: 2-line block ×6, first 2 shown]
	ds_store_b16_d16_hi v67, v147 offset:960
	; wave barrier
	ds_load_b128 v[4:7], v52 offset:2112
	ds_load_b128 v[0:3], v68 offset:16
	s_and_not1_b32 vcc_lo, exec_lo, s51
	s_cbranch_vccnz .LBB84_175
; %bb.144:                              ;   in Loop: Header=BB84_109 Depth=2
	v_mov_b32_e32 v16, s90
	ds_load_b64 v[16:17], v16
	s_cbranch_execz .LBB84_176
	s_branch .LBB84_179
.LBB84_145:                             ;   in Loop: Header=BB84_109 Depth=2
	global_load_u16 v3, v[0:1], off
	s_or_b32 exec_lo, exec_lo, s45
	s_and_saveexec_b32 s45, s13
	s_cbranch_execz .LBB84_111
.LBB84_146:                             ;   in Loop: Header=BB84_109 Depth=2
	global_load_u16 v2, v[0:1], off offset:64
	s_or_b32 exec_lo, exec_lo, s45
	v_mov_b32_e32 v4, 0
	s_and_saveexec_b32 s45, s14
	s_cbranch_execz .LBB84_112
.LBB84_147:                             ;   in Loop: Header=BB84_109 Depth=2
	global_load_u16 v4, v[0:1], off offset:128
	s_or_b32 exec_lo, exec_lo, s45
	s_and_saveexec_b32 s45, s15
	s_cbranch_execz .LBB84_113
.LBB84_148:                             ;   in Loop: Header=BB84_109 Depth=2
	global_load_u16 v5, v[0:1], off offset:192
	s_waitcnt vmcnt(0)
	v_lshl_or_b32 v4, v5, 16, v4
	s_or_b32 exec_lo, exec_lo, s45
	v_mov_b32_e32 v5, 0
	s_and_saveexec_b32 s45, s16
	s_cbranch_execz .LBB84_114
.LBB84_149:                             ;   in Loop: Header=BB84_109 Depth=2
	global_load_u16 v5, v[0:1], off offset:256
	s_or_b32 exec_lo, exec_lo, s45
	s_and_saveexec_b32 s45, s17
	s_cbranch_execz .LBB84_115
.LBB84_150:                             ;   in Loop: Header=BB84_109 Depth=2
	global_load_u16 v6, v[0:1], off offset:320
	s_waitcnt vmcnt(0)
	v_lshl_or_b32 v5, v6, 16, v5
	s_or_b32 exec_lo, exec_lo, s45
	v_mov_b32_e32 v6, 0
	s_and_saveexec_b32 s45, s18
	s_cbranch_execz .LBB84_116
.LBB84_151:                             ;   in Loop: Header=BB84_109 Depth=2
	global_load_u16 v6, v[0:1], off offset:384
	s_or_b32 exec_lo, exec_lo, s45
	s_and_saveexec_b32 s45, s19
	s_cbranch_execz .LBB84_117
.LBB84_152:                             ;   in Loop: Header=BB84_109 Depth=2
	global_load_u16 v7, v[0:1], off offset:448
	s_waitcnt vmcnt(0)
	v_lshl_or_b32 v6, v7, 16, v6
	s_or_b32 exec_lo, exec_lo, s45
	v_mov_b32_e32 v7, 0
	s_and_saveexec_b32 s45, s20
	s_cbranch_execz .LBB84_118
.LBB84_153:                             ;   in Loop: Header=BB84_109 Depth=2
	global_load_u16 v7, v[0:1], off offset:512
	s_or_b32 exec_lo, exec_lo, s45
	s_and_saveexec_b32 s45, s21
	s_cbranch_execz .LBB84_119
.LBB84_154:                             ;   in Loop: Header=BB84_109 Depth=2
	global_load_u16 v8, v[0:1], off offset:576
	s_waitcnt vmcnt(0)
	v_lshl_or_b32 v7, v8, 16, v7
	s_or_b32 exec_lo, exec_lo, s45
	v_mov_b32_e32 v8, 0
	s_and_saveexec_b32 s45, s22
	s_cbranch_execz .LBB84_120
.LBB84_155:                             ;   in Loop: Header=BB84_109 Depth=2
	global_load_u16 v8, v[0:1], off offset:640
	s_or_b32 exec_lo, exec_lo, s45
	s_and_saveexec_b32 s45, s23
	s_cbranch_execz .LBB84_121
.LBB84_156:                             ;   in Loop: Header=BB84_109 Depth=2
	global_load_u16 v9, v[0:1], off offset:704
	s_waitcnt vmcnt(0)
	v_lshl_or_b32 v8, v9, 16, v8
	s_or_b32 exec_lo, exec_lo, s45
	v_mov_b32_e32 v9, 0
	s_and_saveexec_b32 s45, s24
	s_cbranch_execz .LBB84_122
.LBB84_157:                             ;   in Loop: Header=BB84_109 Depth=2
	global_load_u16 v9, v[0:1], off offset:768
	s_or_b32 exec_lo, exec_lo, s45
	s_and_saveexec_b32 s45, s25
	s_cbranch_execz .LBB84_123
.LBB84_158:                             ;   in Loop: Header=BB84_109 Depth=2
	global_load_u16 v10, v[0:1], off offset:832
	s_waitcnt vmcnt(0)
	v_lshl_or_b32 v9, v10, 16, v9
	s_or_b32 exec_lo, exec_lo, s45
	v_mov_b32_e32 v10, 0
	s_and_saveexec_b32 s45, s26
	s_cbranch_execz .LBB84_124
.LBB84_159:                             ;   in Loop: Header=BB84_109 Depth=2
	global_load_u16 v10, v[0:1], off offset:896
	s_or_b32 exec_lo, exec_lo, s45
	s_and_saveexec_b32 s45, s27
	s_cbranch_execnz .LBB84_125
	s_branch .LBB84_126
.LBB84_160:                             ;   in Loop: Header=BB84_109 Depth=2
	global_load_u16 v3, v[0:1], off
	s_or_b32 exec_lo, exec_lo, s45
	s_and_saveexec_b32 s45, s13
	s_cbranch_execz .LBB84_128
.LBB84_161:                             ;   in Loop: Header=BB84_109 Depth=2
	global_load_u16 v2, v[0:1], off offset:64
	s_or_b32 exec_lo, exec_lo, s45
	v_mov_b32_e32 v4, 0
	s_and_saveexec_b32 s45, s14
	s_cbranch_execz .LBB84_129
.LBB84_162:                             ;   in Loop: Header=BB84_109 Depth=2
	global_load_u16 v4, v[0:1], off offset:128
	s_or_b32 exec_lo, exec_lo, s45
	s_and_saveexec_b32 s45, s15
	s_cbranch_execz .LBB84_130
.LBB84_163:                             ;   in Loop: Header=BB84_109 Depth=2
	global_load_u16 v5, v[0:1], off offset:192
	s_waitcnt vmcnt(0)
	v_lshl_or_b32 v4, v5, 16, v4
	s_or_b32 exec_lo, exec_lo, s45
	v_mov_b32_e32 v5, 0
	s_and_saveexec_b32 s45, s16
	s_cbranch_execz .LBB84_131
.LBB84_164:                             ;   in Loop: Header=BB84_109 Depth=2
	global_load_u16 v5, v[0:1], off offset:256
	s_or_b32 exec_lo, exec_lo, s45
	s_and_saveexec_b32 s45, s17
	s_cbranch_execz .LBB84_132
.LBB84_165:                             ;   in Loop: Header=BB84_109 Depth=2
	global_load_u16 v6, v[0:1], off offset:320
	s_waitcnt vmcnt(0)
	v_lshl_or_b32 v5, v6, 16, v5
	s_or_b32 exec_lo, exec_lo, s45
	v_mov_b32_e32 v6, 0
	s_and_saveexec_b32 s45, s18
	s_cbranch_execz .LBB84_133
.LBB84_166:                             ;   in Loop: Header=BB84_109 Depth=2
	global_load_u16 v6, v[0:1], off offset:384
	s_or_b32 exec_lo, exec_lo, s45
	s_and_saveexec_b32 s45, s19
	s_cbranch_execz .LBB84_134
.LBB84_167:                             ;   in Loop: Header=BB84_109 Depth=2
	global_load_u16 v7, v[0:1], off offset:448
	s_waitcnt vmcnt(0)
	v_lshl_or_b32 v6, v7, 16, v6
	s_or_b32 exec_lo, exec_lo, s45
	v_mov_b32_e32 v7, 0
	s_and_saveexec_b32 s45, s20
	s_cbranch_execz .LBB84_135
.LBB84_168:                             ;   in Loop: Header=BB84_109 Depth=2
	global_load_u16 v7, v[0:1], off offset:512
	s_or_b32 exec_lo, exec_lo, s45
	s_and_saveexec_b32 s45, s21
	s_cbranch_execz .LBB84_136
.LBB84_169:                             ;   in Loop: Header=BB84_109 Depth=2
	global_load_u16 v16, v[0:1], off offset:576
	s_waitcnt vmcnt(0)
	v_lshl_or_b32 v7, v16, 16, v7
	s_or_b32 exec_lo, exec_lo, s45
	v_mov_b32_e32 v16, 0
	s_and_saveexec_b32 s45, s22
	s_cbranch_execz .LBB84_137
.LBB84_170:                             ;   in Loop: Header=BB84_109 Depth=2
	global_load_u16 v16, v[0:1], off offset:640
	s_or_b32 exec_lo, exec_lo, s45
	s_and_saveexec_b32 s45, s23
	s_cbranch_execz .LBB84_138
.LBB84_171:                             ;   in Loop: Header=BB84_109 Depth=2
	global_load_u16 v17, v[0:1], off offset:704
	s_waitcnt vmcnt(0)
	v_lshl_or_b32 v16, v17, 16, v16
	s_or_b32 exec_lo, exec_lo, s45
	v_mov_b32_e32 v17, 0
	s_and_saveexec_b32 s45, s24
	s_cbranch_execz .LBB84_139
.LBB84_172:                             ;   in Loop: Header=BB84_109 Depth=2
	global_load_u16 v17, v[0:1], off offset:768
	s_or_b32 exec_lo, exec_lo, s45
	s_and_saveexec_b32 s45, s25
	s_cbranch_execz .LBB84_140
.LBB84_173:                             ;   in Loop: Header=BB84_109 Depth=2
	global_load_u16 v147, v[0:1], off offset:832
	s_waitcnt vmcnt(0)
	v_lshl_or_b32 v17, v147, 16, v17
	s_or_b32 exec_lo, exec_lo, s45
	v_mov_b32_e32 v147, 0
	s_and_saveexec_b32 s45, s26
	s_cbranch_execz .LBB84_141
.LBB84_174:                             ;   in Loop: Header=BB84_109 Depth=2
	global_load_u16 v147, v[0:1], off offset:896
	s_or_b32 exec_lo, exec_lo, s45
	s_and_saveexec_b32 s45, s27
	s_cbranch_execnz .LBB84_142
	s_branch .LBB84_143
.LBB84_175:                             ;   in Loop: Header=BB84_109 Depth=2
                                        ; implicit-def: $vgpr16
.LBB84_176:                             ;   in Loop: Header=BB84_109 Depth=2
	s_waitcnt lgkmcnt(0)
	v_mov_b32_e32 v17, 0
	s_and_not1_b32 vcc_lo, exec_lo, s47
	s_cbranch_vccnz .LBB84_178
; %bb.177:                              ;   in Loop: Header=BB84_109 Depth=2
	s_mov_b32 s59, s65
	s_delay_alu instid0(SALU_CYCLE_1) | instskip(NEXT) | instid1(SALU_CYCLE_1)
	s_lshl_b64 s[92:93], s[58:59], 1
	s_add_u32 s92, s75, s92
	s_addc_u32 s93, s76, s93
	global_load_u16 v16, v21, s[92:93]
	s_waitcnt vmcnt(0)
	v_cvt_f32_f16_e32 v17, v16
.LBB84_178:                             ;   in Loop: Header=BB84_109 Depth=2
	v_mov_b32_e32 v16, 1.0
.LBB84_179:                             ;   in Loop: Header=BB84_109 Depth=2
	v_mul_f32_e32 v168, 0x3fb8aa3b, v146
	s_waitcnt lgkmcnt(19)
	v_lshrrev_b32_e32 v148, 16, v13
	v_lshrrev_b32_e32 v149, 16, v14
	v_cvt_f32_f16_e32 v13, v13
	v_cvt_f32_f16_e64 v156, v14
	v_mul_f32_e32 v14, v168, v94
	v_lshrrev_b32_e32 v147, 16, v12
	v_lshrrev_b32_e32 v150, 16, v15
	v_mul_f32_e32 v13, v143, v13
	v_cvt_f32_f16_e32 v12, v12
	v_cmp_gt_f32_e32 vcc_lo, 0xc2fc0000, v14
	v_cvt_f32_f16_e64 v157, v15
	v_mul_f32_e32 v15, v168, v95
	v_cvt_f32_f16_e64 v155, v148
	v_mul_f32_e32 v12, v145, v12
	v_cndmask_b32_e64 v14, 0, 0x42800000, vcc_lo
	v_mul_f32_e32 v146, v168, v96
	v_cmp_gt_f32_e64 s45, 0xc2fc0000, v15
	v_cndmask_b32_e64 v148, 1.0, 0x1f800000, vcc_lo
	s_waitcnt lgkmcnt(18)
	v_lshrrev_b32_e32 v151, 16, v8
	v_fmac_f32_e32 v14, v168, v94
	v_cvt_f32_f16_e64 v147, v147
	v_cndmask_b32_e64 v15, 0, 0x42800000, s45
	v_cvt_f32_f16_e64 v158, v150
	v_cmp_gt_f32_e32 vcc_lo, 0xc2fc0000, v146
	v_exp_f32_e32 v14, v14
	v_mul_f32_e32 v146, v168, v97
	v_fmac_f32_e32 v15, v168, v95
	v_cvt_f32_f16_e64 v159, v151
	v_cndmask_b32_e64 v151, 0, 0x42800000, vcc_lo
	v_lshrrev_b32_e32 v152, 16, v9
	v_lshrrev_b32_e32 v153, 16, v10
	;; [unrolled: 1-line block ×3, first 2 shown]
	v_cvt_f32_f16_e32 v9, v9
	v_cvt_f32_f16_e32 v8, v8
	v_mul_f32_e32 v14, v14, v148
	v_exp_f32_e32 v150, v15
	v_cndmask_b32_e64 v15, 0, v12, s28
	v_cndmask_b32_e64 v12, 1.0, 0x1f800000, s45
	v_cmp_gt_f32_e64 s45, 0xc2fc0000, v146
	v_cndmask_b32_e64 v146, 1.0, v14, s28
	v_mul_f32_e32 v14, v144, v147
	v_cvt_f32_f16_e64 v164, v152
	v_cvt_f32_f16_e64 v166, v153
	v_cndmask_b32_e64 v148, 0, 0x42800000, s45
	v_cvt_f32_f16_e64 v171, v154
	v_mul_f32_e32 v147, v150, v12
	v_cndmask_b32_e64 v12, 0, v14, s29
	v_cndmask_b32_e64 v14, 1.0, 0x1f800000, vcc_lo
	v_fmac_f32_e32 v151, v168, v96
	v_fmac_f32_e32 v148, v168, v97
	v_dual_mul_f32 v153, v168, v99 :: v_dual_mul_f32 v158, v138, v158
	v_dual_mul_f32 v154, v168, v100 :: v_dual_mul_f32 v9, v135, v9
	s_delay_alu instid0(VALU_DEP_4)
	v_exp_f32_e32 v150, v151
	v_mul_f32_e32 v151, v168, v98
	v_exp_f32_e32 v152, v148
	v_cndmask_b32_e64 v148, 1.0, v147, s29
	v_cndmask_b32_e64 v147, 1.0, 0x1f800000, s45
	v_cmp_gt_f32_e64 s45, 0xc2fc0000, v153
	v_cvt_f32_f16_e32 v10, v10
	v_cvt_f32_f16_e32 v11, v11
	v_mul_f32_e32 v169, v168, v122
	s_delay_alu instid0(TRANS32_DEP_2) | instskip(SKIP_1) | instid1(TRANS32_DEP_1)
	v_dual_mul_f32 v159, v136, v159 :: v_dual_mul_f32 v14, v150, v14
	v_cndmask_b32_e64 v153, 0, 0x42800000, s45
	v_dual_mul_f32 v147, v152, v147 :: v_dual_mul_f32 v10, v133, v10
	v_cndmask_b32_e64 v13, 0, v13, s30
	s_delay_alu instid0(VALU_DEP_4)
	v_cndmask_b32_e64 v150, 1.0, v14, s30
	v_mul_f32_e32 v14, v142, v155
	v_cmp_gt_f32_e32 vcc_lo, 0xc2fc0000, v151
	v_cndmask_b32_e64 v152, 1.0, v147, s31
	v_dual_fmac_f32 v153, v168, v99 :: v_dual_mul_f32 v8, v137, v8
	v_mul_f32_e32 v155, v168, v101
	v_cndmask_b32_e64 v151, 0, 0x42800000, vcc_lo
	v_cndmask_b32_e64 v147, 1.0, 0x1f800000, vcc_lo
	v_cmp_gt_f32_e32 vcc_lo, 0xc2fc0000, v154
	v_exp_f32_e32 v153, v153
	v_cmp_gt_f32_e64 s46, 0xc2fc0000, v155
	v_fmac_f32_e32 v151, v168, v98
	v_mul_f32_e32 v162, v168, v115
	v_cndmask_b32_e64 v154, 0, 0x42800000, vcc_lo
	v_cvt_f32_f16_e64 v149, v149
	v_cndmask_b32_e64 v155, 0, 0x42800000, s46
	v_exp_f32_e32 v151, v151
	v_cndmask_b32_e64 v14, 0, v14, s31
	v_dual_fmac_f32 v154, v168, v100 :: v_dual_mul_f32 v11, v131, v11
	s_delay_alu instid0(VALU_DEP_3) | instskip(SKIP_2) | instid1(VALU_DEP_4)
	v_fmac_f32_e32 v155, v168, v101
	v_mul_f32_e32 v170, v168, v123
	v_mul_f32_e32 v166, v132, v166
	v_exp_f32_e32 v160, v154
	s_delay_alu instid0(TRANS32_DEP_2)
	v_mul_f32_e32 v151, v151, v147
	v_mul_f32_e32 v147, v141, v156
	v_cndmask_b32_e64 v156, 1.0, 0x1f800000, s45
	v_cmp_gt_f32_e64 s45, 0xc2fc0000, v162
	v_mul_f32_e32 v162, v168, v121
	v_cndmask_b32_e64 v154, 1.0, v151, s33
	v_cndmask_b32_e64 v147, 0, v147, s33
	v_mul_f32_e32 v151, v153, v156
	v_cndmask_b32_e64 v153, 1.0, 0x1f800000, vcc_lo
	v_exp_f32_e32 v156, v155
	v_cndmask_b32_e64 v166, 0, v166, s42
	s_delay_alu instid0(VALU_DEP_3) | instskip(NEXT) | instid1(VALU_DEP_3)
	v_cndmask_b32_e64 v155, 1.0, v151, s34
	v_mul_f32_e32 v153, v160, v153
	v_mul_f32_e32 v151, v139, v157
	v_cndmask_b32_e64 v160, 1.0, 0x1f800000, s46
	s_delay_alu instid0(VALU_DEP_3)
	v_cndmask_b32_e64 v157, 1.0, v153, s35
	v_mul_f32_e32 v161, v168, v104
	v_cndmask_b32_e64 v153, 0, v158, s36
	v_mul_f32_e32 v158, v168, v118
	v_mul_f32_e32 v156, v156, v160
	v_cndmask_b32_e64 v151, 0, v151, s35
	v_cmp_gt_f32_e32 vcc_lo, 0xc2fc0000, v161
	s_delay_alu instid0(VALU_DEP_4) | instskip(NEXT) | instid1(VALU_DEP_4)
	v_cmp_gt_f32_e64 s46, 0xc2fc0000, v158
	v_cndmask_b32_e64 v160, 1.0, v156, s36
	v_cndmask_b32_e64 v161, 0, 0x42800000, vcc_lo
	v_cndmask_b32_e64 v163, 1.0, 0x1f800000, vcc_lo
	s_delay_alu instid0(VALU_DEP_4) | instskip(SKIP_1) | instid1(VALU_DEP_4)
	v_cndmask_b32_e64 v158, 0, 0x42800000, s46
	v_cmp_gt_f32_e32 vcc_lo, 0xc2fc0000, v162
	v_fmac_f32_e32 v161, v168, v104
	s_delay_alu instid0(VALU_DEP_3) | instskip(SKIP_1) | instid1(VALU_DEP_3)
	v_fmac_f32_e32 v158, v168, v118
	v_cndmask_b32_e64 v162, 0, 0x42800000, vcc_lo
	v_exp_f32_e32 v156, v161
	v_cndmask_b32_e64 v161, 0, 0x42800000, s45
	s_delay_alu instid0(VALU_DEP_2) | instskip(NEXT) | instid1(VALU_DEP_2)
	v_fmac_f32_e32 v162, v168, v121
	v_fmac_f32_e32 v161, v168, v115
	s_delay_alu instid0(VALU_DEP_2) | instskip(NEXT) | instid1(VALU_DEP_1)
	v_exp_f32_e32 v167, v162
	v_exp_f32_e32 v165, v161
	s_delay_alu instid0(TRANS32_DEP_3)
	v_mul_f32_e32 v161, v156, v163
	v_cndmask_b32_e64 v156, 0, v8, s37
	v_exp_f32_e32 v8, v158
	v_cndmask_b32_e64 v158, 1.0, 0x1f800000, s45
	v_cndmask_b32_e64 v163, 1.0, 0x1f800000, s46
	v_cmp_gt_f32_e64 s45, 0xc2fc0000, v170
	v_cndmask_b32_e64 v161, 1.0, v161, s37
	s_delay_alu instid0(TRANS32_DEP_2) | instid1(VALU_DEP_4)
	v_mul_f32_e32 v162, v165, v158
	v_cndmask_b32_e64 v165, 1.0, 0x1f800000, vcc_lo
	v_cmp_gt_f32_e32 vcc_lo, 0xc2fc0000, v169
	s_delay_alu instid0(TRANS32_DEP_1)
	v_mul_f32_e32 v8, v8, v163
	v_cndmask_b32_e64 v158, 0, v159, s38
	v_cndmask_b32_e64 v159, 0, v9, s39
	v_mul_f32_e32 v9, v134, v164
	v_fma_f32 v169, v148, v15, v12
	v_cndmask_b32_e64 v163, 1.0, v8, s39
	v_mul_f32_e32 v8, v167, v165
	v_cndmask_b32_e64 v165, 0, 0x42800000, vcc_lo
	v_mul_f32_e32 v167, v148, v146
	v_cndmask_b32_e64 v164, 0, v9, s40
	v_cndmask_b32_e64 v162, 1.0, v162, s38
	v_cndmask_b32_e64 v170, 1.0, v8, s40
	v_fmac_f32_e32 v165, v168, v122
	v_mul_f32_e32 v9, v167, v150
	v_fma_f32 v167, v169, v150, v13
	v_cndmask_b32_e64 v8, 1.0, 0x1f800000, vcc_lo
	v_cndmask_b32_e64 v169, 0, 0x42800000, s45
	v_exp_f32_e32 v165, v165
	v_mul_f32_e32 v149, v140, v149
	v_mul_f32_e32 v9, v9, v152
	v_fma_f32 v167, v167, v152, v14
	v_fmac_f32_e32 v169, v168, v123
	s_delay_alu instid0(VALU_DEP_3) | instskip(NEXT) | instid1(VALU_DEP_3)
	v_mul_f32_e32 v9, v9, v154
	v_fma_f32 v167, v167, v154, v147
	s_delay_alu instid0(VALU_DEP_3) | instskip(NEXT) | instid1(TRANS32_DEP_2)
	v_exp_f32_e32 v169, v169
	v_mul_f32_e32 v8, v165, v8
	v_cndmask_b32_e64 v149, 0, v149, s34
	v_mul_f32_e32 v9, v9, v155
	v_cndmask_b32_e64 v165, 0, v10, s41
	v_cndmask_b32_e64 v10, 1.0, 0x1f800000, s45
	s_delay_alu instid0(VALU_DEP_4)
	v_fma_f32 v172, v167, v155, v149
	v_cndmask_b32_e64 v167, 1.0, v8, s41
	v_mul_f32_e32 v8, v9, v157
	s_delay_alu instid0(TRANS32_DEP_1) | instid1(VALU_DEP_4)
	v_mul_f32_e32 v10, v169, v10
	s_delay_alu instid0(VALU_DEP_4) | instskip(SKIP_1) | instid1(VALU_DEP_4)
	v_fma_f32 v9, v172, v157, v151
	v_mul_f32_e32 v172, v168, v124
	v_mul_f32_e32 v8, v8, v160
	s_delay_alu instid0(VALU_DEP_3) | instskip(NEXT) | instid1(VALU_DEP_3)
	v_fma_f32 v9, v9, v160, v153
	v_cmp_gt_f32_e32 vcc_lo, 0xc2fc0000, v172
	v_mul_f32_e32 v172, v168, v125
	s_delay_alu instid0(VALU_DEP_4) | instskip(NEXT) | instid1(VALU_DEP_4)
	v_mul_f32_e32 v8, v8, v161
	v_fma_f32 v9, v9, v161, v156
	v_cndmask_b32_e64 v169, 0, 0x42800000, vcc_lo
	s_delay_alu instid0(VALU_DEP_4) | instskip(NEXT) | instid1(VALU_DEP_4)
	v_cmp_gt_f32_e64 s45, 0xc2fc0000, v172
	v_mul_f32_e32 v8, v8, v162
	s_delay_alu instid0(VALU_DEP_4) | instskip(NEXT) | instid1(VALU_DEP_4)
	v_fma_f32 v9, v9, v162, v158
	v_fmac_f32_e32 v169, v168, v124
	s_delay_alu instid0(VALU_DEP_4) | instskip(NEXT) | instid1(VALU_DEP_4)
	v_cndmask_b32_e64 v172, 0, 0x42800000, s45
	v_mul_f32_e32 v8, v8, v163
	s_delay_alu instid0(VALU_DEP_4) | instskip(NEXT) | instid1(VALU_DEP_4)
	v_fma_f32 v9, v9, v163, v159
	v_exp_f32_e32 v173, v169
	s_delay_alu instid0(VALU_DEP_3)
	v_fmac_f32_e32 v172, v168, v125
	v_cndmask_b32_e64 v169, 1.0, v10, s42
	v_cndmask_b32_e64 v10, 1.0, 0x1f800000, vcc_lo
	v_mul_f32_e32 v8, v8, v170
	v_fma_f32 v9, v9, v170, v164
	v_exp_f32_e32 v174, v172
	v_cndmask_b32_e64 v168, 0, v11, s43
	v_cndmask_b32_e64 v11, 1.0, 0x1f800000, s45
	v_mul_f32_e32 v8, v8, v167
	v_mul_f32_e32 v10, v173, v10
	v_fma_f32 v9, v9, v167, v165
	s_delay_alu instid0(VALU_DEP_3) | instskip(NEXT) | instid1(VALU_DEP_3)
	v_mul_f32_e32 v8, v8, v169
	v_cndmask_b32_e64 v172, 1.0, v10, s43
	v_mul_f32_e32 v10, v126, v171
	s_delay_alu instid0(TRANS32_DEP_1) | instskip(SKIP_1) | instid1(VALU_DEP_4)
	v_mul_f32_e32 v11, v174, v11
	v_fma_f32 v9, v9, v169, v166
	v_mul_f32_e32 v8, v8, v172
	s_delay_alu instid0(VALU_DEP_4) | instskip(NEXT) | instid1(VALU_DEP_4)
	v_cndmask_b32_e64 v171, 0, v10, s44
	v_cndmask_b32_e64 v173, 1.0, v11, s44
	s_delay_alu instid0(VALU_DEP_4) | instskip(NEXT) | instid1(VALU_DEP_2)
	v_fma_f32 v9, v9, v172, v168
	v_mul_f32_e32 v8, v8, v173
	s_delay_alu instid0(VALU_DEP_2) | instskip(NEXT) | instid1(VALU_DEP_2)
	v_fma_f32 v9, v9, v173, v171
	v_mov_b32_dpp v11, v8 row_shr:1 row_mask:0xf bank_mask:0xf
	s_delay_alu instid0(VALU_DEP_2)
	v_mov_b32_dpp v10, v9 row_shr:1 row_mask:0xf bank_mask:0xf
	s_and_saveexec_b32 s45, s0
; %bb.180:                              ;   in Loop: Header=BB84_109 Depth=2
	s_delay_alu instid0(VALU_DEP_2) | instskip(NEXT) | instid1(VALU_DEP_1)
	v_mul_f32_e32 v11, v8, v11
	v_dual_fmac_f32 v9, v8, v10 :: v_dual_mov_b32 v8, v11
; %bb.181:                              ;   in Loop: Header=BB84_109 Depth=2
	s_or_b32 exec_lo, exec_lo, s45
	s_delay_alu instid0(VALU_DEP_1) | instskip(NEXT) | instid1(VALU_DEP_2)
	v_mov_b32_dpp v10, v8 row_shr:2 row_mask:0xf bank_mask:0xf
	v_mov_b32_dpp v11, v9 row_shr:2 row_mask:0xf bank_mask:0xf
	s_and_saveexec_b32 s45, s1
; %bb.182:                              ;   in Loop: Header=BB84_109 Depth=2
	s_delay_alu instid0(VALU_DEP_1) | instskip(NEXT) | instid1(VALU_DEP_3)
	v_fmac_f32_e32 v9, v8, v11
	v_mul_f32_e32 v8, v8, v10
; %bb.183:                              ;   in Loop: Header=BB84_109 Depth=2
	s_or_b32 exec_lo, exec_lo, s45
	s_delay_alu instid0(VALU_DEP_1) | instskip(NEXT) | instid1(VALU_DEP_3)
	v_mov_b32_dpp v10, v8 row_shr:4 row_mask:0xf bank_mask:0xf
	v_mov_b32_dpp v11, v9 row_shr:4 row_mask:0xf bank_mask:0xf
	s_and_saveexec_b32 s45, s2
; %bb.184:                              ;   in Loop: Header=BB84_109 Depth=2
	s_delay_alu instid0(VALU_DEP_1) | instskip(NEXT) | instid1(VALU_DEP_3)
	v_fmac_f32_e32 v9, v8, v11
	v_mul_f32_e32 v8, v8, v10
; %bb.185:                              ;   in Loop: Header=BB84_109 Depth=2
	s_or_b32 exec_lo, exec_lo, s45
	s_delay_alu instid0(VALU_DEP_1) | instskip(NEXT) | instid1(VALU_DEP_3)
	v_mov_b32_dpp v10, v8 row_shr:8 row_mask:0xf bank_mask:0xf
	v_mov_b32_dpp v11, v9 row_shr:8 row_mask:0xf bank_mask:0xf
	s_and_saveexec_b32 s45, s3
; %bb.186:                              ;   in Loop: Header=BB84_109 Depth=2
	s_delay_alu instid0(VALU_DEP_1) | instskip(NEXT) | instid1(VALU_DEP_3)
	v_fmac_f32_e32 v9, v8, v11
	v_mul_f32_e32 v8, v8, v10
; %bb.187:                              ;   in Loop: Header=BB84_109 Depth=2
	s_or_b32 exec_lo, exec_lo, s45
	ds_swizzle_b32 v11, v8 offset:swizzle(BROADCAST,32,15)
	ds_swizzle_b32 v10, v9 offset:swizzle(BROADCAST,32,15)
	s_and_saveexec_b32 s45, s4
	s_cbranch_execz .LBB84_189
; %bb.188:                              ;   in Loop: Header=BB84_109 Depth=2
	s_waitcnt lgkmcnt(1)
	v_mul_f32_e32 v11, v8, v11
	s_waitcnt lgkmcnt(0)
	s_delay_alu instid0(VALU_DEP_1)
	v_dual_fmac_f32 v9, v8, v10 :: v_dual_mov_b32 v8, v11
.LBB84_189:                             ;   in Loop: Header=BB84_109 Depth=2
	s_or_b32 exec_lo, exec_lo, s45
	s_and_saveexec_b32 s45, s5
	s_cbranch_execz .LBB84_191
; %bb.190:                              ;   in Loop: Header=BB84_109 Depth=2
	ds_store_b64 v69, v[8:9] offset:4224
.LBB84_191:                             ;   in Loop: Header=BB84_109 Depth=2
	s_or_b32 exec_lo, exec_lo, s45
	s_waitcnt lgkmcnt(0)
	s_waitcnt_vscnt null, 0x0
	s_barrier
	buffer_gl0_inv
	s_and_saveexec_b32 s45, s6
	s_cbranch_execz .LBB84_193
; %bb.192:                              ;   in Loop: Header=BB84_109 Depth=2
	ds_load_b64 v[10:11], v70 offset:4224
	s_waitcnt lgkmcnt(0)
	v_mov_b32_dpp v174, v10 row_shr:1 row_mask:0xf bank_mask:0xf
	v_mov_b32_dpp v175, v11 row_shr:1 row_mask:0xf bank_mask:0xf
	s_delay_alu instid0(VALU_DEP_2) | instskip(NEXT) | instid1(VALU_DEP_2)
	v_mul_f32_e32 v174, v10, v174
	v_fma_f32 v175, v10, v175, v11
	s_delay_alu instid0(VALU_DEP_2) | instskip(NEXT) | instid1(VALU_DEP_2)
	v_cndmask_b32_e64 v10, v174, v10, s7
	v_cndmask_b32_e64 v11, v175, v11, s7
	ds_store_b64 v70, v[10:11] offset:4224
.LBB84_193:                             ;   in Loop: Header=BB84_109 Depth=2
	s_or_b32 exec_lo, exec_lo, s45
	s_waitcnt lgkmcnt(0)
	s_barrier
	buffer_gl0_inv
                                        ; implicit-def: $vgpr11
	s_and_saveexec_b32 s45, s9
	s_cbranch_execz .LBB84_195
; %bb.194:                              ;   in Loop: Header=BB84_109 Depth=2
	ds_load_b64 v[10:11], v69 offset:4216
	s_waitcnt lgkmcnt(0)
	v_mul_f32_e32 v174, v8, v10
	s_delay_alu instid0(VALU_DEP_1)
	v_dual_fmac_f32 v9, v8, v11 :: v_dual_mov_b32 v8, v174
.LBB84_195:                             ;   in Loop: Header=BB84_109 Depth=2
	s_or_b32 exec_lo, exec_lo, s45
	ds_bpermute_b32 v174, v71, v8
	ds_bpermute_b32 v175, v71, v9
	s_and_saveexec_b32 s45, s8
	s_cbranch_execz .LBB84_199
; %bb.196:                              ;   in Loop: Header=BB84_109 Depth=2
	ds_load_b64 v[8:9], v21 offset:4232
	s_and_saveexec_b32 s46, s10
	s_cbranch_execz .LBB84_198
; %bb.197:                              ;   in Loop: Header=BB84_109 Depth=2
	ds_store_b64 v21, v[16:17] offset:4232
.LBB84_198:                             ;   in Loop: Header=BB84_109 Depth=2
	s_or_b32 exec_lo, exec_lo, s46
	s_waitcnt lgkmcnt(0)
	v_fmac_f32_e32 v9, v17, v8
	s_delay_alu instid0(VALU_DEP_1)
	v_dual_mul_f32 v16, v16, v8 :: v_dual_mov_b32 v17, v9
.LBB84_199:                             ;   in Loop: Header=BB84_109 Depth=2
	s_or_b32 exec_lo, exec_lo, s45
	s_waitcnt lgkmcnt(0)
	s_barrier
	buffer_gl0_inv
	ds_load_b32 v8, v21 offset:4236
	s_and_saveexec_b32 s45, s10
	s_cbranch_execz .LBB84_108
; %bb.200:                              ;   in Loop: Header=BB84_109 Depth=2
	v_mov_b32_e32 v9, s90
	s_and_not1_b32 vcc_lo, exec_lo, s88
	ds_store_b64 v9, v[16:17]
	s_cbranch_vccnz .LBB84_108
; %bb.201:                              ;   in Loop: Header=BB84_109 Depth=2
	s_mov_b32 s59, s65
	v_cvt_f16_f32_e32 v9, v17
	s_lshl_b64 s[92:93], s[58:59], 1
	s_delay_alu instid0(SALU_CYCLE_1)
	s_add_u32 s92, s75, s92
	s_addc_u32 s93, s76, s93
	global_store_b16 v21, v9, s[92:93]
	s_branch .LBB84_108
.LBB84_202:                             ;   in Loop: Header=BB84_12 Depth=1
	v_cvt_f16_f32_e32 v0, v120
	v_cvt_f16_f32_e32 v4, v113
	v_cvt_f16_f32_e32 v1, v119
	v_cvt_f16_f32_e32 v5, v114
	v_cvt_f16_f32_e32 v2, v117
	v_cvt_f16_f32_e32 v6, v110
	v_cvt_f16_f32_e32 v3, v116
	v_cvt_f16_f32_e32 v7, v109
	v_cvt_f16_f32_e32 v8, v111
	v_cvt_f16_f32_e32 v9, v105
	v_cvt_f16_f32_e32 v10, v108
	v_cvt_f16_f32_e32 v11, v103
	v_cvt_f16_f32_e32 v12, v107
	v_cvt_f16_f32_e32 v13, v102
	v_cvt_f16_f32_e32 v14, v106
	v_cvt_f16_f32_e32 v15, v112
	v_pack_b32_f16 v3, v3, v7
	v_pack_b32_f16 v2, v2, v6
	;; [unrolled: 1-line block ×8, first 2 shown]
	s_waitcnt_vscnt null, 0x0
	s_barrier
	buffer_gl0_inv
	ds_store_b128 v52, v[0:3]
	ds_store_b128 v52, v[4:7] offset:16
	; wave barrier
	ds_load_u16 v16, v37 offset:64
	ds_load_u16 v15, v38 offset:128
	;; [unrolled: 1-line block ×15, first 2 shown]
	s_mov_b32 s51, s65
	s_delay_alu instid0(SALU_CYCLE_1) | instskip(NEXT) | instid1(SALU_CYCLE_1)
	s_lshl_b64 s[34:35], s[50:51], 1
	v_add_co_u32 v0, vcc_lo, v72, s34
	v_add_co_ci_u32_e32 v1, vcc_lo, s35, v73, vcc_lo
	s_and_saveexec_b32 s28, s12
	s_cbranch_execnz .LBB84_269
; %bb.203:                              ;   in Loop: Header=BB84_12 Depth=1
	s_or_b32 exec_lo, exec_lo, s28
	s_and_saveexec_b32 s28, s13
	s_cbranch_execnz .LBB84_270
.LBB84_204:                             ;   in Loop: Header=BB84_12 Depth=1
	s_or_b32 exec_lo, exec_lo, s28
	s_and_saveexec_b32 s28, s14
	s_cbranch_execnz .LBB84_271
.LBB84_205:                             ;   in Loop: Header=BB84_12 Depth=1
	s_or_b32 exec_lo, exec_lo, s28
	s_and_saveexec_b32 s28, s15
	s_cbranch_execnz .LBB84_272
.LBB84_206:                             ;   in Loop: Header=BB84_12 Depth=1
	s_or_b32 exec_lo, exec_lo, s28
	s_and_saveexec_b32 s28, s16
	s_cbranch_execnz .LBB84_273
.LBB84_207:                             ;   in Loop: Header=BB84_12 Depth=1
	s_or_b32 exec_lo, exec_lo, s28
	s_and_saveexec_b32 s28, s17
	s_cbranch_execnz .LBB84_274
.LBB84_208:                             ;   in Loop: Header=BB84_12 Depth=1
	s_or_b32 exec_lo, exec_lo, s28
	s_and_saveexec_b32 s28, s18
	s_cbranch_execnz .LBB84_275
.LBB84_209:                             ;   in Loop: Header=BB84_12 Depth=1
	s_or_b32 exec_lo, exec_lo, s28
	s_and_saveexec_b32 s28, s19
	s_cbranch_execnz .LBB84_276
.LBB84_210:                             ;   in Loop: Header=BB84_12 Depth=1
	s_or_b32 exec_lo, exec_lo, s28
	s_and_saveexec_b32 s28, s20
	s_cbranch_execnz .LBB84_277
.LBB84_211:                             ;   in Loop: Header=BB84_12 Depth=1
	s_or_b32 exec_lo, exec_lo, s28
	s_and_saveexec_b32 s28, s21
	s_cbranch_execnz .LBB84_278
.LBB84_212:                             ;   in Loop: Header=BB84_12 Depth=1
	s_or_b32 exec_lo, exec_lo, s28
	s_and_saveexec_b32 s28, s22
	s_cbranch_execnz .LBB84_279
.LBB84_213:                             ;   in Loop: Header=BB84_12 Depth=1
	s_or_b32 exec_lo, exec_lo, s28
	s_and_saveexec_b32 s28, s23
	s_cbranch_execnz .LBB84_280
.LBB84_214:                             ;   in Loop: Header=BB84_12 Depth=1
	s_or_b32 exec_lo, exec_lo, s28
	s_and_saveexec_b32 s28, s24
	s_cbranch_execnz .LBB84_281
.LBB84_215:                             ;   in Loop: Header=BB84_12 Depth=1
	s_or_b32 exec_lo, exec_lo, s28
	s_and_saveexec_b32 s28, s25
	s_cbranch_execnz .LBB84_282
.LBB84_216:                             ;   in Loop: Header=BB84_12 Depth=1
	s_or_b32 exec_lo, exec_lo, s28
	s_and_saveexec_b32 s28, s26
	s_cbranch_execnz .LBB84_283
.LBB84_217:                             ;   in Loop: Header=BB84_12 Depth=1
	s_or_b32 exec_lo, exec_lo, s28
	s_and_saveexec_b32 s28, s27
	s_cbranch_execz .LBB84_219
.LBB84_218:                             ;   in Loop: Header=BB84_12 Depth=1
	s_waitcnt lgkmcnt(0)
	global_store_b16 v[0:1], v2, off offset:960
.LBB84_219:                             ;   in Loop: Header=BB84_12 Depth=1
	s_or_b32 exec_lo, exec_lo, s28
	v_add_co_u32 v0, vcc_lo, v74, s34
	v_add_co_ci_u32_e32 v1, vcc_lo, s35, v75, vcc_lo
	s_waitcnt lgkmcnt(0)
	v_dual_mov_b32 v2, 0 :: v_dual_mov_b32 v3, 0
	s_waitcnt_vscnt null, 0x0
	s_barrier
	buffer_gl0_inv
	s_and_saveexec_b32 s28, s12
	s_cbranch_execz .LBB84_221
; %bb.220:                              ;   in Loop: Header=BB84_12 Depth=1
	global_load_u16 v3, v[0:1], off
.LBB84_221:                             ;   in Loop: Header=BB84_12 Depth=1
	s_or_b32 exec_lo, exec_lo, s28
	s_and_saveexec_b32 s28, s13
	s_cbranch_execz .LBB84_223
; %bb.222:                              ;   in Loop: Header=BB84_12 Depth=1
	global_load_u16 v2, v[0:1], off offset:64
.LBB84_223:                             ;   in Loop: Header=BB84_12 Depth=1
	s_or_b32 exec_lo, exec_lo, s28
	v_dual_mov_b32 v4, 0 :: v_dual_mov_b32 v5, 0
	s_and_saveexec_b32 s28, s14
	s_cbranch_execz .LBB84_225
; %bb.224:                              ;   in Loop: Header=BB84_12 Depth=1
	global_load_u16 v5, v[0:1], off offset:128
.LBB84_225:                             ;   in Loop: Header=BB84_12 Depth=1
	s_or_b32 exec_lo, exec_lo, s28
	s_and_saveexec_b32 s28, s15
	s_cbranch_execz .LBB84_227
; %bb.226:                              ;   in Loop: Header=BB84_12 Depth=1
	global_load_u16 v4, v[0:1], off offset:192
.LBB84_227:                             ;   in Loop: Header=BB84_12 Depth=1
	s_or_b32 exec_lo, exec_lo, s28
	v_dual_mov_b32 v6, 0 :: v_dual_mov_b32 v7, 0
	s_and_saveexec_b32 s28, s16
	s_cbranch_execz .LBB84_229
; %bb.228:                              ;   in Loop: Header=BB84_12 Depth=1
	global_load_u16 v7, v[0:1], off offset:256
.LBB84_229:                             ;   in Loop: Header=BB84_12 Depth=1
	;; [unrolled: 13-line block ×7, first 2 shown]
	s_or_b32 exec_lo, exec_lo, s28
	s_and_saveexec_b32 s28, s27
	s_cbranch_execz .LBB84_251
; %bb.250:                              ;   in Loop: Header=BB84_12 Depth=1
	global_load_u16 v16, v[0:1], off offset:960
.LBB84_251:                             ;   in Loop: Header=BB84_12 Depth=1
	s_or_b32 exec_lo, exec_lo, s28
	s_waitcnt vmcnt(0)
	ds_store_b16 v37, v3
	ds_store_b16 v37, v2 offset:64
	ds_store_b16 v38, v5 offset:128
	;; [unrolled: 1-line block ×15, first 2 shown]
	; wave barrier
	ds_load_b128 v[4:7], v52
	ds_load_b128 v[0:3], v52 offset:16
	s_waitcnt lgkmcnt(0)
	s_barrier
	buffer_gl0_inv
	v_lshrrev_b32_e32 v8, 16, v4
	v_lshrrev_b32_e32 v9, 16, v5
	v_cvt_f32_f16_e32 v10, v5
	v_cvt_f32_f16_e32 v11, v4
	v_lshrrev_b32_e32 v104, 16, v6
	v_cvt_f32_f16_e32 v8, v8
	v_cvt_f32_f16_e32 v9, v9
	v_mul_f32_e32 v12, 0xbfb8aa3b, v10
	v_mul_f32_e32 v14, 0xbfb8aa3b, v11
	v_cvt_f32_f16_e32 v104, v104
	v_mul_f32_e32 v13, 0xbfb8aa3b, v8
	v_mul_f32_e32 v15, 0xbfb8aa3b, v9
	v_rndne_f32_e32 v16, v12
	v_fma_mix_f32 v17, v5, s85, -v12 op_sel_hi:[1,0,0]
	v_cmp_nlt_f32_e32 vcc_lo, 0x42ce8ed0, v8
	v_rndne_f32_e32 v94, v13
	v_fma_mix_f32 v95, v4, s85, -v13 op_sel:[1,0,0] op_sel_hi:[1,0,0]
	v_fma_mix_f32 v97, v5, s85, -v15 op_sel:[1,0,0] op_sel_hi:[1,0,0]
	v_rndne_f32_e32 v96, v15
	s_delay_alu instid0(VALU_DEP_4) | instskip(NEXT) | instid1(VALU_DEP_4)
	v_dual_sub_f32 v12, v12, v16 :: v_dual_sub_f32 v13, v13, v94
	v_fma_mix_f32 v95, v4, s86, v95 op_sel:[1,0,0] op_sel_hi:[1,0,0]
	s_delay_alu instid0(VALU_DEP_4) | instskip(SKIP_4) | instid1(VALU_DEP_4)
	v_fma_mix_f32 v97, v5, s86, v97 op_sel:[1,0,0] op_sel_hi:[1,0,0]
	v_fma_mix_f32 v5, v5, s86, v17 op_sel_hi:[1,0,0]
	v_rndne_f32_e32 v17, v14
	v_sub_f32_e32 v15, v15, v96
	v_cvt_i32_f32_e32 v16, v16
	v_add_f32_e32 v5, v12, v5
	s_delay_alu instid0(VALU_DEP_4) | instskip(SKIP_2) | instid1(VALU_DEP_4)
	v_dual_sub_f32 v12, v14, v17 :: v_dual_add_f32 v13, v13, v95
	v_fma_mix_f32 v95, v4, s85, -v14 op_sel_hi:[1,0,0]
	v_add_f32_e32 v15, v15, v97
	v_exp_f32_e32 v5, v5
	v_cvt_i32_f32_e32 v17, v17
	s_delay_alu instid0(VALU_DEP_3) | instskip(NEXT) | instid1(VALU_DEP_3)
	v_fma_mix_f32 v4, v4, s86, v95 op_sel_hi:[1,0,0]
	v_exp_f32_e32 v14, v15
	v_cvt_i32_f32_e32 v15, v94
	s_delay_alu instid0(VALU_DEP_2) | instskip(SKIP_2) | instid1(TRANS32_DEP_3)
	v_add_f32_e32 v4, v12, v4
	v_exp_f32_e32 v13, v13
	v_cvt_i32_f32_e32 v12, v96
	v_ldexp_f32 v5, v5, v16
	s_delay_alu instid0(VALU_DEP_3)
	v_exp_f32_e32 v4, v4
	s_delay_alu instid0(TRANS32_DEP_3) | instid1(VALU_DEP_2)
	v_ldexp_f32 v12, v14, v12
	s_waitcnt_depctr 0xfff
	v_ldexp_f32 v13, v13, v15
	v_ldexp_f32 v4, v4, v17
	s_delay_alu instid0(VALU_DEP_2)
	v_cndmask_b32_e32 v13, 0, v13, vcc_lo
	v_cmp_nlt_f32_e32 vcc_lo, 0x42ce8ed0, v9
	v_cndmask_b32_e32 v12, 0, v12, vcc_lo
	v_cmp_nlt_f32_e32 vcc_lo, 0x42ce8ed0, v10
	v_cndmask_b32_e32 v5, 0, v5, vcc_lo
	v_cmp_ngt_f32_e32 vcc_lo, 0xc2b17218, v8
	v_cndmask_b32_e32 v13, 0x7f800000, v13, vcc_lo
	v_cmp_ngt_f32_e32 vcc_lo, 0xc2b17218, v9
	;; [unrolled: 2-line block ×3, first 2 shown]
	s_delay_alu instid0(VALU_DEP_2) | instskip(NEXT) | instid1(VALU_DEP_1)
	v_add_f32_e32 v12, 1.0, v12
	v_div_scale_f32 v15, null, v12, v12, v9
	v_div_scale_f32 v99, s28, v9, v12, v9
	s_delay_alu instid0(VALU_DEP_2) | instskip(SKIP_4) | instid1(VALU_DEP_3)
	v_rcp_f32_e32 v94, v15
	s_waitcnt_depctr 0xfff
	v_fma_f32 v98, -v15, v94, 1.0
	v_cndmask_b32_e32 v5, 0x7f800000, v5, vcc_lo
	v_cmp_nlt_f32_e32 vcc_lo, 0x42ce8ed0, v11
	v_fmac_f32_e32 v94, v98, v94
	s_delay_alu instid0(VALU_DEP_3) | instskip(SKIP_2) | instid1(VALU_DEP_3)
	v_add_f32_e32 v14, 1.0, v5
	v_cndmask_b32_e32 v4, 0, v4, vcc_lo
	v_cmp_ngt_f32_e32 vcc_lo, 0xc2b17218, v11
	v_div_scale_f32 v16, null, v14, v14, v10
	s_delay_alu instid0(VALU_DEP_3) | instskip(NEXT) | instid1(VALU_DEP_2)
	v_cndmask_b32_e32 v4, 0x7f800000, v4, vcc_lo
	v_rcp_f32_e32 v95, v16
	s_delay_alu instid0(VALU_DEP_1) | instskip(NEXT) | instid1(VALU_DEP_1)
	v_dual_add_f32 v96, 1.0, v4 :: v_dual_add_f32 v13, 1.0, v13
	v_div_scale_f32 v101, null, v96, v96, v11
	s_waitcnt_depctr 0xfff
	v_fma_f32 v100, -v16, v95, 1.0
	v_rcp_f32_e32 v122, v101
	s_delay_alu instid0(VALU_DEP_1) | instskip(SKIP_2) | instid1(VALU_DEP_3)
	v_dual_fmac_f32 v95, v100, v95 :: v_dual_mul_f32 v100, v99, v94
	v_div_scale_f32 v5, null, v13, v13, v8
	v_div_scale_f32 v4, vcc_lo, v8, v13, v8
	v_fma_f32 v121, -v15, v100, v99
	s_delay_alu instid0(VALU_DEP_3) | instskip(SKIP_2) | instid1(VALU_DEP_1)
	v_rcp_f32_e32 v17, v5
	s_waitcnt_depctr 0xfff
	v_fma_f32 v97, -v5, v17, 1.0
	v_fmac_f32_e32 v17, v97, v17
	v_div_scale_f32 v97, s29, v10, v14, v10
	s_delay_alu instid0(VALU_DEP_1) | instskip(NEXT) | instid1(VALU_DEP_1)
	v_dual_mul_f32 v98, v4, v17 :: v_dual_mul_f32 v115, v97, v95
	v_fma_f32 v118, -v5, v98, v4
	s_delay_alu instid0(VALU_DEP_2) | instskip(SKIP_1) | instid1(VALU_DEP_3)
	v_fma_f32 v123, -v16, v115, v97
	v_dual_fmac_f32 v100, v121, v94 :: v_dual_mul_f32 v121, 0xbfb8aa3b, v104
	v_fmac_f32_e32 v98, v118, v17
	v_lshrrev_b32_e32 v118, 16, v7
	s_delay_alu instid0(VALU_DEP_4) | instskip(NEXT) | instid1(VALU_DEP_3)
	v_fmac_f32_e32 v115, v123, v95
	v_fma_f32 v4, -v5, v98, v4
	v_fma_f32 v5, -v15, v100, v99
	v_fma_f32 v15, -v101, v122, 1.0
	v_cvt_f32_f16_e32 v99, v118
	v_rndne_f32_e32 v118, v121
	v_div_fmas_f32 v4, v4, v17, v98
	s_mov_b32 vcc_lo, s28
	v_fma_mix_f32 v17, v6, s85, -v121 op_sel:[1,0,0] op_sel_hi:[1,0,0]
	v_div_fmas_f32 v5, v5, v94, v100
	v_fmac_f32_e32 v122, v15, v122
	v_div_fixup_f32 v4, v4, v13, v8
	v_mul_f32_e32 v13, 0xbfb8aa3b, v99
	v_div_scale_f32 v8, s28, v11, v96, v11
	v_div_fixup_f32 v5, v5, v12, v9
	v_sub_f32_e32 v9, v121, v118
	v_fma_mix_f32 v12, v6, s86, v17 op_sel:[1,0,0] op_sel_hi:[1,0,0]
	v_fma_f32 v15, -v16, v115, v97
	v_mul_f32_e32 v16, v8, v122
	s_mov_b32 vcc_lo, s29
	v_rndne_f32_e32 v17, v13
	v_add_f32_e32 v9, v9, v12
	v_cvt_f32_f16_e32 v12, v7
	v_div_fmas_f32 v15, v15, v95, v115
	v_fma_mix_f32 v94, v7, s85, -v13 op_sel:[1,0,0] op_sel_hi:[1,0,0]
	v_fma_f32 v97, -v101, v16, v8
	v_sub_f32_e32 v13, v13, v17
	v_mul_f32_e32 v95, 0xbfb8aa3b, v12
	v_exp_f32_e32 v9, v9
	v_fma_mix_f32 v94, v7, s86, v94 op_sel:[1,0,0] op_sel_hi:[1,0,0]
	v_fmac_f32_e32 v16, v97, v122
	v_cvt_i32_f32_e32 v98, v118
	v_rndne_f32_e32 v100, v95
	v_fma_mix_f32 v115, v7, s85, -v95 op_sel_hi:[1,0,0]
	v_add_f32_e32 v13, v13, v94
	v_cmp_nlt_f32_e32 vcc_lo, 0x42ce8ed0, v104
	v_cvt_i32_f32_e32 v17, v17
	v_sub_f32_e32 v94, v95, v100
	v_fma_mix_f32 v7, v7, s86, v115 op_sel_hi:[1,0,0]
	v_cvt_f32_f16_e32 v95, v6
	v_ldexp_f32 v9, v9, v98
	v_fma_f32 v8, -v101, v16, v8
	v_div_fixup_f32 v10, v15, v14, v10
	v_add_f32_e32 v7, v94, v7
	v_mul_f32_e32 v94, 0xbfb8aa3b, v95
	s_delay_alu instid0(VALU_DEP_2) | instskip(NEXT) | instid1(VALU_DEP_1)
	v_exp_f32_e32 v7, v7
	v_rndne_f32_e32 v97, v94
	v_fma_mix_f32 v98, v6, s85, -v94 op_sel_hi:[1,0,0]
	s_delay_alu instid0(VALU_DEP_2) | instskip(SKIP_1) | instid1(VALU_DEP_2)
	v_sub_f32_e32 v94, v94, v97
	v_exp_f32_e32 v13, v13
	v_fma_mix_f32 v6, v6, s86, v98 op_sel_hi:[1,0,0]
	v_cndmask_b32_e32 v9, 0, v9, vcc_lo
	v_cmp_ngt_f32_e32 vcc_lo, 0xc2b17218, v104
	s_delay_alu instid0(VALU_DEP_3) | instskip(SKIP_1) | instid1(VALU_DEP_4)
	v_add_f32_e32 v6, v94, v6
	v_cvt_i32_f32_e32 v94, v97
	v_cndmask_b32_e32 v9, 0x7f800000, v9, vcc_lo
	v_cmp_nlt_f32_e32 vcc_lo, 0x42ce8ed0, v99
	s_delay_alu instid0(TRANS32_DEP_1) | instskip(SKIP_2) | instid1(VALU_DEP_2)
	v_ldexp_f32 v13, v13, v17
	v_cvt_i32_f32_e32 v17, v100
	v_exp_f32_e32 v6, v6
	v_cndmask_b32_e32 v13, 0, v13, vcc_lo
	v_cmp_ngt_f32_e32 vcc_lo, 0xc2b17218, v99
	s_delay_alu instid0(VALU_DEP_3) | instskip(NEXT) | instid1(VALU_DEP_3)
	v_ldexp_f32 v7, v7, v17
	v_cndmask_b32_e32 v13, 0x7f800000, v13, vcc_lo
	v_cmp_nlt_f32_e32 vcc_lo, 0x42ce8ed0, v12
	s_waitcnt_depctr 0xfff
	v_ldexp_f32 v6, v6, v94
	v_add_f32_e32 v13, 1.0, v13
	v_cndmask_b32_e32 v7, 0, v7, vcc_lo
	v_cmp_ngt_f32_e32 vcc_lo, 0xc2b17218, v12
	s_delay_alu instid0(VALU_DEP_3) | instskip(NEXT) | instid1(VALU_DEP_3)
	v_div_scale_f32 v100, null, v13, v13, v99
	v_cndmask_b32_e32 v7, 0x7f800000, v7, vcc_lo
	s_mov_b32 vcc_lo, s28
	v_cmp_nlt_f32_e64 s28, 0x42ce8ed0, v95
	v_div_fmas_f32 v8, v8, v122, v16
	v_rcp_f32_e32 v16, v100
	v_add_f32_e32 v94, 1.0, v7
	s_delay_alu instid0(VALU_DEP_3) | instskip(SKIP_2) | instid1(VALU_DEP_2)
	v_cndmask_b32_e64 v6, 0, v6, s28
	v_cmp_ngt_f32_e64 s28, 0xc2b17218, v95
	v_div_fixup_f32 v8, v8, v96, v11
	v_cndmask_b32_e64 v6, 0x7f800000, v6, s28
	s_waitcnt_depctr 0xfff
	v_fma_f32 v115, -v100, v16, 1.0
	s_delay_alu instid0(VALU_DEP_1) | instskip(SKIP_1) | instid1(VALU_DEP_1)
	v_dual_add_f32 v11, 1.0, v6 :: v_dual_fmac_f32 v16, v115, v16
	v_div_scale_f32 v115, s28, v99, v13, v99
	v_dual_add_f32 v9, 1.0, v9 :: v_dual_mul_f32 v14, v115, v16
	s_delay_alu instid0(VALU_DEP_1) | instskip(SKIP_1) | instid1(VALU_DEP_3)
	v_div_scale_f32 v98, null, v9, v9, v104
	v_div_scale_f32 v7, vcc_lo, v104, v9, v104
	v_fma_f32 v96, -v100, v14, v115
	s_delay_alu instid0(VALU_DEP_3) | instskip(NEXT) | instid1(VALU_DEP_1)
	v_rcp_f32_e32 v17, v98
	v_fmac_f32_e32 v14, v96, v16
	s_waitcnt_depctr 0xfff
	v_fma_f32 v97, -v98, v17, 1.0
	s_delay_alu instid0(VALU_DEP_1) | instskip(SKIP_1) | instid1(VALU_DEP_2)
	v_fmac_f32_e32 v17, v97, v17
	v_div_scale_f32 v97, null, v94, v94, v12
	v_mul_f32_e32 v101, v7, v17
	s_delay_alu instid0(VALU_DEP_2) | instskip(NEXT) | instid1(VALU_DEP_1)
	v_rcp_f32_e32 v118, v97
	v_fma_f32 v121, -v98, v101, v7
	s_delay_alu instid0(VALU_DEP_1) | instskip(SKIP_3) | instid1(VALU_DEP_2)
	v_fmac_f32_e32 v101, v121, v17
	s_waitcnt_depctr 0xfff
	v_fma_f32 v6, -v97, v118, 1.0
	v_fma_f32 v7, -v98, v101, v7
	v_fmac_f32_e32 v118, v6, v118
	v_div_scale_f32 v98, s29, v12, v94, v12
	v_fma_mixlo_f16 v6, v120, v8, 0
	s_delay_alu instid0(VALU_DEP_4) | instskip(SKIP_1) | instid1(VALU_DEP_4)
	v_div_fmas_f32 v17, v7, v17, v101
	v_fma_f32 v8, -v100, v14, v115
	v_mul_f32_e32 v96, v98, v118
	v_lshrrev_b32_e32 v101, 16, v0
	s_mov_b32 vcc_lo, s28
	v_fma_mixlo_f16 v7, v119, v10, 0
	v_div_fixup_f32 v10, v17, v9, v104
	v_fma_f32 v9, -v97, v96, v98
	v_div_fmas_f32 v8, v8, v16, v14
	v_cvt_f32_f16_e32 v14, v101
	v_lshrrev_b32_e32 v100, 16, v1
	s_mov_b32 vcc_lo, s29
	v_fmac_f32_e32 v96, v9, v118
	v_div_fixup_f32 v13, v8, v13, v99
	v_mul_f32_e32 v8, 0xbfb8aa3b, v14
	v_cvt_f32_f16_e32 v16, v100
	v_cvt_f32_f16_e32 v99, v1
	v_fma_mixhi_f16 v7, v114, v5, 0
	v_fma_mixhi_f16 v6, v113, v4, 0
	v_rndne_f32_e32 v100, v8
	v_fma_mix_f32 v101, v0, s85, -v8 op_sel:[1,0,0] op_sel_hi:[1,0,0]
	s_delay_alu instid0(VALU_DEP_2) | instskip(NEXT) | instid1(VALU_DEP_2)
	v_sub_f32_e32 v8, v8, v100
	v_fma_mix_f32 v101, v0, s86, v101 op_sel:[1,0,0] op_sel_hi:[1,0,0]
	v_cvt_i32_f32_e32 v100, v100
	s_delay_alu instid0(VALU_DEP_2) | instskip(SKIP_2) | instid1(VALU_DEP_3)
	v_add_f32_e32 v8, v8, v101
	v_div_scale_f32 v15, null, v11, v11, v95
	v_div_scale_f32 v9, s28, v95, v11, v95
	v_exp_f32_e32 v8, v8
	s_delay_alu instid0(VALU_DEP_2) | instskip(SKIP_3) | instid1(VALU_DEP_1)
	v_rcp_f32_e32 v121, v15
	s_waitcnt_depctr 0xfff
	v_ldexp_f32 v8, v8, v100
	v_fma_f32 v17, -v15, v121, 1.0
	v_fmac_f32_e32 v121, v17, v121
	v_fma_f32 v17, -v97, v96, v98
	v_mul_f32_e32 v97, 0xbfb8aa3b, v16
	s_delay_alu instid0(VALU_DEP_2) | instskip(NEXT) | instid1(VALU_DEP_2)
	v_div_fmas_f32 v17, v17, v118, v96
	v_rndne_f32_e32 v104, v97
	v_fma_mix_f32 v115, v1, s85, -v97 op_sel:[1,0,0] op_sel_hi:[1,0,0]
	v_cmp_nlt_f32_e32 vcc_lo, 0x42ce8ed0, v14
	s_delay_alu instid0(VALU_DEP_4) | instskip(NEXT) | instid1(VALU_DEP_4)
	v_div_fixup_f32 v12, v17, v94, v12
	v_sub_f32_e32 v97, v97, v104
	s_delay_alu instid0(VALU_DEP_4) | instskip(SKIP_3) | instid1(VALU_DEP_4)
	v_fma_mix_f32 v115, v1, s86, v115 op_sel:[1,0,0] op_sel_hi:[1,0,0]
	v_cndmask_b32_e32 v8, 0, v8, vcc_lo
	v_cvt_i32_f32_e32 v96, v104
	v_cmp_nlt_f32_e32 vcc_lo, 0x42ce8ed0, v16
	v_add_f32_e32 v97, v97, v115
	s_delay_alu instid0(VALU_DEP_1) | instskip(SKIP_2) | instid1(VALU_DEP_1)
	v_exp_f32_e32 v97, v97
	s_waitcnt_depctr 0xfff
	v_ldexp_f32 v96, v97, v96
	v_cndmask_b32_e32 v96, 0, v96, vcc_lo
	v_cmp_ngt_f32_e32 vcc_lo, 0xc2b17218, v14
	v_mul_f32_e32 v98, v9, v121
	v_cndmask_b32_e32 v8, 0x7f800000, v8, vcc_lo
	v_mul_f32_e32 v119, 0xbfb8aa3b, v99
	s_delay_alu instid0(VALU_DEP_3) | instskip(SKIP_1) | instid1(VALU_DEP_4)
	v_fma_f32 v101, -v15, v98, v9
	v_cmp_ngt_f32_e32 vcc_lo, 0xc2b17218, v16
	v_add_f32_e32 v100, 1.0, v8
	s_delay_alu instid0(VALU_DEP_4)
	v_rndne_f32_e32 v120, v119
	v_fma_mix_f32 v122, v1, s85, -v119 op_sel_hi:[1,0,0]
	v_fmac_f32_e32 v98, v101, v121
	v_cndmask_b32_e32 v96, 0x7f800000, v96, vcc_lo
	v_cmp_nlt_f32_e32 vcc_lo, 0x42ce8ed0, v99
	v_sub_f32_e32 v115, v119, v120
	v_fma_mix_f32 v1, v1, s86, v122 op_sel_hi:[1,0,0]
	v_fma_f32 v9, -v15, v98, v9
	v_cvt_f32_f16_e32 v15, v0
	v_cvt_i32_f32_e32 v97, v120
	s_delay_alu instid0(VALU_DEP_4) | instskip(SKIP_1) | instid1(VALU_DEP_4)
	v_dual_add_f32 v96, 1.0, v96 :: v_dual_add_f32 v1, v115, v1
	v_div_scale_f32 v101, null, v100, v100, v14
	v_cmp_nlt_f32_e64 s29, 0x42ce8ed0, v15
	v_cmp_ngt_f32_e64 s30, 0xc2b17218, v15
	s_delay_alu instid0(VALU_DEP_4) | instskip(NEXT) | instid1(VALU_DEP_3)
	v_exp_f32_e32 v1, v1
	v_rcp_f32_e32 v115, v101
	s_waitcnt_depctr 0xfff
	v_ldexp_f32 v1, v1, v97
	v_mul_f32_e32 v97, 0xbfb8aa3b, v15
	s_delay_alu instid0(VALU_DEP_1) | instskip(SKIP_1) | instid1(VALU_DEP_2)
	v_rndne_f32_e32 v8, v97
	v_fma_mix_f32 v104, v0, s85, -v97 op_sel_hi:[1,0,0]
	v_sub_f32_e32 v97, v97, v8
	s_delay_alu instid0(VALU_DEP_2) | instskip(SKIP_3) | instid1(VALU_DEP_4)
	v_fma_mix_f32 v0, v0, s86, v104 op_sel_hi:[1,0,0]
	v_cndmask_b32_e32 v1, 0, v1, vcc_lo
	v_cmp_ngt_f32_e32 vcc_lo, 0xc2b17218, v99
	v_div_scale_f32 v104, null, v96, v96, v16
	v_add_f32_e32 v0, v97, v0
	v_fma_f32 v97, -v101, v115, 1.0
	v_cndmask_b32_e32 v1, 0x7f800000, v1, vcc_lo
	s_mov_b32 vcc_lo, s28
	v_div_scale_f32 v17, s28, v16, v96, v16
	v_div_fmas_f32 v9, v9, v121, v98
	v_exp_f32_e32 v0, v0
	v_rcp_f32_e32 v98, v104
	v_fmac_f32_e32 v115, v97, v115
	v_div_scale_f32 v97, vcc_lo, v14, v100, v14
	v_div_fixup_f32 v9, v9, v11, v95
	v_cvt_i32_f32_e32 v11, v8
	s_delay_alu instid0(VALU_DEP_2)
	v_fma_mixlo_f16 v8, v117, v9, 0
	s_delay_alu instid0(TRANS32_DEP_2) | instid1(VALU_DEP_2)
	v_ldexp_f32 v0, v0, v11
	s_delay_alu instid0(TRANS32_DEP_1) | instskip(SKIP_1) | instid1(VALU_DEP_4)
	v_fma_f32 v119, -v104, v98, 1.0
	v_mul_f32_e32 v11, v97, v115
	v_fma_mixhi_f16 v8, v110, v10, 0
	s_delay_alu instid0(VALU_DEP_4) | instskip(NEXT) | instid1(VALU_DEP_4)
	v_cndmask_b32_e64 v0, 0, v0, s29
	v_fmac_f32_e32 v98, v119, v98
	s_delay_alu instid0(VALU_DEP_4) | instskip(NEXT) | instid1(VALU_DEP_3)
	v_fma_f32 v94, -v101, v11, v97
	v_cndmask_b32_e64 v0, 0x7f800000, v0, s30
	v_add_f32_e32 v1, 1.0, v1
	s_delay_alu instid0(VALU_DEP_4) | instskip(NEXT) | instid1(VALU_DEP_3)
	v_mul_f32_e32 v117, v17, v98
	v_dual_fmac_f32 v11, v94, v115 :: v_dual_add_f32 v0, 1.0, v0
	s_delay_alu instid0(VALU_DEP_3) | instskip(SKIP_1) | instid1(VALU_DEP_4)
	v_div_scale_f32 v118, null, v1, v1, v99
	v_div_scale_f32 v119, s29, v99, v1, v99
	v_fma_f32 v94, -v104, v117, v17
	s_delay_alu instid0(VALU_DEP_3) | instskip(NEXT) | instid1(VALU_DEP_1)
	v_rcp_f32_e32 v95, v118
	v_fmac_f32_e32 v117, v94, v98
	s_delay_alu instid0(VALU_DEP_1) | instskip(SKIP_3) | instid1(VALU_DEP_2)
	v_fma_f32 v17, -v104, v117, v17
	s_waitcnt_depctr 0xfff
	v_fma_f32 v9, -v118, v95, 1.0
	v_lshrrev_b32_e32 v104, 16, v3
	v_fmac_f32_e32 v95, v9, v95
	v_fma_mixlo_f16 v9, v116, v12, 0
	v_fma_f32 v12, -v101, v11, v97
	s_delay_alu instid0(VALU_DEP_4) | instskip(NEXT) | instid1(VALU_DEP_4)
	v_cvt_f32_f16_e32 v104, v104
	v_mul_f32_e32 v120, v119, v95
	s_delay_alu instid0(VALU_DEP_4) | instskip(NEXT) | instid1(VALU_DEP_4)
	v_fma_mixhi_f16 v9, v109, v13, 0
	v_div_fmas_f32 v11, v12, v115, v11
	v_lshrrev_b32_e32 v12, 16, v2
	s_mov_b32 vcc_lo, s28
	v_fma_f32 v94, -v118, v120, v119
	v_div_fmas_f32 v17, v17, v98, v117
	s_mov_b32 vcc_lo, s29
	v_cvt_f32_f16_e32 v12, v12
	v_cvt_f32_f16_e32 v117, v3
	v_fmac_f32_e32 v120, v94, v95
	v_div_scale_f32 v94, null, v0, v0, v15
	s_delay_alu instid0(VALU_DEP_4) | instskip(SKIP_1) | instid1(VALU_DEP_4)
	v_mul_f32_e32 v101, 0xbfb8aa3b, v12
	v_cmp_nlt_f32_e64 s28, 0x42ce8ed0, v12
	v_fma_f32 v98, -v118, v120, v119
	s_delay_alu instid0(VALU_DEP_4)
	v_rcp_f32_e32 v97, v94
	v_mul_f32_e32 v118, 0xbfb8aa3b, v104
	v_fma_mix_f32 v115, v2, s85, -v101 op_sel:[1,0,0] op_sel_hi:[1,0,0]
	v_cvt_f32_f16_e32 v119, v2
	v_div_fmas_f32 v95, v98, v95, v120
	v_rndne_f32_e32 v98, v101
	v_fma_mix_f32 v120, v3, s85, -v118 op_sel:[1,0,0] op_sel_hi:[1,0,0]
	v_fma_mix_f32 v115, v2, s86, v115 op_sel:[1,0,0] op_sel_hi:[1,0,0]
	v_div_scale_f32 v123, vcc_lo, v15, v0, v15
	s_delay_alu instid0(TRANS32_DEP_1)
	v_fma_f32 v116, -v94, v97, 1.0
	v_sub_f32_e32 v101, v101, v98
	v_fma_mix_f32 v120, v3, s86, v120 op_sel:[1,0,0] op_sel_hi:[1,0,0]
	v_cvt_i32_f32_e32 v98, v98
	v_div_fixup_f32 v1, v95, v1, v99
	v_fmac_f32_e32 v97, v116, v97
	v_dual_mul_f32 v116, 0xbfb8aa3b, v117 :: v_dual_add_f32 v101, v101, v115
	v_rndne_f32_e32 v115, v118
	v_div_fixup_f32 v11, v11, v100, v14
	v_div_fixup_f32 v14, v17, v96, v16
	s_delay_alu instid0(VALU_DEP_4)
	v_rndne_f32_e32 v121, v116
	v_fma_mix_f32 v122, v3, s85, -v116 op_sel_hi:[1,0,0]
	v_exp_f32_e32 v101, v101
	v_sub_f32_e32 v118, v118, v115
	v_cvt_i32_f32_e32 v115, v115
	v_sub_f32_e32 v116, v116, v121
	v_fma_mix_f32 v3, v3, s86, v122 op_sel_hi:[1,0,0]
	v_mul_f32_e32 v122, 0xbfb8aa3b, v119
	v_add_f32_e32 v118, v118, v120
	v_fma_mixlo_f16 v1, v108, v1, 0
	s_delay_alu instid0(VALU_DEP_4) | instskip(NEXT) | instid1(VALU_DEP_4)
	v_add_f32_e32 v3, v116, v3
	v_rndne_f32_e32 v116, v122
	v_fma_mix_f32 v120, v2, s85, -v122 op_sel_hi:[1,0,0]
	v_exp_f32_e32 v118, v118
	v_ldexp_f32 v98, v101, v98
	v_exp_f32_e32 v3, v3
	v_sub_f32_e32 v101, v122, v116
	v_fma_mix_f32 v2, v2, s86, v120 op_sel_hi:[1,0,0]
	v_cvt_i32_f32_e32 v120, v121
	v_cndmask_b32_e64 v98, 0, v98, s28
	v_cmp_ngt_f32_e64 s28, 0xc2b17218, v12
	v_fma_mixhi_f16 v1, v103, v14, 0
	v_add_f32_e32 v2, v101, v2
	v_ldexp_f32 v101, v118, v115
	v_cvt_i32_f32_e32 v115, v116
	v_cndmask_b32_e64 v98, 0x7f800000, v98, s28
	v_cmp_nlt_f32_e64 s28, 0x42ce8ed0, v104
	v_ldexp_f32 v3, v3, v120
	v_exp_f32_e32 v2, v2
	s_delay_alu instid0(VALU_DEP_3) | instskip(NEXT) | instid1(VALU_DEP_3)
	v_add_f32_e32 v98, 1.0, v98
	v_cndmask_b32_e64 v101, 0, v101, s28
	v_cmp_nlt_f32_e64 s28, 0x42ce8ed0, v117
	s_delay_alu instid0(VALU_DEP_1)
	v_cndmask_b32_e64 v3, 0, v3, s28
	v_cmp_ngt_f32_e64 s28, 0xc2b17218, v104
	s_waitcnt_depctr 0xfff
	v_ldexp_f32 v2, v2, v115
	v_div_scale_f32 v115, null, v98, v98, v12
	v_cndmask_b32_e64 v101, 0x7f800000, v101, s28
	v_cmp_ngt_f32_e64 s28, 0xc2b17218, v117
	s_delay_alu instid0(VALU_DEP_3) | instskip(NEXT) | instid1(VALU_DEP_2)
	v_rcp_f32_e32 v116, v115
	v_add_f32_e32 v101, 1.0, v101
	s_delay_alu instid0(VALU_DEP_2) | instskip(SKIP_1) | instid1(VALU_DEP_3)
	v_cndmask_b32_e64 v3, 0x7f800000, v3, s28
	v_cmp_nlt_f32_e64 s28, 0x42ce8ed0, v119
	v_div_scale_f32 v118, null, v101, v101, v104
	s_delay_alu instid0(VALU_DEP_2) | instskip(SKIP_1) | instid1(TRANS32_DEP_1)
	v_cndmask_b32_e64 v2, 0, v2, s28
	v_cmp_ngt_f32_e64 s28, 0xc2b17218, v119
	v_fma_f32 v124, -v115, v116, 1.0
	s_delay_alu instid0(VALU_DEP_4) | instskip(NEXT) | instid1(VALU_DEP_2)
	v_rcp_f32_e32 v122, v118
	v_cndmask_b32_e64 v2, 0x7f800000, v2, s28
	s_delay_alu instid0(VALU_DEP_2) | instskip(SKIP_1) | instid1(VALU_DEP_3)
	v_fmac_f32_e32 v116, v124, v116
	v_div_scale_f32 v124, s28, v12, v98, v12
	v_dual_add_f32 v2, 1.0, v2 :: v_dual_mul_f32 v121, v123, v97
	s_waitcnt_depctr 0xfff
	v_fma_f32 v128, -v118, v122, 1.0
	v_mul_f32_e32 v130, v124, v116
	v_div_scale_f32 v127, null, v2, v2, v119
	v_fma_f32 v126, -v94, v121, v123
	s_delay_alu instid0(VALU_DEP_4) | instskip(SKIP_1) | instid1(VALU_DEP_4)
	v_fmac_f32_e32 v122, v128, v122
	v_div_scale_f32 v128, s29, v104, v101, v104
	v_rcp_f32_e32 v129, v127
	s_delay_alu instid0(VALU_DEP_1) | instskip(NEXT) | instid1(VALU_DEP_1)
	v_dual_fmac_f32 v121, v126, v97 :: v_dual_mul_f32 v132, v128, v122
	v_fma_f32 v94, -v94, v121, v123
	v_fma_f32 v123, -v115, v130, v124
	s_waitcnt_depctr 0xfff
	v_fma_f32 v131, -v127, v129, 1.0
	v_div_fmas_f32 v94, v94, v97, v121
	v_fma_f32 v97, -v118, v132, v128
	v_dual_add_f32 v3, 1.0, v3 :: v_dual_fmac_f32 v130, v123, v116
	s_delay_alu instid0(VALU_DEP_4) | instskip(SKIP_1) | instid1(VALU_DEP_4)
	v_fmac_f32_e32 v129, v131, v129
	v_div_scale_f32 v131, s31, v119, v2, v119
	v_fmac_f32_e32 v132, v97, v122
	s_delay_alu instid0(VALU_DEP_4) | instskip(NEXT) | instid1(VALU_DEP_3)
	v_div_scale_f32 v120, null, v3, v3, v117
	v_mul_f32_e32 v123, v131, v129
	v_div_fixup_f32 v0, v94, v0, v15
	v_fma_f32 v15, -v115, v130, v124
	s_delay_alu instid0(VALU_DEP_4)
	v_rcp_f32_e32 v125, v120
	v_fma_f32 v97, -v118, v132, v128
	v_fma_f32 v94, -v127, v123, v131
	s_mov_b32 vcc_lo, s28
	v_fma_mixlo_f16 v0, v111, v0, 0
	v_div_fmas_f32 v15, v15, v116, v130
	s_mov_b32 vcc_lo, s29
	v_fmac_f32_e32 v123, v94, v129
	v_div_fmas_f32 v97, v97, v122, v132
	v_fma_mixhi_f16 v0, v105, v11, 0
	v_fma_f32 v126, -v120, v125, 1.0
	v_div_fixup_f32 v12, v15, v98, v12
	v_fma_f32 v115, -v127, v123, v131
	v_div_fixup_f32 v15, v97, v101, v104
	s_delay_alu instid0(VALU_DEP_4) | instskip(SKIP_1) | instid1(VALU_DEP_1)
	v_fmac_f32_e32 v125, v126, v125
	v_div_scale_f32 v126, s30, v117, v3, v117
	s_mov_b32 vcc_lo, s30
	s_delay_alu instid0(VALU_DEP_1) | instskip(NEXT) | instid1(VALU_DEP_1)
	v_mul_f32_e32 v133, v126, v125
	v_fma_f32 v121, -v120, v133, v126
	s_delay_alu instid0(VALU_DEP_1) | instskip(NEXT) | instid1(VALU_DEP_1)
	v_fmac_f32_e32 v133, v121, v125
	v_fma_f32 v94, -v120, v133, v126
	s_delay_alu instid0(VALU_DEP_1) | instskip(SKIP_2) | instid1(VALU_DEP_2)
	v_div_fmas_f32 v94, v94, v125, v133
	s_mov_b32 vcc_lo, s31
	v_div_fmas_f32 v115, v115, v129, v123
	v_div_fixup_f32 v3, v94, v3, v117
	s_delay_alu instid0(VALU_DEP_2) | instskip(NEXT) | instid1(VALU_DEP_2)
	v_div_fixup_f32 v2, v115, v2, v119
	v_fma_mixlo_f16 v3, v106, v3, 0
	s_delay_alu instid0(VALU_DEP_2) | instskip(NEXT) | instid1(VALU_DEP_2)
	v_fma_mixlo_f16 v2, v107, v2, 0
	v_fma_mixhi_f16 v3, v112, v15, 0
	s_delay_alu instid0(VALU_DEP_2)
	v_fma_mixhi_f16 v2, v102, v12, 0
	ds_store_b128 v52, v[6:9]
	ds_store_b128 v52, v[0:3] offset:16
	; wave barrier
	ds_load_u16 v16, v37 offset:64
	ds_load_u16 v15, v38 offset:128
	;; [unrolled: 1-line block ×15, first 2 shown]
	v_add_co_u32 v0, vcc_lo, v76, s34
	v_add_co_ci_u32_e32 v1, vcc_lo, s35, v77, vcc_lo
	s_and_saveexec_b32 s28, s12
	s_cbranch_execnz .LBB84_284
; %bb.252:                              ;   in Loop: Header=BB84_12 Depth=1
	s_or_b32 exec_lo, exec_lo, s28
	s_and_saveexec_b32 s12, s13
	s_cbranch_execnz .LBB84_285
.LBB84_253:                             ;   in Loop: Header=BB84_12 Depth=1
	s_or_b32 exec_lo, exec_lo, s12
	s_and_saveexec_b32 s12, s14
	s_cbranch_execnz .LBB84_286
.LBB84_254:                             ;   in Loop: Header=BB84_12 Depth=1
	s_or_b32 exec_lo, exec_lo, s12
	s_and_saveexec_b32 s12, s15
	s_cbranch_execnz .LBB84_287
.LBB84_255:                             ;   in Loop: Header=BB84_12 Depth=1
	s_or_b32 exec_lo, exec_lo, s12
	s_and_saveexec_b32 s12, s16
	s_cbranch_execnz .LBB84_288
.LBB84_256:                             ;   in Loop: Header=BB84_12 Depth=1
	s_or_b32 exec_lo, exec_lo, s12
	s_and_saveexec_b32 s12, s17
	s_cbranch_execnz .LBB84_289
.LBB84_257:                             ;   in Loop: Header=BB84_12 Depth=1
	s_or_b32 exec_lo, exec_lo, s12
	s_and_saveexec_b32 s12, s18
	s_cbranch_execnz .LBB84_290
.LBB84_258:                             ;   in Loop: Header=BB84_12 Depth=1
	s_or_b32 exec_lo, exec_lo, s12
	s_and_saveexec_b32 s12, s19
	s_cbranch_execnz .LBB84_291
.LBB84_259:                             ;   in Loop: Header=BB84_12 Depth=1
	s_or_b32 exec_lo, exec_lo, s12
	s_and_saveexec_b32 s12, s20
	s_cbranch_execnz .LBB84_292
.LBB84_260:                             ;   in Loop: Header=BB84_12 Depth=1
	s_or_b32 exec_lo, exec_lo, s12
	s_and_saveexec_b32 s12, s21
	s_cbranch_execnz .LBB84_293
.LBB84_261:                             ;   in Loop: Header=BB84_12 Depth=1
	s_or_b32 exec_lo, exec_lo, s12
	s_and_saveexec_b32 s12, s22
	s_cbranch_execnz .LBB84_294
.LBB84_262:                             ;   in Loop: Header=BB84_12 Depth=1
	s_or_b32 exec_lo, exec_lo, s12
	s_and_saveexec_b32 s12, s23
	s_cbranch_execnz .LBB84_295
.LBB84_263:                             ;   in Loop: Header=BB84_12 Depth=1
	s_or_b32 exec_lo, exec_lo, s12
	s_and_saveexec_b32 s12, s24
	s_cbranch_execnz .LBB84_296
.LBB84_264:                             ;   in Loop: Header=BB84_12 Depth=1
	s_or_b32 exec_lo, exec_lo, s12
	s_and_saveexec_b32 s12, s25
	s_cbranch_execnz .LBB84_297
.LBB84_265:                             ;   in Loop: Header=BB84_12 Depth=1
	s_or_b32 exec_lo, exec_lo, s12
	s_and_saveexec_b32 s12, s26
	s_cbranch_execnz .LBB84_298
.LBB84_266:                             ;   in Loop: Header=BB84_12 Depth=1
	s_or_b32 exec_lo, exec_lo, s12
	s_and_saveexec_b32 s12, s27
	s_cbranch_execz .LBB84_11
	s_branch .LBB84_299
.LBB84_267:                             ;   in Loop: Header=BB84_12 Depth=1
	global_load_u16 v101, v[8:9], off offset:832
	s_or_b32 exec_lo, exec_lo, s28
	s_and_saveexec_b32 s28, s26
	s_cbranch_execz .LBB84_72
.LBB84_268:                             ;   in Loop: Header=BB84_12 Depth=1
	global_load_u16 v100, v[8:9], off offset:896
	s_or_b32 exec_lo, exec_lo, s28
	v_mov_b32_e32 v102, 0
	s_and_saveexec_b32 s28, s27
	s_cbranch_execnz .LBB84_73
	s_branch .LBB84_74
.LBB84_269:                             ;   in Loop: Header=BB84_12 Depth=1
	ds_load_u16 v17, v37
	s_waitcnt lgkmcnt(0)
	global_store_b16 v[0:1], v17, off
	s_or_b32 exec_lo, exec_lo, s28
	s_and_saveexec_b32 s28, s13
	s_cbranch_execz .LBB84_204
.LBB84_270:                             ;   in Loop: Header=BB84_12 Depth=1
	s_waitcnt lgkmcnt(14)
	global_store_b16 v[0:1], v16, off offset:64
	s_or_b32 exec_lo, exec_lo, s28
	s_and_saveexec_b32 s28, s14
	s_cbranch_execz .LBB84_205
.LBB84_271:                             ;   in Loop: Header=BB84_12 Depth=1
	s_waitcnt lgkmcnt(13)
	global_store_b16 v[0:1], v15, off offset:128
	s_or_b32 exec_lo, exec_lo, s28
	s_and_saveexec_b32 s28, s15
	s_cbranch_execz .LBB84_206
.LBB84_272:                             ;   in Loop: Header=BB84_12 Depth=1
	s_waitcnt lgkmcnt(12)
	global_store_b16 v[0:1], v14, off offset:192
	s_or_b32 exec_lo, exec_lo, s28
	s_and_saveexec_b32 s28, s16
	s_cbranch_execz .LBB84_207
.LBB84_273:                             ;   in Loop: Header=BB84_12 Depth=1
	s_waitcnt lgkmcnt(11)
	global_store_b16 v[0:1], v13, off offset:256
	s_or_b32 exec_lo, exec_lo, s28
	s_and_saveexec_b32 s28, s17
	s_cbranch_execz .LBB84_208
.LBB84_274:                             ;   in Loop: Header=BB84_12 Depth=1
	s_waitcnt lgkmcnt(10)
	global_store_b16 v[0:1], v12, off offset:320
	s_or_b32 exec_lo, exec_lo, s28
	s_and_saveexec_b32 s28, s18
	s_cbranch_execz .LBB84_209
.LBB84_275:                             ;   in Loop: Header=BB84_12 Depth=1
	s_waitcnt lgkmcnt(9)
	global_store_b16 v[0:1], v11, off offset:384
	s_or_b32 exec_lo, exec_lo, s28
	s_and_saveexec_b32 s28, s19
	s_cbranch_execz .LBB84_210
.LBB84_276:                             ;   in Loop: Header=BB84_12 Depth=1
	s_waitcnt lgkmcnt(8)
	global_store_b16 v[0:1], v10, off offset:448
	s_or_b32 exec_lo, exec_lo, s28
	s_and_saveexec_b32 s28, s20
	s_cbranch_execz .LBB84_211
.LBB84_277:                             ;   in Loop: Header=BB84_12 Depth=1
	s_waitcnt lgkmcnt(7)
	global_store_b16 v[0:1], v9, off offset:512
	s_or_b32 exec_lo, exec_lo, s28
	s_and_saveexec_b32 s28, s21
	s_cbranch_execz .LBB84_212
.LBB84_278:                             ;   in Loop: Header=BB84_12 Depth=1
	s_waitcnt lgkmcnt(6)
	global_store_b16 v[0:1], v8, off offset:576
	s_or_b32 exec_lo, exec_lo, s28
	s_and_saveexec_b32 s28, s22
	s_cbranch_execz .LBB84_213
.LBB84_279:                             ;   in Loop: Header=BB84_12 Depth=1
	s_waitcnt lgkmcnt(5)
	global_store_b16 v[0:1], v7, off offset:640
	s_or_b32 exec_lo, exec_lo, s28
	s_and_saveexec_b32 s28, s23
	s_cbranch_execz .LBB84_214
.LBB84_280:                             ;   in Loop: Header=BB84_12 Depth=1
	s_waitcnt lgkmcnt(4)
	global_store_b16 v[0:1], v6, off offset:704
	s_or_b32 exec_lo, exec_lo, s28
	s_and_saveexec_b32 s28, s24
	s_cbranch_execz .LBB84_215
.LBB84_281:                             ;   in Loop: Header=BB84_12 Depth=1
	s_waitcnt lgkmcnt(3)
	global_store_b16 v[0:1], v5, off offset:768
	s_or_b32 exec_lo, exec_lo, s28
	s_and_saveexec_b32 s28, s25
	s_cbranch_execz .LBB84_216
.LBB84_282:                             ;   in Loop: Header=BB84_12 Depth=1
	s_waitcnt lgkmcnt(2)
	global_store_b16 v[0:1], v4, off offset:832
	s_or_b32 exec_lo, exec_lo, s28
	s_and_saveexec_b32 s28, s26
	s_cbranch_execz .LBB84_217
.LBB84_283:                             ;   in Loop: Header=BB84_12 Depth=1
	s_waitcnt lgkmcnt(1)
	global_store_b16 v[0:1], v3, off offset:896
	s_or_b32 exec_lo, exec_lo, s28
	s_and_saveexec_b32 s28, s27
	s_cbranch_execnz .LBB84_218
	s_branch .LBB84_219
.LBB84_284:                             ;   in Loop: Header=BB84_12 Depth=1
	ds_load_u16 v17, v37
	s_waitcnt lgkmcnt(0)
	global_store_b16 v[0:1], v17, off
	s_or_b32 exec_lo, exec_lo, s28
	s_and_saveexec_b32 s12, s13
	s_cbranch_execz .LBB84_253
.LBB84_285:                             ;   in Loop: Header=BB84_12 Depth=1
	s_waitcnt lgkmcnt(14)
	global_store_b16 v[0:1], v16, off offset:64
	s_or_b32 exec_lo, exec_lo, s12
	s_and_saveexec_b32 s12, s14
	s_cbranch_execz .LBB84_254
.LBB84_286:                             ;   in Loop: Header=BB84_12 Depth=1
	s_waitcnt lgkmcnt(13)
	global_store_b16 v[0:1], v15, off offset:128
	s_or_b32 exec_lo, exec_lo, s12
	s_and_saveexec_b32 s12, s15
	s_cbranch_execz .LBB84_255
.LBB84_287:                             ;   in Loop: Header=BB84_12 Depth=1
	s_waitcnt lgkmcnt(12)
	global_store_b16 v[0:1], v14, off offset:192
	s_or_b32 exec_lo, exec_lo, s12
	s_and_saveexec_b32 s12, s16
	s_cbranch_execz .LBB84_256
.LBB84_288:                             ;   in Loop: Header=BB84_12 Depth=1
	s_waitcnt lgkmcnt(11)
	global_store_b16 v[0:1], v13, off offset:256
	s_or_b32 exec_lo, exec_lo, s12
	s_and_saveexec_b32 s12, s17
	s_cbranch_execz .LBB84_257
.LBB84_289:                             ;   in Loop: Header=BB84_12 Depth=1
	s_waitcnt lgkmcnt(10)
	global_store_b16 v[0:1], v12, off offset:320
	s_or_b32 exec_lo, exec_lo, s12
	s_and_saveexec_b32 s12, s18
	s_cbranch_execz .LBB84_258
.LBB84_290:                             ;   in Loop: Header=BB84_12 Depth=1
	s_waitcnt lgkmcnt(9)
	global_store_b16 v[0:1], v11, off offset:384
	s_or_b32 exec_lo, exec_lo, s12
	s_and_saveexec_b32 s12, s19
	s_cbranch_execz .LBB84_259
.LBB84_291:                             ;   in Loop: Header=BB84_12 Depth=1
	s_waitcnt lgkmcnt(8)
	global_store_b16 v[0:1], v10, off offset:448
	s_or_b32 exec_lo, exec_lo, s12
	s_and_saveexec_b32 s12, s20
	s_cbranch_execz .LBB84_260
.LBB84_292:                             ;   in Loop: Header=BB84_12 Depth=1
	s_waitcnt lgkmcnt(7)
	global_store_b16 v[0:1], v9, off offset:512
	s_or_b32 exec_lo, exec_lo, s12
	s_and_saveexec_b32 s12, s21
	s_cbranch_execz .LBB84_261
.LBB84_293:                             ;   in Loop: Header=BB84_12 Depth=1
	s_waitcnt lgkmcnt(6)
	global_store_b16 v[0:1], v8, off offset:576
	s_or_b32 exec_lo, exec_lo, s12
	s_and_saveexec_b32 s12, s22
	s_cbranch_execz .LBB84_262
.LBB84_294:                             ;   in Loop: Header=BB84_12 Depth=1
	s_waitcnt lgkmcnt(5)
	global_store_b16 v[0:1], v7, off offset:640
	s_or_b32 exec_lo, exec_lo, s12
	s_and_saveexec_b32 s12, s23
	s_cbranch_execz .LBB84_263
.LBB84_295:                             ;   in Loop: Header=BB84_12 Depth=1
	s_waitcnt lgkmcnt(4)
	global_store_b16 v[0:1], v6, off offset:704
	s_or_b32 exec_lo, exec_lo, s12
	s_and_saveexec_b32 s12, s24
	s_cbranch_execz .LBB84_264
.LBB84_296:                             ;   in Loop: Header=BB84_12 Depth=1
	s_waitcnt lgkmcnt(3)
	global_store_b16 v[0:1], v5, off offset:768
	s_or_b32 exec_lo, exec_lo, s12
	s_and_saveexec_b32 s12, s25
	s_cbranch_execz .LBB84_265
.LBB84_297:                             ;   in Loop: Header=BB84_12 Depth=1
	s_waitcnt lgkmcnt(2)
	global_store_b16 v[0:1], v4, off offset:832
	s_or_b32 exec_lo, exec_lo, s12
	s_and_saveexec_b32 s12, s26
	s_cbranch_execz .LBB84_266
.LBB84_298:                             ;   in Loop: Header=BB84_12 Depth=1
	s_waitcnt lgkmcnt(1)
	global_store_b16 v[0:1], v3, off offset:896
	s_or_b32 exec_lo, exec_lo, s12
	s_and_saveexec_b32 s12, s27
	s_cbranch_execz .LBB84_11
.LBB84_299:                             ;   in Loop: Header=BB84_12 Depth=1
	s_waitcnt lgkmcnt(0)
	global_store_b16 v[0:1], v2, off offset:960
	s_branch .LBB84_11
.LBB84_300:
	s_nop 0
	s_sendmsg sendmsg(MSG_DEALLOC_VGPRS)
	s_endpgm
	.section	.rodata,"a",@progbits
	.p2align	6, 0x0
	.amdhsa_kernel _Z25selective_scan_fwd_kernelI32Selective_Scan_fwd_kernel_traitsILi64ELi16ELi1ELb0ELb1ELb1ELb1ELb1EN3c104HalfEfS2_EEv13SSMParamsBase
		.amdhsa_group_segment_fixed_size 0
		.amdhsa_private_segment_fixed_size 0
		.amdhsa_kernarg_size 248
		.amdhsa_user_sgpr_count 14
		.amdhsa_user_sgpr_dispatch_ptr 0
		.amdhsa_user_sgpr_queue_ptr 0
		.amdhsa_user_sgpr_kernarg_segment_ptr 1
		.amdhsa_user_sgpr_dispatch_id 0
		.amdhsa_user_sgpr_private_segment_size 0
		.amdhsa_wavefront_size32 1
		.amdhsa_uses_dynamic_stack 0
		.amdhsa_enable_private_segment 0
		.amdhsa_system_sgpr_workgroup_id_x 1
		.amdhsa_system_sgpr_workgroup_id_y 1
		.amdhsa_system_sgpr_workgroup_id_z 0
		.amdhsa_system_sgpr_workgroup_info 0
		.amdhsa_system_vgpr_workitem_id 0
		.amdhsa_next_free_vgpr 176
		.amdhsa_next_free_sgpr 94
		.amdhsa_reserve_vcc 1
		.amdhsa_float_round_mode_32 0
		.amdhsa_float_round_mode_16_64 0
		.amdhsa_float_denorm_mode_32 3
		.amdhsa_float_denorm_mode_16_64 3
		.amdhsa_dx10_clamp 1
		.amdhsa_ieee_mode 1
		.amdhsa_fp16_overflow 0
		.amdhsa_workgroup_processor_mode 1
		.amdhsa_memory_ordered 1
		.amdhsa_forward_progress 0
		.amdhsa_shared_vgpr_count 0
		.amdhsa_exception_fp_ieee_invalid_op 0
		.amdhsa_exception_fp_denorm_src 0
		.amdhsa_exception_fp_ieee_div_zero 0
		.amdhsa_exception_fp_ieee_overflow 0
		.amdhsa_exception_fp_ieee_underflow 0
		.amdhsa_exception_fp_ieee_inexact 0
		.amdhsa_exception_int_div_zero 0
	.end_amdhsa_kernel
	.section	.text._Z25selective_scan_fwd_kernelI32Selective_Scan_fwd_kernel_traitsILi64ELi16ELi1ELb0ELb1ELb1ELb1ELb1EN3c104HalfEfS2_EEv13SSMParamsBase,"axG",@progbits,_Z25selective_scan_fwd_kernelI32Selective_Scan_fwd_kernel_traitsILi64ELi16ELi1ELb0ELb1ELb1ELb1ELb1EN3c104HalfEfS2_EEv13SSMParamsBase,comdat
.Lfunc_end84:
	.size	_Z25selective_scan_fwd_kernelI32Selective_Scan_fwd_kernel_traitsILi64ELi16ELi1ELb0ELb1ELb1ELb1ELb1EN3c104HalfEfS2_EEv13SSMParamsBase, .Lfunc_end84-_Z25selective_scan_fwd_kernelI32Selective_Scan_fwd_kernel_traitsILi64ELi16ELi1ELb0ELb1ELb1ELb1ELb1EN3c104HalfEfS2_EEv13SSMParamsBase
                                        ; -- End function
	.section	.AMDGPU.csdata,"",@progbits
; Kernel info:
; codeLenInByte = 26072
; NumSgprs: 96
; NumVgprs: 176
; ScratchSize: 0
; MemoryBound: 0
; FloatMode: 240
; IeeeMode: 1
; LDSByteSize: 0 bytes/workgroup (compile time only)
; SGPRBlocks: 11
; VGPRBlocks: 21
; NumSGPRsForWavesPerEU: 96
; NumVGPRsForWavesPerEU: 176
; Occupancy: 8
; WaveLimiterHint : 1
; COMPUTE_PGM_RSRC2:SCRATCH_EN: 0
; COMPUTE_PGM_RSRC2:USER_SGPR: 14
; COMPUTE_PGM_RSRC2:TRAP_HANDLER: 0
; COMPUTE_PGM_RSRC2:TGID_X_EN: 1
; COMPUTE_PGM_RSRC2:TGID_Y_EN: 1
; COMPUTE_PGM_RSRC2:TGID_Z_EN: 0
; COMPUTE_PGM_RSRC2:TIDIG_COMP_CNT: 0
	.section	.text._Z25selective_scan_fwd_kernelI32Selective_Scan_fwd_kernel_traitsILi64ELi16ELi1ELb0ELb1ELb1ELb1ELb0EN3c104HalfEfS2_EEv13SSMParamsBase,"axG",@progbits,_Z25selective_scan_fwd_kernelI32Selective_Scan_fwd_kernel_traitsILi64ELi16ELi1ELb0ELb1ELb1ELb1ELb0EN3c104HalfEfS2_EEv13SSMParamsBase,comdat
	.protected	_Z25selective_scan_fwd_kernelI32Selective_Scan_fwd_kernel_traitsILi64ELi16ELi1ELb0ELb1ELb1ELb1ELb0EN3c104HalfEfS2_EEv13SSMParamsBase ; -- Begin function _Z25selective_scan_fwd_kernelI32Selective_Scan_fwd_kernel_traitsILi64ELi16ELi1ELb0ELb1ELb1ELb1ELb0EN3c104HalfEfS2_EEv13SSMParamsBase
	.globl	_Z25selective_scan_fwd_kernelI32Selective_Scan_fwd_kernel_traitsILi64ELi16ELi1ELb0ELb1ELb1ELb1ELb0EN3c104HalfEfS2_EEv13SSMParamsBase
	.p2align	8
	.type	_Z25selective_scan_fwd_kernelI32Selective_Scan_fwd_kernel_traitsILi64ELi16ELi1ELb0ELb1ELb1ELb1ELb0EN3c104HalfEfS2_EEv13SSMParamsBase,@function
_Z25selective_scan_fwd_kernelI32Selective_Scan_fwd_kernel_traitsILi64ELi16ELi1ELb0ELb1ELb1ELb1ELb0EN3c104HalfEfS2_EEv13SSMParamsBase: ; @_Z25selective_scan_fwd_kernelI32Selective_Scan_fwd_kernel_traitsILi64ELi16ELi1ELb0ELb1ELb1ELb1ELb0EN3c104HalfEfS2_EEv13SSMParamsBase
; %bb.0:
	s_clause 0x1
	s_load_b32 s9, s[0:1], 0x18
	s_load_b128 s[4:7], s[0:1], 0xe8
	s_mov_b32 s12, s15
	s_mov_b32 s47, 0
	s_waitcnt lgkmcnt(0)
	s_abs_i32 s8, s9
	s_cmp_eq_u64 s[6:7], 0
	v_cvt_f32_u32_e32 v1, s8
	s_delay_alu instid0(VALU_DEP_1) | instskip(SKIP_2) | instid1(VALU_DEP_1)
	v_rcp_iflag_f32_e32 v1, v1
	s_waitcnt_depctr 0xfff
	v_mul_f32_e32 v1, 0x4f7ffffe, v1
	v_cvt_u32_f32_e32 v1, v1
	s_delay_alu instid0(VALU_DEP_1)
	v_readfirstlane_b32 s10, v1
	s_cbranch_scc1 .LBB85_2
; %bb.1:
	v_mov_b32_e32 v1, 0
	s_ashr_i32 s3, s14, 31
	s_add_u32 s2, s6, s14
	s_addc_u32 s3, s7, s3
	global_load_u8 v1, v1, s[2:3]
	s_waitcnt vmcnt(0)
	v_and_b32_e32 v1, 1, v1
	s_delay_alu instid0(VALU_DEP_1)
	v_cmp_eq_u32_e64 s47, 1, v1
.LBB85_2:
	s_load_b64 s[6:7], s[0:1], 0x20
	s_cmp_eq_u64 s[4:5], 0
	s_cbranch_scc1 .LBB85_4
; %bb.3:
	s_ashr_i32 s15, s14, 31
	s_delay_alu instid0(SALU_CYCLE_1) | instskip(NEXT) | instid1(SALU_CYCLE_1)
	s_lshl_b64 s[2:3], s[14:15], 2
	s_add_u32 s2, s4, s2
	s_addc_u32 s3, s5, s3
	s_load_b32 s2, s[2:3], 0x0
	s_waitcnt lgkmcnt(0)
	s_ashr_i32 s3, s2, 31
	s_delay_alu instid0(SALU_CYCLE_1)
	s_cmp_eq_u64 s[6:7], s[2:3]
	s_cbranch_scc0 .LBB85_5
	s_branch .LBB85_300
.LBB85_4:
	s_mov_b32 s2, s14
	s_delay_alu instid0(SALU_CYCLE_1)
	s_ashr_i32 s3, s2, 31
	s_waitcnt lgkmcnt(0)
	s_cmp_eq_u64 s[6:7], s[2:3]
	s_cbranch_scc1 .LBB85_300
.LBB85_5:
	s_clause 0x1
	s_load_b512 s[16:31], s[0:1], 0x88
	s_load_b64 s[64:65], s[0:1], 0x8
	s_mov_b32 s68, 0
	s_mov_b32 s69, 0
	s_waitcnt lgkmcnt(0)
	s_cmp_eq_u64 s[22:23], 0
	s_cbranch_scc1 .LBB85_7
; %bb.6:
	s_ashr_i32 s13, s12, 31
	s_delay_alu instid0(SALU_CYCLE_1) | instskip(NEXT) | instid1(SALU_CYCLE_1)
	s_lshl_b64 s[4:5], s[12:13], 2
	s_add_u32 s4, s22, s4
	s_addc_u32 s5, s23, s5
	s_load_b32 s69, s[4:5], 0x0
.LBB85_7:
	s_cmp_eq_u64 s[28:29], 0
	s_cbranch_scc1 .LBB85_9
; %bb.8:
	s_ashr_i32 s13, s12, 31
	s_delay_alu instid0(SALU_CYCLE_1) | instskip(NEXT) | instid1(SALU_CYCLE_1)
	s_lshl_b64 s[4:5], s[12:13], 2
	s_add_u32 s4, s28, s4
	s_addc_u32 s5, s29, s5
	s_load_b32 s68, s[4:5], 0x0
.LBB85_9:
	s_cmp_lt_i32 s64, 1
	s_cbranch_scc1 .LBB85_300
; %bb.10:
	s_sub_i32 s3, 0, s8
	s_load_b256 s[48:55], s[0:1], 0x4c
	s_mul_i32 s3, s3, s10
	s_abs_i32 s4, s12
	s_mul_hi_u32 s3, s10, s3
	s_ashr_i32 s6, s9, 31
	s_add_i32 s10, s10, s3
	s_ashr_i32 s3, s12, 31
	s_mul_hi_u32 s5, s4, s10
	s_xor_b32 s3, s3, s6
	s_mul_i32 s7, s5, s8
	s_add_i32 s6, s5, 1
	s_sub_i32 s4, s4, s7
	s_load_b256 s[56:63], s[0:1], 0x2c
	s_sub_i32 s7, s4, s8
	s_cmp_ge_u32 s4, s8
	s_mov_b32 s67, 0
	s_cselect_b32 s5, s6, s5
	s_cselect_b32 s4, s7, s4
	s_add_i32 s6, s5, 1
	s_cmp_ge_u32 s4, s8
	s_waitcnt lgkmcnt(0)
	s_mul_i32 s66, s50, s14
	s_cselect_b32 s6, s6, s5
	s_lshl_b64 s[4:5], s[66:67], 1
	s_xor_b32 s6, s6, s3
	s_mul_i32 s66, s51, s12
	s_sub_i32 s3, s6, s3
	s_add_u32 s6, s24, s4
	s_addc_u32 s7, s25, s5
	s_lshl_b64 s[4:5], s[66:67], 1
	s_mul_i32 s66, s52, s14
	s_add_u32 s63, s6, s4
	s_addc_u32 s70, s7, s5
	s_lshl_b64 s[4:5], s[66:67], 1
	s_mul_i32 s66, s53, s12
	;; [unrolled: 4-line block ×4, first 2 shown]
	s_load_b64 s[6:7], s[0:1], 0x7c
	s_add_u32 s72, s16, s4
	s_addc_u32 s73, s17, s5
	s_lshl_b64 s[4:5], s[66:67], 1
	v_dual_mov_b32 v21, 0 :: v_dual_lshlrev_b32 v18, 4, v0
	s_mul_i32 s66, s3, s61
	s_load_b128 s[24:27], s[0:1], 0xc8
	s_add_u32 s8, s18, s4
	s_addc_u32 s9, s19, s5
	s_lshl_b64 s[4:5], s[66:67], 1
	s_mul_i32 s66, s62, s14
	s_add_u32 s61, s8, s4
	v_mbcnt_lo_u32_b32 v19, -1, 0
	v_and_b32_e32 v1, 0x200, v18
	s_addc_u32 s62, s9, s5
	s_lshl_b64 s[4:5], s[66:67], 1
	s_load_b128 s[16:19], s[0:1], 0x6c
	s_add_u32 s8, s20, s4
	s_mul_i32 s66, s3, s49
	s_addc_u32 s3, s21, s5
	s_clause 0x2
	s_load_b32 s49, s[0:1], 0x84
	s_load_b64 s[20:21], s[0:1], 0xd8
	s_load_b32 s0, s[0:1], 0x28
	v_or_b32_e32 v20, v19, v1
	v_and_b32_e32 v14, 32, v0
	s_lshl_b64 s[4:5], s[66:67], 1
	s_waitcnt lgkmcnt(0)
	s_mul_i32 s66, s2, s6
	s_add_u32 s74, s8, s4
	v_or_b32_e32 v24, 0x60, v20
	s_addc_u32 s75, s3, s5
	s_lshl_b64 s[2:3], s[66:67], 1
	v_or_b32_e32 v26, 0xa0, v20
	v_or_b32_e32 v28, 0xe0, v20
	;; [unrolled: 1-line block ×5, first 2 shown]
	v_lshrrev_b32_e32 v2, 5, v24
	v_or_b32_e32 v36, 0x1e0, v20
	v_or_b32_e32 v16, v19, v14
	s_mul_i32 s66, s7, s12
	s_add_u32 s4, s24, s2
	s_addc_u32 s5, s25, s3
	s_lshl_b64 s[2:3], s[66:67], 1
	v_or_b32_e32 v23, 64, v20
	s_add_u32 s76, s4, s2
	v_or_b32_e32 v25, 0x80, v20
	v_or_b32_e32 v27, 0xc0, v20
	v_or_b32_e32 v29, 0x100, v20
	v_or_b32_e32 v31, 0x140, v20
	v_or_b32_e32 v33, 0x180, v20
	v_or_b32_e32 v35, 0x1c0, v20
	v_and_b32_e32 v2, 18, v2
	v_lshrrev_b32_e32 v5, 5, v26
	v_lshrrev_b32_e32 v8, 5, v28
	;; [unrolled: 1-line block ×6, first 2 shown]
	v_lshrrev_b16 v50, 1, v16
	s_addc_u32 s77, s5, s3
	s_add_i32 s2, s64, 0x7ff
	v_lshrrev_b32_e32 v3, 5, v1
	s_lshr_b32 s78, s2, 11
	s_bitcmp1_b32 s0, 0
	v_lshrrev_b32_e32 v4, 5, v23
	v_lshrrev_b32_e32 v6, 5, v25
	v_add_lshl_u32 v2, v2, v20, 1
	v_and_b32_e32 v5, 20, v5
	v_lshrrev_b32_e32 v7, 5, v27
	v_and_b32_e32 v8, 22, v8
	v_lshrrev_b32_e32 v10, 5, v29
	;; [unrolled: 2-line block ×5, first 2 shown]
	v_and_b32_e32 v51, 30, v49
	v_lshlrev_b32_e32 v16, 4, v16
	v_and_b32_e32 v52, 30, v50
	s_cselect_b32 s79, -1, 0
	s_cmp_gt_i32 s65, 0
	v_add_lshl_u32 v3, v3, v20, 1
	s_cselect_b32 s80, -1, 0
	s_add_i32 s0, 0, 0x840
	v_add_lshl_u32 v4, v4, v20, 1
	v_add_lshl_u32 v6, v6, v20, 1
	v_add_nc_u32_e32 v39, 0, v2
	v_add_lshl_u32 v5, v5, v20, 1
	v_add_lshl_u32 v7, v7, v20, 1
	;; [unrolled: 1-line block ×12, first 2 shown]
	v_add_nc_u32_e32 v55, s0, v2
	v_and_b32_e32 v2, 15, v19
	s_and_b32 s1, s64, 0x3ff
	v_add_nc_u32_e32 v51, 0, v67
	v_add_nc_u32_e32 v53, s0, v3
	;; [unrolled: 1-line block ×15, first 2 shown]
	s_cmp_eq_u32 s1, 0
	v_add_nc_u32_e32 v68, s0, v16
	v_cmp_ne_u32_e64 s0, 0, v2
	v_cmp_lt_u32_e64 s1, 1, v2
	v_cmp_lt_u32_e64 s2, 3, v2
	;; [unrolled: 1-line block ×3, first 2 shown]
	v_add_nc_u32_e32 v2, -1, v19
	v_add_nc_u32_e32 v37, 0, v3
	v_lshrrev_b32_e32 v3, 2, v0
	s_mul_i32 s66, s16, s14
	v_add_nc_u32_e32 v41, 0, v5
	s_cselect_b32 s81, -1, 0
	v_or_b32_e32 v5, 31, v14
	v_cmp_gt_i32_e32 vcc_lo, 0, v2
	s_lshl_b64 s[22:23], s[66:67], 1
	s_add_i32 s82, s78, -1
	s_mul_i32 s66, s17, s12
	v_and_b32_e32 v3, 8, v3
	v_cndmask_b32_e32 v2, v2, v19, vcc_lo
	s_add_u32 s13, s30, s22
	s_addc_u32 s15, s31, s23
	s_lshl_b64 s[16:17], s[66:67], 1
	s_mul_i32 s66, s54, s14
	v_cmp_eq_u32_e64 s5, v5, v0
	v_cmp_gt_u32_e64 s6, 2, v0
	v_lshl_add_u32 v70, v0, 3, 0
	v_cmp_gt_u32_e64 s8, 32, v0
	v_cmp_lt_u32_e64 s9, 31, v0
	v_cmp_eq_u32_e64 s10, 0, v0
	s_add_u32 s13, s13, s16
	v_lshlrev_b32_e32 v0, 1, v19
	s_addc_u32 s15, s15, s17
	s_lshl_b64 s[16:17], s[66:67], 1
	v_add_nc_u32_e32 v38, 0, v4
	v_and_b32_e32 v4, 16, v19
	v_add_nc_u32_e32 v69, 0, v3
	v_and_b32_e32 v3, 1, v19
	s_mul_i32 s66, s55, s12
	s_add_u32 s22, s26, s16
	s_addc_u32 s23, s27, s17
	s_lshl_b64 s[16:17], s[66:67], 1
	v_lshlrev_b32_e32 v71, 2, v2
	v_add_co_u32 v2, s13, s13, v0
	s_mul_i32 s66, s18, s14
	s_add_u32 s16, s22, s16
	v_cmp_ne_u32_e64 s4, 0, v4
	v_cmp_eq_u32_e64 s7, 0, v3
	v_add_co_ci_u32_e64 v3, null, s15, 0, s13
	s_addc_u32 s17, s23, s17
	s_lshl_b64 s[14:15], s[66:67], 1
	v_lshlrev_b32_e32 v4, 1, v1
	s_mul_i32 s66, s19, s12
	s_add_u32 s14, s20, s14
	s_addc_u32 s15, s21, s15
	s_lshl_b64 s[12:13], s[66:67], 1
	v_add_co_u32 v72, vcc_lo, v2, v4
	s_add_u32 s12, s14, s12
	v_add_co_u32 v2, s14, s16, v0
	v_add_co_ci_u32_e32 v73, vcc_lo, 0, v3, vcc_lo
	v_add_co_ci_u32_e64 v3, null, s17, 0, s14
	s_addc_u32 s13, s15, s13
	v_add_co_u32 v0, s12, s12, v0
	s_delay_alu instid0(VALU_DEP_1) | instskip(SKIP_2) | instid1(VALU_DEP_4)
	v_add_co_ci_u32_e64 v5, null, s13, 0, s12
	v_add_co_u32 v74, vcc_lo, v2, v4
	v_add_co_ci_u32_e32 v75, vcc_lo, 0, v3, vcc_lo
	v_add_co_u32 v76, vcc_lo, v0, v4
	v_or_b32_e32 v22, 32, v20
	v_add_nc_u32_e32 v40, 0, v6
	v_add_nc_u32_e32 v42, 0, v7
	;; [unrolled: 1-line block ×11, first 2 shown]
	v_cmp_eq_u32_e64 s11, 0, v19
	v_add_co_ci_u32_e32 v77, vcc_lo, 0, v5, vcc_lo
	v_or_b32_e32 v78, 1, v18
	v_or_b32_e32 v79, 2, v18
	;; [unrolled: 1-line block ×15, first 2 shown]
	v_lshlrev_b32_e32 v93, 1, v1
	s_mov_b32 s83, 0x3e9b6dac
	s_add_i32 s84, 0, 0x1090
	s_mov_b32 s85, 0xbfb8aa3b
	s_mov_b32 s86, 0xb2a5705f
	;; [unrolled: 1-line block ×3, first 2 shown]
	s_branch .LBB85_12
.LBB85_11:                              ;   in Loop: Header=BB85_12 Depth=1
	s_or_b32 exec_lo, exec_lo, s12
	s_add_u32 s71, s71, 0x800
	s_addc_u32 s56, s56, 0
	s_add_u32 s63, s63, 0x800
	s_addc_u32 s70, s70, 0
	;; [unrolled: 2-line block ×4, first 2 shown]
	s_add_i32 s87, s87, 1
	s_delay_alu instid0(SALU_CYCLE_1)
	s_cmp_lg_u32 s87, s78
	s_cbranch_scc0 .LBB85_300
.LBB85_12:                              ; =>This Loop Header: Depth=1
                                        ;     Child Loop BB85_109 Depth 2
	s_waitcnt lgkmcnt(14)
	v_lshlrev_b32_e32 v16, 1, v19
	s_lshl_b32 s50, s87, 10
	s_waitcnt lgkmcnt(0)
	v_mov_b32_e32 v2, 0
	s_sub_i32 s40, s64, s50
	v_add_co_u32 v0, s12, s63, v16
	s_delay_alu instid0(VALU_DEP_1) | instskip(SKIP_1) | instid1(VALU_DEP_3)
	v_add_co_ci_u32_e64 v1, null, s70, 0, s12
	v_cmp_gt_u32_e64 s12, s40, v20
	v_add_co_u32 v0, vcc_lo, v0, v93
	s_delay_alu instid0(VALU_DEP_3)
	v_add_co_ci_u32_e32 v1, vcc_lo, 0, v1, vcc_lo
	s_waitcnt_vscnt null, 0x0
	s_barrier
	buffer_gl0_inv
	s_and_saveexec_b32 s13, s12
	s_cbranch_execz .LBB85_14
; %bb.13:                               ;   in Loop: Header=BB85_12 Depth=1
	global_load_u16 v2, v[0:1], off
.LBB85_14:                              ;   in Loop: Header=BB85_12 Depth=1
	s_or_b32 exec_lo, exec_lo, s13
	v_cmp_gt_u32_e64 s13, s40, v22
	v_dual_mov_b32 v3, 0 :: v_dual_mov_b32 v4, 0
	s_delay_alu instid0(VALU_DEP_2)
	s_and_saveexec_b32 s14, s13
	s_cbranch_execz .LBB85_16
; %bb.15:                               ;   in Loop: Header=BB85_12 Depth=1
	global_load_u16 v4, v[0:1], off offset:64
.LBB85_16:                              ;   in Loop: Header=BB85_12 Depth=1
	s_or_b32 exec_lo, exec_lo, s14
	v_cmp_gt_u32_e64 s14, s40, v23
	s_delay_alu instid0(VALU_DEP_1)
	s_and_saveexec_b32 s15, s14
	s_cbranch_execz .LBB85_18
; %bb.17:                               ;   in Loop: Header=BB85_12 Depth=1
	global_load_u16 v3, v[0:1], off offset:128
.LBB85_18:                              ;   in Loop: Header=BB85_12 Depth=1
	s_or_b32 exec_lo, exec_lo, s15
	v_cmp_gt_u32_e64 s15, s40, v24
	v_dual_mov_b32 v5, 0 :: v_dual_mov_b32 v6, 0
	s_delay_alu instid0(VALU_DEP_2)
	s_and_saveexec_b32 s16, s15
	s_cbranch_execz .LBB85_20
; %bb.19:                               ;   in Loop: Header=BB85_12 Depth=1
	global_load_u16 v6, v[0:1], off offset:192
.LBB85_20:                              ;   in Loop: Header=BB85_12 Depth=1
	s_or_b32 exec_lo, exec_lo, s16
	v_cmp_gt_u32_e64 s16, s40, v25
	s_delay_alu instid0(VALU_DEP_1)
	s_and_saveexec_b32 s17, s16
	s_cbranch_execz .LBB85_22
; %bb.21:                               ;   in Loop: Header=BB85_12 Depth=1
	global_load_u16 v5, v[0:1], off offset:256
.LBB85_22:                              ;   in Loop: Header=BB85_12 Depth=1
	;; [unrolled: 17-line block ×3, first 2 shown]
	s_or_b32 exec_lo, exec_lo, s19
	v_cmp_gt_u32_e64 s19, s40, v28
	v_mov_b32_e32 v9, 0
	v_mov_b32_e32 v11, 0
	s_delay_alu instid0(VALU_DEP_3)
	s_and_saveexec_b32 s20, s19
	s_cbranch_execz .LBB85_28
; %bb.27:                               ;   in Loop: Header=BB85_12 Depth=1
	global_load_u16 v11, v[0:1], off offset:448
.LBB85_28:                              ;   in Loop: Header=BB85_12 Depth=1
	s_or_b32 exec_lo, exec_lo, s20
	v_cmp_gt_u32_e64 s20, s40, v29
	s_delay_alu instid0(VALU_DEP_1)
	s_and_saveexec_b32 s21, s20
	s_cbranch_execz .LBB85_30
; %bb.29:                               ;   in Loop: Header=BB85_12 Depth=1
	global_load_u16 v9, v[0:1], off offset:512
.LBB85_30:                              ;   in Loop: Header=BB85_12 Depth=1
	s_or_b32 exec_lo, exec_lo, s21
	v_cmp_gt_u32_e64 s21, s40, v30
	v_dual_mov_b32 v12, 0 :: v_dual_mov_b32 v13, 0
	s_delay_alu instid0(VALU_DEP_2)
	s_and_saveexec_b32 s22, s21
	s_cbranch_execz .LBB85_32
; %bb.31:                               ;   in Loop: Header=BB85_12 Depth=1
	global_load_u16 v13, v[0:1], off offset:576
.LBB85_32:                              ;   in Loop: Header=BB85_12 Depth=1
	s_or_b32 exec_lo, exec_lo, s22
	v_cmp_gt_u32_e64 s22, s40, v31
	s_delay_alu instid0(VALU_DEP_1)
	s_and_saveexec_b32 s23, s22
	s_cbranch_execz .LBB85_34
; %bb.33:                               ;   in Loop: Header=BB85_12 Depth=1
	global_load_u16 v12, v[0:1], off offset:640
.LBB85_34:                              ;   in Loop: Header=BB85_12 Depth=1
	s_or_b32 exec_lo, exec_lo, s23
	v_cmp_gt_u32_e64 s23, s40, v32
	v_dual_mov_b32 v14, 0 :: v_dual_mov_b32 v15, 0
	s_delay_alu instid0(VALU_DEP_2)
	;; [unrolled: 17-line block ×4, first 2 shown]
	s_and_saveexec_b32 s28, s27
	s_cbranch_execz .LBB85_44
; %bb.43:                               ;   in Loop: Header=BB85_12 Depth=1
	global_load_u16 v95, v[0:1], off offset:960
.LBB85_44:                              ;   in Loop: Header=BB85_12 Depth=1
	s_or_b32 exec_lo, exec_lo, s28
	s_waitcnt vmcnt(0)
	ds_store_b16 v37, v2
	ds_store_b16 v37, v4 offset:64
	ds_store_b16 v38, v3 offset:128
	;; [unrolled: 1-line block ×15, first 2 shown]
	; wave barrier
	ds_load_b128 v[0:3], v52
	ds_load_b128 v[4:7], v52 offset:16
	v_add_co_u32 v8, s28, s71, v16
	s_delay_alu instid0(VALU_DEP_1) | instskip(SKIP_1) | instid1(VALU_DEP_2)
	v_add_co_ci_u32_e64 v9, null, s56, 0, s28
	s_waitcnt lgkmcnt(0)
	v_add_co_u32 v8, vcc_lo, v8, v93
	s_delay_alu instid0(VALU_DEP_2)
	v_add_co_ci_u32_e32 v9, vcc_lo, 0, v9, vcc_lo
	s_barrier
	buffer_gl0_inv
	s_and_saveexec_b32 s28, s12
	s_cbranch_execz .LBB85_46
; %bb.45:                               ;   in Loop: Header=BB85_12 Depth=1
	global_load_u16 v10, v[8:9], off
.LBB85_46:                              ;   in Loop: Header=BB85_12 Depth=1
	s_or_b32 exec_lo, exec_lo, s28
	v_dual_mov_b32 v11, 0 :: v_dual_mov_b32 v12, 0
	s_and_saveexec_b32 s28, s13
	s_cbranch_execz .LBB85_48
; %bb.47:                               ;   in Loop: Header=BB85_12 Depth=1
	global_load_u16 v12, v[8:9], off offset:64
.LBB85_48:                              ;   in Loop: Header=BB85_12 Depth=1
	s_or_b32 exec_lo, exec_lo, s28
	s_and_saveexec_b32 s28, s14
	s_cbranch_execz .LBB85_50
; %bb.49:                               ;   in Loop: Header=BB85_12 Depth=1
	global_load_u16 v11, v[8:9], off offset:128
.LBB85_50:                              ;   in Loop: Header=BB85_12 Depth=1
	s_or_b32 exec_lo, exec_lo, s28
	v_dual_mov_b32 v13, 0 :: v_dual_mov_b32 v14, 0
	s_and_saveexec_b32 s28, s15
	s_cbranch_execz .LBB85_52
; %bb.51:                               ;   in Loop: Header=BB85_12 Depth=1
	global_load_u16 v14, v[8:9], off offset:192
.LBB85_52:                              ;   in Loop: Header=BB85_12 Depth=1
	s_or_b32 exec_lo, exec_lo, s28
	s_and_saveexec_b32 s28, s16
	s_cbranch_execz .LBB85_54
; %bb.53:                               ;   in Loop: Header=BB85_12 Depth=1
	global_load_u16 v13, v[8:9], off offset:256
.LBB85_54:                              ;   in Loop: Header=BB85_12 Depth=1
	s_or_b32 exec_lo, exec_lo, s28
	v_mov_b32_e32 v15, 0
	v_mov_b32_e32 v17, 0
	s_and_saveexec_b32 s28, s17
	s_cbranch_execz .LBB85_56
; %bb.55:                               ;   in Loop: Header=BB85_12 Depth=1
	global_load_u16 v17, v[8:9], off offset:320
.LBB85_56:                              ;   in Loop: Header=BB85_12 Depth=1
	s_or_b32 exec_lo, exec_lo, s28
	s_and_saveexec_b32 s28, s18
	s_cbranch_execz .LBB85_58
; %bb.57:                               ;   in Loop: Header=BB85_12 Depth=1
	global_load_u16 v15, v[8:9], off offset:384
.LBB85_58:                              ;   in Loop: Header=BB85_12 Depth=1
	s_or_b32 exec_lo, exec_lo, s28
	v_dual_mov_b32 v94, 0 :: v_dual_mov_b32 v95, 0
	s_and_saveexec_b32 s28, s19
	s_cbranch_execz .LBB85_60
; %bb.59:                               ;   in Loop: Header=BB85_12 Depth=1
	global_load_u16 v95, v[8:9], off offset:448
.LBB85_60:                              ;   in Loop: Header=BB85_12 Depth=1
	s_or_b32 exec_lo, exec_lo, s28
	s_and_saveexec_b32 s28, s20
	s_cbranch_execz .LBB85_62
; %bb.61:                               ;   in Loop: Header=BB85_12 Depth=1
	global_load_u16 v94, v[8:9], off offset:512
.LBB85_62:                              ;   in Loop: Header=BB85_12 Depth=1
	s_or_b32 exec_lo, exec_lo, s28
	v_dual_mov_b32 v96, 0 :: v_dual_mov_b32 v97, 0
	;; [unrolled: 13-line block ×4, first 2 shown]
	s_and_saveexec_b32 s28, s25
	s_cbranch_execnz .LBB85_267
; %bb.71:                               ;   in Loop: Header=BB85_12 Depth=1
	s_or_b32 exec_lo, exec_lo, s28
	s_and_saveexec_b32 s28, s26
	s_cbranch_execnz .LBB85_268
.LBB85_72:                              ;   in Loop: Header=BB85_12 Depth=1
	s_or_b32 exec_lo, exec_lo, s28
	v_mov_b32_e32 v102, 0
	s_and_saveexec_b32 s28, s27
	s_cbranch_execz .LBB85_74
.LBB85_73:                              ;   in Loop: Header=BB85_12 Depth=1
	global_load_u16 v102, v[8:9], off offset:960
.LBB85_74:                              ;   in Loop: Header=BB85_12 Depth=1
	s_or_b32 exec_lo, exec_lo, s28
	s_waitcnt vmcnt(0)
	ds_store_b16 v37, v10
	ds_store_b16 v37, v12 offset:64
	ds_store_b16 v38, v11 offset:128
	;; [unrolled: 1-line block ×15, first 2 shown]
	; wave barrier
	ds_load_b128 v[12:15], v52
	ds_load_b128 v[8:11], v52 offset:16
	s_waitcnt lgkmcnt(1)
	v_cvt_f32_f16_e32 v17, v12
	s_delay_alu instid0(VALU_DEP_1) | instskip(NEXT) | instid1(VALU_DEP_1)
	v_add_f32_e32 v94, s68, v17
	v_cmp_ge_f32_e32 vcc_lo, 0x41a00000, v94
	s_and_b32 s28, s79, vcc_lo
	s_delay_alu instid0(SALU_CYCLE_1)
	s_and_saveexec_b32 s29, s28
	s_cbranch_execz .LBB85_76
; %bb.75:                               ;   in Loop: Header=BB85_12 Depth=1
	v_mul_f32_e32 v17, 0x3fb8aa3b, v94
	v_cmp_ngt_f32_e32 vcc_lo, 0xc2ce8ed0, v94
	s_delay_alu instid0(VALU_DEP_2) | instskip(SKIP_1) | instid1(VALU_DEP_1)
	v_rndne_f32_e32 v95, v17
	v_fma_f32 v96, 0x3fb8aa3b, v94, -v17
	v_dual_sub_f32 v17, v17, v95 :: v_dual_fmac_f32 v96, 0x32a5705f, v94
	v_cvt_i32_f32_e32 v95, v95
	s_delay_alu instid0(VALU_DEP_2) | instskip(NEXT) | instid1(VALU_DEP_1)
	v_add_f32_e32 v17, v17, v96
	v_exp_f32_e32 v17, v17
	s_waitcnt_depctr 0xfff
	v_ldexp_f32 v17, v17, v95
	s_delay_alu instid0(VALU_DEP_1) | instskip(SKIP_1) | instid1(VALU_DEP_2)
	v_cndmask_b32_e32 v17, 0, v17, vcc_lo
	v_cmp_nlt_f32_e32 vcc_lo, 0x42b17218, v94
	v_cndmask_b32_e32 v17, 0x7f800000, v17, vcc_lo
	s_delay_alu instid0(VALU_DEP_1) | instskip(NEXT) | instid1(VALU_DEP_1)
	v_add_f32_e32 v96, 1.0, v17
	v_cvt_f64_f32_e32 v[94:95], v96
	s_delay_alu instid0(VALU_DEP_1) | instskip(SKIP_1) | instid1(VALU_DEP_1)
	v_frexp_exp_i32_f64_e32 v94, v[94:95]
	v_frexp_mant_f32_e32 v95, v96
	v_cmp_gt_f32_e32 vcc_lo, 0x3f2aaaab, v95
	v_add_f32_e32 v95, -1.0, v96
	s_delay_alu instid0(VALU_DEP_1) | instskip(NEXT) | instid1(VALU_DEP_1)
	v_dual_sub_f32 v98, v95, v96 :: v_dual_sub_f32 v95, v17, v95
	v_add_f32_e32 v98, 1.0, v98
	v_subrev_co_ci_u32_e32 v94, vcc_lo, 0, v94, vcc_lo
	s_delay_alu instid0(VALU_DEP_1) | instskip(SKIP_1) | instid1(VALU_DEP_2)
	v_sub_nc_u32_e32 v97, 0, v94
	v_cvt_f32_i32_e32 v94, v94
	v_ldexp_f32 v96, v96, v97
	v_add_f32_e32 v95, v95, v98
	s_delay_alu instid0(VALU_DEP_1) | instskip(NEXT) | instid1(VALU_DEP_3)
	v_ldexp_f32 v95, v95, v97
	v_add_f32_e32 v99, 1.0, v96
	s_delay_alu instid0(VALU_DEP_1) | instskip(NEXT) | instid1(VALU_DEP_1)
	v_add_f32_e32 v98, -1.0, v99
	v_sub_f32_e32 v98, v96, v98
	v_cmp_eq_f32_e32 vcc_lo, 0x7f800000, v17
	v_cmp_gt_f32_e64 s28, 0x33800000, v17
	s_delay_alu instid0(VALU_DEP_3) | instskip(NEXT) | instid1(VALU_DEP_2)
	v_dual_add_f32 v98, v95, v98 :: v_dual_add_f32 v97, -1.0, v96
	s_or_b32 vcc_lo, s28, vcc_lo
	s_delay_alu instid0(VALU_DEP_1) | instskip(NEXT) | instid1(VALU_DEP_1)
	v_add_f32_e32 v100, 1.0, v97
	v_sub_f32_e32 v96, v96, v100
	s_delay_alu instid0(VALU_DEP_3) | instskip(NEXT) | instid1(VALU_DEP_1)
	v_add_f32_e32 v100, v99, v98
	v_sub_f32_e32 v99, v99, v100
	s_delay_alu instid0(VALU_DEP_3) | instskip(SKIP_1) | instid1(VALU_DEP_2)
	v_add_f32_e32 v95, v95, v96
	v_rcp_f32_e32 v96, v100
	v_add_f32_e32 v98, v98, v99
	s_delay_alu instid0(VALU_DEP_2) | instskip(NEXT) | instid1(VALU_DEP_1)
	v_add_f32_e32 v101, v97, v95
	v_sub_f32_e32 v97, v97, v101
	s_waitcnt_depctr 0xfff
	v_dual_mul_f32 v102, v101, v96 :: v_dual_add_f32 v95, v95, v97
	s_delay_alu instid0(VALU_DEP_1) | instskip(NEXT) | instid1(VALU_DEP_1)
	v_mul_f32_e32 v103, v100, v102
	v_fma_f32 v99, v102, v100, -v103
	s_delay_alu instid0(VALU_DEP_1) | instskip(NEXT) | instid1(VALU_DEP_1)
	v_fmac_f32_e32 v99, v102, v98
	v_add_f32_e32 v104, v103, v99
	s_delay_alu instid0(VALU_DEP_1) | instskip(NEXT) | instid1(VALU_DEP_1)
	v_sub_f32_e32 v105, v101, v104
	v_sub_f32_e32 v101, v101, v105
	;; [unrolled: 1-line block ×3, first 2 shown]
	s_delay_alu instid0(VALU_DEP_2) | instskip(NEXT) | instid1(VALU_DEP_2)
	v_sub_f32_e32 v101, v101, v104
	v_sub_f32_e32 v97, v97, v99
	s_delay_alu instid0(VALU_DEP_2) | instskip(NEXT) | instid1(VALU_DEP_1)
	v_add_f32_e32 v95, v95, v101
	v_add_f32_e32 v95, v97, v95
	s_delay_alu instid0(VALU_DEP_1) | instskip(NEXT) | instid1(VALU_DEP_1)
	v_add_f32_e32 v97, v105, v95
	v_mul_f32_e32 v99, v96, v97
	s_delay_alu instid0(VALU_DEP_1) | instskip(NEXT) | instid1(VALU_DEP_1)
	v_dual_sub_f32 v104, v105, v97 :: v_dual_mul_f32 v101, v100, v99
	v_add_f32_e32 v95, v95, v104
	s_delay_alu instid0(VALU_DEP_2) | instskip(NEXT) | instid1(VALU_DEP_1)
	v_fma_f32 v100, v99, v100, -v101
	v_fmac_f32_e32 v100, v99, v98
	s_delay_alu instid0(VALU_DEP_1) | instskip(NEXT) | instid1(VALU_DEP_1)
	v_add_f32_e32 v98, v101, v100
	v_sub_f32_e32 v103, v97, v98
	v_sub_f32_e32 v101, v98, v101
	s_delay_alu instid0(VALU_DEP_2) | instskip(NEXT) | instid1(VALU_DEP_1)
	v_sub_f32_e32 v97, v97, v103
	v_sub_f32_e32 v97, v97, v98
	s_delay_alu instid0(VALU_DEP_1) | instskip(SKIP_1) | instid1(VALU_DEP_1)
	v_dual_sub_f32 v98, v101, v100 :: v_dual_add_f32 v95, v95, v97
	v_add_f32_e32 v97, v102, v99
	v_dual_add_f32 v95, v98, v95 :: v_dual_sub_f32 v98, v97, v102
	s_delay_alu instid0(VALU_DEP_1) | instskip(NEXT) | instid1(VALU_DEP_1)
	v_add_f32_e32 v95, v103, v95
	v_dual_sub_f32 v98, v99, v98 :: v_dual_mul_f32 v95, v96, v95
	s_delay_alu instid0(VALU_DEP_1) | instskip(NEXT) | instid1(VALU_DEP_1)
	v_add_f32_e32 v95, v98, v95
	v_add_f32_e32 v96, v97, v95
	s_delay_alu instid0(VALU_DEP_1) | instskip(NEXT) | instid1(VALU_DEP_1)
	v_mul_f32_e32 v98, v96, v96
	v_fmaak_f32 v99, s83, v98, 0x3ecc95a3
	v_mul_f32_e32 v100, v96, v98
	s_delay_alu instid0(VALU_DEP_2) | instskip(SKIP_2) | instid1(VALU_DEP_3)
	v_fmaak_f32 v98, v98, v99, 0x3f2aaada
	v_ldexp_f32 v99, v96, 1
	v_sub_f32_e32 v96, v96, v97
	v_mul_f32_e32 v98, v100, v98
	s_delay_alu instid0(VALU_DEP_2) | instskip(NEXT) | instid1(VALU_DEP_2)
	v_dual_mul_f32 v100, 0x3f317218, v94 :: v_dual_sub_f32 v95, v95, v96
	v_add_f32_e32 v97, v99, v98
	s_delay_alu instid0(VALU_DEP_2) | instskip(NEXT) | instid1(VALU_DEP_2)
	v_ldexp_f32 v95, v95, 1
	v_sub_f32_e32 v96, v97, v99
	s_delay_alu instid0(VALU_DEP_4) | instskip(NEXT) | instid1(VALU_DEP_1)
	v_fma_f32 v99, 0x3f317218, v94, -v100
	v_dual_sub_f32 v96, v98, v96 :: v_dual_fmac_f32 v99, 0xb102e308, v94
	s_delay_alu instid0(VALU_DEP_1) | instskip(NEXT) | instid1(VALU_DEP_1)
	v_dual_add_f32 v94, v95, v96 :: v_dual_add_f32 v95, v100, v99
	v_add_f32_e32 v96, v97, v94
	s_delay_alu instid0(VALU_DEP_2) | instskip(NEXT) | instid1(VALU_DEP_2)
	v_sub_f32_e32 v100, v95, v100
	v_dual_add_f32 v98, v95, v96 :: v_dual_sub_f32 v97, v96, v97
	s_delay_alu instid0(VALU_DEP_2) | instskip(NEXT) | instid1(VALU_DEP_2)
	v_sub_f32_e32 v99, v99, v100
	v_sub_f32_e32 v101, v98, v95
	s_delay_alu instid0(VALU_DEP_3) | instskip(NEXT) | instid1(VALU_DEP_2)
	v_sub_f32_e32 v94, v94, v97
	v_sub_f32_e32 v102, v98, v101
	s_delay_alu instid0(VALU_DEP_2) | instskip(NEXT) | instid1(VALU_DEP_2)
	v_dual_sub_f32 v96, v96, v101 :: v_dual_add_f32 v97, v99, v94
	v_sub_f32_e32 v95, v95, v102
	s_delay_alu instid0(VALU_DEP_1) | instskip(NEXT) | instid1(VALU_DEP_3)
	v_add_f32_e32 v95, v96, v95
	v_sub_f32_e32 v96, v97, v99
	s_delay_alu instid0(VALU_DEP_2) | instskip(NEXT) | instid1(VALU_DEP_2)
	v_add_f32_e32 v95, v97, v95
	v_sub_f32_e32 v97, v97, v96
	v_sub_f32_e32 v94, v94, v96
	s_delay_alu instid0(VALU_DEP_2) | instskip(NEXT) | instid1(VALU_DEP_1)
	v_dual_add_f32 v100, v98, v95 :: v_dual_sub_f32 v97, v99, v97
	v_sub_f32_e32 v96, v100, v98
	s_delay_alu instid0(VALU_DEP_1) | instskip(NEXT) | instid1(VALU_DEP_1)
	v_dual_add_f32 v94, v94, v97 :: v_dual_sub_f32 v95, v95, v96
	v_add_f32_e32 v94, v94, v95
	s_delay_alu instid0(VALU_DEP_1) | instskip(NEXT) | instid1(VALU_DEP_1)
	v_add_f32_e32 v94, v100, v94
	v_cndmask_b32_e32 v94, v94, v17, vcc_lo
.LBB85_76:                              ;   in Loop: Header=BB85_12 Depth=1
	s_or_b32 exec_lo, exec_lo, s29
	v_lshrrev_b32_e32 v12, 16, v12
	s_delay_alu instid0(VALU_DEP_1) | instskip(NEXT) | instid1(VALU_DEP_1)
	v_cvt_f32_f16_e32 v12, v12
	v_add_f32_e32 v95, s68, v12
	s_delay_alu instid0(VALU_DEP_1) | instskip(SKIP_1) | instid1(SALU_CYCLE_1)
	v_cmp_ge_f32_e32 vcc_lo, 0x41a00000, v95
	s_and_b32 s28, s79, vcc_lo
	s_and_saveexec_b32 s29, s28
	s_cbranch_execz .LBB85_78
; %bb.77:                               ;   in Loop: Header=BB85_12 Depth=1
	v_mul_f32_e32 v12, 0x3fb8aa3b, v95
	v_cmp_ngt_f32_e32 vcc_lo, 0xc2ce8ed0, v95
	s_delay_alu instid0(VALU_DEP_2) | instskip(SKIP_1) | instid1(VALU_DEP_2)
	v_rndne_f32_e32 v17, v12
	v_fma_f32 v96, 0x3fb8aa3b, v95, -v12
	v_sub_f32_e32 v12, v12, v17
	s_delay_alu instid0(VALU_DEP_2) | instskip(SKIP_1) | instid1(VALU_DEP_2)
	v_fmac_f32_e32 v96, 0x32a5705f, v95
	v_cvt_i32_f32_e32 v17, v17
	v_add_f32_e32 v12, v12, v96
	s_delay_alu instid0(VALU_DEP_1) | instskip(SKIP_2) | instid1(VALU_DEP_1)
	v_exp_f32_e32 v12, v12
	s_waitcnt_depctr 0xfff
	v_ldexp_f32 v12, v12, v17
	v_cndmask_b32_e32 v12, 0, v12, vcc_lo
	v_cmp_nlt_f32_e32 vcc_lo, 0x42b17218, v95
	s_delay_alu instid0(VALU_DEP_2) | instskip(NEXT) | instid1(VALU_DEP_1)
	v_cndmask_b32_e32 v12, 0x7f800000, v12, vcc_lo
	v_add_f32_e32 v17, 1.0, v12
	s_delay_alu instid0(VALU_DEP_1) | instskip(NEXT) | instid1(VALU_DEP_1)
	v_cvt_f64_f32_e32 v[95:96], v17
	v_frexp_exp_i32_f64_e32 v95, v[95:96]
	v_frexp_mant_f32_e32 v96, v17
	s_delay_alu instid0(VALU_DEP_1) | instskip(SKIP_1) | instid1(VALU_DEP_1)
	v_cmp_gt_f32_e32 vcc_lo, 0x3f2aaaab, v96
	v_add_f32_e32 v96, -1.0, v17
	v_sub_f32_e32 v98, v96, v17
	v_sub_f32_e32 v96, v12, v96
	s_delay_alu instid0(VALU_DEP_2) | instskip(NEXT) | instid1(VALU_DEP_1)
	v_add_f32_e32 v98, 1.0, v98
	v_add_f32_e32 v96, v96, v98
	v_subrev_co_ci_u32_e32 v95, vcc_lo, 0, v95, vcc_lo
	s_delay_alu instid0(VALU_DEP_1) | instskip(SKIP_1) | instid1(VALU_DEP_2)
	v_sub_nc_u32_e32 v97, 0, v95
	v_cvt_f32_i32_e32 v95, v95
	v_ldexp_f32 v17, v17, v97
	v_ldexp_f32 v96, v96, v97
	s_delay_alu instid0(VALU_DEP_2) | instskip(NEXT) | instid1(VALU_DEP_1)
	v_add_f32_e32 v99, 1.0, v17
	v_dual_add_f32 v97, -1.0, v17 :: v_dual_add_f32 v98, -1.0, v99
	s_delay_alu instid0(VALU_DEP_1) | instskip(NEXT) | instid1(VALU_DEP_2)
	v_add_f32_e32 v100, 1.0, v97
	v_sub_f32_e32 v98, v17, v98
	s_delay_alu instid0(VALU_DEP_2) | instskip(NEXT) | instid1(VALU_DEP_1)
	v_sub_f32_e32 v17, v17, v100
	v_add_f32_e32 v17, v96, v17
	s_delay_alu instid0(VALU_DEP_1) | instskip(SKIP_2) | instid1(VALU_DEP_3)
	v_add_f32_e32 v101, v97, v17
	v_cmp_eq_f32_e32 vcc_lo, 0x7f800000, v12
	v_cmp_gt_f32_e64 s28, 0x33800000, v12
	v_dual_sub_f32 v97, v97, v101 :: v_dual_add_f32 v98, v96, v98
	s_delay_alu instid0(VALU_DEP_2) | instskip(NEXT) | instid1(VALU_DEP_1)
	s_or_b32 vcc_lo, s28, vcc_lo
	v_dual_add_f32 v17, v17, v97 :: v_dual_add_f32 v100, v99, v98
	s_delay_alu instid0(VALU_DEP_1) | instskip(SKIP_1) | instid1(VALU_DEP_1)
	v_rcp_f32_e32 v96, v100
	v_sub_f32_e32 v99, v99, v100
	v_add_f32_e32 v98, v98, v99
	s_waitcnt_depctr 0xfff
	v_mul_f32_e32 v102, v101, v96
	s_delay_alu instid0(VALU_DEP_1) | instskip(NEXT) | instid1(VALU_DEP_1)
	v_mul_f32_e32 v103, v100, v102
	v_fma_f32 v99, v102, v100, -v103
	s_delay_alu instid0(VALU_DEP_1) | instskip(NEXT) | instid1(VALU_DEP_1)
	v_fmac_f32_e32 v99, v102, v98
	v_add_f32_e32 v104, v103, v99
	s_delay_alu instid0(VALU_DEP_1) | instskip(SKIP_1) | instid1(VALU_DEP_2)
	v_sub_f32_e32 v105, v101, v104
	v_sub_f32_e32 v97, v104, v103
	;; [unrolled: 1-line block ×3, first 2 shown]
	s_delay_alu instid0(VALU_DEP_2) | instskip(NEXT) | instid1(VALU_DEP_2)
	v_sub_f32_e32 v97, v97, v99
	v_sub_f32_e32 v101, v101, v104
	s_delay_alu instid0(VALU_DEP_1) | instskip(NEXT) | instid1(VALU_DEP_1)
	v_add_f32_e32 v17, v17, v101
	v_add_f32_e32 v17, v97, v17
	s_delay_alu instid0(VALU_DEP_1) | instskip(NEXT) | instid1(VALU_DEP_1)
	v_add_f32_e32 v97, v105, v17
	v_mul_f32_e32 v99, v96, v97
	s_delay_alu instid0(VALU_DEP_1) | instskip(NEXT) | instid1(VALU_DEP_1)
	v_mul_f32_e32 v101, v100, v99
	v_fma_f32 v100, v99, v100, -v101
	s_delay_alu instid0(VALU_DEP_1) | instskip(SKIP_1) | instid1(VALU_DEP_2)
	v_fmac_f32_e32 v100, v99, v98
	v_sub_f32_e32 v104, v105, v97
	v_add_f32_e32 v98, v101, v100
	s_delay_alu instid0(VALU_DEP_2) | instskip(NEXT) | instid1(VALU_DEP_2)
	v_add_f32_e32 v17, v17, v104
	v_sub_f32_e32 v103, v97, v98
	s_delay_alu instid0(VALU_DEP_1) | instskip(NEXT) | instid1(VALU_DEP_1)
	v_sub_f32_e32 v97, v97, v103
	v_sub_f32_e32 v97, v97, v98
	s_delay_alu instid0(VALU_DEP_1) | instskip(SKIP_2) | instid1(VALU_DEP_1)
	v_add_f32_e32 v17, v17, v97
	v_add_f32_e32 v97, v102, v99
	v_sub_f32_e32 v101, v98, v101
	v_sub_f32_e32 v98, v101, v100
	s_delay_alu instid0(VALU_DEP_1) | instskip(NEXT) | instid1(VALU_DEP_1)
	v_dual_add_f32 v17, v98, v17 :: v_dual_sub_f32 v98, v97, v102
	v_add_f32_e32 v17, v103, v17
	s_delay_alu instid0(VALU_DEP_1) | instskip(NEXT) | instid1(VALU_DEP_1)
	v_dual_sub_f32 v98, v99, v98 :: v_dual_mul_f32 v17, v96, v17
	v_add_f32_e32 v17, v98, v17
	s_delay_alu instid0(VALU_DEP_1) | instskip(NEXT) | instid1(VALU_DEP_1)
	v_add_f32_e32 v96, v97, v17
	v_mul_f32_e32 v98, v96, v96
	s_delay_alu instid0(VALU_DEP_1) | instskip(SKIP_1) | instid1(VALU_DEP_2)
	v_fmaak_f32 v99, s83, v98, 0x3ecc95a3
	v_mul_f32_e32 v100, v96, v98
	v_fmaak_f32 v98, v98, v99, 0x3f2aaada
	v_ldexp_f32 v99, v96, 1
	s_delay_alu instid0(VALU_DEP_2) | instskip(SKIP_1) | instid1(VALU_DEP_2)
	v_mul_f32_e32 v98, v100, v98
	v_sub_f32_e32 v96, v96, v97
	v_dual_mul_f32 v100, 0x3f317218, v95 :: v_dual_add_f32 v97, v99, v98
	s_delay_alu instid0(VALU_DEP_2) | instskip(NEXT) | instid1(VALU_DEP_2)
	v_sub_f32_e32 v17, v17, v96
	v_sub_f32_e32 v96, v97, v99
	s_delay_alu instid0(VALU_DEP_3) | instskip(NEXT) | instid1(VALU_DEP_3)
	v_fma_f32 v99, 0x3f317218, v95, -v100
	v_ldexp_f32 v17, v17, 1
	s_delay_alu instid0(VALU_DEP_2) | instskip(NEXT) | instid1(VALU_DEP_1)
	v_dual_sub_f32 v96, v98, v96 :: v_dual_fmac_f32 v99, 0xb102e308, v95
	v_add_f32_e32 v17, v17, v96
	s_delay_alu instid0(VALU_DEP_1) | instskip(NEXT) | instid1(VALU_DEP_1)
	v_dual_add_f32 v95, v100, v99 :: v_dual_add_f32 v96, v97, v17
	v_sub_f32_e32 v100, v95, v100
	s_delay_alu instid0(VALU_DEP_2) | instskip(NEXT) | instid1(VALU_DEP_2)
	v_dual_add_f32 v98, v95, v96 :: v_dual_sub_f32 v97, v96, v97
	v_sub_f32_e32 v99, v99, v100
	s_delay_alu instid0(VALU_DEP_2) | instskip(NEXT) | instid1(VALU_DEP_1)
	v_sub_f32_e32 v101, v98, v95
	v_sub_f32_e32 v102, v98, v101
	;; [unrolled: 1-line block ×4, first 2 shown]
	s_delay_alu instid0(VALU_DEP_1) | instskip(NEXT) | instid1(VALU_DEP_4)
	v_add_f32_e32 v97, v99, v17
	v_sub_f32_e32 v95, v95, v102
	s_delay_alu instid0(VALU_DEP_1) | instskip(NEXT) | instid1(VALU_DEP_3)
	v_add_f32_e32 v95, v96, v95
	v_sub_f32_e32 v96, v97, v99
	s_delay_alu instid0(VALU_DEP_2) | instskip(NEXT) | instid1(VALU_DEP_2)
	v_add_f32_e32 v95, v97, v95
	v_sub_f32_e32 v97, v97, v96
	s_delay_alu instid0(VALU_DEP_2) | instskip(NEXT) | instid1(VALU_DEP_1)
	v_dual_sub_f32 v17, v17, v96 :: v_dual_add_f32 v100, v98, v95
	v_dual_sub_f32 v96, v100, v98 :: v_dual_sub_f32 v97, v99, v97
	s_delay_alu instid0(VALU_DEP_1) | instskip(NEXT) | instid1(VALU_DEP_2)
	v_sub_f32_e32 v95, v95, v96
	v_add_f32_e32 v17, v17, v97
	s_delay_alu instid0(VALU_DEP_1) | instskip(NEXT) | instid1(VALU_DEP_1)
	v_add_f32_e32 v17, v17, v95
	v_add_f32_e32 v17, v100, v17
	s_delay_alu instid0(VALU_DEP_1)
	v_cndmask_b32_e32 v95, v17, v12, vcc_lo
.LBB85_78:                              ;   in Loop: Header=BB85_12 Depth=1
	s_or_b32 exec_lo, exec_lo, s29
	v_cvt_f32_f16_e32 v12, v13
	s_delay_alu instid0(VALU_DEP_1) | instskip(NEXT) | instid1(VALU_DEP_1)
	v_add_f32_e32 v96, s68, v12
	v_cmp_ge_f32_e32 vcc_lo, 0x41a00000, v96
	s_and_b32 s28, s79, vcc_lo
	s_delay_alu instid0(SALU_CYCLE_1)
	s_and_saveexec_b32 s29, s28
	s_cbranch_execz .LBB85_80
; %bb.79:                               ;   in Loop: Header=BB85_12 Depth=1
	v_mul_f32_e32 v12, 0x3fb8aa3b, v96
	v_cmp_ngt_f32_e32 vcc_lo, 0xc2ce8ed0, v96
	s_delay_alu instid0(VALU_DEP_2) | instskip(SKIP_1) | instid1(VALU_DEP_1)
	v_rndne_f32_e32 v17, v12
	v_fma_f32 v97, 0x3fb8aa3b, v96, -v12
	v_dual_sub_f32 v12, v12, v17 :: v_dual_fmac_f32 v97, 0x32a5705f, v96
	v_cvt_i32_f32_e32 v17, v17
	s_delay_alu instid0(VALU_DEP_2) | instskip(NEXT) | instid1(VALU_DEP_1)
	v_add_f32_e32 v12, v12, v97
	v_exp_f32_e32 v12, v12
	s_waitcnt_depctr 0xfff
	v_ldexp_f32 v12, v12, v17
	s_delay_alu instid0(VALU_DEP_1) | instskip(SKIP_1) | instid1(VALU_DEP_2)
	v_cndmask_b32_e32 v12, 0, v12, vcc_lo
	v_cmp_nlt_f32_e32 vcc_lo, 0x42b17218, v96
	v_cndmask_b32_e32 v12, 0x7f800000, v12, vcc_lo
	s_delay_alu instid0(VALU_DEP_1) | instskip(NEXT) | instid1(VALU_DEP_1)
	v_add_f32_e32 v17, 1.0, v12
	v_cvt_f64_f32_e32 v[96:97], v17
	s_delay_alu instid0(VALU_DEP_1) | instskip(SKIP_1) | instid1(VALU_DEP_1)
	v_frexp_exp_i32_f64_e32 v96, v[96:97]
	v_frexp_mant_f32_e32 v97, v17
	v_cmp_gt_f32_e32 vcc_lo, 0x3f2aaaab, v97
	v_add_f32_e32 v97, -1.0, v17
	s_delay_alu instid0(VALU_DEP_1) | instskip(SKIP_1) | instid1(VALU_DEP_2)
	v_sub_f32_e32 v99, v97, v17
	v_sub_f32_e32 v97, v12, v97
	v_add_f32_e32 v99, 1.0, v99
	s_delay_alu instid0(VALU_DEP_1) | instskip(SKIP_3) | instid1(VALU_DEP_2)
	v_add_f32_e32 v97, v97, v99
	v_cmp_gt_f32_e64 s28, 0x33800000, v12
	v_subrev_co_ci_u32_e32 v96, vcc_lo, 0, v96, vcc_lo
	v_cmp_eq_f32_e32 vcc_lo, 0x7f800000, v12
	v_sub_nc_u32_e32 v98, 0, v96
	v_cvt_f32_i32_e32 v96, v96
	s_or_b32 vcc_lo, s28, vcc_lo
	s_delay_alu instid0(VALU_DEP_2) | instskip(SKIP_1) | instid1(VALU_DEP_2)
	v_ldexp_f32 v17, v17, v98
	v_ldexp_f32 v97, v97, v98
	v_add_f32_e32 v100, 1.0, v17
	s_delay_alu instid0(VALU_DEP_1) | instskip(NEXT) | instid1(VALU_DEP_1)
	v_dual_add_f32 v98, -1.0, v17 :: v_dual_add_f32 v99, -1.0, v100
	v_add_f32_e32 v101, 1.0, v98
	s_delay_alu instid0(VALU_DEP_2) | instskip(NEXT) | instid1(VALU_DEP_2)
	v_sub_f32_e32 v99, v17, v99
	v_sub_f32_e32 v17, v17, v101
	s_delay_alu instid0(VALU_DEP_1) | instskip(NEXT) | instid1(VALU_DEP_1)
	v_add_f32_e32 v17, v97, v17
	v_dual_add_f32 v102, v98, v17 :: v_dual_add_f32 v99, v97, v99
	s_delay_alu instid0(VALU_DEP_1) | instskip(NEXT) | instid1(VALU_DEP_1)
	v_dual_sub_f32 v98, v98, v102 :: v_dual_add_f32 v101, v100, v99
	v_rcp_f32_e32 v97, v101
	v_sub_f32_e32 v100, v100, v101
	s_delay_alu instid0(VALU_DEP_1) | instskip(SKIP_2) | instid1(VALU_DEP_1)
	v_add_f32_e32 v99, v99, v100
	s_waitcnt_depctr 0xfff
	v_mul_f32_e32 v103, v102, v97
	v_mul_f32_e32 v104, v101, v103
	s_delay_alu instid0(VALU_DEP_1) | instskip(NEXT) | instid1(VALU_DEP_1)
	v_fma_f32 v100, v103, v101, -v104
	v_fmac_f32_e32 v100, v103, v99
	s_delay_alu instid0(VALU_DEP_1) | instskip(NEXT) | instid1(VALU_DEP_1)
	v_add_f32_e32 v105, v104, v100
	v_sub_f32_e32 v106, v102, v105
	s_delay_alu instid0(VALU_DEP_1) | instskip(SKIP_2) | instid1(VALU_DEP_3)
	v_sub_f32_e32 v102, v102, v106
	v_add_f32_e32 v17, v17, v98
	v_sub_f32_e32 v98, v105, v104
	v_sub_f32_e32 v102, v102, v105
	s_delay_alu instid0(VALU_DEP_1) | instskip(NEXT) | instid1(VALU_DEP_1)
	v_dual_sub_f32 v98, v98, v100 :: v_dual_add_f32 v17, v17, v102
	v_add_f32_e32 v17, v98, v17
	s_delay_alu instid0(VALU_DEP_1) | instskip(NEXT) | instid1(VALU_DEP_1)
	v_add_f32_e32 v98, v106, v17
	v_mul_f32_e32 v100, v97, v98
	s_delay_alu instid0(VALU_DEP_1) | instskip(NEXT) | instid1(VALU_DEP_1)
	v_dual_sub_f32 v105, v106, v98 :: v_dual_mul_f32 v102, v101, v100
	v_add_f32_e32 v17, v17, v105
	s_delay_alu instid0(VALU_DEP_2) | instskip(NEXT) | instid1(VALU_DEP_1)
	v_fma_f32 v101, v100, v101, -v102
	v_fmac_f32_e32 v101, v100, v99
	s_delay_alu instid0(VALU_DEP_1) | instskip(NEXT) | instid1(VALU_DEP_1)
	v_add_f32_e32 v99, v102, v101
	v_sub_f32_e32 v104, v98, v99
	s_delay_alu instid0(VALU_DEP_1) | instskip(NEXT) | instid1(VALU_DEP_1)
	v_sub_f32_e32 v98, v98, v104
	v_sub_f32_e32 v98, v98, v99
	s_delay_alu instid0(VALU_DEP_1) | instskip(SKIP_1) | instid1(VALU_DEP_1)
	v_dual_add_f32 v17, v17, v98 :: v_dual_add_f32 v98, v103, v100
	v_sub_f32_e32 v102, v99, v102
	v_sub_f32_e32 v99, v102, v101
	s_delay_alu instid0(VALU_DEP_1) | instskip(NEXT) | instid1(VALU_DEP_4)
	v_add_f32_e32 v17, v99, v17
	v_sub_f32_e32 v99, v98, v103
	s_delay_alu instid0(VALU_DEP_2) | instskip(NEXT) | instid1(VALU_DEP_2)
	v_add_f32_e32 v17, v104, v17
	v_sub_f32_e32 v99, v100, v99
	s_delay_alu instid0(VALU_DEP_2) | instskip(NEXT) | instid1(VALU_DEP_1)
	v_mul_f32_e32 v17, v97, v17
	v_add_f32_e32 v17, v99, v17
	s_delay_alu instid0(VALU_DEP_1) | instskip(NEXT) | instid1(VALU_DEP_1)
	v_add_f32_e32 v97, v98, v17
	v_mul_f32_e32 v99, v97, v97
	s_delay_alu instid0(VALU_DEP_1) | instskip(SKIP_1) | instid1(VALU_DEP_2)
	v_fmaak_f32 v100, s83, v99, 0x3ecc95a3
	v_mul_f32_e32 v101, v97, v99
	v_fmaak_f32 v99, v99, v100, 0x3f2aaada
	v_ldexp_f32 v100, v97, 1
	v_sub_f32_e32 v97, v97, v98
	s_delay_alu instid0(VALU_DEP_3) | instskip(SKIP_1) | instid1(VALU_DEP_2)
	v_mul_f32_e32 v99, v101, v99
	v_mul_f32_e32 v101, 0x3f317218, v96
	v_dual_sub_f32 v17, v17, v97 :: v_dual_add_f32 v98, v100, v99
	s_delay_alu instid0(VALU_DEP_1) | instskip(NEXT) | instid1(VALU_DEP_2)
	v_ldexp_f32 v17, v17, 1
	v_sub_f32_e32 v97, v98, v100
	s_delay_alu instid0(VALU_DEP_4) | instskip(NEXT) | instid1(VALU_DEP_1)
	v_fma_f32 v100, 0x3f317218, v96, -v101
	v_dual_sub_f32 v97, v99, v97 :: v_dual_fmac_f32 v100, 0xb102e308, v96
	s_delay_alu instid0(VALU_DEP_1) | instskip(NEXT) | instid1(VALU_DEP_1)
	v_add_f32_e32 v17, v17, v97
	v_dual_add_f32 v96, v101, v100 :: v_dual_add_f32 v97, v98, v17
	s_delay_alu instid0(VALU_DEP_1) | instskip(NEXT) | instid1(VALU_DEP_2)
	v_sub_f32_e32 v101, v96, v101
	v_dual_add_f32 v99, v96, v97 :: v_dual_sub_f32 v98, v97, v98
	s_delay_alu instid0(VALU_DEP_2) | instskip(NEXT) | instid1(VALU_DEP_2)
	v_sub_f32_e32 v100, v100, v101
	v_dual_sub_f32 v102, v99, v96 :: v_dual_sub_f32 v17, v17, v98
	s_delay_alu instid0(VALU_DEP_1) | instskip(NEXT) | instid1(VALU_DEP_2)
	v_sub_f32_e32 v103, v99, v102
	v_dual_sub_f32 v97, v97, v102 :: v_dual_add_f32 v98, v100, v17
	s_delay_alu instid0(VALU_DEP_2) | instskip(NEXT) | instid1(VALU_DEP_1)
	v_sub_f32_e32 v96, v96, v103
	v_add_f32_e32 v96, v97, v96
	s_delay_alu instid0(VALU_DEP_3) | instskip(NEXT) | instid1(VALU_DEP_2)
	v_sub_f32_e32 v97, v98, v100
	v_add_f32_e32 v96, v98, v96
	s_delay_alu instid0(VALU_DEP_2) | instskip(SKIP_1) | instid1(VALU_DEP_2)
	v_sub_f32_e32 v98, v98, v97
	v_sub_f32_e32 v17, v17, v97
	v_dual_add_f32 v101, v99, v96 :: v_dual_sub_f32 v98, v100, v98
	s_delay_alu instid0(VALU_DEP_1) | instskip(NEXT) | instid1(VALU_DEP_1)
	v_sub_f32_e32 v97, v101, v99
	v_dual_add_f32 v17, v17, v98 :: v_dual_sub_f32 v96, v96, v97
	s_delay_alu instid0(VALU_DEP_1) | instskip(NEXT) | instid1(VALU_DEP_1)
	v_add_f32_e32 v17, v17, v96
	v_add_f32_e32 v17, v101, v17
	s_delay_alu instid0(VALU_DEP_1)
	v_cndmask_b32_e32 v96, v17, v12, vcc_lo
.LBB85_80:                              ;   in Loop: Header=BB85_12 Depth=1
	s_or_b32 exec_lo, exec_lo, s29
	v_lshrrev_b32_e32 v12, 16, v13
	s_delay_alu instid0(VALU_DEP_1) | instskip(NEXT) | instid1(VALU_DEP_1)
	v_cvt_f32_f16_e32 v12, v12
	v_add_f32_e32 v97, s68, v12
	s_delay_alu instid0(VALU_DEP_1) | instskip(SKIP_1) | instid1(SALU_CYCLE_1)
	v_cmp_ge_f32_e32 vcc_lo, 0x41a00000, v97
	s_and_b32 s28, s79, vcc_lo
	s_and_saveexec_b32 s29, s28
	s_cbranch_execz .LBB85_82
; %bb.81:                               ;   in Loop: Header=BB85_12 Depth=1
	v_mul_f32_e32 v12, 0x3fb8aa3b, v97
	v_cmp_ngt_f32_e32 vcc_lo, 0xc2ce8ed0, v97
	s_delay_alu instid0(VALU_DEP_2) | instskip(SKIP_1) | instid1(VALU_DEP_2)
	v_rndne_f32_e32 v13, v12
	v_fma_f32 v17, 0x3fb8aa3b, v97, -v12
	v_sub_f32_e32 v12, v12, v13
	s_delay_alu instid0(VALU_DEP_2) | instskip(SKIP_1) | instid1(VALU_DEP_2)
	v_fmac_f32_e32 v17, 0x32a5705f, v97
	v_cvt_i32_f32_e32 v13, v13
	v_add_f32_e32 v12, v12, v17
	s_delay_alu instid0(VALU_DEP_1) | instskip(SKIP_2) | instid1(VALU_DEP_1)
	v_exp_f32_e32 v12, v12
	s_waitcnt_depctr 0xfff
	v_ldexp_f32 v12, v12, v13
	v_cndmask_b32_e32 v12, 0, v12, vcc_lo
	v_cmp_nlt_f32_e32 vcc_lo, 0x42b17218, v97
	s_delay_alu instid0(VALU_DEP_2) | instskip(NEXT) | instid1(VALU_DEP_1)
	v_cndmask_b32_e32 v17, 0x7f800000, v12, vcc_lo
	v_add_f32_e32 v97, 1.0, v17
	s_delay_alu instid0(VALU_DEP_1) | instskip(NEXT) | instid1(VALU_DEP_1)
	v_cvt_f64_f32_e32 v[12:13], v97
	v_frexp_exp_i32_f64_e32 v12, v[12:13]
	v_frexp_mant_f32_e32 v13, v97
	s_delay_alu instid0(VALU_DEP_1) | instskip(SKIP_1) | instid1(VALU_DEP_1)
	v_cmp_gt_f32_e32 vcc_lo, 0x3f2aaaab, v13
	v_add_f32_e32 v13, -1.0, v97
	v_sub_f32_e32 v99, v13, v97
	s_delay_alu instid0(VALU_DEP_1) | instskip(SKIP_1) | instid1(VALU_DEP_1)
	v_add_f32_e32 v99, 1.0, v99
	v_subrev_co_ci_u32_e32 v12, vcc_lo, 0, v12, vcc_lo
	v_sub_nc_u32_e32 v98, 0, v12
	v_cvt_f32_i32_e32 v12, v12
	s_delay_alu instid0(VALU_DEP_2) | instskip(NEXT) | instid1(VALU_DEP_1)
	v_ldexp_f32 v97, v97, v98
	v_add_f32_e32 v100, 1.0, v97
	v_sub_f32_e32 v13, v17, v13
	v_cmp_eq_f32_e32 vcc_lo, 0x7f800000, v17
	v_cmp_gt_f32_e64 s28, 0x33800000, v17
	s_delay_alu instid0(VALU_DEP_3) | instskip(SKIP_1) | instid1(VALU_DEP_3)
	v_add_f32_e32 v13, v13, v99
	v_add_f32_e32 v99, -1.0, v100
	s_or_b32 vcc_lo, s28, vcc_lo
	s_delay_alu instid0(VALU_DEP_2) | instskip(NEXT) | instid1(VALU_DEP_2)
	v_ldexp_f32 v13, v13, v98
	v_dual_add_f32 v98, -1.0, v97 :: v_dual_sub_f32 v99, v97, v99
	s_delay_alu instid0(VALU_DEP_1) | instskip(NEXT) | instid1(VALU_DEP_2)
	v_add_f32_e32 v101, 1.0, v98
	v_add_f32_e32 v99, v13, v99
	s_delay_alu instid0(VALU_DEP_2) | instskip(NEXT) | instid1(VALU_DEP_1)
	v_sub_f32_e32 v97, v97, v101
	v_add_f32_e32 v13, v13, v97
	s_delay_alu instid0(VALU_DEP_1) | instskip(NEXT) | instid1(VALU_DEP_1)
	v_dual_add_f32 v102, v98, v13 :: v_dual_add_f32 v101, v100, v99
	v_sub_f32_e32 v98, v98, v102
	s_delay_alu instid0(VALU_DEP_2) | instskip(NEXT) | instid1(VALU_DEP_1)
	v_rcp_f32_e32 v97, v101
	v_dual_sub_f32 v100, v100, v101 :: v_dual_add_f32 v13, v13, v98
	s_delay_alu instid0(VALU_DEP_1) | instskip(SKIP_2) | instid1(VALU_DEP_1)
	v_add_f32_e32 v99, v99, v100
	s_waitcnt_depctr 0xfff
	v_mul_f32_e32 v103, v102, v97
	v_mul_f32_e32 v104, v101, v103
	s_delay_alu instid0(VALU_DEP_1) | instskip(NEXT) | instid1(VALU_DEP_1)
	v_fma_f32 v100, v103, v101, -v104
	v_fmac_f32_e32 v100, v103, v99
	s_delay_alu instid0(VALU_DEP_1) | instskip(NEXT) | instid1(VALU_DEP_1)
	v_add_f32_e32 v105, v104, v100
	v_sub_f32_e32 v106, v102, v105
	v_sub_f32_e32 v98, v105, v104
	s_delay_alu instid0(VALU_DEP_2) | instskip(NEXT) | instid1(VALU_DEP_2)
	v_sub_f32_e32 v102, v102, v106
	v_sub_f32_e32 v98, v98, v100
	s_delay_alu instid0(VALU_DEP_2) | instskip(NEXT) | instid1(VALU_DEP_1)
	v_sub_f32_e32 v102, v102, v105
	v_add_f32_e32 v13, v13, v102
	s_delay_alu instid0(VALU_DEP_1) | instskip(NEXT) | instid1(VALU_DEP_1)
	v_add_f32_e32 v13, v98, v13
	v_add_f32_e32 v98, v106, v13
	s_delay_alu instid0(VALU_DEP_1) | instskip(NEXT) | instid1(VALU_DEP_1)
	v_mul_f32_e32 v100, v97, v98
	v_dual_sub_f32 v105, v106, v98 :: v_dual_mul_f32 v102, v101, v100
	s_delay_alu instid0(VALU_DEP_1) | instskip(NEXT) | instid1(VALU_DEP_1)
	v_fma_f32 v101, v100, v101, -v102
	v_fmac_f32_e32 v101, v100, v99
	s_delay_alu instid0(VALU_DEP_1) | instskip(NEXT) | instid1(VALU_DEP_1)
	v_add_f32_e32 v99, v102, v101
	v_dual_add_f32 v13, v13, v105 :: v_dual_sub_f32 v104, v98, v99
	s_delay_alu instid0(VALU_DEP_1) | instskip(NEXT) | instid1(VALU_DEP_1)
	v_sub_f32_e32 v98, v98, v104
	v_sub_f32_e32 v98, v98, v99
	s_delay_alu instid0(VALU_DEP_1) | instskip(SKIP_1) | instid1(VALU_DEP_1)
	v_dual_add_f32 v13, v13, v98 :: v_dual_add_f32 v98, v103, v100
	v_sub_f32_e32 v102, v99, v102
	v_sub_f32_e32 v99, v102, v101
	s_delay_alu instid0(VALU_DEP_1) | instskip(NEXT) | instid1(VALU_DEP_4)
	v_add_f32_e32 v13, v99, v13
	v_sub_f32_e32 v99, v98, v103
	s_delay_alu instid0(VALU_DEP_2) | instskip(NEXT) | instid1(VALU_DEP_2)
	v_add_f32_e32 v13, v104, v13
	v_sub_f32_e32 v99, v100, v99
	s_delay_alu instid0(VALU_DEP_2) | instskip(NEXT) | instid1(VALU_DEP_1)
	v_mul_f32_e32 v13, v97, v13
	v_add_f32_e32 v13, v99, v13
	s_delay_alu instid0(VALU_DEP_1) | instskip(NEXT) | instid1(VALU_DEP_1)
	v_add_f32_e32 v97, v98, v13
	v_mul_f32_e32 v99, v97, v97
	s_delay_alu instid0(VALU_DEP_1) | instskip(SKIP_1) | instid1(VALU_DEP_2)
	v_fmaak_f32 v100, s83, v99, 0x3ecc95a3
	v_mul_f32_e32 v101, v97, v99
	v_fmaak_f32 v99, v99, v100, 0x3f2aaada
	v_ldexp_f32 v100, v97, 1
	v_sub_f32_e32 v97, v97, v98
	s_delay_alu instid0(VALU_DEP_3) | instskip(SKIP_1) | instid1(VALU_DEP_2)
	v_mul_f32_e32 v99, v101, v99
	v_mul_f32_e32 v101, 0x3f317218, v12
	v_dual_sub_f32 v13, v13, v97 :: v_dual_add_f32 v98, v100, v99
	s_delay_alu instid0(VALU_DEP_1) | instskip(NEXT) | instid1(VALU_DEP_2)
	v_ldexp_f32 v13, v13, 1
	v_sub_f32_e32 v97, v98, v100
	s_delay_alu instid0(VALU_DEP_4) | instskip(NEXT) | instid1(VALU_DEP_1)
	v_fma_f32 v100, 0x3f317218, v12, -v101
	v_dual_sub_f32 v97, v99, v97 :: v_dual_fmac_f32 v100, 0xb102e308, v12
	s_delay_alu instid0(VALU_DEP_1) | instskip(NEXT) | instid1(VALU_DEP_2)
	v_add_f32_e32 v12, v13, v97
	v_add_f32_e32 v13, v101, v100
	s_delay_alu instid0(VALU_DEP_2) | instskip(NEXT) | instid1(VALU_DEP_2)
	v_add_f32_e32 v97, v98, v12
	v_sub_f32_e32 v101, v13, v101
	s_delay_alu instid0(VALU_DEP_2) | instskip(SKIP_1) | instid1(VALU_DEP_3)
	v_add_f32_e32 v99, v13, v97
	v_sub_f32_e32 v98, v97, v98
	v_sub_f32_e32 v100, v100, v101
	s_delay_alu instid0(VALU_DEP_3) | instskip(NEXT) | instid1(VALU_DEP_3)
	v_sub_f32_e32 v102, v99, v13
	v_sub_f32_e32 v12, v12, v98
	s_delay_alu instid0(VALU_DEP_2) | instskip(NEXT) | instid1(VALU_DEP_2)
	v_sub_f32_e32 v103, v99, v102
	v_dual_sub_f32 v97, v97, v102 :: v_dual_add_f32 v98, v100, v12
	s_delay_alu instid0(VALU_DEP_2) | instskip(NEXT) | instid1(VALU_DEP_1)
	v_sub_f32_e32 v13, v13, v103
	v_add_f32_e32 v13, v97, v13
	s_delay_alu instid0(VALU_DEP_3) | instskip(NEXT) | instid1(VALU_DEP_2)
	v_sub_f32_e32 v97, v98, v100
	v_add_f32_e32 v13, v98, v13
	s_delay_alu instid0(VALU_DEP_2) | instskip(SKIP_1) | instid1(VALU_DEP_1)
	v_sub_f32_e32 v12, v12, v97
	v_sub_f32_e32 v98, v98, v97
	v_dual_add_f32 v101, v99, v13 :: v_dual_sub_f32 v98, v100, v98
	s_delay_alu instid0(VALU_DEP_1) | instskip(NEXT) | instid1(VALU_DEP_1)
	v_dual_sub_f32 v97, v101, v99 :: v_dual_add_f32 v12, v12, v98
	v_sub_f32_e32 v13, v13, v97
	s_delay_alu instid0(VALU_DEP_1) | instskip(NEXT) | instid1(VALU_DEP_1)
	v_add_f32_e32 v12, v12, v13
	v_add_f32_e32 v12, v101, v12
	s_delay_alu instid0(VALU_DEP_1)
	v_cndmask_b32_e32 v97, v12, v17, vcc_lo
.LBB85_82:                              ;   in Loop: Header=BB85_12 Depth=1
	s_or_b32 exec_lo, exec_lo, s29
	v_cvt_f32_f16_e32 v12, v14
	s_delay_alu instid0(VALU_DEP_1) | instskip(NEXT) | instid1(VALU_DEP_1)
	v_add_f32_e32 v98, s68, v12
	v_cmp_ge_f32_e32 vcc_lo, 0x41a00000, v98
	s_and_b32 s28, s79, vcc_lo
	s_delay_alu instid0(SALU_CYCLE_1)
	s_and_saveexec_b32 s29, s28
	s_cbranch_execz .LBB85_84
; %bb.83:                               ;   in Loop: Header=BB85_12 Depth=1
	v_mul_f32_e32 v12, 0x3fb8aa3b, v98
	v_cmp_ngt_f32_e32 vcc_lo, 0xc2ce8ed0, v98
	s_delay_alu instid0(VALU_DEP_2) | instskip(SKIP_1) | instid1(VALU_DEP_1)
	v_rndne_f32_e32 v13, v12
	v_fma_f32 v17, 0x3fb8aa3b, v98, -v12
	v_dual_sub_f32 v12, v12, v13 :: v_dual_fmac_f32 v17, 0x32a5705f, v98
	v_cvt_i32_f32_e32 v13, v13
	s_delay_alu instid0(VALU_DEP_2) | instskip(NEXT) | instid1(VALU_DEP_1)
	v_add_f32_e32 v12, v12, v17
	v_exp_f32_e32 v12, v12
	s_waitcnt_depctr 0xfff
	v_ldexp_f32 v12, v12, v13
	s_delay_alu instid0(VALU_DEP_1) | instskip(SKIP_1) | instid1(VALU_DEP_2)
	v_cndmask_b32_e32 v12, 0, v12, vcc_lo
	v_cmp_nlt_f32_e32 vcc_lo, 0x42b17218, v98
	v_cndmask_b32_e32 v17, 0x7f800000, v12, vcc_lo
	s_delay_alu instid0(VALU_DEP_1) | instskip(NEXT) | instid1(VALU_DEP_1)
	v_add_f32_e32 v98, 1.0, v17
	v_cvt_f64_f32_e32 v[12:13], v98
	s_delay_alu instid0(VALU_DEP_1) | instskip(SKIP_1) | instid1(VALU_DEP_1)
	v_frexp_exp_i32_f64_e32 v12, v[12:13]
	v_frexp_mant_f32_e32 v13, v98
	v_cmp_gt_f32_e32 vcc_lo, 0x3f2aaaab, v13
	v_add_f32_e32 v13, -1.0, v98
	s_delay_alu instid0(VALU_DEP_1) | instskip(SKIP_2) | instid1(VALU_DEP_3)
	v_sub_f32_e32 v100, v13, v98
	v_sub_f32_e32 v13, v17, v13
	v_cmp_gt_f32_e64 s28, 0x33800000, v17
	v_add_f32_e32 v100, 1.0, v100
	s_delay_alu instid0(VALU_DEP_1) | instskip(SKIP_2) | instid1(VALU_DEP_2)
	v_add_f32_e32 v13, v13, v100
	v_subrev_co_ci_u32_e32 v12, vcc_lo, 0, v12, vcc_lo
	v_cmp_eq_f32_e32 vcc_lo, 0x7f800000, v17
	v_sub_nc_u32_e32 v99, 0, v12
	v_cvt_f32_i32_e32 v12, v12
	s_or_b32 vcc_lo, s28, vcc_lo
	s_delay_alu instid0(VALU_DEP_2) | instskip(SKIP_1) | instid1(VALU_DEP_2)
	v_ldexp_f32 v98, v98, v99
	v_ldexp_f32 v13, v13, v99
	v_add_f32_e32 v99, -1.0, v98
	s_delay_alu instid0(VALU_DEP_1) | instskip(NEXT) | instid1(VALU_DEP_1)
	v_dual_add_f32 v101, 1.0, v98 :: v_dual_add_f32 v102, 1.0, v99
	v_add_f32_e32 v100, -1.0, v101
	s_delay_alu instid0(VALU_DEP_1) | instskip(NEXT) | instid1(VALU_DEP_3)
	v_sub_f32_e32 v100, v98, v100
	v_sub_f32_e32 v98, v98, v102
	s_delay_alu instid0(VALU_DEP_2) | instskip(NEXT) | instid1(VALU_DEP_2)
	v_add_f32_e32 v100, v13, v100
	v_add_f32_e32 v13, v13, v98
	s_delay_alu instid0(VALU_DEP_1) | instskip(NEXT) | instid1(VALU_DEP_1)
	v_dual_add_f32 v103, v99, v13 :: v_dual_add_f32 v102, v101, v100
	v_sub_f32_e32 v99, v99, v103
	s_delay_alu instid0(VALU_DEP_2) | instskip(SKIP_1) | instid1(VALU_DEP_1)
	v_rcp_f32_e32 v98, v102
	v_sub_f32_e32 v101, v101, v102
	v_dual_add_f32 v13, v13, v99 :: v_dual_add_f32 v100, v100, v101
	s_waitcnt_depctr 0xfff
	v_mul_f32_e32 v104, v103, v98
	s_delay_alu instid0(VALU_DEP_1) | instskip(NEXT) | instid1(VALU_DEP_1)
	v_mul_f32_e32 v105, v102, v104
	v_fma_f32 v101, v104, v102, -v105
	s_delay_alu instid0(VALU_DEP_1) | instskip(NEXT) | instid1(VALU_DEP_1)
	v_fmac_f32_e32 v101, v104, v100
	v_add_f32_e32 v106, v105, v101
	s_delay_alu instid0(VALU_DEP_1) | instskip(SKIP_1) | instid1(VALU_DEP_2)
	v_sub_f32_e32 v107, v103, v106
	v_sub_f32_e32 v99, v106, v105
	;; [unrolled: 1-line block ×3, first 2 shown]
	s_delay_alu instid0(VALU_DEP_2) | instskip(NEXT) | instid1(VALU_DEP_2)
	v_sub_f32_e32 v99, v99, v101
	v_sub_f32_e32 v103, v103, v106
	s_delay_alu instid0(VALU_DEP_1) | instskip(NEXT) | instid1(VALU_DEP_1)
	v_add_f32_e32 v13, v13, v103
	v_add_f32_e32 v13, v99, v13
	s_delay_alu instid0(VALU_DEP_1) | instskip(NEXT) | instid1(VALU_DEP_1)
	v_add_f32_e32 v99, v107, v13
	v_mul_f32_e32 v101, v98, v99
	s_delay_alu instid0(VALU_DEP_1) | instskip(NEXT) | instid1(VALU_DEP_1)
	v_dual_sub_f32 v106, v107, v99 :: v_dual_mul_f32 v103, v102, v101
	v_add_f32_e32 v13, v13, v106
	s_delay_alu instid0(VALU_DEP_2) | instskip(NEXT) | instid1(VALU_DEP_1)
	v_fma_f32 v102, v101, v102, -v103
	v_fmac_f32_e32 v102, v101, v100
	s_delay_alu instid0(VALU_DEP_1) | instskip(NEXT) | instid1(VALU_DEP_1)
	v_add_f32_e32 v100, v103, v102
	v_sub_f32_e32 v105, v99, v100
	s_delay_alu instid0(VALU_DEP_1) | instskip(NEXT) | instid1(VALU_DEP_1)
	v_sub_f32_e32 v99, v99, v105
	v_sub_f32_e32 v99, v99, v100
	s_delay_alu instid0(VALU_DEP_1) | instskip(SKIP_2) | instid1(VALU_DEP_1)
	v_add_f32_e32 v13, v13, v99
	v_add_f32_e32 v99, v104, v101
	v_sub_f32_e32 v103, v100, v103
	v_sub_f32_e32 v100, v103, v102
	s_delay_alu instid0(VALU_DEP_1) | instskip(NEXT) | instid1(VALU_DEP_1)
	v_dual_add_f32 v13, v100, v13 :: v_dual_sub_f32 v100, v99, v104
	v_add_f32_e32 v13, v105, v13
	s_delay_alu instid0(VALU_DEP_1) | instskip(NEXT) | instid1(VALU_DEP_1)
	v_dual_sub_f32 v100, v101, v100 :: v_dual_mul_f32 v13, v98, v13
	v_add_f32_e32 v13, v100, v13
	s_delay_alu instid0(VALU_DEP_1) | instskip(NEXT) | instid1(VALU_DEP_1)
	v_add_f32_e32 v98, v99, v13
	v_mul_f32_e32 v100, v98, v98
	s_delay_alu instid0(VALU_DEP_1) | instskip(SKIP_1) | instid1(VALU_DEP_2)
	v_fmaak_f32 v101, s83, v100, 0x3ecc95a3
	v_mul_f32_e32 v102, v98, v100
	v_fmaak_f32 v100, v100, v101, 0x3f2aaada
	v_ldexp_f32 v101, v98, 1
	v_sub_f32_e32 v98, v98, v99
	s_delay_alu instid0(VALU_DEP_3) | instskip(NEXT) | instid1(VALU_DEP_2)
	v_mul_f32_e32 v100, v102, v100
	v_dual_mul_f32 v102, 0x3f317218, v12 :: v_dual_sub_f32 v13, v13, v98
	s_delay_alu instid0(VALU_DEP_2) | instskip(NEXT) | instid1(VALU_DEP_2)
	v_add_f32_e32 v99, v101, v100
	v_ldexp_f32 v13, v13, 1
	s_delay_alu instid0(VALU_DEP_2) | instskip(NEXT) | instid1(VALU_DEP_4)
	v_sub_f32_e32 v98, v99, v101
	v_fma_f32 v101, 0x3f317218, v12, -v102
	s_delay_alu instid0(VALU_DEP_1) | instskip(NEXT) | instid1(VALU_DEP_1)
	v_dual_sub_f32 v98, v100, v98 :: v_dual_fmac_f32 v101, 0xb102e308, v12
	v_add_f32_e32 v12, v13, v98
	s_delay_alu instid0(VALU_DEP_1) | instskip(NEXT) | instid1(VALU_DEP_1)
	v_add_f32_e32 v98, v99, v12
	v_sub_f32_e32 v99, v98, v99
	s_delay_alu instid0(VALU_DEP_1) | instskip(NEXT) | instid1(VALU_DEP_1)
	v_dual_sub_f32 v12, v12, v99 :: v_dual_add_f32 v13, v102, v101
	v_add_f32_e32 v100, v13, v98
	s_delay_alu instid0(VALU_DEP_1) | instskip(NEXT) | instid1(VALU_DEP_1)
	v_dual_sub_f32 v102, v13, v102 :: v_dual_sub_f32 v103, v100, v13
	v_dual_sub_f32 v101, v101, v102 :: v_dual_sub_f32 v104, v100, v103
	s_delay_alu instid0(VALU_DEP_1) | instskip(NEXT) | instid1(VALU_DEP_2)
	v_dual_sub_f32 v98, v98, v103 :: v_dual_add_f32 v99, v101, v12
	v_sub_f32_e32 v13, v13, v104
	s_delay_alu instid0(VALU_DEP_1) | instskip(NEXT) | instid1(VALU_DEP_3)
	v_add_f32_e32 v13, v98, v13
	v_sub_f32_e32 v98, v99, v101
	s_delay_alu instid0(VALU_DEP_2) | instskip(NEXT) | instid1(VALU_DEP_2)
	v_add_f32_e32 v13, v99, v13
	v_sub_f32_e32 v99, v99, v98
	v_sub_f32_e32 v12, v12, v98
	s_delay_alu instid0(VALU_DEP_2) | instskip(NEXT) | instid1(VALU_DEP_1)
	v_dual_add_f32 v102, v100, v13 :: v_dual_sub_f32 v99, v101, v99
	v_sub_f32_e32 v98, v102, v100
	s_delay_alu instid0(VALU_DEP_1) | instskip(NEXT) | instid1(VALU_DEP_1)
	v_dual_add_f32 v12, v12, v99 :: v_dual_sub_f32 v13, v13, v98
	v_add_f32_e32 v12, v12, v13
	s_delay_alu instid0(VALU_DEP_1) | instskip(NEXT) | instid1(VALU_DEP_1)
	v_add_f32_e32 v12, v102, v12
	v_cndmask_b32_e32 v98, v12, v17, vcc_lo
.LBB85_84:                              ;   in Loop: Header=BB85_12 Depth=1
	s_or_b32 exec_lo, exec_lo, s29
	v_lshrrev_b32_e32 v12, 16, v14
	s_delay_alu instid0(VALU_DEP_1) | instskip(NEXT) | instid1(VALU_DEP_1)
	v_cvt_f32_f16_e32 v12, v12
	v_add_f32_e32 v99, s68, v12
	s_delay_alu instid0(VALU_DEP_1) | instskip(SKIP_1) | instid1(SALU_CYCLE_1)
	v_cmp_ge_f32_e32 vcc_lo, 0x41a00000, v99
	s_and_b32 s28, s79, vcc_lo
	s_and_saveexec_b32 s29, s28
	s_cbranch_execz .LBB85_86
; %bb.85:                               ;   in Loop: Header=BB85_12 Depth=1
	v_mul_f32_e32 v12, 0x3fb8aa3b, v99
	v_cmp_ngt_f32_e32 vcc_lo, 0xc2ce8ed0, v99
	s_delay_alu instid0(VALU_DEP_2) | instskip(SKIP_1) | instid1(VALU_DEP_2)
	v_rndne_f32_e32 v13, v12
	v_fma_f32 v14, 0x3fb8aa3b, v99, -v12
	v_sub_f32_e32 v12, v12, v13
	s_delay_alu instid0(VALU_DEP_2) | instskip(SKIP_1) | instid1(VALU_DEP_2)
	v_fmac_f32_e32 v14, 0x32a5705f, v99
	v_cvt_i32_f32_e32 v13, v13
	v_add_f32_e32 v12, v12, v14
	s_delay_alu instid0(VALU_DEP_1) | instskip(SKIP_2) | instid1(VALU_DEP_1)
	v_exp_f32_e32 v12, v12
	s_waitcnt_depctr 0xfff
	v_ldexp_f32 v12, v12, v13
	v_cndmask_b32_e32 v12, 0, v12, vcc_lo
	v_cmp_nlt_f32_e32 vcc_lo, 0x42b17218, v99
	s_delay_alu instid0(VALU_DEP_2) | instskip(NEXT) | instid1(VALU_DEP_1)
	v_cndmask_b32_e32 v14, 0x7f800000, v12, vcc_lo
	v_add_f32_e32 v17, 1.0, v14
	s_delay_alu instid0(VALU_DEP_1) | instskip(NEXT) | instid1(VALU_DEP_1)
	v_cvt_f64_f32_e32 v[12:13], v17
	v_frexp_exp_i32_f64_e32 v12, v[12:13]
	v_frexp_mant_f32_e32 v13, v17
	s_delay_alu instid0(VALU_DEP_1) | instskip(SKIP_1) | instid1(VALU_DEP_1)
	v_cmp_gt_f32_e32 vcc_lo, 0x3f2aaaab, v13
	v_add_f32_e32 v13, -1.0, v17
	v_sub_f32_e32 v100, v13, v17
	v_sub_f32_e32 v13, v14, v13
	v_subrev_co_ci_u32_e32 v12, vcc_lo, 0, v12, vcc_lo
	s_delay_alu instid0(VALU_DEP_1) | instskip(SKIP_1) | instid1(VALU_DEP_2)
	v_sub_nc_u32_e32 v99, 0, v12
	v_cvt_f32_i32_e32 v12, v12
	v_ldexp_f32 v17, v17, v99
	s_delay_alu instid0(VALU_DEP_1) | instskip(NEXT) | instid1(VALU_DEP_1)
	v_dual_add_f32 v100, 1.0, v100 :: v_dual_add_f32 v101, 1.0, v17
	v_dual_add_f32 v13, v13, v100 :: v_dual_add_f32 v100, -1.0, v101
	s_delay_alu instid0(VALU_DEP_1) | instskip(SKIP_4) | instid1(VALU_DEP_4)
	v_ldexp_f32 v13, v13, v99
	v_add_f32_e32 v99, -1.0, v17
	v_cmp_eq_f32_e32 vcc_lo, 0x7f800000, v14
	v_cmp_gt_f32_e64 s28, 0x33800000, v14
	v_sub_f32_e32 v100, v17, v100
	v_add_f32_e32 v102, 1.0, v99
	s_delay_alu instid0(VALU_DEP_3) | instskip(NEXT) | instid1(VALU_DEP_2)
	s_or_b32 vcc_lo, s28, vcc_lo
	v_add_f32_e32 v100, v13, v100
	s_delay_alu instid0(VALU_DEP_2) | instskip(NEXT) | instid1(VALU_DEP_1)
	v_sub_f32_e32 v17, v17, v102
	v_add_f32_e32 v13, v13, v17
	s_delay_alu instid0(VALU_DEP_1) | instskip(NEXT) | instid1(VALU_DEP_1)
	v_dual_add_f32 v103, v99, v13 :: v_dual_add_f32 v102, v101, v100
	v_sub_f32_e32 v99, v99, v103
	s_delay_alu instid0(VALU_DEP_2) | instskip(SKIP_1) | instid1(VALU_DEP_1)
	v_rcp_f32_e32 v17, v102
	v_sub_f32_e32 v101, v101, v102
	v_dual_add_f32 v13, v13, v99 :: v_dual_add_f32 v100, v100, v101
	s_waitcnt_depctr 0xfff
	v_mul_f32_e32 v104, v103, v17
	s_delay_alu instid0(VALU_DEP_1) | instskip(NEXT) | instid1(VALU_DEP_1)
	v_mul_f32_e32 v105, v102, v104
	v_fma_f32 v101, v104, v102, -v105
	s_delay_alu instid0(VALU_DEP_1) | instskip(NEXT) | instid1(VALU_DEP_1)
	v_fmac_f32_e32 v101, v104, v100
	v_add_f32_e32 v106, v105, v101
	s_delay_alu instid0(VALU_DEP_1) | instskip(NEXT) | instid1(VALU_DEP_1)
	v_sub_f32_e32 v107, v103, v106
	v_sub_f32_e32 v103, v103, v107
	;; [unrolled: 1-line block ×3, first 2 shown]
	s_delay_alu instid0(VALU_DEP_2) | instskip(NEXT) | instid1(VALU_DEP_2)
	v_sub_f32_e32 v103, v103, v106
	v_sub_f32_e32 v99, v99, v101
	s_delay_alu instid0(VALU_DEP_2) | instskip(NEXT) | instid1(VALU_DEP_1)
	v_add_f32_e32 v13, v13, v103
	v_add_f32_e32 v13, v99, v13
	s_delay_alu instid0(VALU_DEP_1) | instskip(NEXT) | instid1(VALU_DEP_1)
	v_add_f32_e32 v99, v107, v13
	v_mul_f32_e32 v101, v17, v99
	s_delay_alu instid0(VALU_DEP_1) | instskip(NEXT) | instid1(VALU_DEP_1)
	v_dual_sub_f32 v106, v107, v99 :: v_dual_mul_f32 v103, v102, v101
	v_add_f32_e32 v13, v13, v106
	s_delay_alu instid0(VALU_DEP_2) | instskip(NEXT) | instid1(VALU_DEP_1)
	v_fma_f32 v102, v101, v102, -v103
	v_fmac_f32_e32 v102, v101, v100
	s_delay_alu instid0(VALU_DEP_1) | instskip(NEXT) | instid1(VALU_DEP_1)
	v_add_f32_e32 v100, v103, v102
	v_sub_f32_e32 v105, v99, v100
	v_sub_f32_e32 v103, v100, v103
	s_delay_alu instid0(VALU_DEP_2) | instskip(NEXT) | instid1(VALU_DEP_1)
	v_sub_f32_e32 v99, v99, v105
	v_sub_f32_e32 v99, v99, v100
	s_delay_alu instid0(VALU_DEP_1) | instskip(SKIP_1) | instid1(VALU_DEP_1)
	v_dual_sub_f32 v100, v103, v102 :: v_dual_add_f32 v13, v13, v99
	v_add_f32_e32 v99, v104, v101
	v_dual_add_f32 v13, v100, v13 :: v_dual_sub_f32 v100, v99, v104
	s_delay_alu instid0(VALU_DEP_1) | instskip(NEXT) | instid1(VALU_DEP_2)
	v_add_f32_e32 v13, v105, v13
	v_sub_f32_e32 v100, v101, v100
	s_delay_alu instid0(VALU_DEP_2) | instskip(NEXT) | instid1(VALU_DEP_1)
	v_mul_f32_e32 v13, v17, v13
	v_add_f32_e32 v13, v100, v13
	s_delay_alu instid0(VALU_DEP_1) | instskip(NEXT) | instid1(VALU_DEP_1)
	v_add_f32_e32 v17, v99, v13
	v_mul_f32_e32 v100, v17, v17
	s_delay_alu instid0(VALU_DEP_1) | instskip(SKIP_1) | instid1(VALU_DEP_2)
	v_fmaak_f32 v101, s83, v100, 0x3ecc95a3
	v_mul_f32_e32 v102, v17, v100
	v_fmaak_f32 v100, v100, v101, 0x3f2aaada
	v_ldexp_f32 v101, v17, 1
	s_delay_alu instid0(VALU_DEP_2) | instskip(NEXT) | instid1(VALU_DEP_1)
	v_dual_sub_f32 v17, v17, v99 :: v_dual_mul_f32 v100, v102, v100
	v_dual_mul_f32 v102, 0x3f317218, v12 :: v_dual_sub_f32 v13, v13, v17
	s_delay_alu instid0(VALU_DEP_2) | instskip(NEXT) | instid1(VALU_DEP_2)
	v_add_f32_e32 v99, v101, v100
	v_ldexp_f32 v13, v13, 1
	s_delay_alu instid0(VALU_DEP_2) | instskip(NEXT) | instid1(VALU_DEP_4)
	v_sub_f32_e32 v17, v99, v101
	v_fma_f32 v101, 0x3f317218, v12, -v102
	s_delay_alu instid0(VALU_DEP_2) | instskip(NEXT) | instid1(VALU_DEP_1)
	v_sub_f32_e32 v17, v100, v17
	v_dual_fmac_f32 v101, 0xb102e308, v12 :: v_dual_add_f32 v12, v13, v17
	s_delay_alu instid0(VALU_DEP_1) | instskip(NEXT) | instid1(VALU_DEP_1)
	v_add_f32_e32 v13, v102, v101
	v_dual_add_f32 v17, v99, v12 :: v_dual_sub_f32 v102, v13, v102
	s_delay_alu instid0(VALU_DEP_1) | instskip(SKIP_1) | instid1(VALU_DEP_3)
	v_add_f32_e32 v100, v13, v17
	v_sub_f32_e32 v99, v17, v99
	v_sub_f32_e32 v101, v101, v102
	s_delay_alu instid0(VALU_DEP_3) | instskip(NEXT) | instid1(VALU_DEP_3)
	v_sub_f32_e32 v103, v100, v13
	v_sub_f32_e32 v12, v12, v99
	s_delay_alu instid0(VALU_DEP_2) | instskip(SKIP_1) | instid1(VALU_DEP_3)
	v_sub_f32_e32 v104, v100, v103
	v_sub_f32_e32 v17, v17, v103
	v_add_f32_e32 v99, v101, v12
	s_delay_alu instid0(VALU_DEP_3) | instskip(NEXT) | instid1(VALU_DEP_1)
	v_sub_f32_e32 v13, v13, v104
	v_add_f32_e32 v13, v17, v13
	s_delay_alu instid0(VALU_DEP_3) | instskip(NEXT) | instid1(VALU_DEP_2)
	v_sub_f32_e32 v17, v99, v101
	v_add_f32_e32 v13, v99, v13
	s_delay_alu instid0(VALU_DEP_2) | instskip(SKIP_1) | instid1(VALU_DEP_2)
	v_sub_f32_e32 v99, v99, v17
	v_sub_f32_e32 v12, v12, v17
	v_dual_add_f32 v102, v100, v13 :: v_dual_sub_f32 v99, v101, v99
	s_delay_alu instid0(VALU_DEP_1) | instskip(NEXT) | instid1(VALU_DEP_1)
	v_dual_sub_f32 v17, v102, v100 :: v_dual_add_f32 v12, v12, v99
	v_sub_f32_e32 v13, v13, v17
	s_delay_alu instid0(VALU_DEP_1) | instskip(NEXT) | instid1(VALU_DEP_1)
	v_add_f32_e32 v12, v12, v13
	v_add_f32_e32 v12, v102, v12
	s_delay_alu instid0(VALU_DEP_1)
	v_cndmask_b32_e32 v99, v12, v14, vcc_lo
.LBB85_86:                              ;   in Loop: Header=BB85_12 Depth=1
	s_or_b32 exec_lo, exec_lo, s29
	v_cvt_f32_f16_e32 v12, v15
	s_delay_alu instid0(VALU_DEP_1) | instskip(NEXT) | instid1(VALU_DEP_1)
	v_add_f32_e32 v100, s68, v12
	v_cmp_ge_f32_e32 vcc_lo, 0x41a00000, v100
	s_and_b32 s28, s79, vcc_lo
	s_delay_alu instid0(SALU_CYCLE_1)
	s_and_saveexec_b32 s29, s28
	s_cbranch_execz .LBB85_88
; %bb.87:                               ;   in Loop: Header=BB85_12 Depth=1
	v_mul_f32_e32 v12, 0x3fb8aa3b, v100
	v_cmp_ngt_f32_e32 vcc_lo, 0xc2ce8ed0, v100
	s_delay_alu instid0(VALU_DEP_2) | instskip(SKIP_1) | instid1(VALU_DEP_2)
	v_rndne_f32_e32 v13, v12
	v_fma_f32 v14, 0x3fb8aa3b, v100, -v12
	v_sub_f32_e32 v12, v12, v13
	s_delay_alu instid0(VALU_DEP_2) | instskip(SKIP_1) | instid1(VALU_DEP_2)
	v_fmac_f32_e32 v14, 0x32a5705f, v100
	v_cvt_i32_f32_e32 v13, v13
	v_add_f32_e32 v12, v12, v14
	s_delay_alu instid0(VALU_DEP_1) | instskip(SKIP_2) | instid1(VALU_DEP_1)
	v_exp_f32_e32 v12, v12
	s_waitcnt_depctr 0xfff
	v_ldexp_f32 v12, v12, v13
	v_cndmask_b32_e32 v12, 0, v12, vcc_lo
	v_cmp_nlt_f32_e32 vcc_lo, 0x42b17218, v100
	s_delay_alu instid0(VALU_DEP_2) | instskip(NEXT) | instid1(VALU_DEP_1)
	v_cndmask_b32_e32 v14, 0x7f800000, v12, vcc_lo
	v_add_f32_e32 v17, 1.0, v14
	s_delay_alu instid0(VALU_DEP_1) | instskip(NEXT) | instid1(VALU_DEP_1)
	v_cvt_f64_f32_e32 v[12:13], v17
	v_frexp_exp_i32_f64_e32 v12, v[12:13]
	v_frexp_mant_f32_e32 v13, v17
	s_delay_alu instid0(VALU_DEP_1) | instskip(SKIP_1) | instid1(VALU_DEP_1)
	v_cmp_gt_f32_e32 vcc_lo, 0x3f2aaaab, v13
	v_add_f32_e32 v13, -1.0, v17
	v_sub_f32_e32 v101, v13, v17
	s_delay_alu instid0(VALU_DEP_1) | instskip(SKIP_2) | instid1(VALU_DEP_2)
	v_add_f32_e32 v101, 1.0, v101
	v_sub_f32_e32 v13, v14, v13
	v_cmp_gt_f32_e64 s28, 0x33800000, v14
	v_add_f32_e32 v13, v13, v101
	v_subrev_co_ci_u32_e32 v12, vcc_lo, 0, v12, vcc_lo
	v_cmp_eq_f32_e32 vcc_lo, 0x7f800000, v14
	s_delay_alu instid0(VALU_DEP_2) | instskip(SKIP_2) | instid1(VALU_DEP_2)
	v_sub_nc_u32_e32 v100, 0, v12
	v_cvt_f32_i32_e32 v12, v12
	s_or_b32 vcc_lo, s28, vcc_lo
	v_ldexp_f32 v17, v17, v100
	v_ldexp_f32 v13, v13, v100
	s_delay_alu instid0(VALU_DEP_2) | instskip(NEXT) | instid1(VALU_DEP_1)
	v_add_f32_e32 v100, -1.0, v17
	v_dual_add_f32 v102, 1.0, v17 :: v_dual_add_f32 v103, 1.0, v100
	s_delay_alu instid0(VALU_DEP_1) | instskip(NEXT) | instid1(VALU_DEP_1)
	v_add_f32_e32 v101, -1.0, v102
	v_sub_f32_e32 v101, v17, v101
	s_delay_alu instid0(VALU_DEP_3) | instskip(NEXT) | instid1(VALU_DEP_2)
	v_sub_f32_e32 v17, v17, v103
	v_add_f32_e32 v101, v13, v101
	s_delay_alu instid0(VALU_DEP_2) | instskip(NEXT) | instid1(VALU_DEP_1)
	v_add_f32_e32 v13, v13, v17
	v_add_f32_e32 v104, v100, v13
	s_delay_alu instid0(VALU_DEP_1) | instskip(NEXT) | instid1(VALU_DEP_1)
	v_dual_sub_f32 v100, v100, v104 :: v_dual_add_f32 v103, v102, v101
	v_add_f32_e32 v13, v13, v100
	s_delay_alu instid0(VALU_DEP_2) | instskip(SKIP_1) | instid1(VALU_DEP_1)
	v_rcp_f32_e32 v17, v103
	v_sub_f32_e32 v102, v102, v103
	v_add_f32_e32 v101, v101, v102
	s_waitcnt_depctr 0xfff
	v_mul_f32_e32 v105, v104, v17
	s_delay_alu instid0(VALU_DEP_1) | instskip(NEXT) | instid1(VALU_DEP_1)
	v_mul_f32_e32 v106, v103, v105
	v_fma_f32 v102, v105, v103, -v106
	s_delay_alu instid0(VALU_DEP_1) | instskip(NEXT) | instid1(VALU_DEP_1)
	v_fmac_f32_e32 v102, v105, v101
	v_add_f32_e32 v107, v106, v102
	s_delay_alu instid0(VALU_DEP_1) | instskip(SKIP_1) | instid1(VALU_DEP_2)
	v_sub_f32_e32 v108, v104, v107
	v_sub_f32_e32 v100, v107, v106
	;; [unrolled: 1-line block ×3, first 2 shown]
	s_delay_alu instid0(VALU_DEP_1) | instskip(NEXT) | instid1(VALU_DEP_1)
	v_sub_f32_e32 v104, v104, v107
	v_dual_sub_f32 v100, v100, v102 :: v_dual_add_f32 v13, v13, v104
	s_delay_alu instid0(VALU_DEP_1) | instskip(NEXT) | instid1(VALU_DEP_1)
	v_add_f32_e32 v13, v100, v13
	v_add_f32_e32 v100, v108, v13
	s_delay_alu instid0(VALU_DEP_1) | instskip(NEXT) | instid1(VALU_DEP_1)
	v_mul_f32_e32 v102, v17, v100
	v_dual_sub_f32 v107, v108, v100 :: v_dual_mul_f32 v104, v103, v102
	s_delay_alu instid0(VALU_DEP_1) | instskip(NEXT) | instid1(VALU_DEP_2)
	v_add_f32_e32 v13, v13, v107
	v_fma_f32 v103, v102, v103, -v104
	s_delay_alu instid0(VALU_DEP_1) | instskip(NEXT) | instid1(VALU_DEP_1)
	v_fmac_f32_e32 v103, v102, v101
	v_add_f32_e32 v101, v104, v103
	s_delay_alu instid0(VALU_DEP_1) | instskip(NEXT) | instid1(VALU_DEP_1)
	v_sub_f32_e32 v106, v100, v101
	v_sub_f32_e32 v100, v100, v106
	s_delay_alu instid0(VALU_DEP_1) | instskip(NEXT) | instid1(VALU_DEP_1)
	v_sub_f32_e32 v100, v100, v101
	v_add_f32_e32 v13, v13, v100
	v_add_f32_e32 v100, v105, v102
	v_sub_f32_e32 v104, v101, v104
	s_delay_alu instid0(VALU_DEP_1) | instskip(NEXT) | instid1(VALU_DEP_1)
	v_sub_f32_e32 v101, v104, v103
	v_add_f32_e32 v13, v101, v13
	s_delay_alu instid0(VALU_DEP_4) | instskip(NEXT) | instid1(VALU_DEP_2)
	v_sub_f32_e32 v101, v100, v105
	v_add_f32_e32 v13, v106, v13
	s_delay_alu instid0(VALU_DEP_2) | instskip(NEXT) | instid1(VALU_DEP_2)
	v_sub_f32_e32 v101, v102, v101
	v_mul_f32_e32 v13, v17, v13
	s_delay_alu instid0(VALU_DEP_1) | instskip(NEXT) | instid1(VALU_DEP_1)
	v_add_f32_e32 v13, v101, v13
	v_add_f32_e32 v17, v100, v13
	s_delay_alu instid0(VALU_DEP_1) | instskip(NEXT) | instid1(VALU_DEP_1)
	v_mul_f32_e32 v101, v17, v17
	v_fmaak_f32 v102, s83, v101, 0x3ecc95a3
	v_mul_f32_e32 v103, v17, v101
	s_delay_alu instid0(VALU_DEP_2) | instskip(SKIP_1) | instid1(VALU_DEP_2)
	v_fmaak_f32 v101, v101, v102, 0x3f2aaada
	v_ldexp_f32 v102, v17, 1
	v_mul_f32_e32 v101, v103, v101
	s_delay_alu instid0(VALU_DEP_1) | instskip(NEXT) | instid1(VALU_DEP_1)
	v_dual_sub_f32 v17, v17, v100 :: v_dual_add_f32 v100, v102, v101
	v_sub_f32_e32 v13, v13, v17
	s_delay_alu instid0(VALU_DEP_2) | instskip(NEXT) | instid1(VALU_DEP_2)
	v_sub_f32_e32 v17, v100, v102
	v_ldexp_f32 v13, v13, 1
	s_delay_alu instid0(VALU_DEP_2) | instskip(SKIP_1) | instid1(VALU_DEP_1)
	v_sub_f32_e32 v17, v101, v17
	v_mul_f32_e32 v103, 0x3f317218, v12
	v_fma_f32 v102, 0x3f317218, v12, -v103
	s_delay_alu instid0(VALU_DEP_1) | instskip(NEXT) | instid1(VALU_DEP_1)
	v_fmac_f32_e32 v102, 0xb102e308, v12
	v_dual_add_f32 v12, v13, v17 :: v_dual_add_f32 v13, v103, v102
	s_delay_alu instid0(VALU_DEP_1) | instskip(NEXT) | instid1(VALU_DEP_1)
	v_add_f32_e32 v17, v100, v12
	v_add_f32_e32 v101, v13, v17
	v_sub_f32_e32 v100, v17, v100
	s_delay_alu instid0(VALU_DEP_2) | instskip(NEXT) | instid1(VALU_DEP_2)
	v_sub_f32_e32 v104, v101, v13
	v_dual_sub_f32 v12, v12, v100 :: v_dual_sub_f32 v103, v13, v103
	s_delay_alu instid0(VALU_DEP_2) | instskip(NEXT) | instid1(VALU_DEP_2)
	v_sub_f32_e32 v105, v101, v104
	v_dual_sub_f32 v17, v17, v104 :: v_dual_sub_f32 v102, v102, v103
	s_delay_alu instid0(VALU_DEP_1) | instskip(NEXT) | instid1(VALU_DEP_1)
	v_dual_sub_f32 v13, v13, v105 :: v_dual_add_f32 v100, v102, v12
	v_add_f32_e32 v13, v17, v13
	s_delay_alu instid0(VALU_DEP_2) | instskip(NEXT) | instid1(VALU_DEP_2)
	v_sub_f32_e32 v17, v100, v102
	v_add_f32_e32 v13, v100, v13
	s_delay_alu instid0(VALU_DEP_2) | instskip(SKIP_1) | instid1(VALU_DEP_2)
	v_sub_f32_e32 v100, v100, v17
	v_sub_f32_e32 v12, v12, v17
	v_dual_add_f32 v103, v101, v13 :: v_dual_sub_f32 v100, v102, v100
	s_delay_alu instid0(VALU_DEP_1) | instskip(NEXT) | instid1(VALU_DEP_1)
	v_dual_sub_f32 v17, v103, v101 :: v_dual_add_f32 v12, v12, v100
	v_sub_f32_e32 v13, v13, v17
	s_delay_alu instid0(VALU_DEP_1) | instskip(NEXT) | instid1(VALU_DEP_1)
	v_add_f32_e32 v12, v12, v13
	v_add_f32_e32 v12, v103, v12
	s_delay_alu instid0(VALU_DEP_1)
	v_cndmask_b32_e32 v100, v12, v14, vcc_lo
.LBB85_88:                              ;   in Loop: Header=BB85_12 Depth=1
	s_or_b32 exec_lo, exec_lo, s29
	v_lshrrev_b32_e32 v12, 16, v15
	s_delay_alu instid0(VALU_DEP_1) | instskip(NEXT) | instid1(VALU_DEP_1)
	v_cvt_f32_f16_e32 v12, v12
	v_add_f32_e32 v101, s68, v12
	s_delay_alu instid0(VALU_DEP_1) | instskip(SKIP_1) | instid1(SALU_CYCLE_1)
	v_cmp_ge_f32_e32 vcc_lo, 0x41a00000, v101
	s_and_b32 s28, s79, vcc_lo
	s_and_saveexec_b32 s29, s28
	s_cbranch_execz .LBB85_90
; %bb.89:                               ;   in Loop: Header=BB85_12 Depth=1
	v_mul_f32_e32 v12, 0x3fb8aa3b, v101
	v_cmp_ngt_f32_e32 vcc_lo, 0xc2ce8ed0, v101
	s_delay_alu instid0(VALU_DEP_2) | instskip(SKIP_1) | instid1(VALU_DEP_2)
	v_rndne_f32_e32 v13, v12
	v_fma_f32 v14, 0x3fb8aa3b, v101, -v12
	v_sub_f32_e32 v12, v12, v13
	s_delay_alu instid0(VALU_DEP_2) | instskip(SKIP_1) | instid1(VALU_DEP_2)
	v_fmac_f32_e32 v14, 0x32a5705f, v101
	v_cvt_i32_f32_e32 v13, v13
	v_add_f32_e32 v12, v12, v14
	s_delay_alu instid0(VALU_DEP_1) | instskip(SKIP_2) | instid1(VALU_DEP_1)
	v_exp_f32_e32 v12, v12
	s_waitcnt_depctr 0xfff
	v_ldexp_f32 v12, v12, v13
	v_cndmask_b32_e32 v12, 0, v12, vcc_lo
	v_cmp_nlt_f32_e32 vcc_lo, 0x42b17218, v101
	s_delay_alu instid0(VALU_DEP_2) | instskip(NEXT) | instid1(VALU_DEP_1)
	v_cndmask_b32_e32 v14, 0x7f800000, v12, vcc_lo
	v_add_f32_e32 v15, 1.0, v14
	s_delay_alu instid0(VALU_DEP_1) | instskip(NEXT) | instid1(VALU_DEP_1)
	v_cvt_f64_f32_e32 v[12:13], v15
	v_frexp_exp_i32_f64_e32 v12, v[12:13]
	v_frexp_mant_f32_e32 v13, v15
	s_delay_alu instid0(VALU_DEP_1) | instskip(SKIP_1) | instid1(VALU_DEP_1)
	v_cmp_gt_f32_e32 vcc_lo, 0x3f2aaaab, v13
	v_add_f32_e32 v13, -1.0, v15
	v_sub_f32_e32 v101, v13, v15
	v_sub_f32_e32 v13, v14, v13
	s_delay_alu instid0(VALU_DEP_2) | instskip(NEXT) | instid1(VALU_DEP_1)
	v_add_f32_e32 v101, 1.0, v101
	v_add_f32_e32 v13, v13, v101
	v_cmp_gt_f32_e64 s28, 0x33800000, v14
	v_subrev_co_ci_u32_e32 v12, vcc_lo, 0, v12, vcc_lo
	v_cmp_eq_f32_e32 vcc_lo, 0x7f800000, v14
	s_delay_alu instid0(VALU_DEP_2) | instskip(SKIP_2) | instid1(VALU_DEP_2)
	v_sub_nc_u32_e32 v17, 0, v12
	v_cvt_f32_i32_e32 v12, v12
	s_or_b32 vcc_lo, s28, vcc_lo
	v_ldexp_f32 v15, v15, v17
	v_ldexp_f32 v13, v13, v17
	s_delay_alu instid0(VALU_DEP_2) | instskip(SKIP_1) | instid1(VALU_DEP_2)
	v_add_f32_e32 v102, 1.0, v15
	v_add_f32_e32 v17, -1.0, v15
	v_add_f32_e32 v101, -1.0, v102
	s_delay_alu instid0(VALU_DEP_2) | instskip(NEXT) | instid1(VALU_DEP_2)
	v_add_f32_e32 v103, 1.0, v17
	v_sub_f32_e32 v101, v15, v101
	s_delay_alu instid0(VALU_DEP_2) | instskip(NEXT) | instid1(VALU_DEP_2)
	v_sub_f32_e32 v15, v15, v103
	v_add_f32_e32 v101, v13, v101
	s_delay_alu instid0(VALU_DEP_2) | instskip(NEXT) | instid1(VALU_DEP_1)
	v_add_f32_e32 v13, v13, v15
	v_add_f32_e32 v104, v17, v13
	s_delay_alu instid0(VALU_DEP_3) | instskip(NEXT) | instid1(VALU_DEP_1)
	v_add_f32_e32 v103, v102, v101
	v_rcp_f32_e32 v15, v103
	v_sub_f32_e32 v102, v102, v103
	s_delay_alu instid0(VALU_DEP_1) | instskip(SKIP_2) | instid1(VALU_DEP_1)
	v_add_f32_e32 v101, v101, v102
	s_waitcnt_depctr 0xfff
	v_mul_f32_e32 v105, v104, v15
	v_dual_mul_f32 v106, v103, v105 :: v_dual_sub_f32 v17, v17, v104
	s_delay_alu instid0(VALU_DEP_1) | instskip(NEXT) | instid1(VALU_DEP_2)
	v_fma_f32 v102, v105, v103, -v106
	v_add_f32_e32 v13, v13, v17
	s_delay_alu instid0(VALU_DEP_2) | instskip(NEXT) | instid1(VALU_DEP_1)
	v_fmac_f32_e32 v102, v105, v101
	v_add_f32_e32 v107, v106, v102
	s_delay_alu instid0(VALU_DEP_1) | instskip(NEXT) | instid1(VALU_DEP_1)
	v_dual_sub_f32 v108, v104, v107 :: v_dual_sub_f32 v17, v107, v106
	v_dual_sub_f32 v104, v104, v108 :: v_dual_sub_f32 v17, v17, v102
	s_delay_alu instid0(VALU_DEP_1) | instskip(NEXT) | instid1(VALU_DEP_1)
	v_sub_f32_e32 v104, v104, v107
	v_add_f32_e32 v13, v13, v104
	s_delay_alu instid0(VALU_DEP_1) | instskip(NEXT) | instid1(VALU_DEP_1)
	v_add_f32_e32 v13, v17, v13
	v_add_f32_e32 v17, v108, v13
	s_delay_alu instid0(VALU_DEP_1) | instskip(NEXT) | instid1(VALU_DEP_1)
	v_mul_f32_e32 v102, v15, v17
	v_dual_sub_f32 v107, v108, v17 :: v_dual_mul_f32 v104, v103, v102
	s_delay_alu instid0(VALU_DEP_1) | instskip(NEXT) | instid1(VALU_DEP_2)
	v_add_f32_e32 v13, v13, v107
	v_fma_f32 v103, v102, v103, -v104
	s_delay_alu instid0(VALU_DEP_1) | instskip(NEXT) | instid1(VALU_DEP_1)
	v_fmac_f32_e32 v103, v102, v101
	v_add_f32_e32 v101, v104, v103
	s_delay_alu instid0(VALU_DEP_1) | instskip(SKIP_1) | instid1(VALU_DEP_2)
	v_sub_f32_e32 v106, v17, v101
	v_sub_f32_e32 v104, v101, v104
	;; [unrolled: 1-line block ×3, first 2 shown]
	s_delay_alu instid0(VALU_DEP_1) | instskip(NEXT) | instid1(VALU_DEP_3)
	v_sub_f32_e32 v17, v17, v101
	v_sub_f32_e32 v101, v104, v103
	s_delay_alu instid0(VALU_DEP_2) | instskip(SKIP_1) | instid1(VALU_DEP_2)
	v_add_f32_e32 v13, v13, v17
	v_add_f32_e32 v17, v105, v102
	;; [unrolled: 1-line block ×3, first 2 shown]
	s_delay_alu instid0(VALU_DEP_2) | instskip(NEXT) | instid1(VALU_DEP_2)
	v_sub_f32_e32 v101, v17, v105
	v_add_f32_e32 v13, v106, v13
	s_delay_alu instid0(VALU_DEP_2) | instskip(NEXT) | instid1(VALU_DEP_2)
	v_sub_f32_e32 v101, v102, v101
	v_mul_f32_e32 v13, v15, v13
	s_delay_alu instid0(VALU_DEP_1) | instskip(NEXT) | instid1(VALU_DEP_1)
	v_add_f32_e32 v13, v101, v13
	v_add_f32_e32 v15, v17, v13
	s_delay_alu instid0(VALU_DEP_1) | instskip(NEXT) | instid1(VALU_DEP_1)
	v_mul_f32_e32 v101, v15, v15
	v_fmaak_f32 v102, s83, v101, 0x3ecc95a3
	v_mul_f32_e32 v103, v15, v101
	s_delay_alu instid0(VALU_DEP_2) | instskip(SKIP_2) | instid1(VALU_DEP_3)
	v_fmaak_f32 v101, v101, v102, 0x3f2aaada
	v_ldexp_f32 v102, v15, 1
	v_sub_f32_e32 v15, v15, v17
	v_mul_f32_e32 v101, v103, v101
	v_mul_f32_e32 v103, 0x3f317218, v12
	s_delay_alu instid0(VALU_DEP_3) | instskip(NEXT) | instid1(VALU_DEP_3)
	v_sub_f32_e32 v13, v13, v15
	v_add_f32_e32 v17, v102, v101
	s_delay_alu instid0(VALU_DEP_2) | instskip(NEXT) | instid1(VALU_DEP_2)
	v_ldexp_f32 v13, v13, 1
	v_sub_f32_e32 v15, v17, v102
	v_fma_f32 v102, 0x3f317218, v12, -v103
	s_delay_alu instid0(VALU_DEP_1) | instskip(NEXT) | instid1(VALU_DEP_1)
	v_dual_sub_f32 v15, v101, v15 :: v_dual_fmac_f32 v102, 0xb102e308, v12
	v_dual_add_f32 v12, v13, v15 :: v_dual_add_f32 v13, v103, v102
	s_delay_alu instid0(VALU_DEP_1) | instskip(NEXT) | instid1(VALU_DEP_1)
	v_add_f32_e32 v15, v17, v12
	v_add_f32_e32 v101, v13, v15
	v_sub_f32_e32 v17, v15, v17
	s_delay_alu instid0(VALU_DEP_2) | instskip(NEXT) | instid1(VALU_DEP_2)
	v_sub_f32_e32 v104, v101, v13
	v_dual_sub_f32 v103, v13, v103 :: v_dual_sub_f32 v12, v12, v17
	s_delay_alu instid0(VALU_DEP_1) | instskip(SKIP_1) | instid1(VALU_DEP_2)
	v_dual_sub_f32 v105, v101, v104 :: v_dual_sub_f32 v102, v102, v103
	v_sub_f32_e32 v15, v15, v104
	v_sub_f32_e32 v13, v13, v105
	s_delay_alu instid0(VALU_DEP_3) | instskip(NEXT) | instid1(VALU_DEP_2)
	v_add_f32_e32 v17, v102, v12
	v_add_f32_e32 v13, v15, v13
	s_delay_alu instid0(VALU_DEP_2) | instskip(NEXT) | instid1(VALU_DEP_2)
	v_sub_f32_e32 v15, v17, v102
	v_add_f32_e32 v13, v17, v13
	s_delay_alu instid0(VALU_DEP_2) | instskip(NEXT) | instid1(VALU_DEP_2)
	v_sub_f32_e32 v17, v17, v15
	v_dual_sub_f32 v12, v12, v15 :: v_dual_add_f32 v103, v101, v13
	s_delay_alu instid0(VALU_DEP_2) | instskip(NEXT) | instid1(VALU_DEP_2)
	v_sub_f32_e32 v17, v102, v17
	v_sub_f32_e32 v15, v103, v101
	s_delay_alu instid0(VALU_DEP_1) | instskip(NEXT) | instid1(VALU_DEP_1)
	v_dual_add_f32 v12, v12, v17 :: v_dual_sub_f32 v13, v13, v15
	v_add_f32_e32 v12, v12, v13
	s_delay_alu instid0(VALU_DEP_1) | instskip(NEXT) | instid1(VALU_DEP_1)
	v_add_f32_e32 v12, v103, v12
	v_cndmask_b32_e32 v101, v12, v14, vcc_lo
.LBB85_90:                              ;   in Loop: Header=BB85_12 Depth=1
	s_or_b32 exec_lo, exec_lo, s29
	s_waitcnt lgkmcnt(0)
	v_cvt_f32_f16_e32 v12, v8
	s_delay_alu instid0(VALU_DEP_1) | instskip(NEXT) | instid1(VALU_DEP_1)
	v_add_f32_e32 v104, s68, v12
	v_cmp_ge_f32_e32 vcc_lo, 0x41a00000, v104
	s_and_b32 s28, s79, vcc_lo
	s_delay_alu instid0(SALU_CYCLE_1)
	s_and_saveexec_b32 s29, s28
	s_cbranch_execz .LBB85_92
; %bb.91:                               ;   in Loop: Header=BB85_12 Depth=1
	v_mul_f32_e32 v12, 0x3fb8aa3b, v104
	v_cmp_ngt_f32_e32 vcc_lo, 0xc2ce8ed0, v104
	s_delay_alu instid0(VALU_DEP_2) | instskip(SKIP_1) | instid1(VALU_DEP_2)
	v_rndne_f32_e32 v13, v12
	v_fma_f32 v14, 0x3fb8aa3b, v104, -v12
	v_sub_f32_e32 v12, v12, v13
	s_delay_alu instid0(VALU_DEP_2) | instskip(SKIP_1) | instid1(VALU_DEP_2)
	v_fmac_f32_e32 v14, 0x32a5705f, v104
	v_cvt_i32_f32_e32 v13, v13
	v_add_f32_e32 v12, v12, v14
	s_delay_alu instid0(VALU_DEP_1) | instskip(SKIP_2) | instid1(VALU_DEP_1)
	v_exp_f32_e32 v12, v12
	s_waitcnt_depctr 0xfff
	v_ldexp_f32 v12, v12, v13
	v_cndmask_b32_e32 v12, 0, v12, vcc_lo
	v_cmp_nlt_f32_e32 vcc_lo, 0x42b17218, v104
	s_delay_alu instid0(VALU_DEP_2) | instskip(NEXT) | instid1(VALU_DEP_1)
	v_cndmask_b32_e32 v14, 0x7f800000, v12, vcc_lo
	v_add_f32_e32 v15, 1.0, v14
	s_delay_alu instid0(VALU_DEP_1) | instskip(NEXT) | instid1(VALU_DEP_1)
	v_cvt_f64_f32_e32 v[12:13], v15
	v_frexp_exp_i32_f64_e32 v12, v[12:13]
	v_frexp_mant_f32_e32 v13, v15
	s_delay_alu instid0(VALU_DEP_1) | instskip(SKIP_1) | instid1(VALU_DEP_1)
	v_cmp_gt_f32_e32 vcc_lo, 0x3f2aaaab, v13
	v_add_f32_e32 v13, -1.0, v15
	v_dual_sub_f32 v102, v13, v15 :: v_dual_sub_f32 v13, v14, v13
	s_delay_alu instid0(VALU_DEP_1) | instskip(NEXT) | instid1(VALU_DEP_1)
	v_add_f32_e32 v102, 1.0, v102
	v_add_f32_e32 v13, v13, v102
	v_subrev_co_ci_u32_e32 v12, vcc_lo, 0, v12, vcc_lo
	s_delay_alu instid0(VALU_DEP_1) | instskip(SKIP_1) | instid1(VALU_DEP_2)
	v_sub_nc_u32_e32 v17, 0, v12
	v_cvt_f32_i32_e32 v12, v12
	v_ldexp_f32 v15, v15, v17
	v_ldexp_f32 v13, v13, v17
	s_delay_alu instid0(VALU_DEP_2) | instskip(SKIP_3) | instid1(VALU_DEP_4)
	v_add_f32_e32 v103, 1.0, v15
	v_add_f32_e32 v17, -1.0, v15
	v_cmp_eq_f32_e32 vcc_lo, 0x7f800000, v14
	v_cmp_gt_f32_e64 s28, 0x33800000, v14
	v_add_f32_e32 v102, -1.0, v103
	s_delay_alu instid0(VALU_DEP_4) | instskip(NEXT) | instid1(VALU_DEP_3)
	v_add_f32_e32 v104, 1.0, v17
	s_or_b32 vcc_lo, s28, vcc_lo
	s_delay_alu instid0(VALU_DEP_2) | instskip(NEXT) | instid1(VALU_DEP_1)
	v_sub_f32_e32 v102, v15, v102
	v_dual_sub_f32 v15, v15, v104 :: v_dual_add_f32 v102, v13, v102
	s_delay_alu instid0(VALU_DEP_1) | instskip(NEXT) | instid1(VALU_DEP_1)
	v_add_f32_e32 v13, v13, v15
	v_dual_add_f32 v105, v17, v13 :: v_dual_add_f32 v104, v103, v102
	s_delay_alu instid0(VALU_DEP_1) | instskip(NEXT) | instid1(VALU_DEP_2)
	v_sub_f32_e32 v17, v17, v105
	v_rcp_f32_e32 v15, v104
	v_sub_f32_e32 v103, v103, v104
	s_delay_alu instid0(VALU_DEP_1) | instskip(SKIP_2) | instid1(VALU_DEP_1)
	v_dual_add_f32 v102, v102, v103 :: v_dual_add_f32 v13, v13, v17
	s_waitcnt_depctr 0xfff
	v_mul_f32_e32 v106, v105, v15
	v_mul_f32_e32 v107, v104, v106
	s_delay_alu instid0(VALU_DEP_1) | instskip(NEXT) | instid1(VALU_DEP_1)
	v_fma_f32 v103, v106, v104, -v107
	v_fmac_f32_e32 v103, v106, v102
	s_delay_alu instid0(VALU_DEP_1) | instskip(NEXT) | instid1(VALU_DEP_1)
	v_add_f32_e32 v108, v107, v103
	v_sub_f32_e32 v109, v105, v108
	s_delay_alu instid0(VALU_DEP_1) | instskip(SKIP_1) | instid1(VALU_DEP_2)
	v_sub_f32_e32 v105, v105, v109
	v_sub_f32_e32 v17, v108, v107
	;; [unrolled: 1-line block ×3, first 2 shown]
	s_delay_alu instid0(VALU_DEP_2) | instskip(NEXT) | instid1(VALU_DEP_2)
	v_sub_f32_e32 v17, v17, v103
	v_add_f32_e32 v13, v13, v105
	s_delay_alu instid0(VALU_DEP_1) | instskip(NEXT) | instid1(VALU_DEP_1)
	v_add_f32_e32 v13, v17, v13
	v_add_f32_e32 v17, v109, v13
	s_delay_alu instid0(VALU_DEP_1) | instskip(NEXT) | instid1(VALU_DEP_1)
	v_mul_f32_e32 v103, v15, v17
	v_dual_sub_f32 v108, v109, v17 :: v_dual_mul_f32 v105, v104, v103
	s_delay_alu instid0(VALU_DEP_1) | instskip(NEXT) | instid1(VALU_DEP_2)
	v_add_f32_e32 v13, v13, v108
	v_fma_f32 v104, v103, v104, -v105
	s_delay_alu instid0(VALU_DEP_1) | instskip(NEXT) | instid1(VALU_DEP_1)
	v_fmac_f32_e32 v104, v103, v102
	v_add_f32_e32 v102, v105, v104
	s_delay_alu instid0(VALU_DEP_1) | instskip(NEXT) | instid1(VALU_DEP_1)
	v_sub_f32_e32 v107, v17, v102
	v_sub_f32_e32 v17, v17, v107
	s_delay_alu instid0(VALU_DEP_1) | instskip(NEXT) | instid1(VALU_DEP_1)
	v_sub_f32_e32 v17, v17, v102
	v_add_f32_e32 v13, v13, v17
	v_add_f32_e32 v17, v106, v103
	v_sub_f32_e32 v105, v102, v105
	s_delay_alu instid0(VALU_DEP_1) | instskip(NEXT) | instid1(VALU_DEP_1)
	v_sub_f32_e32 v102, v105, v104
	v_dual_add_f32 v13, v102, v13 :: v_dual_sub_f32 v102, v17, v106
	s_delay_alu instid0(VALU_DEP_1) | instskip(NEXT) | instid1(VALU_DEP_2)
	v_add_f32_e32 v13, v107, v13
	v_sub_f32_e32 v102, v103, v102
	s_delay_alu instid0(VALU_DEP_2) | instskip(NEXT) | instid1(VALU_DEP_1)
	v_mul_f32_e32 v13, v15, v13
	v_add_f32_e32 v13, v102, v13
	s_delay_alu instid0(VALU_DEP_1) | instskip(NEXT) | instid1(VALU_DEP_1)
	v_add_f32_e32 v15, v17, v13
	v_mul_f32_e32 v102, v15, v15
	s_delay_alu instid0(VALU_DEP_1) | instskip(SKIP_1) | instid1(VALU_DEP_2)
	v_fmaak_f32 v103, s83, v102, 0x3ecc95a3
	v_mul_f32_e32 v104, v15, v102
	v_fmaak_f32 v102, v102, v103, 0x3f2aaada
	v_ldexp_f32 v103, v15, 1
	s_delay_alu instid0(VALU_DEP_2) | instskip(NEXT) | instid1(VALU_DEP_1)
	v_dual_sub_f32 v15, v15, v17 :: v_dual_mul_f32 v102, v104, v102
	v_dual_mul_f32 v104, 0x3f317218, v12 :: v_dual_sub_f32 v13, v13, v15
	s_delay_alu instid0(VALU_DEP_2) | instskip(NEXT) | instid1(VALU_DEP_2)
	v_add_f32_e32 v17, v103, v102
	v_ldexp_f32 v13, v13, 1
	s_delay_alu instid0(VALU_DEP_2) | instskip(NEXT) | instid1(VALU_DEP_4)
	v_sub_f32_e32 v15, v17, v103
	v_fma_f32 v103, 0x3f317218, v12, -v104
	s_delay_alu instid0(VALU_DEP_2) | instskip(NEXT) | instid1(VALU_DEP_1)
	v_sub_f32_e32 v15, v102, v15
	v_dual_fmac_f32 v103, 0xb102e308, v12 :: v_dual_add_f32 v12, v13, v15
	s_delay_alu instid0(VALU_DEP_1) | instskip(NEXT) | instid1(VALU_DEP_2)
	v_add_f32_e32 v13, v104, v103
	v_add_f32_e32 v15, v17, v12
	s_delay_alu instid0(VALU_DEP_2) | instskip(NEXT) | instid1(VALU_DEP_2)
	v_sub_f32_e32 v104, v13, v104
	v_dual_add_f32 v102, v13, v15 :: v_dual_sub_f32 v17, v15, v17
	s_delay_alu instid0(VALU_DEP_2) | instskip(NEXT) | instid1(VALU_DEP_2)
	v_sub_f32_e32 v103, v103, v104
	v_sub_f32_e32 v105, v102, v13
	s_delay_alu instid0(VALU_DEP_3) | instskip(NEXT) | instid1(VALU_DEP_2)
	v_sub_f32_e32 v12, v12, v17
	v_sub_f32_e32 v106, v102, v105
	;; [unrolled: 1-line block ×3, first 2 shown]
	s_delay_alu instid0(VALU_DEP_3) | instskip(NEXT) | instid1(VALU_DEP_3)
	v_add_f32_e32 v17, v103, v12
	v_sub_f32_e32 v13, v13, v106
	s_delay_alu instid0(VALU_DEP_1) | instskip(NEXT) | instid1(VALU_DEP_3)
	v_add_f32_e32 v13, v15, v13
	v_sub_f32_e32 v15, v17, v103
	s_delay_alu instid0(VALU_DEP_2) | instskip(NEXT) | instid1(VALU_DEP_2)
	v_add_f32_e32 v13, v17, v13
	v_sub_f32_e32 v17, v17, v15
	v_sub_f32_e32 v12, v12, v15
	s_delay_alu instid0(VALU_DEP_3) | instskip(NEXT) | instid1(VALU_DEP_3)
	v_add_f32_e32 v104, v102, v13
	v_sub_f32_e32 v17, v103, v17
	s_delay_alu instid0(VALU_DEP_2) | instskip(NEXT) | instid1(VALU_DEP_1)
	v_sub_f32_e32 v15, v104, v102
	v_dual_add_f32 v12, v12, v17 :: v_dual_sub_f32 v13, v13, v15
	s_delay_alu instid0(VALU_DEP_1) | instskip(NEXT) | instid1(VALU_DEP_1)
	v_add_f32_e32 v12, v12, v13
	v_add_f32_e32 v12, v104, v12
	s_delay_alu instid0(VALU_DEP_1)
	v_cndmask_b32_e32 v104, v12, v14, vcc_lo
.LBB85_92:                              ;   in Loop: Header=BB85_12 Depth=1
	s_or_b32 exec_lo, exec_lo, s29
	v_lshrrev_b32_e32 v8, 16, v8
	s_delay_alu instid0(VALU_DEP_1) | instskip(NEXT) | instid1(VALU_DEP_1)
	v_cvt_f32_f16_e32 v8, v8
	v_add_f32_e32 v115, s68, v8
	s_delay_alu instid0(VALU_DEP_1) | instskip(SKIP_1) | instid1(SALU_CYCLE_1)
	v_cmp_ge_f32_e32 vcc_lo, 0x41a00000, v115
	s_and_b32 s28, s79, vcc_lo
	s_and_saveexec_b32 s29, s28
	s_cbranch_execz .LBB85_94
; %bb.93:                               ;   in Loop: Header=BB85_12 Depth=1
	v_mul_f32_e32 v8, 0x3fb8aa3b, v115
	v_cmp_ngt_f32_e32 vcc_lo, 0xc2ce8ed0, v115
	s_delay_alu instid0(VALU_DEP_2) | instskip(SKIP_1) | instid1(VALU_DEP_1)
	v_rndne_f32_e32 v12, v8
	v_fma_f32 v13, 0x3fb8aa3b, v115, -v8
	v_dual_sub_f32 v8, v8, v12 :: v_dual_fmac_f32 v13, 0x32a5705f, v115
	v_cvt_i32_f32_e32 v12, v12
	s_delay_alu instid0(VALU_DEP_2) | instskip(NEXT) | instid1(VALU_DEP_1)
	v_add_f32_e32 v8, v8, v13
	v_exp_f32_e32 v8, v8
	s_waitcnt_depctr 0xfff
	v_ldexp_f32 v8, v8, v12
	s_delay_alu instid0(VALU_DEP_1) | instskip(SKIP_1) | instid1(VALU_DEP_2)
	v_cndmask_b32_e32 v8, 0, v8, vcc_lo
	v_cmp_nlt_f32_e32 vcc_lo, 0x42b17218, v115
	v_cndmask_b32_e32 v8, 0x7f800000, v8, vcc_lo
	s_delay_alu instid0(VALU_DEP_1) | instskip(NEXT) | instid1(VALU_DEP_1)
	v_add_f32_e32 v14, 1.0, v8
	v_cvt_f64_f32_e32 v[12:13], v14
	s_delay_alu instid0(VALU_DEP_1) | instskip(SKIP_1) | instid1(VALU_DEP_1)
	v_frexp_exp_i32_f64_e32 v12, v[12:13]
	v_frexp_mant_f32_e32 v13, v14
	v_cmp_gt_f32_e32 vcc_lo, 0x3f2aaaab, v13
	v_add_f32_e32 v13, -1.0, v14
	s_delay_alu instid0(VALU_DEP_1) | instskip(SKIP_1) | instid1(VALU_DEP_2)
	v_sub_f32_e32 v17, v13, v14
	v_sub_f32_e32 v13, v8, v13
	v_add_f32_e32 v17, 1.0, v17
	s_delay_alu instid0(VALU_DEP_1) | instskip(SKIP_3) | instid1(VALU_DEP_2)
	v_add_f32_e32 v13, v13, v17
	v_cmp_gt_f32_e64 s28, 0x33800000, v8
	v_subrev_co_ci_u32_e32 v12, vcc_lo, 0, v12, vcc_lo
	v_cmp_eq_f32_e32 vcc_lo, 0x7f800000, v8
	v_sub_nc_u32_e32 v15, 0, v12
	v_cvt_f32_i32_e32 v12, v12
	s_or_b32 vcc_lo, s28, vcc_lo
	s_delay_alu instid0(VALU_DEP_2) | instskip(SKIP_1) | instid1(VALU_DEP_2)
	v_ldexp_f32 v14, v14, v15
	v_ldexp_f32 v13, v13, v15
	v_add_f32_e32 v102, 1.0, v14
	v_add_f32_e32 v15, -1.0, v14
	s_delay_alu instid0(VALU_DEP_1) | instskip(NEXT) | instid1(VALU_DEP_3)
	v_add_f32_e32 v103, 1.0, v15
	v_add_f32_e32 v17, -1.0, v102
	s_delay_alu instid0(VALU_DEP_1) | instskip(NEXT) | instid1(VALU_DEP_1)
	v_sub_f32_e32 v17, v14, v17
	v_dual_sub_f32 v14, v14, v103 :: v_dual_add_f32 v17, v13, v17
	s_delay_alu instid0(VALU_DEP_1) | instskip(NEXT) | instid1(VALU_DEP_1)
	v_add_f32_e32 v103, v102, v17
	v_sub_f32_e32 v102, v102, v103
	s_delay_alu instid0(VALU_DEP_1) | instskip(NEXT) | instid1(VALU_DEP_4)
	v_add_f32_e32 v17, v17, v102
	v_add_f32_e32 v13, v13, v14
	v_rcp_f32_e32 v14, v103
	s_delay_alu instid0(VALU_DEP_1) | instskip(SKIP_2) | instid1(VALU_DEP_1)
	v_add_f32_e32 v105, v15, v13
	s_waitcnt_depctr 0xfff
	v_dual_sub_f32 v15, v15, v105 :: v_dual_mul_f32 v106, v105, v14
	v_mul_f32_e32 v107, v103, v106
	s_delay_alu instid0(VALU_DEP_1) | instskip(NEXT) | instid1(VALU_DEP_1)
	v_fma_f32 v102, v106, v103, -v107
	v_dual_fmac_f32 v102, v106, v17 :: v_dual_add_f32 v13, v13, v15
	s_delay_alu instid0(VALU_DEP_1) | instskip(NEXT) | instid1(VALU_DEP_1)
	v_add_f32_e32 v108, v107, v102
	v_sub_f32_e32 v109, v105, v108
	v_sub_f32_e32 v15, v108, v107
	s_delay_alu instid0(VALU_DEP_2) | instskip(NEXT) | instid1(VALU_DEP_2)
	v_sub_f32_e32 v105, v105, v109
	v_sub_f32_e32 v15, v15, v102
	s_delay_alu instid0(VALU_DEP_2) | instskip(NEXT) | instid1(VALU_DEP_1)
	v_sub_f32_e32 v105, v105, v108
	v_add_f32_e32 v13, v13, v105
	s_delay_alu instid0(VALU_DEP_1) | instskip(NEXT) | instid1(VALU_DEP_1)
	v_add_f32_e32 v13, v15, v13
	v_add_f32_e32 v15, v109, v13
	s_delay_alu instid0(VALU_DEP_1) | instskip(NEXT) | instid1(VALU_DEP_1)
	v_mul_f32_e32 v102, v14, v15
	v_dual_sub_f32 v108, v109, v15 :: v_dual_mul_f32 v105, v103, v102
	s_delay_alu instid0(VALU_DEP_1) | instskip(NEXT) | instid1(VALU_DEP_2)
	v_add_f32_e32 v13, v13, v108
	v_fma_f32 v103, v102, v103, -v105
	s_delay_alu instid0(VALU_DEP_1) | instskip(NEXT) | instid1(VALU_DEP_1)
	v_fmac_f32_e32 v103, v102, v17
	v_add_f32_e32 v17, v105, v103
	s_delay_alu instid0(VALU_DEP_1) | instskip(SKIP_1) | instid1(VALU_DEP_2)
	v_sub_f32_e32 v107, v15, v17
	v_sub_f32_e32 v105, v17, v105
	;; [unrolled: 1-line block ×3, first 2 shown]
	s_delay_alu instid0(VALU_DEP_1) | instskip(NEXT) | instid1(VALU_DEP_3)
	v_sub_f32_e32 v15, v15, v17
	v_sub_f32_e32 v17, v105, v103
	s_delay_alu instid0(VALU_DEP_2) | instskip(SKIP_1) | instid1(VALU_DEP_2)
	v_add_f32_e32 v13, v13, v15
	v_add_f32_e32 v15, v106, v102
	;; [unrolled: 1-line block ×3, first 2 shown]
	s_delay_alu instid0(VALU_DEP_2) | instskip(NEXT) | instid1(VALU_DEP_2)
	v_sub_f32_e32 v17, v15, v106
	v_add_f32_e32 v13, v107, v13
	s_delay_alu instid0(VALU_DEP_2) | instskip(NEXT) | instid1(VALU_DEP_2)
	v_sub_f32_e32 v17, v102, v17
	v_mul_f32_e32 v13, v14, v13
	s_delay_alu instid0(VALU_DEP_1) | instskip(NEXT) | instid1(VALU_DEP_1)
	v_add_f32_e32 v13, v17, v13
	v_add_f32_e32 v14, v15, v13
	s_delay_alu instid0(VALU_DEP_1) | instskip(NEXT) | instid1(VALU_DEP_1)
	v_mul_f32_e32 v17, v14, v14
	v_fmaak_f32 v102, s83, v17, 0x3ecc95a3
	v_mul_f32_e32 v103, v14, v17
	s_delay_alu instid0(VALU_DEP_2) | instskip(SKIP_1) | instid1(VALU_DEP_2)
	v_fmaak_f32 v17, v17, v102, 0x3f2aaada
	v_ldexp_f32 v102, v14, 1
	v_dual_sub_f32 v14, v14, v15 :: v_dual_mul_f32 v17, v103, v17
	v_mul_f32_e32 v103, 0x3f317218, v12
	s_delay_alu instid0(VALU_DEP_2) | instskip(NEXT) | instid1(VALU_DEP_3)
	v_sub_f32_e32 v13, v13, v14
	v_add_f32_e32 v15, v102, v17
	s_delay_alu instid0(VALU_DEP_2) | instskip(NEXT) | instid1(VALU_DEP_2)
	v_ldexp_f32 v13, v13, 1
	v_sub_f32_e32 v14, v15, v102
	v_fma_f32 v102, 0x3f317218, v12, -v103
	s_delay_alu instid0(VALU_DEP_2) | instskip(NEXT) | instid1(VALU_DEP_2)
	v_sub_f32_e32 v14, v17, v14
	v_fmac_f32_e32 v102, 0xb102e308, v12
	s_delay_alu instid0(VALU_DEP_2) | instskip(NEXT) | instid1(VALU_DEP_2)
	v_add_f32_e32 v12, v13, v14
	v_add_f32_e32 v13, v103, v102
	s_delay_alu instid0(VALU_DEP_1) | instskip(NEXT) | instid1(VALU_DEP_1)
	v_dual_add_f32 v14, v15, v12 :: v_dual_sub_f32 v103, v13, v103
	v_add_f32_e32 v17, v13, v14
	v_sub_f32_e32 v15, v14, v15
	s_delay_alu instid0(VALU_DEP_2) | instskip(NEXT) | instid1(VALU_DEP_2)
	v_dual_sub_f32 v102, v102, v103 :: v_dual_sub_f32 v105, v17, v13
	v_sub_f32_e32 v12, v12, v15
	s_delay_alu instid0(VALU_DEP_2) | instskip(SKIP_1) | instid1(VALU_DEP_3)
	v_sub_f32_e32 v106, v17, v105
	v_sub_f32_e32 v14, v14, v105
	v_add_f32_e32 v15, v102, v12
	s_delay_alu instid0(VALU_DEP_3) | instskip(NEXT) | instid1(VALU_DEP_1)
	v_sub_f32_e32 v13, v13, v106
	v_dual_add_f32 v13, v14, v13 :: v_dual_sub_f32 v14, v15, v102
	s_delay_alu instid0(VALU_DEP_1) | instskip(NEXT) | instid1(VALU_DEP_2)
	v_add_f32_e32 v13, v15, v13
	v_sub_f32_e32 v15, v15, v14
	s_delay_alu instid0(VALU_DEP_2) | instskip(NEXT) | instid1(VALU_DEP_1)
	v_dual_sub_f32 v12, v12, v14 :: v_dual_add_f32 v103, v17, v13
	v_dual_sub_f32 v15, v102, v15 :: v_dual_sub_f32 v14, v103, v17
	s_delay_alu instid0(VALU_DEP_1) | instskip(NEXT) | instid1(VALU_DEP_1)
	v_dual_add_f32 v12, v12, v15 :: v_dual_sub_f32 v13, v13, v14
	v_add_f32_e32 v12, v12, v13
	s_delay_alu instid0(VALU_DEP_1) | instskip(NEXT) | instid1(VALU_DEP_1)
	v_add_f32_e32 v12, v103, v12
	v_cndmask_b32_e32 v115, v12, v8, vcc_lo
.LBB85_94:                              ;   in Loop: Header=BB85_12 Depth=1
	s_or_b32 exec_lo, exec_lo, s29
	v_cvt_f32_f16_e32 v8, v9
	s_delay_alu instid0(VALU_DEP_1) | instskip(NEXT) | instid1(VALU_DEP_1)
	v_add_f32_e32 v118, s68, v8
	v_cmp_ge_f32_e32 vcc_lo, 0x41a00000, v118
	s_and_b32 s28, s79, vcc_lo
	s_delay_alu instid0(SALU_CYCLE_1)
	s_and_saveexec_b32 s29, s28
	s_cbranch_execz .LBB85_96
; %bb.95:                               ;   in Loop: Header=BB85_12 Depth=1
	v_mul_f32_e32 v8, 0x3fb8aa3b, v118
	v_cmp_ngt_f32_e32 vcc_lo, 0xc2ce8ed0, v118
	s_delay_alu instid0(VALU_DEP_2) | instskip(SKIP_1) | instid1(VALU_DEP_1)
	v_rndne_f32_e32 v12, v8
	v_fma_f32 v13, 0x3fb8aa3b, v118, -v8
	v_dual_sub_f32 v8, v8, v12 :: v_dual_fmac_f32 v13, 0x32a5705f, v118
	v_cvt_i32_f32_e32 v12, v12
	s_delay_alu instid0(VALU_DEP_2) | instskip(NEXT) | instid1(VALU_DEP_1)
	v_add_f32_e32 v8, v8, v13
	v_exp_f32_e32 v8, v8
	s_waitcnt_depctr 0xfff
	v_ldexp_f32 v8, v8, v12
	s_delay_alu instid0(VALU_DEP_1) | instskip(SKIP_1) | instid1(VALU_DEP_2)
	v_cndmask_b32_e32 v8, 0, v8, vcc_lo
	v_cmp_nlt_f32_e32 vcc_lo, 0x42b17218, v118
	v_cndmask_b32_e32 v8, 0x7f800000, v8, vcc_lo
	s_delay_alu instid0(VALU_DEP_1) | instskip(NEXT) | instid1(VALU_DEP_1)
	v_add_f32_e32 v14, 1.0, v8
	v_cvt_f64_f32_e32 v[12:13], v14
	s_delay_alu instid0(VALU_DEP_1) | instskip(SKIP_1) | instid1(VALU_DEP_1)
	v_frexp_exp_i32_f64_e32 v12, v[12:13]
	v_frexp_mant_f32_e32 v13, v14
	v_cmp_gt_f32_e32 vcc_lo, 0x3f2aaaab, v13
	v_add_f32_e32 v13, -1.0, v14
	s_delay_alu instid0(VALU_DEP_1) | instskip(SKIP_1) | instid1(VALU_DEP_2)
	v_sub_f32_e32 v17, v13, v14
	v_sub_f32_e32 v13, v8, v13
	v_add_f32_e32 v17, 1.0, v17
	s_delay_alu instid0(VALU_DEP_1) | instskip(SKIP_3) | instid1(VALU_DEP_2)
	v_add_f32_e32 v13, v13, v17
	v_cmp_gt_f32_e64 s28, 0x33800000, v8
	v_subrev_co_ci_u32_e32 v12, vcc_lo, 0, v12, vcc_lo
	v_cmp_eq_f32_e32 vcc_lo, 0x7f800000, v8
	v_sub_nc_u32_e32 v15, 0, v12
	v_cvt_f32_i32_e32 v12, v12
	s_or_b32 vcc_lo, s28, vcc_lo
	s_delay_alu instid0(VALU_DEP_2) | instskip(SKIP_1) | instid1(VALU_DEP_2)
	v_ldexp_f32 v14, v14, v15
	v_ldexp_f32 v13, v13, v15
	v_add_f32_e32 v102, 1.0, v14
	v_add_f32_e32 v15, -1.0, v14
	s_delay_alu instid0(VALU_DEP_1) | instskip(NEXT) | instid1(VALU_DEP_3)
	v_add_f32_e32 v103, 1.0, v15
	v_add_f32_e32 v17, -1.0, v102
	s_delay_alu instid0(VALU_DEP_1) | instskip(NEXT) | instid1(VALU_DEP_1)
	v_sub_f32_e32 v17, v14, v17
	v_dual_sub_f32 v14, v14, v103 :: v_dual_add_f32 v17, v13, v17
	s_delay_alu instid0(VALU_DEP_1) | instskip(NEXT) | instid1(VALU_DEP_1)
	v_add_f32_e32 v103, v102, v17
	v_sub_f32_e32 v102, v102, v103
	s_delay_alu instid0(VALU_DEP_1) | instskip(NEXT) | instid1(VALU_DEP_4)
	v_add_f32_e32 v17, v17, v102
	v_add_f32_e32 v13, v13, v14
	v_rcp_f32_e32 v14, v103
	s_delay_alu instid0(VALU_DEP_1) | instskip(SKIP_2) | instid1(VALU_DEP_1)
	v_add_f32_e32 v105, v15, v13
	s_waitcnt_depctr 0xfff
	v_dual_sub_f32 v15, v15, v105 :: v_dual_mul_f32 v106, v105, v14
	v_mul_f32_e32 v107, v103, v106
	s_delay_alu instid0(VALU_DEP_1) | instskip(NEXT) | instid1(VALU_DEP_1)
	v_fma_f32 v102, v106, v103, -v107
	v_dual_fmac_f32 v102, v106, v17 :: v_dual_add_f32 v13, v13, v15
	s_delay_alu instid0(VALU_DEP_1) | instskip(NEXT) | instid1(VALU_DEP_1)
	v_add_f32_e32 v108, v107, v102
	v_sub_f32_e32 v109, v105, v108
	v_sub_f32_e32 v15, v108, v107
	s_delay_alu instid0(VALU_DEP_2) | instskip(NEXT) | instid1(VALU_DEP_2)
	v_sub_f32_e32 v105, v105, v109
	v_sub_f32_e32 v15, v15, v102
	s_delay_alu instid0(VALU_DEP_2) | instskip(NEXT) | instid1(VALU_DEP_1)
	v_sub_f32_e32 v105, v105, v108
	v_add_f32_e32 v13, v13, v105
	s_delay_alu instid0(VALU_DEP_1) | instskip(NEXT) | instid1(VALU_DEP_1)
	v_add_f32_e32 v13, v15, v13
	v_add_f32_e32 v15, v109, v13
	s_delay_alu instid0(VALU_DEP_1) | instskip(NEXT) | instid1(VALU_DEP_1)
	v_mul_f32_e32 v102, v14, v15
	v_dual_sub_f32 v108, v109, v15 :: v_dual_mul_f32 v105, v103, v102
	s_delay_alu instid0(VALU_DEP_1) | instskip(NEXT) | instid1(VALU_DEP_2)
	v_add_f32_e32 v13, v13, v108
	v_fma_f32 v103, v102, v103, -v105
	s_delay_alu instid0(VALU_DEP_1) | instskip(NEXT) | instid1(VALU_DEP_1)
	v_fmac_f32_e32 v103, v102, v17
	v_add_f32_e32 v17, v105, v103
	s_delay_alu instid0(VALU_DEP_1) | instskip(SKIP_1) | instid1(VALU_DEP_2)
	v_sub_f32_e32 v107, v15, v17
	v_sub_f32_e32 v105, v17, v105
	;; [unrolled: 1-line block ×3, first 2 shown]
	s_delay_alu instid0(VALU_DEP_1) | instskip(NEXT) | instid1(VALU_DEP_3)
	v_sub_f32_e32 v15, v15, v17
	v_sub_f32_e32 v17, v105, v103
	s_delay_alu instid0(VALU_DEP_2) | instskip(SKIP_1) | instid1(VALU_DEP_2)
	v_add_f32_e32 v13, v13, v15
	v_add_f32_e32 v15, v106, v102
	v_add_f32_e32 v13, v17, v13
	s_delay_alu instid0(VALU_DEP_2) | instskip(NEXT) | instid1(VALU_DEP_2)
	v_sub_f32_e32 v17, v15, v106
	v_add_f32_e32 v13, v107, v13
	s_delay_alu instid0(VALU_DEP_2) | instskip(NEXT) | instid1(VALU_DEP_2)
	v_sub_f32_e32 v17, v102, v17
	v_mul_f32_e32 v13, v14, v13
	s_delay_alu instid0(VALU_DEP_1) | instskip(NEXT) | instid1(VALU_DEP_1)
	v_add_f32_e32 v13, v17, v13
	v_add_f32_e32 v14, v15, v13
	s_delay_alu instid0(VALU_DEP_1) | instskip(NEXT) | instid1(VALU_DEP_1)
	v_mul_f32_e32 v17, v14, v14
	v_fmaak_f32 v102, s83, v17, 0x3ecc95a3
	v_mul_f32_e32 v103, v14, v17
	s_delay_alu instid0(VALU_DEP_2) | instskip(SKIP_1) | instid1(VALU_DEP_2)
	v_fmaak_f32 v17, v17, v102, 0x3f2aaada
	v_ldexp_f32 v102, v14, 1
	v_dual_sub_f32 v14, v14, v15 :: v_dual_mul_f32 v17, v103, v17
	v_mul_f32_e32 v103, 0x3f317218, v12
	s_delay_alu instid0(VALU_DEP_2) | instskip(NEXT) | instid1(VALU_DEP_3)
	v_sub_f32_e32 v13, v13, v14
	v_add_f32_e32 v15, v102, v17
	s_delay_alu instid0(VALU_DEP_2) | instskip(NEXT) | instid1(VALU_DEP_2)
	v_ldexp_f32 v13, v13, 1
	v_sub_f32_e32 v14, v15, v102
	v_fma_f32 v102, 0x3f317218, v12, -v103
	s_delay_alu instid0(VALU_DEP_2) | instskip(NEXT) | instid1(VALU_DEP_2)
	v_sub_f32_e32 v14, v17, v14
	v_fmac_f32_e32 v102, 0xb102e308, v12
	s_delay_alu instid0(VALU_DEP_2) | instskip(NEXT) | instid1(VALU_DEP_2)
	v_add_f32_e32 v12, v13, v14
	v_add_f32_e32 v13, v103, v102
	s_delay_alu instid0(VALU_DEP_1) | instskip(NEXT) | instid1(VALU_DEP_1)
	v_dual_add_f32 v14, v15, v12 :: v_dual_sub_f32 v103, v13, v103
	v_add_f32_e32 v17, v13, v14
	v_sub_f32_e32 v15, v14, v15
	s_delay_alu instid0(VALU_DEP_2) | instskip(NEXT) | instid1(VALU_DEP_2)
	v_dual_sub_f32 v102, v102, v103 :: v_dual_sub_f32 v105, v17, v13
	v_sub_f32_e32 v12, v12, v15
	s_delay_alu instid0(VALU_DEP_2) | instskip(SKIP_1) | instid1(VALU_DEP_3)
	v_sub_f32_e32 v106, v17, v105
	v_sub_f32_e32 v14, v14, v105
	v_add_f32_e32 v15, v102, v12
	s_delay_alu instid0(VALU_DEP_3) | instskip(NEXT) | instid1(VALU_DEP_1)
	v_sub_f32_e32 v13, v13, v106
	v_dual_add_f32 v13, v14, v13 :: v_dual_sub_f32 v14, v15, v102
	s_delay_alu instid0(VALU_DEP_1) | instskip(NEXT) | instid1(VALU_DEP_2)
	v_add_f32_e32 v13, v15, v13
	v_sub_f32_e32 v15, v15, v14
	s_delay_alu instid0(VALU_DEP_2) | instskip(NEXT) | instid1(VALU_DEP_1)
	v_dual_sub_f32 v12, v12, v14 :: v_dual_add_f32 v103, v17, v13
	v_dual_sub_f32 v15, v102, v15 :: v_dual_sub_f32 v14, v103, v17
	s_delay_alu instid0(VALU_DEP_1) | instskip(NEXT) | instid1(VALU_DEP_1)
	v_dual_add_f32 v12, v12, v15 :: v_dual_sub_f32 v13, v13, v14
	v_add_f32_e32 v12, v12, v13
	s_delay_alu instid0(VALU_DEP_1) | instskip(NEXT) | instid1(VALU_DEP_1)
	v_add_f32_e32 v12, v103, v12
	v_cndmask_b32_e32 v118, v12, v8, vcc_lo
.LBB85_96:                              ;   in Loop: Header=BB85_12 Depth=1
	s_or_b32 exec_lo, exec_lo, s29
	v_lshrrev_b32_e32 v8, 16, v9
	s_delay_alu instid0(VALU_DEP_1) | instskip(NEXT) | instid1(VALU_DEP_1)
	v_cvt_f32_f16_e32 v8, v8
	v_add_f32_e32 v121, s68, v8
	s_delay_alu instid0(VALU_DEP_1) | instskip(SKIP_1) | instid1(SALU_CYCLE_1)
	v_cmp_ge_f32_e32 vcc_lo, 0x41a00000, v121
	s_and_b32 s28, s79, vcc_lo
	s_and_saveexec_b32 s29, s28
	s_cbranch_execz .LBB85_98
; %bb.97:                               ;   in Loop: Header=BB85_12 Depth=1
	v_mul_f32_e32 v8, 0x3fb8aa3b, v121
	v_cmp_ngt_f32_e32 vcc_lo, 0xc2ce8ed0, v121
	s_delay_alu instid0(VALU_DEP_2) | instskip(SKIP_1) | instid1(VALU_DEP_2)
	v_rndne_f32_e32 v9, v8
	v_fma_f32 v12, 0x3fb8aa3b, v121, -v8
	v_sub_f32_e32 v8, v8, v9
	s_delay_alu instid0(VALU_DEP_2) | instskip(SKIP_1) | instid1(VALU_DEP_2)
	v_fmac_f32_e32 v12, 0x32a5705f, v121
	v_cvt_i32_f32_e32 v9, v9
	v_add_f32_e32 v8, v8, v12
	s_delay_alu instid0(VALU_DEP_1) | instskip(SKIP_2) | instid1(VALU_DEP_1)
	v_exp_f32_e32 v8, v8
	s_waitcnt_depctr 0xfff
	v_ldexp_f32 v8, v8, v9
	v_cndmask_b32_e32 v8, 0, v8, vcc_lo
	v_cmp_nlt_f32_e32 vcc_lo, 0x42b17218, v121
	s_delay_alu instid0(VALU_DEP_2) | instskip(NEXT) | instid1(VALU_DEP_1)
	v_cndmask_b32_e32 v12, 0x7f800000, v8, vcc_lo
	v_add_f32_e32 v13, 1.0, v12
	s_delay_alu instid0(VALU_DEP_1) | instskip(NEXT) | instid1(VALU_DEP_1)
	v_cvt_f64_f32_e32 v[8:9], v13
	v_frexp_exp_i32_f64_e32 v8, v[8:9]
	v_frexp_mant_f32_e32 v9, v13
	s_delay_alu instid0(VALU_DEP_1) | instskip(SKIP_1) | instid1(VALU_DEP_1)
	v_cmp_gt_f32_e32 vcc_lo, 0x3f2aaaab, v9
	v_add_f32_e32 v9, -1.0, v13
	v_sub_f32_e32 v15, v9, v13
	s_delay_alu instid0(VALU_DEP_1) | instskip(SKIP_1) | instid1(VALU_DEP_1)
	v_add_f32_e32 v15, 1.0, v15
	v_subrev_co_ci_u32_e32 v8, vcc_lo, 0, v8, vcc_lo
	v_sub_nc_u32_e32 v14, 0, v8
	v_cvt_f32_i32_e32 v8, v8
	s_delay_alu instid0(VALU_DEP_2) | instskip(NEXT) | instid1(VALU_DEP_1)
	v_ldexp_f32 v13, v13, v14
	v_add_f32_e32 v17, 1.0, v13
	v_sub_f32_e32 v9, v12, v9
	v_cmp_eq_f32_e32 vcc_lo, 0x7f800000, v12
	v_cmp_gt_f32_e64 s28, 0x33800000, v12
	s_delay_alu instid0(VALU_DEP_3) | instskip(SKIP_1) | instid1(VALU_DEP_3)
	v_add_f32_e32 v9, v9, v15
	v_add_f32_e32 v15, -1.0, v17
	s_or_b32 vcc_lo, s28, vcc_lo
	s_delay_alu instid0(VALU_DEP_2) | instskip(NEXT) | instid1(VALU_DEP_2)
	v_ldexp_f32 v9, v9, v14
	v_dual_add_f32 v14, -1.0, v13 :: v_dual_sub_f32 v15, v13, v15
	s_delay_alu instid0(VALU_DEP_1) | instskip(NEXT) | instid1(VALU_DEP_1)
	v_dual_add_f32 v102, 1.0, v14 :: v_dual_add_f32 v15, v9, v15
	v_sub_f32_e32 v13, v13, v102
	s_delay_alu instid0(VALU_DEP_1) | instskip(NEXT) | instid1(VALU_DEP_1)
	v_add_f32_e32 v9, v9, v13
	v_dual_add_f32 v102, v17, v15 :: v_dual_add_f32 v103, v14, v9
	s_delay_alu instid0(VALU_DEP_1) | instskip(NEXT) | instid1(VALU_DEP_1)
	v_rcp_f32_e32 v13, v102
	v_dual_sub_f32 v17, v17, v102 :: v_dual_sub_f32 v14, v14, v103
	s_delay_alu instid0(VALU_DEP_1) | instskip(SKIP_2) | instid1(VALU_DEP_1)
	v_add_f32_e32 v9, v9, v14
	s_waitcnt_depctr 0xfff
	v_mul_f32_e32 v105, v103, v13
	v_mul_f32_e32 v106, v102, v105
	v_add_f32_e32 v15, v15, v17
	s_delay_alu instid0(VALU_DEP_2) | instskip(NEXT) | instid1(VALU_DEP_1)
	v_fma_f32 v17, v105, v102, -v106
	v_fmac_f32_e32 v17, v105, v15
	s_delay_alu instid0(VALU_DEP_1) | instskip(NEXT) | instid1(VALU_DEP_1)
	v_add_f32_e32 v107, v106, v17
	v_sub_f32_e32 v108, v103, v107
	v_sub_f32_e32 v14, v107, v106
	s_delay_alu instid0(VALU_DEP_1) | instskip(NEXT) | instid1(VALU_DEP_1)
	v_dual_sub_f32 v103, v103, v108 :: v_dual_sub_f32 v14, v14, v17
	v_sub_f32_e32 v103, v103, v107
	s_delay_alu instid0(VALU_DEP_1) | instskip(NEXT) | instid1(VALU_DEP_1)
	v_add_f32_e32 v9, v9, v103
	v_add_f32_e32 v9, v14, v9
	s_delay_alu instid0(VALU_DEP_1) | instskip(NEXT) | instid1(VALU_DEP_1)
	v_add_f32_e32 v14, v108, v9
	v_mul_f32_e32 v17, v13, v14
	v_sub_f32_e32 v107, v108, v14
	s_delay_alu instid0(VALU_DEP_2) | instskip(NEXT) | instid1(VALU_DEP_2)
	v_mul_f32_e32 v103, v102, v17
	v_add_f32_e32 v9, v9, v107
	s_delay_alu instid0(VALU_DEP_2) | instskip(NEXT) | instid1(VALU_DEP_1)
	v_fma_f32 v102, v17, v102, -v103
	v_fmac_f32_e32 v102, v17, v15
	s_delay_alu instid0(VALU_DEP_1) | instskip(NEXT) | instid1(VALU_DEP_1)
	v_add_f32_e32 v15, v103, v102
	v_sub_f32_e32 v106, v14, v15
	s_delay_alu instid0(VALU_DEP_1) | instskip(NEXT) | instid1(VALU_DEP_1)
	v_dual_sub_f32 v103, v15, v103 :: v_dual_sub_f32 v14, v14, v106
	v_dual_sub_f32 v14, v14, v15 :: v_dual_sub_f32 v15, v103, v102
	s_delay_alu instid0(VALU_DEP_1) | instskip(SKIP_1) | instid1(VALU_DEP_2)
	v_add_f32_e32 v9, v9, v14
	v_add_f32_e32 v14, v105, v17
	;; [unrolled: 1-line block ×3, first 2 shown]
	s_delay_alu instid0(VALU_DEP_2) | instskip(NEXT) | instid1(VALU_DEP_2)
	v_sub_f32_e32 v15, v14, v105
	v_add_f32_e32 v9, v106, v9
	s_delay_alu instid0(VALU_DEP_2) | instskip(NEXT) | instid1(VALU_DEP_2)
	v_sub_f32_e32 v15, v17, v15
	v_mul_f32_e32 v9, v13, v9
	s_delay_alu instid0(VALU_DEP_1) | instskip(NEXT) | instid1(VALU_DEP_1)
	v_add_f32_e32 v9, v15, v9
	v_add_f32_e32 v13, v14, v9
	s_delay_alu instid0(VALU_DEP_1) | instskip(NEXT) | instid1(VALU_DEP_1)
	v_mul_f32_e32 v15, v13, v13
	v_fmaak_f32 v17, s83, v15, 0x3ecc95a3
	s_delay_alu instid0(VALU_DEP_1) | instskip(SKIP_2) | instid1(VALU_DEP_3)
	v_dual_mul_f32 v102, v13, v15 :: v_dual_fmaak_f32 v15, v15, v17, 0x3f2aaada
	v_ldexp_f32 v17, v13, 1
	v_sub_f32_e32 v13, v13, v14
	v_dual_mul_f32 v15, v102, v15 :: v_dual_mul_f32 v102, 0x3f317218, v8
	s_delay_alu instid0(VALU_DEP_2) | instskip(NEXT) | instid1(VALU_DEP_2)
	v_sub_f32_e32 v9, v9, v13
	v_add_f32_e32 v14, v17, v15
	s_delay_alu instid0(VALU_DEP_2) | instskip(NEXT) | instid1(VALU_DEP_2)
	v_ldexp_f32 v9, v9, 1
	v_sub_f32_e32 v13, v14, v17
	v_fma_f32 v17, 0x3f317218, v8, -v102
	s_delay_alu instid0(VALU_DEP_2) | instskip(NEXT) | instid1(VALU_DEP_1)
	v_sub_f32_e32 v13, v15, v13
	v_dual_fmac_f32 v17, 0xb102e308, v8 :: v_dual_add_f32 v8, v9, v13
	s_delay_alu instid0(VALU_DEP_1) | instskip(NEXT) | instid1(VALU_DEP_1)
	v_add_f32_e32 v9, v102, v17
	v_dual_add_f32 v13, v14, v8 :: v_dual_sub_f32 v102, v9, v102
	s_delay_alu instid0(VALU_DEP_1) | instskip(SKIP_1) | instid1(VALU_DEP_3)
	v_add_f32_e32 v15, v9, v13
	v_sub_f32_e32 v14, v13, v14
	v_sub_f32_e32 v17, v17, v102
	s_delay_alu instid0(VALU_DEP_2) | instskip(NEXT) | instid1(VALU_DEP_1)
	v_dual_sub_f32 v103, v15, v9 :: v_dual_sub_f32 v8, v8, v14
	v_sub_f32_e32 v105, v15, v103
	v_sub_f32_e32 v13, v13, v103
	s_delay_alu instid0(VALU_DEP_3) | instskip(NEXT) | instid1(VALU_DEP_3)
	v_add_f32_e32 v14, v17, v8
	v_sub_f32_e32 v9, v9, v105
	s_delay_alu instid0(VALU_DEP_1) | instskip(NEXT) | instid1(VALU_DEP_3)
	v_add_f32_e32 v9, v13, v9
	v_sub_f32_e32 v13, v14, v17
	s_delay_alu instid0(VALU_DEP_2) | instskip(NEXT) | instid1(VALU_DEP_2)
	v_add_f32_e32 v9, v14, v9
	v_sub_f32_e32 v14, v14, v13
	v_sub_f32_e32 v8, v8, v13
	s_delay_alu instid0(VALU_DEP_3) | instskip(NEXT) | instid1(VALU_DEP_1)
	v_add_f32_e32 v102, v15, v9
	v_dual_sub_f32 v14, v17, v14 :: v_dual_sub_f32 v13, v102, v15
	s_delay_alu instid0(VALU_DEP_1) | instskip(NEXT) | instid1(VALU_DEP_1)
	v_dual_add_f32 v8, v8, v14 :: v_dual_sub_f32 v9, v9, v13
	v_add_f32_e32 v8, v8, v9
	s_delay_alu instid0(VALU_DEP_1) | instskip(NEXT) | instid1(VALU_DEP_1)
	v_add_f32_e32 v8, v102, v8
	v_cndmask_b32_e32 v121, v8, v12, vcc_lo
.LBB85_98:                              ;   in Loop: Header=BB85_12 Depth=1
	s_or_b32 exec_lo, exec_lo, s29
	v_cvt_f32_f16_e32 v8, v10
	s_delay_alu instid0(VALU_DEP_1) | instskip(NEXT) | instid1(VALU_DEP_1)
	v_add_f32_e32 v122, s68, v8
	v_cmp_ge_f32_e32 vcc_lo, 0x41a00000, v122
	s_and_b32 s28, s79, vcc_lo
	s_delay_alu instid0(SALU_CYCLE_1)
	s_and_saveexec_b32 s29, s28
	s_cbranch_execz .LBB85_100
; %bb.99:                               ;   in Loop: Header=BB85_12 Depth=1
	v_mul_f32_e32 v8, 0x3fb8aa3b, v122
	v_cmp_ngt_f32_e32 vcc_lo, 0xc2ce8ed0, v122
	s_delay_alu instid0(VALU_DEP_2) | instskip(SKIP_1) | instid1(VALU_DEP_2)
	v_rndne_f32_e32 v9, v8
	v_fma_f32 v12, 0x3fb8aa3b, v122, -v8
	v_sub_f32_e32 v8, v8, v9
	s_delay_alu instid0(VALU_DEP_2) | instskip(SKIP_1) | instid1(VALU_DEP_2)
	v_fmac_f32_e32 v12, 0x32a5705f, v122
	v_cvt_i32_f32_e32 v9, v9
	v_add_f32_e32 v8, v8, v12
	s_delay_alu instid0(VALU_DEP_1) | instskip(SKIP_2) | instid1(VALU_DEP_1)
	v_exp_f32_e32 v8, v8
	s_waitcnt_depctr 0xfff
	v_ldexp_f32 v8, v8, v9
	v_cndmask_b32_e32 v8, 0, v8, vcc_lo
	v_cmp_nlt_f32_e32 vcc_lo, 0x42b17218, v122
	s_delay_alu instid0(VALU_DEP_2) | instskip(NEXT) | instid1(VALU_DEP_1)
	v_cndmask_b32_e32 v12, 0x7f800000, v8, vcc_lo
	v_add_f32_e32 v13, 1.0, v12
	s_delay_alu instid0(VALU_DEP_1) | instskip(NEXT) | instid1(VALU_DEP_1)
	v_cvt_f64_f32_e32 v[8:9], v13
	v_frexp_exp_i32_f64_e32 v8, v[8:9]
	v_frexp_mant_f32_e32 v9, v13
	s_delay_alu instid0(VALU_DEP_1) | instskip(SKIP_1) | instid1(VALU_DEP_1)
	v_cmp_gt_f32_e32 vcc_lo, 0x3f2aaaab, v9
	v_add_f32_e32 v9, -1.0, v13
	v_sub_f32_e32 v15, v9, v13
	s_delay_alu instid0(VALU_DEP_1) | instskip(SKIP_1) | instid1(VALU_DEP_1)
	v_add_f32_e32 v15, 1.0, v15
	v_subrev_co_ci_u32_e32 v8, vcc_lo, 0, v8, vcc_lo
	v_sub_nc_u32_e32 v14, 0, v8
	v_cvt_f32_i32_e32 v8, v8
	s_delay_alu instid0(VALU_DEP_2) | instskip(NEXT) | instid1(VALU_DEP_1)
	v_ldexp_f32 v13, v13, v14
	v_add_f32_e32 v17, 1.0, v13
	v_sub_f32_e32 v9, v12, v9
	v_cmp_eq_f32_e32 vcc_lo, 0x7f800000, v12
	v_cmp_gt_f32_e64 s28, 0x33800000, v12
	s_delay_alu instid0(VALU_DEP_3) | instskip(NEXT) | instid1(VALU_DEP_2)
	v_add_f32_e32 v9, v9, v15
	s_or_b32 vcc_lo, s28, vcc_lo
	s_delay_alu instid0(VALU_DEP_1) | instskip(SKIP_1) | instid1(VALU_DEP_1)
	v_ldexp_f32 v9, v9, v14
	v_add_f32_e32 v14, -1.0, v13
	v_dual_add_f32 v15, -1.0, v17 :: v_dual_add_f32 v102, 1.0, v14
	s_delay_alu instid0(VALU_DEP_1) | instskip(NEXT) | instid1(VALU_DEP_2)
	v_sub_f32_e32 v15, v13, v15
	v_sub_f32_e32 v13, v13, v102
	s_delay_alu instid0(VALU_DEP_2) | instskip(NEXT) | instid1(VALU_DEP_2)
	v_add_f32_e32 v15, v9, v15
	v_add_f32_e32 v9, v9, v13
	s_delay_alu instid0(VALU_DEP_1) | instskip(NEXT) | instid1(VALU_DEP_1)
	v_dual_add_f32 v102, v17, v15 :: v_dual_add_f32 v103, v14, v9
	v_rcp_f32_e32 v13, v102
	s_delay_alu instid0(VALU_DEP_1) | instskip(NEXT) | instid1(VALU_DEP_1)
	v_dual_sub_f32 v17, v17, v102 :: v_dual_sub_f32 v14, v14, v103
	v_add_f32_e32 v15, v15, v17
	s_delay_alu instid0(VALU_DEP_2) | instskip(SKIP_2) | instid1(VALU_DEP_1)
	v_add_f32_e32 v9, v9, v14
	s_waitcnt_depctr 0xfff
	v_mul_f32_e32 v105, v103, v13
	v_mul_f32_e32 v106, v102, v105
	s_delay_alu instid0(VALU_DEP_1) | instskip(NEXT) | instid1(VALU_DEP_1)
	v_fma_f32 v17, v105, v102, -v106
	v_fmac_f32_e32 v17, v105, v15
	s_delay_alu instid0(VALU_DEP_1) | instskip(NEXT) | instid1(VALU_DEP_1)
	v_add_f32_e32 v107, v106, v17
	v_sub_f32_e32 v108, v103, v107
	v_sub_f32_e32 v14, v107, v106
	s_delay_alu instid0(VALU_DEP_1) | instskip(NEXT) | instid1(VALU_DEP_1)
	v_dual_sub_f32 v103, v103, v108 :: v_dual_sub_f32 v14, v14, v17
	v_sub_f32_e32 v103, v103, v107
	s_delay_alu instid0(VALU_DEP_1) | instskip(NEXT) | instid1(VALU_DEP_1)
	v_add_f32_e32 v9, v9, v103
	v_add_f32_e32 v9, v14, v9
	s_delay_alu instid0(VALU_DEP_1) | instskip(NEXT) | instid1(VALU_DEP_1)
	v_add_f32_e32 v14, v108, v9
	v_mul_f32_e32 v17, v13, v14
	v_sub_f32_e32 v107, v108, v14
	s_delay_alu instid0(VALU_DEP_2) | instskip(NEXT) | instid1(VALU_DEP_2)
	v_mul_f32_e32 v103, v102, v17
	v_add_f32_e32 v9, v9, v107
	s_delay_alu instid0(VALU_DEP_2) | instskip(NEXT) | instid1(VALU_DEP_1)
	v_fma_f32 v102, v17, v102, -v103
	v_fmac_f32_e32 v102, v17, v15
	s_delay_alu instid0(VALU_DEP_1) | instskip(NEXT) | instid1(VALU_DEP_1)
	v_add_f32_e32 v15, v103, v102
	v_sub_f32_e32 v106, v14, v15
	s_delay_alu instid0(VALU_DEP_1) | instskip(NEXT) | instid1(VALU_DEP_1)
	v_dual_sub_f32 v103, v15, v103 :: v_dual_sub_f32 v14, v14, v106
	v_dual_sub_f32 v14, v14, v15 :: v_dual_sub_f32 v15, v103, v102
	s_delay_alu instid0(VALU_DEP_1) | instskip(SKIP_1) | instid1(VALU_DEP_2)
	v_add_f32_e32 v9, v9, v14
	v_add_f32_e32 v14, v105, v17
	;; [unrolled: 1-line block ×3, first 2 shown]
	s_delay_alu instid0(VALU_DEP_2) | instskip(NEXT) | instid1(VALU_DEP_2)
	v_sub_f32_e32 v15, v14, v105
	v_add_f32_e32 v9, v106, v9
	s_delay_alu instid0(VALU_DEP_2) | instskip(NEXT) | instid1(VALU_DEP_2)
	v_sub_f32_e32 v15, v17, v15
	v_mul_f32_e32 v9, v13, v9
	s_delay_alu instid0(VALU_DEP_1) | instskip(NEXT) | instid1(VALU_DEP_1)
	v_add_f32_e32 v9, v15, v9
	v_add_f32_e32 v13, v14, v9
	s_delay_alu instid0(VALU_DEP_1) | instskip(NEXT) | instid1(VALU_DEP_1)
	v_mul_f32_e32 v15, v13, v13
	v_fmaak_f32 v17, s83, v15, 0x3ecc95a3
	s_delay_alu instid0(VALU_DEP_1) | instskip(SKIP_2) | instid1(VALU_DEP_3)
	v_dual_mul_f32 v102, v13, v15 :: v_dual_fmaak_f32 v15, v15, v17, 0x3f2aaada
	v_ldexp_f32 v17, v13, 1
	v_sub_f32_e32 v13, v13, v14
	v_dual_mul_f32 v15, v102, v15 :: v_dual_mul_f32 v102, 0x3f317218, v8
	s_delay_alu instid0(VALU_DEP_2) | instskip(NEXT) | instid1(VALU_DEP_2)
	v_sub_f32_e32 v9, v9, v13
	v_add_f32_e32 v14, v17, v15
	s_delay_alu instid0(VALU_DEP_2) | instskip(NEXT) | instid1(VALU_DEP_2)
	v_ldexp_f32 v9, v9, 1
	v_sub_f32_e32 v13, v14, v17
	v_fma_f32 v17, 0x3f317218, v8, -v102
	s_delay_alu instid0(VALU_DEP_2) | instskip(NEXT) | instid1(VALU_DEP_1)
	v_sub_f32_e32 v13, v15, v13
	v_dual_fmac_f32 v17, 0xb102e308, v8 :: v_dual_add_f32 v8, v9, v13
	s_delay_alu instid0(VALU_DEP_1) | instskip(NEXT) | instid1(VALU_DEP_1)
	v_add_f32_e32 v9, v102, v17
	v_dual_add_f32 v13, v14, v8 :: v_dual_sub_f32 v102, v9, v102
	s_delay_alu instid0(VALU_DEP_1) | instskip(SKIP_1) | instid1(VALU_DEP_3)
	v_add_f32_e32 v15, v9, v13
	v_sub_f32_e32 v14, v13, v14
	v_sub_f32_e32 v17, v17, v102
	s_delay_alu instid0(VALU_DEP_2) | instskip(NEXT) | instid1(VALU_DEP_1)
	v_dual_sub_f32 v103, v15, v9 :: v_dual_sub_f32 v8, v8, v14
	v_sub_f32_e32 v105, v15, v103
	v_sub_f32_e32 v13, v13, v103
	s_delay_alu instid0(VALU_DEP_3) | instskip(NEXT) | instid1(VALU_DEP_3)
	v_add_f32_e32 v14, v17, v8
	v_sub_f32_e32 v9, v9, v105
	s_delay_alu instid0(VALU_DEP_1) | instskip(NEXT) | instid1(VALU_DEP_3)
	v_add_f32_e32 v9, v13, v9
	v_sub_f32_e32 v13, v14, v17
	s_delay_alu instid0(VALU_DEP_2) | instskip(NEXT) | instid1(VALU_DEP_2)
	v_add_f32_e32 v9, v14, v9
	v_sub_f32_e32 v14, v14, v13
	v_sub_f32_e32 v8, v8, v13
	s_delay_alu instid0(VALU_DEP_3) | instskip(NEXT) | instid1(VALU_DEP_1)
	v_add_f32_e32 v102, v15, v9
	v_dual_sub_f32 v14, v17, v14 :: v_dual_sub_f32 v13, v102, v15
	s_delay_alu instid0(VALU_DEP_1) | instskip(NEXT) | instid1(VALU_DEP_1)
	v_dual_add_f32 v8, v8, v14 :: v_dual_sub_f32 v9, v9, v13
	v_add_f32_e32 v8, v8, v9
	s_delay_alu instid0(VALU_DEP_1) | instskip(NEXT) | instid1(VALU_DEP_1)
	v_add_f32_e32 v8, v102, v8
	v_cndmask_b32_e32 v122, v8, v12, vcc_lo
.LBB85_100:                             ;   in Loop: Header=BB85_12 Depth=1
	s_or_b32 exec_lo, exec_lo, s29
	v_lshrrev_b32_e32 v8, 16, v10
	s_delay_alu instid0(VALU_DEP_1) | instskip(NEXT) | instid1(VALU_DEP_1)
	v_cvt_f32_f16_e32 v8, v8
	v_add_f32_e32 v123, s68, v8
	s_delay_alu instid0(VALU_DEP_1) | instskip(SKIP_1) | instid1(SALU_CYCLE_1)
	v_cmp_ge_f32_e32 vcc_lo, 0x41a00000, v123
	s_and_b32 s28, s79, vcc_lo
	s_and_saveexec_b32 s29, s28
	s_cbranch_execz .LBB85_102
; %bb.101:                              ;   in Loop: Header=BB85_12 Depth=1
	v_mul_f32_e32 v8, 0x3fb8aa3b, v123
	v_cmp_ngt_f32_e32 vcc_lo, 0xc2ce8ed0, v123
	s_delay_alu instid0(VALU_DEP_2) | instskip(SKIP_1) | instid1(VALU_DEP_2)
	v_rndne_f32_e32 v9, v8
	v_fma_f32 v10, 0x3fb8aa3b, v123, -v8
	v_sub_f32_e32 v8, v8, v9
	s_delay_alu instid0(VALU_DEP_2) | instskip(SKIP_1) | instid1(VALU_DEP_2)
	v_fmac_f32_e32 v10, 0x32a5705f, v123
	v_cvt_i32_f32_e32 v9, v9
	v_add_f32_e32 v8, v8, v10
	s_delay_alu instid0(VALU_DEP_1) | instskip(SKIP_2) | instid1(VALU_DEP_1)
	v_exp_f32_e32 v8, v8
	s_waitcnt_depctr 0xfff
	v_ldexp_f32 v8, v8, v9
	v_cndmask_b32_e32 v8, 0, v8, vcc_lo
	v_cmp_nlt_f32_e32 vcc_lo, 0x42b17218, v123
	s_delay_alu instid0(VALU_DEP_2) | instskip(NEXT) | instid1(VALU_DEP_1)
	v_cndmask_b32_e32 v10, 0x7f800000, v8, vcc_lo
	v_add_f32_e32 v12, 1.0, v10
	s_delay_alu instid0(VALU_DEP_1) | instskip(NEXT) | instid1(VALU_DEP_1)
	v_cvt_f64_f32_e32 v[8:9], v12
	v_frexp_exp_i32_f64_e32 v8, v[8:9]
	v_frexp_mant_f32_e32 v9, v12
	s_delay_alu instid0(VALU_DEP_1) | instskip(SKIP_1) | instid1(VALU_DEP_1)
	v_cmp_gt_f32_e32 vcc_lo, 0x3f2aaaab, v9
	v_add_f32_e32 v9, -1.0, v12
	v_dual_sub_f32 v14, v9, v12 :: v_dual_sub_f32 v9, v10, v9
	v_subrev_co_ci_u32_e32 v8, vcc_lo, 0, v8, vcc_lo
	s_delay_alu instid0(VALU_DEP_1) | instskip(SKIP_1) | instid1(VALU_DEP_2)
	v_sub_nc_u32_e32 v13, 0, v8
	v_cvt_f32_i32_e32 v8, v8
	v_ldexp_f32 v12, v12, v13
	s_delay_alu instid0(VALU_DEP_1) | instskip(NEXT) | instid1(VALU_DEP_1)
	v_dual_add_f32 v14, 1.0, v14 :: v_dual_add_f32 v15, 1.0, v12
	v_add_f32_e32 v9, v9, v14
	s_delay_alu instid0(VALU_DEP_1) | instskip(NEXT) | instid1(VALU_DEP_3)
	v_ldexp_f32 v9, v9, v13
	v_dual_add_f32 v13, -1.0, v12 :: v_dual_add_f32 v14, -1.0, v15
	s_delay_alu instid0(VALU_DEP_1) | instskip(NEXT) | instid1(VALU_DEP_1)
	v_dual_add_f32 v17, 1.0, v13 :: v_dual_sub_f32 v14, v12, v14
	v_sub_f32_e32 v12, v12, v17
	s_delay_alu instid0(VALU_DEP_2) | instskip(NEXT) | instid1(VALU_DEP_2)
	v_add_f32_e32 v14, v9, v14
	v_add_f32_e32 v9, v9, v12
	s_delay_alu instid0(VALU_DEP_2) | instskip(SKIP_2) | instid1(VALU_DEP_3)
	v_add_f32_e32 v17, v15, v14
	v_cmp_eq_f32_e32 vcc_lo, 0x7f800000, v10
	v_cmp_gt_f32_e64 s28, 0x33800000, v10
	v_rcp_f32_e32 v12, v17
	v_sub_f32_e32 v15, v15, v17
	s_delay_alu instid0(VALU_DEP_2) | instskip(NEXT) | instid1(VALU_DEP_1)
	s_or_b32 vcc_lo, s28, vcc_lo
	v_add_f32_e32 v14, v14, v15
	v_add_f32_e32 v102, v13, v9
	s_waitcnt_depctr 0xfff
	v_mul_f32_e32 v103, v102, v12
	s_delay_alu instid0(VALU_DEP_1) | instskip(NEXT) | instid1(VALU_DEP_1)
	v_mul_f32_e32 v105, v17, v103
	v_fma_f32 v15, v103, v17, -v105
	s_delay_alu instid0(VALU_DEP_1) | instskip(SKIP_1) | instid1(VALU_DEP_2)
	v_fmac_f32_e32 v15, v103, v14
	v_sub_f32_e32 v13, v13, v102
	v_add_f32_e32 v106, v105, v15
	s_delay_alu instid0(VALU_DEP_2) | instskip(NEXT) | instid1(VALU_DEP_2)
	v_add_f32_e32 v9, v9, v13
	v_sub_f32_e32 v107, v102, v106
	v_sub_f32_e32 v13, v106, v105
	s_delay_alu instid0(VALU_DEP_2) | instskip(NEXT) | instid1(VALU_DEP_1)
	v_sub_f32_e32 v102, v102, v107
	v_dual_sub_f32 v13, v13, v15 :: v_dual_sub_f32 v102, v102, v106
	s_delay_alu instid0(VALU_DEP_1) | instskip(NEXT) | instid1(VALU_DEP_1)
	v_add_f32_e32 v9, v9, v102
	v_add_f32_e32 v9, v13, v9
	s_delay_alu instid0(VALU_DEP_1) | instskip(NEXT) | instid1(VALU_DEP_1)
	v_add_f32_e32 v13, v107, v9
	v_mul_f32_e32 v15, v12, v13
	v_sub_f32_e32 v106, v107, v13
	s_delay_alu instid0(VALU_DEP_2) | instskip(NEXT) | instid1(VALU_DEP_1)
	v_mul_f32_e32 v102, v17, v15
	v_fma_f32 v17, v15, v17, -v102
	s_delay_alu instid0(VALU_DEP_1) | instskip(NEXT) | instid1(VALU_DEP_1)
	v_fmac_f32_e32 v17, v15, v14
	v_add_f32_e32 v14, v102, v17
	s_delay_alu instid0(VALU_DEP_1) | instskip(SKIP_2) | instid1(VALU_DEP_3)
	v_sub_f32_e32 v105, v13, v14
	v_sub_f32_e32 v102, v14, v102
	v_add_f32_e32 v9, v9, v106
	v_sub_f32_e32 v13, v13, v105
	s_delay_alu instid0(VALU_DEP_1) | instskip(NEXT) | instid1(VALU_DEP_1)
	v_dual_sub_f32 v13, v13, v14 :: v_dual_sub_f32 v14, v102, v17
	v_add_f32_e32 v9, v9, v13
	v_add_f32_e32 v13, v103, v15
	s_delay_alu instid0(VALU_DEP_1) | instskip(NEXT) | instid1(VALU_DEP_1)
	v_dual_add_f32 v9, v14, v9 :: v_dual_sub_f32 v14, v13, v103
	v_dual_add_f32 v9, v105, v9 :: v_dual_sub_f32 v14, v15, v14
	s_delay_alu instid0(VALU_DEP_1) | instskip(NEXT) | instid1(VALU_DEP_1)
	v_mul_f32_e32 v9, v12, v9
	v_add_f32_e32 v9, v14, v9
	s_delay_alu instid0(VALU_DEP_1) | instskip(NEXT) | instid1(VALU_DEP_1)
	v_add_f32_e32 v12, v13, v9
	v_mul_f32_e32 v14, v12, v12
	s_delay_alu instid0(VALU_DEP_1) | instskip(NEXT) | instid1(VALU_DEP_1)
	v_fmaak_f32 v15, s83, v14, 0x3ecc95a3
	v_dual_mul_f32 v17, v12, v14 :: v_dual_fmaak_f32 v14, v14, v15, 0x3f2aaada
	v_ldexp_f32 v15, v12, 1
	s_delay_alu instid0(VALU_DEP_2) | instskip(SKIP_1) | instid1(VALU_DEP_2)
	v_mul_f32_e32 v14, v17, v14
	v_dual_sub_f32 v12, v12, v13 :: v_dual_mul_f32 v17, 0x3f317218, v8
	v_add_f32_e32 v13, v15, v14
	s_delay_alu instid0(VALU_DEP_2) | instskip(NEXT) | instid1(VALU_DEP_2)
	v_sub_f32_e32 v9, v9, v12
	v_sub_f32_e32 v12, v13, v15
	s_delay_alu instid0(VALU_DEP_4) | instskip(NEXT) | instid1(VALU_DEP_3)
	v_fma_f32 v15, 0x3f317218, v8, -v17
	v_ldexp_f32 v9, v9, 1
	s_delay_alu instid0(VALU_DEP_3) | instskip(NEXT) | instid1(VALU_DEP_3)
	v_sub_f32_e32 v12, v14, v12
	v_fmac_f32_e32 v15, 0xb102e308, v8
	s_delay_alu instid0(VALU_DEP_2) | instskip(NEXT) | instid1(VALU_DEP_1)
	v_add_f32_e32 v8, v9, v12
	v_add_f32_e32 v12, v13, v8
	s_delay_alu instid0(VALU_DEP_1) | instskip(NEXT) | instid1(VALU_DEP_1)
	v_sub_f32_e32 v13, v12, v13
	v_dual_sub_f32 v8, v8, v13 :: v_dual_add_f32 v9, v17, v15
	s_delay_alu instid0(VALU_DEP_1) | instskip(NEXT) | instid1(VALU_DEP_1)
	v_add_f32_e32 v14, v9, v12
	v_sub_f32_e32 v102, v14, v9
	s_delay_alu instid0(VALU_DEP_1) | instskip(NEXT) | instid1(VALU_DEP_1)
	v_dual_sub_f32 v17, v9, v17 :: v_dual_sub_f32 v12, v12, v102
	v_sub_f32_e32 v15, v15, v17
	s_delay_alu instid0(VALU_DEP_1) | instskip(SKIP_1) | instid1(VALU_DEP_1)
	v_add_f32_e32 v13, v15, v8
	v_sub_f32_e32 v103, v14, v102
	v_sub_f32_e32 v9, v9, v103
	s_delay_alu instid0(VALU_DEP_1) | instskip(NEXT) | instid1(VALU_DEP_1)
	v_dual_add_f32 v9, v12, v9 :: v_dual_sub_f32 v12, v13, v15
	v_add_f32_e32 v9, v13, v9
	s_delay_alu instid0(VALU_DEP_2) | instskip(NEXT) | instid1(VALU_DEP_2)
	v_sub_f32_e32 v13, v13, v12
	v_dual_sub_f32 v8, v8, v12 :: v_dual_add_f32 v17, v14, v9
	s_delay_alu instid0(VALU_DEP_1) | instskip(NEXT) | instid1(VALU_DEP_1)
	v_dual_sub_f32 v13, v15, v13 :: v_dual_sub_f32 v12, v17, v14
	v_dual_add_f32 v8, v8, v13 :: v_dual_sub_f32 v9, v9, v12
	s_delay_alu instid0(VALU_DEP_1) | instskip(NEXT) | instid1(VALU_DEP_1)
	v_add_f32_e32 v8, v8, v9
	v_add_f32_e32 v8, v17, v8
	s_delay_alu instid0(VALU_DEP_1)
	v_cndmask_b32_e32 v123, v8, v10, vcc_lo
.LBB85_102:                             ;   in Loop: Header=BB85_12 Depth=1
	s_or_b32 exec_lo, exec_lo, s29
	v_cvt_f32_f16_e32 v8, v11
	s_delay_alu instid0(VALU_DEP_1) | instskip(NEXT) | instid1(VALU_DEP_1)
	v_add_f32_e32 v124, s68, v8
	v_cmp_ge_f32_e32 vcc_lo, 0x41a00000, v124
	s_and_b32 s28, s79, vcc_lo
	s_delay_alu instid0(SALU_CYCLE_1)
	s_and_saveexec_b32 s29, s28
	s_cbranch_execz .LBB85_104
; %bb.103:                              ;   in Loop: Header=BB85_12 Depth=1
	v_mul_f32_e32 v8, 0x3fb8aa3b, v124
	v_cmp_ngt_f32_e32 vcc_lo, 0xc2ce8ed0, v124
	s_delay_alu instid0(VALU_DEP_2) | instskip(SKIP_1) | instid1(VALU_DEP_2)
	v_rndne_f32_e32 v9, v8
	v_fma_f32 v10, 0x3fb8aa3b, v124, -v8
	v_sub_f32_e32 v8, v8, v9
	s_delay_alu instid0(VALU_DEP_2) | instskip(SKIP_1) | instid1(VALU_DEP_2)
	v_fmac_f32_e32 v10, 0x32a5705f, v124
	v_cvt_i32_f32_e32 v9, v9
	v_add_f32_e32 v8, v8, v10
	s_delay_alu instid0(VALU_DEP_1) | instskip(SKIP_2) | instid1(VALU_DEP_1)
	v_exp_f32_e32 v8, v8
	s_waitcnt_depctr 0xfff
	v_ldexp_f32 v8, v8, v9
	v_cndmask_b32_e32 v8, 0, v8, vcc_lo
	v_cmp_nlt_f32_e32 vcc_lo, 0x42b17218, v124
	s_delay_alu instid0(VALU_DEP_2) | instskip(NEXT) | instid1(VALU_DEP_1)
	v_cndmask_b32_e32 v10, 0x7f800000, v8, vcc_lo
	v_add_f32_e32 v12, 1.0, v10
	s_delay_alu instid0(VALU_DEP_1) | instskip(NEXT) | instid1(VALU_DEP_1)
	v_cvt_f64_f32_e32 v[8:9], v12
	v_frexp_exp_i32_f64_e32 v8, v[8:9]
	v_frexp_mant_f32_e32 v9, v12
	s_delay_alu instid0(VALU_DEP_1) | instskip(SKIP_1) | instid1(VALU_DEP_1)
	v_cmp_gt_f32_e32 vcc_lo, 0x3f2aaaab, v9
	v_add_f32_e32 v9, -1.0, v12
	v_dual_sub_f32 v14, v9, v12 :: v_dual_sub_f32 v9, v10, v9
	v_subrev_co_ci_u32_e32 v8, vcc_lo, 0, v8, vcc_lo
	s_delay_alu instid0(VALU_DEP_1) | instskip(SKIP_1) | instid1(VALU_DEP_2)
	v_sub_nc_u32_e32 v13, 0, v8
	v_cvt_f32_i32_e32 v8, v8
	v_ldexp_f32 v12, v12, v13
	s_delay_alu instid0(VALU_DEP_1) | instskip(NEXT) | instid1(VALU_DEP_1)
	v_dual_add_f32 v14, 1.0, v14 :: v_dual_add_f32 v15, 1.0, v12
	v_add_f32_e32 v9, v9, v14
	s_delay_alu instid0(VALU_DEP_1) | instskip(NEXT) | instid1(VALU_DEP_3)
	v_ldexp_f32 v9, v9, v13
	v_dual_add_f32 v13, -1.0, v12 :: v_dual_add_f32 v14, -1.0, v15
	s_delay_alu instid0(VALU_DEP_1) | instskip(NEXT) | instid1(VALU_DEP_1)
	v_dual_add_f32 v17, 1.0, v13 :: v_dual_sub_f32 v14, v12, v14
	v_sub_f32_e32 v12, v12, v17
	s_delay_alu instid0(VALU_DEP_2) | instskip(NEXT) | instid1(VALU_DEP_2)
	v_add_f32_e32 v14, v9, v14
	v_add_f32_e32 v9, v9, v12
	s_delay_alu instid0(VALU_DEP_2) | instskip(SKIP_2) | instid1(VALU_DEP_3)
	v_add_f32_e32 v17, v15, v14
	v_cmp_eq_f32_e32 vcc_lo, 0x7f800000, v10
	v_cmp_gt_f32_e64 s28, 0x33800000, v10
	v_rcp_f32_e32 v12, v17
	v_sub_f32_e32 v15, v15, v17
	s_delay_alu instid0(VALU_DEP_2) | instskip(NEXT) | instid1(VALU_DEP_1)
	s_or_b32 vcc_lo, s28, vcc_lo
	v_add_f32_e32 v14, v14, v15
	v_add_f32_e32 v102, v13, v9
	s_waitcnt_depctr 0xfff
	v_mul_f32_e32 v103, v102, v12
	s_delay_alu instid0(VALU_DEP_1) | instskip(NEXT) | instid1(VALU_DEP_1)
	v_mul_f32_e32 v105, v17, v103
	v_fma_f32 v15, v103, v17, -v105
	s_delay_alu instid0(VALU_DEP_1) | instskip(SKIP_1) | instid1(VALU_DEP_2)
	v_fmac_f32_e32 v15, v103, v14
	v_sub_f32_e32 v13, v13, v102
	v_add_f32_e32 v106, v105, v15
	s_delay_alu instid0(VALU_DEP_2) | instskip(NEXT) | instid1(VALU_DEP_2)
	v_add_f32_e32 v9, v9, v13
	v_sub_f32_e32 v107, v102, v106
	v_sub_f32_e32 v13, v106, v105
	s_delay_alu instid0(VALU_DEP_2) | instskip(NEXT) | instid1(VALU_DEP_1)
	v_sub_f32_e32 v102, v102, v107
	v_dual_sub_f32 v13, v13, v15 :: v_dual_sub_f32 v102, v102, v106
	s_delay_alu instid0(VALU_DEP_1) | instskip(NEXT) | instid1(VALU_DEP_1)
	v_add_f32_e32 v9, v9, v102
	v_add_f32_e32 v9, v13, v9
	s_delay_alu instid0(VALU_DEP_1) | instskip(NEXT) | instid1(VALU_DEP_1)
	v_add_f32_e32 v13, v107, v9
	v_mul_f32_e32 v15, v12, v13
	v_sub_f32_e32 v106, v107, v13
	s_delay_alu instid0(VALU_DEP_2) | instskip(NEXT) | instid1(VALU_DEP_1)
	v_mul_f32_e32 v102, v17, v15
	v_fma_f32 v17, v15, v17, -v102
	s_delay_alu instid0(VALU_DEP_1) | instskip(NEXT) | instid1(VALU_DEP_1)
	v_fmac_f32_e32 v17, v15, v14
	v_add_f32_e32 v14, v102, v17
	s_delay_alu instid0(VALU_DEP_1) | instskip(SKIP_2) | instid1(VALU_DEP_3)
	v_sub_f32_e32 v105, v13, v14
	v_sub_f32_e32 v102, v14, v102
	v_add_f32_e32 v9, v9, v106
	v_sub_f32_e32 v13, v13, v105
	s_delay_alu instid0(VALU_DEP_1) | instskip(NEXT) | instid1(VALU_DEP_1)
	v_dual_sub_f32 v13, v13, v14 :: v_dual_sub_f32 v14, v102, v17
	v_add_f32_e32 v9, v9, v13
	v_add_f32_e32 v13, v103, v15
	s_delay_alu instid0(VALU_DEP_1) | instskip(NEXT) | instid1(VALU_DEP_1)
	v_dual_add_f32 v9, v14, v9 :: v_dual_sub_f32 v14, v13, v103
	v_dual_add_f32 v9, v105, v9 :: v_dual_sub_f32 v14, v15, v14
	s_delay_alu instid0(VALU_DEP_1) | instskip(NEXT) | instid1(VALU_DEP_1)
	v_mul_f32_e32 v9, v12, v9
	v_add_f32_e32 v9, v14, v9
	s_delay_alu instid0(VALU_DEP_1) | instskip(NEXT) | instid1(VALU_DEP_1)
	v_add_f32_e32 v12, v13, v9
	v_mul_f32_e32 v14, v12, v12
	s_delay_alu instid0(VALU_DEP_1) | instskip(NEXT) | instid1(VALU_DEP_1)
	v_fmaak_f32 v15, s83, v14, 0x3ecc95a3
	v_dual_mul_f32 v17, v12, v14 :: v_dual_fmaak_f32 v14, v14, v15, 0x3f2aaada
	v_ldexp_f32 v15, v12, 1
	s_delay_alu instid0(VALU_DEP_2) | instskip(SKIP_1) | instid1(VALU_DEP_2)
	v_mul_f32_e32 v14, v17, v14
	v_dual_sub_f32 v12, v12, v13 :: v_dual_mul_f32 v17, 0x3f317218, v8
	v_add_f32_e32 v13, v15, v14
	s_delay_alu instid0(VALU_DEP_2) | instskip(NEXT) | instid1(VALU_DEP_2)
	v_sub_f32_e32 v9, v9, v12
	v_sub_f32_e32 v12, v13, v15
	s_delay_alu instid0(VALU_DEP_4) | instskip(NEXT) | instid1(VALU_DEP_3)
	v_fma_f32 v15, 0x3f317218, v8, -v17
	v_ldexp_f32 v9, v9, 1
	s_delay_alu instid0(VALU_DEP_3) | instskip(NEXT) | instid1(VALU_DEP_3)
	v_sub_f32_e32 v12, v14, v12
	v_fmac_f32_e32 v15, 0xb102e308, v8
	s_delay_alu instid0(VALU_DEP_2) | instskip(NEXT) | instid1(VALU_DEP_1)
	v_add_f32_e32 v8, v9, v12
	v_add_f32_e32 v12, v13, v8
	s_delay_alu instid0(VALU_DEP_1) | instskip(NEXT) | instid1(VALU_DEP_1)
	v_sub_f32_e32 v13, v12, v13
	v_dual_sub_f32 v8, v8, v13 :: v_dual_add_f32 v9, v17, v15
	s_delay_alu instid0(VALU_DEP_1) | instskip(NEXT) | instid1(VALU_DEP_1)
	v_add_f32_e32 v14, v9, v12
	v_sub_f32_e32 v102, v14, v9
	s_delay_alu instid0(VALU_DEP_1) | instskip(NEXT) | instid1(VALU_DEP_1)
	v_dual_sub_f32 v17, v9, v17 :: v_dual_sub_f32 v12, v12, v102
	v_sub_f32_e32 v15, v15, v17
	s_delay_alu instid0(VALU_DEP_1) | instskip(SKIP_1) | instid1(VALU_DEP_1)
	v_add_f32_e32 v13, v15, v8
	v_sub_f32_e32 v103, v14, v102
	v_sub_f32_e32 v9, v9, v103
	s_delay_alu instid0(VALU_DEP_1) | instskip(NEXT) | instid1(VALU_DEP_1)
	v_dual_add_f32 v9, v12, v9 :: v_dual_sub_f32 v12, v13, v15
	v_add_f32_e32 v9, v13, v9
	s_delay_alu instid0(VALU_DEP_2) | instskip(NEXT) | instid1(VALU_DEP_2)
	v_sub_f32_e32 v13, v13, v12
	v_dual_sub_f32 v8, v8, v12 :: v_dual_add_f32 v17, v14, v9
	s_delay_alu instid0(VALU_DEP_1) | instskip(NEXT) | instid1(VALU_DEP_1)
	v_dual_sub_f32 v13, v15, v13 :: v_dual_sub_f32 v12, v17, v14
	v_dual_add_f32 v8, v8, v13 :: v_dual_sub_f32 v9, v9, v12
	s_delay_alu instid0(VALU_DEP_1) | instskip(NEXT) | instid1(VALU_DEP_1)
	v_add_f32_e32 v8, v8, v9
	v_add_f32_e32 v8, v17, v8
	s_delay_alu instid0(VALU_DEP_1)
	v_cndmask_b32_e32 v124, v8, v10, vcc_lo
.LBB85_104:                             ;   in Loop: Header=BB85_12 Depth=1
	s_or_b32 exec_lo, exec_lo, s29
	v_lshrrev_b32_e32 v8, 16, v11
	s_delay_alu instid0(VALU_DEP_1) | instskip(NEXT) | instid1(VALU_DEP_1)
	v_cvt_f32_f16_e32 v8, v8
	v_add_f32_e32 v125, s68, v8
	s_delay_alu instid0(VALU_DEP_1) | instskip(SKIP_1) | instid1(SALU_CYCLE_1)
	v_cmp_ge_f32_e32 vcc_lo, 0x41a00000, v125
	s_and_b32 s28, s79, vcc_lo
	s_and_saveexec_b32 s29, s28
	s_cbranch_execz .LBB85_106
; %bb.105:                              ;   in Loop: Header=BB85_12 Depth=1
	v_mul_f32_e32 v8, 0x3fb8aa3b, v125
	v_cmp_ngt_f32_e32 vcc_lo, 0xc2ce8ed0, v125
	s_delay_alu instid0(VALU_DEP_2) | instskip(SKIP_1) | instid1(VALU_DEP_2)
	v_rndne_f32_e32 v9, v8
	v_fma_f32 v10, 0x3fb8aa3b, v125, -v8
	v_sub_f32_e32 v8, v8, v9
	s_delay_alu instid0(VALU_DEP_2) | instskip(SKIP_1) | instid1(VALU_DEP_2)
	v_fmac_f32_e32 v10, 0x32a5705f, v125
	v_cvt_i32_f32_e32 v9, v9
	v_add_f32_e32 v8, v8, v10
	s_delay_alu instid0(VALU_DEP_1) | instskip(SKIP_2) | instid1(VALU_DEP_1)
	v_exp_f32_e32 v8, v8
	s_waitcnt_depctr 0xfff
	v_ldexp_f32 v8, v8, v9
	v_cndmask_b32_e32 v8, 0, v8, vcc_lo
	v_cmp_nlt_f32_e32 vcc_lo, 0x42b17218, v125
	s_delay_alu instid0(VALU_DEP_2) | instskip(NEXT) | instid1(VALU_DEP_1)
	v_cndmask_b32_e32 v10, 0x7f800000, v8, vcc_lo
	v_add_f32_e32 v11, 1.0, v10
	s_delay_alu instid0(VALU_DEP_1) | instskip(NEXT) | instid1(VALU_DEP_1)
	v_cvt_f64_f32_e32 v[8:9], v11
	v_frexp_exp_i32_f64_e32 v8, v[8:9]
	v_frexp_mant_f32_e32 v9, v11
	s_delay_alu instid0(VALU_DEP_1) | instskip(SKIP_1) | instid1(VALU_DEP_1)
	v_cmp_gt_f32_e32 vcc_lo, 0x3f2aaaab, v9
	v_add_f32_e32 v9, -1.0, v11
	v_sub_f32_e32 v13, v9, v11
	v_sub_f32_e32 v9, v10, v9
	s_delay_alu instid0(VALU_DEP_2) | instskip(NEXT) | instid1(VALU_DEP_1)
	v_add_f32_e32 v13, 1.0, v13
	v_add_f32_e32 v9, v9, v13
	v_cmp_gt_f32_e64 s28, 0x33800000, v10
	v_subrev_co_ci_u32_e32 v8, vcc_lo, 0, v8, vcc_lo
	v_cmp_eq_f32_e32 vcc_lo, 0x7f800000, v10
	s_delay_alu instid0(VALU_DEP_2) | instskip(SKIP_2) | instid1(VALU_DEP_2)
	v_sub_nc_u32_e32 v12, 0, v8
	v_cvt_f32_i32_e32 v8, v8
	s_or_b32 vcc_lo, s28, vcc_lo
	v_ldexp_f32 v11, v11, v12
	v_ldexp_f32 v9, v9, v12
	s_delay_alu instid0(VALU_DEP_2) | instskip(NEXT) | instid1(VALU_DEP_1)
	v_add_f32_e32 v14, 1.0, v11
	v_dual_add_f32 v12, -1.0, v11 :: v_dual_add_f32 v13, -1.0, v14
	s_delay_alu instid0(VALU_DEP_1) | instskip(NEXT) | instid1(VALU_DEP_2)
	v_add_f32_e32 v15, 1.0, v12
	v_sub_f32_e32 v13, v11, v13
	s_delay_alu instid0(VALU_DEP_2) | instskip(NEXT) | instid1(VALU_DEP_2)
	v_sub_f32_e32 v11, v11, v15
	v_add_f32_e32 v13, v9, v13
	s_delay_alu instid0(VALU_DEP_2) | instskip(NEXT) | instid1(VALU_DEP_2)
	v_add_f32_e32 v9, v9, v11
	v_add_f32_e32 v15, v14, v13
	s_delay_alu instid0(VALU_DEP_1) | instskip(NEXT) | instid1(VALU_DEP_2)
	v_rcp_f32_e32 v11, v15
	v_dual_add_f32 v17, v12, v9 :: v_dual_sub_f32 v14, v14, v15
	s_delay_alu instid0(VALU_DEP_1) | instskip(SKIP_2) | instid1(VALU_DEP_1)
	v_dual_sub_f32 v12, v12, v17 :: v_dual_add_f32 v13, v13, v14
	s_waitcnt_depctr 0xfff
	v_mul_f32_e32 v102, v17, v11
	v_mul_f32_e32 v103, v15, v102
	s_delay_alu instid0(VALU_DEP_1) | instskip(NEXT) | instid1(VALU_DEP_1)
	v_fma_f32 v14, v102, v15, -v103
	v_dual_fmac_f32 v14, v102, v13 :: v_dual_add_f32 v9, v9, v12
	s_delay_alu instid0(VALU_DEP_1) | instskip(NEXT) | instid1(VALU_DEP_1)
	v_add_f32_e32 v105, v103, v14
	v_sub_f32_e32 v106, v17, v105
	v_sub_f32_e32 v12, v105, v103
	s_delay_alu instid0(VALU_DEP_2) | instskip(NEXT) | instid1(VALU_DEP_1)
	v_sub_f32_e32 v17, v17, v106
	v_dual_sub_f32 v12, v12, v14 :: v_dual_sub_f32 v17, v17, v105
	s_delay_alu instid0(VALU_DEP_1) | instskip(NEXT) | instid1(VALU_DEP_1)
	v_add_f32_e32 v9, v9, v17
	v_add_f32_e32 v9, v12, v9
	s_delay_alu instid0(VALU_DEP_1) | instskip(NEXT) | instid1(VALU_DEP_1)
	v_add_f32_e32 v12, v106, v9
	v_mul_f32_e32 v14, v11, v12
	v_sub_f32_e32 v105, v106, v12
	s_delay_alu instid0(VALU_DEP_2) | instskip(NEXT) | instid1(VALU_DEP_2)
	v_mul_f32_e32 v17, v15, v14
	v_add_f32_e32 v9, v9, v105
	s_delay_alu instid0(VALU_DEP_2) | instskip(NEXT) | instid1(VALU_DEP_1)
	v_fma_f32 v15, v14, v15, -v17
	v_fmac_f32_e32 v15, v14, v13
	s_delay_alu instid0(VALU_DEP_1) | instskip(NEXT) | instid1(VALU_DEP_1)
	v_add_f32_e32 v13, v17, v15
	v_sub_f32_e32 v103, v12, v13
	s_delay_alu instid0(VALU_DEP_1) | instskip(NEXT) | instid1(VALU_DEP_1)
	v_dual_sub_f32 v17, v13, v17 :: v_dual_sub_f32 v12, v12, v103
	v_dual_sub_f32 v12, v12, v13 :: v_dual_sub_f32 v13, v17, v15
	s_delay_alu instid0(VALU_DEP_1) | instskip(NEXT) | instid1(VALU_DEP_1)
	v_dual_add_f32 v9, v9, v12 :: v_dual_add_f32 v12, v102, v14
	v_add_f32_e32 v9, v13, v9
	s_delay_alu instid0(VALU_DEP_2) | instskip(NEXT) | instid1(VALU_DEP_2)
	v_sub_f32_e32 v13, v12, v102
	v_add_f32_e32 v9, v103, v9
	s_delay_alu instid0(VALU_DEP_2) | instskip(NEXT) | instid1(VALU_DEP_2)
	v_sub_f32_e32 v13, v14, v13
	v_mul_f32_e32 v9, v11, v9
	s_delay_alu instid0(VALU_DEP_1) | instskip(NEXT) | instid1(VALU_DEP_1)
	v_add_f32_e32 v9, v13, v9
	v_add_f32_e32 v11, v12, v9
	s_delay_alu instid0(VALU_DEP_1) | instskip(NEXT) | instid1(VALU_DEP_1)
	v_mul_f32_e32 v13, v11, v11
	v_fmaak_f32 v14, s83, v13, 0x3ecc95a3
	v_mul_f32_e32 v15, v11, v13
	s_delay_alu instid0(VALU_DEP_2) | instskip(SKIP_2) | instid1(VALU_DEP_3)
	v_fmaak_f32 v13, v13, v14, 0x3f2aaada
	v_ldexp_f32 v14, v11, 1
	v_sub_f32_e32 v11, v11, v12
	v_mul_f32_e32 v13, v15, v13
	v_mul_f32_e32 v15, 0x3f317218, v8
	s_delay_alu instid0(VALU_DEP_2) | instskip(NEXT) | instid1(VALU_DEP_1)
	v_dual_sub_f32 v9, v9, v11 :: v_dual_add_f32 v12, v14, v13
	v_ldexp_f32 v9, v9, 1
	s_delay_alu instid0(VALU_DEP_2) | instskip(NEXT) | instid1(VALU_DEP_4)
	v_sub_f32_e32 v11, v12, v14
	v_fma_f32 v14, 0x3f317218, v8, -v15
	s_delay_alu instid0(VALU_DEP_1) | instskip(NEXT) | instid1(VALU_DEP_1)
	v_dual_sub_f32 v11, v13, v11 :: v_dual_fmac_f32 v14, 0xb102e308, v8
	v_dual_add_f32 v8, v9, v11 :: v_dual_add_f32 v9, v15, v14
	s_delay_alu instid0(VALU_DEP_1) | instskip(NEXT) | instid1(VALU_DEP_2)
	v_add_f32_e32 v11, v12, v8
	v_sub_f32_e32 v15, v9, v15
	s_delay_alu instid0(VALU_DEP_2) | instskip(NEXT) | instid1(VALU_DEP_1)
	v_dual_add_f32 v13, v9, v11 :: v_dual_sub_f32 v12, v11, v12
	v_dual_sub_f32 v14, v14, v15 :: v_dual_sub_f32 v17, v13, v9
	s_delay_alu instid0(VALU_DEP_2) | instskip(NEXT) | instid1(VALU_DEP_2)
	v_sub_f32_e32 v8, v8, v12
	v_sub_f32_e32 v102, v13, v17
	s_delay_alu instid0(VALU_DEP_2) | instskip(NEXT) | instid1(VALU_DEP_2)
	v_dual_sub_f32 v11, v11, v17 :: v_dual_add_f32 v12, v14, v8
	v_sub_f32_e32 v9, v9, v102
	s_delay_alu instid0(VALU_DEP_1) | instskip(NEXT) | instid1(VALU_DEP_3)
	v_add_f32_e32 v9, v11, v9
	v_sub_f32_e32 v11, v12, v14
	s_delay_alu instid0(VALU_DEP_2) | instskip(NEXT) | instid1(VALU_DEP_2)
	v_add_f32_e32 v9, v12, v9
	v_sub_f32_e32 v12, v12, v11
	s_delay_alu instid0(VALU_DEP_2) | instskip(NEXT) | instid1(VALU_DEP_1)
	v_dual_sub_f32 v8, v8, v11 :: v_dual_add_f32 v15, v13, v9
	v_dual_sub_f32 v12, v14, v12 :: v_dual_sub_f32 v11, v15, v13
	s_delay_alu instid0(VALU_DEP_1) | instskip(NEXT) | instid1(VALU_DEP_1)
	v_dual_add_f32 v8, v8, v12 :: v_dual_sub_f32 v9, v9, v11
	v_add_f32_e32 v8, v8, v9
	s_delay_alu instid0(VALU_DEP_1) | instskip(NEXT) | instid1(VALU_DEP_1)
	v_add_f32_e32 v8, v15, v8
	v_cndmask_b32_e32 v125, v8, v10, vcc_lo
.LBB85_106:                             ;   in Loop: Header=BB85_12 Depth=1
	s_or_b32 exec_lo, exec_lo, s29
	v_lshrrev_b32_e32 v9, 16, v6
	v_lshrrev_b32_e32 v10, 16, v7
	;; [unrolled: 1-line block ×6, first 2 shown]
	v_cvt_f32_f16_e32 v8, v7
	v_cvt_f32_f16_e32 v7, v9
	;; [unrolled: 1-line block ×7, first 2 shown]
	v_lshrrev_b32_e32 v14, 16, v1
	v_lshrrev_b32_e32 v15, 16, v0
	v_cvt_f32_f16_e32 v6, v6
	v_cvt_f32_f16_e32 v5, v5
	;; [unrolled: 1-line block ×9, first 2 shown]
	v_dual_mul_f32 v106, s69, v8 :: v_dual_mul_f32 v107, s69, v6
	v_dual_mul_f32 v102, s69, v7 :: v_dual_mul_f32 v103, s69, v9
	;; [unrolled: 1-line block ×7, first 2 shown]
	v_mul_f32_e32 v113, s69, v15
	v_mul_f32_e32 v112, s69, v11
	s_and_b32 vcc_lo, exec_lo, s80
	s_barrier
	buffer_gl0_inv
	s_cbranch_vccz .LBB85_202
; %bb.107:                              ;   in Loop: Header=BB85_12 Depth=1
	v_dual_mul_f32 v126, v125, v11 :: v_dual_mul_f32 v131, v124, v8
	v_add_co_u32 v11, s28, s61, v16
	s_delay_alu instid0(VALU_DEP_1) | instskip(SKIP_1) | instid1(VALU_DEP_1)
	v_add_co_ci_u32_e64 v17, null, s62, 0, s28
	v_add_co_u32 v16, s28, s74, v16
	v_add_co_ci_u32_e64 v130, null, s75, 0, s28
	s_delay_alu instid0(VALU_DEP_4) | instskip(NEXT) | instid1(VALU_DEP_4)
	v_add_co_u32 v127, vcc_lo, v11, v93
	v_add_co_ci_u32_e32 v128, vcc_lo, 0, v17, vcc_lo
	s_delay_alu instid0(VALU_DEP_4) | instskip(NEXT) | instid1(VALU_DEP_4)
	v_add_co_u32 v129, vcc_lo, v16, v93
	v_add_co_ci_u32_e32 v130, vcc_lo, 0, v130, vcc_lo
	v_cmp_gt_u32_e32 vcc_lo, s40, v18
	s_cmp_lg_u32 s87, 0
	v_cmp_gt_u32_e64 s30, s40, v79
	s_cselect_b32 s51, -1, 0
	s_cmp_eq_u32 s87, s82
	v_cmp_gt_u32_e64 s31, s40, v80
	s_cselect_b32 s88, -1, 0
	s_or_b32 s28, s81, vcc_lo
	v_cmp_gt_u32_e32 vcc_lo, s40, v78
	v_cmp_gt_u32_e64 s33, s40, v81
	v_cmp_gt_u32_e64 s34, s40, v82
	;; [unrolled: 1-line block ×4, first 2 shown]
	s_or_b32 s29, s81, vcc_lo
	v_cmp_gt_u32_e32 vcc_lo, s40, v83
	v_cmp_gt_u32_e64 s38, s40, v86
	v_cmp_gt_u32_e64 s39, s40, v87
	;; [unrolled: 1-line block ×4, first 2 shown]
	s_or_b32 s35, s81, vcc_lo
	v_cmp_gt_u32_e32 vcc_lo, s40, v88
	v_cmp_gt_u32_e64 s43, s40, v91
	v_cmp_gt_u32_e64 s44, s40, v92
	v_dual_mul_f32 v132, v123, v7 :: v_dual_mul_f32 v133, v122, v6
	v_dual_mul_f32 v134, v121, v9 :: v_dual_mul_f32 v137, v104, v4
	;; [unrolled: 1-line block ×7, first 2 shown]
	s_mov_b32 s66, 0
	s_or_b32 s30, s81, s30
	s_or_b32 s31, s81, s31
	;; [unrolled: 1-line block ×8, first 2 shown]
	s_or_b32 s40, s81, vcc_lo
	s_or_b32 s41, s81, s41
	s_or_b32 s42, s81, s42
	;; [unrolled: 1-line block ×4, first 2 shown]
	s_mov_b32 s52, s66
	s_mov_b32 s54, s66
	;; [unrolled: 1-line block ×5, first 2 shown]
	s_branch .LBB85_109
.LBB85_108:                             ;   in Loop: Header=BB85_109 Depth=2
	s_or_b32 exec_lo, exec_lo, s45
	v_cndmask_b32_e64 v9, v175, v11, s11
	v_cndmask_b32_e64 v10, v174, v10, s11
	s_add_i32 s89, s89, -1
	s_add_i32 s90, s90, 8
	s_add_i32 s58, s58, s49
	v_fma_f32 v9, v9, v146, v15
	v_mul_f32_e32 v10, v10, v146
	s_add_i32 s54, s54, s48
	s_add_i32 s52, s52, s60
	;; [unrolled: 1-line block ×3, first 2 shown]
	v_cndmask_b32_e64 v9, v9, v15, s10
	v_cndmask_b32_e64 v10, v10, v146, s10
	s_cmp_eq_u32 s89, 0
	s_waitcnt lgkmcnt(0)
	s_delay_alu instid0(VALU_DEP_1) | instskip(NEXT) | instid1(VALU_DEP_1)
	v_fmac_f32_e32 v9, v8, v10
	v_fmac_f32_e32 v12, v9, v148
	s_delay_alu instid0(VALU_DEP_1) | instskip(NEXT) | instid1(VALU_DEP_1)
	v_fmac_f32_e32 v13, v12, v150
	v_fmac_f32_e32 v14, v13, v152
	v_fma_mix_f32 v120, v9, v4, v120 op_sel_hi:[0,1,0]
	s_delay_alu instid0(VALU_DEP_2) | instskip(SKIP_2) | instid1(VALU_DEP_3)
	v_fmac_f32_e32 v147, v14, v154
	v_fma_mix_f32 v113, v12, v4, v113 op_sel:[0,1,0] op_sel_hi:[0,1,0]
	v_fma_mix_f32 v114, v14, v5, v114 op_sel:[0,1,0] op_sel_hi:[0,1,0]
	v_fmac_f32_e32 v149, v147, v155
	v_fma_mix_f32 v117, v147, v6, v117 op_sel_hi:[0,1,0]
	s_delay_alu instid0(VALU_DEP_2) | instskip(SKIP_1) | instid1(VALU_DEP_2)
	v_fmac_f32_e32 v151, v149, v157
	v_fma_mix_f32 v110, v149, v6, v110 op_sel:[0,1,0] op_sel_hi:[0,1,0]
	v_fmac_f32_e32 v153, v151, v160
	s_delay_alu instid0(VALU_DEP_1) | instskip(SKIP_1) | instid1(VALU_DEP_2)
	v_fmac_f32_e32 v156, v153, v161
	v_fma_mix_f32 v119, v13, v5, v119 op_sel_hi:[0,1,0]
	v_fmac_f32_e32 v158, v156, v162
	v_fma_mix_f32 v116, v151, v7, v116 op_sel_hi:[0,1,0]
	v_fma_mix_f32 v111, v156, v0, v111 op_sel_hi:[0,1,0]
	s_delay_alu instid0(VALU_DEP_3) | instskip(SKIP_1) | instid1(VALU_DEP_2)
	v_fmac_f32_e32 v159, v158, v163
	v_fma_mix_f32 v105, v158, v0, v105 op_sel:[0,1,0] op_sel_hi:[0,1,0]
	v_fmac_f32_e32 v164, v159, v170
	v_fma_mix_f32 v108, v159, v1, v108 op_sel_hi:[0,1,0]
	s_delay_alu instid0(VALU_DEP_2) | instskip(NEXT) | instid1(VALU_DEP_1)
	v_fmac_f32_e32 v165, v164, v167
	v_fmac_f32_e32 v166, v165, v169
	v_fma_mix_f32 v109, v153, v7, v109 op_sel:[0,1,0] op_sel_hi:[0,1,0]
	s_delay_alu instid0(VALU_DEP_2) | instskip(SKIP_2) | instid1(VALU_DEP_3)
	v_fmac_f32_e32 v168, v166, v172
	v_fma_mix_f32 v107, v165, v2, v107 op_sel_hi:[0,1,0]
	v_fma_mix_f32 v102, v166, v2, v102 op_sel:[0,1,0] op_sel_hi:[0,1,0]
	v_fmac_f32_e32 v171, v168, v173
	v_fma_mix_f32 v103, v164, v1, v103 op_sel:[0,1,0] op_sel_hi:[0,1,0]
	v_fma_mix_f32 v106, v168, v3, v106 op_sel_hi:[0,1,0]
	s_delay_alu instid0(VALU_DEP_3)
	v_fma_mix_f32 v112, v171, v3, v112 op_sel:[0,1,0] op_sel_hi:[0,1,0]
	s_cbranch_scc1 .LBB85_202
.LBB85_109:                             ;   Parent Loop BB85_12 Depth=1
                                        ; =>  This Inner Loop Header: Depth=2
	s_lshl_b64 s[92:93], s[66:67], 2
	s_mov_b32 s53, s67
	s_add_u32 s92, s72, s92
	s_addc_u32 s93, s73, s93
	v_dual_mov_b32 v2, 0 :: v_dual_mov_b32 v3, 0
	global_load_b32 v146, v21, s[92:93]
	s_lshl_b64 s[92:93], s[52:53], 1
	s_delay_alu instid0(SALU_CYCLE_1)
	v_add_co_u32 v0, vcc_lo, v127, s92
	v_add_co_ci_u32_e32 v1, vcc_lo, s93, v128, vcc_lo
	s_and_saveexec_b32 s45, s12
	s_cbranch_execnz .LBB85_145
; %bb.110:                              ;   in Loop: Header=BB85_109 Depth=2
	s_or_b32 exec_lo, exec_lo, s45
	s_and_saveexec_b32 s45, s13
	s_cbranch_execnz .LBB85_146
.LBB85_111:                             ;   in Loop: Header=BB85_109 Depth=2
	s_or_b32 exec_lo, exec_lo, s45
	v_mov_b32_e32 v4, 0
	s_and_saveexec_b32 s45, s14
	s_cbranch_execnz .LBB85_147
.LBB85_112:                             ;   in Loop: Header=BB85_109 Depth=2
	s_or_b32 exec_lo, exec_lo, s45
	s_and_saveexec_b32 s45, s15
	s_cbranch_execnz .LBB85_148
.LBB85_113:                             ;   in Loop: Header=BB85_109 Depth=2
	s_or_b32 exec_lo, exec_lo, s45
	v_mov_b32_e32 v5, 0
	s_and_saveexec_b32 s45, s16
	s_cbranch_execnz .LBB85_149
.LBB85_114:                             ;   in Loop: Header=BB85_109 Depth=2
	s_or_b32 exec_lo, exec_lo, s45
	s_and_saveexec_b32 s45, s17
	s_cbranch_execnz .LBB85_150
.LBB85_115:                             ;   in Loop: Header=BB85_109 Depth=2
	s_or_b32 exec_lo, exec_lo, s45
	v_mov_b32_e32 v6, 0
	s_and_saveexec_b32 s45, s18
	s_cbranch_execnz .LBB85_151
.LBB85_116:                             ;   in Loop: Header=BB85_109 Depth=2
	s_or_b32 exec_lo, exec_lo, s45
	s_and_saveexec_b32 s45, s19
	s_cbranch_execnz .LBB85_152
.LBB85_117:                             ;   in Loop: Header=BB85_109 Depth=2
	s_or_b32 exec_lo, exec_lo, s45
	v_mov_b32_e32 v7, 0
	s_and_saveexec_b32 s45, s20
	s_cbranch_execnz .LBB85_153
.LBB85_118:                             ;   in Loop: Header=BB85_109 Depth=2
	s_or_b32 exec_lo, exec_lo, s45
	s_and_saveexec_b32 s45, s21
	s_cbranch_execnz .LBB85_154
.LBB85_119:                             ;   in Loop: Header=BB85_109 Depth=2
	s_or_b32 exec_lo, exec_lo, s45
	v_mov_b32_e32 v8, 0
	s_and_saveexec_b32 s45, s22
	s_cbranch_execnz .LBB85_155
.LBB85_120:                             ;   in Loop: Header=BB85_109 Depth=2
	s_or_b32 exec_lo, exec_lo, s45
	s_and_saveexec_b32 s45, s23
	s_cbranch_execnz .LBB85_156
.LBB85_121:                             ;   in Loop: Header=BB85_109 Depth=2
	s_or_b32 exec_lo, exec_lo, s45
	v_mov_b32_e32 v9, 0
	s_and_saveexec_b32 s45, s24
	s_cbranch_execnz .LBB85_157
.LBB85_122:                             ;   in Loop: Header=BB85_109 Depth=2
	s_or_b32 exec_lo, exec_lo, s45
	s_and_saveexec_b32 s45, s25
	s_cbranch_execnz .LBB85_158
.LBB85_123:                             ;   in Loop: Header=BB85_109 Depth=2
	s_or_b32 exec_lo, exec_lo, s45
	v_mov_b32_e32 v10, 0
	s_and_saveexec_b32 s45, s26
	s_cbranch_execnz .LBB85_159
.LBB85_124:                             ;   in Loop: Header=BB85_109 Depth=2
	s_or_b32 exec_lo, exec_lo, s45
	s_and_saveexec_b32 s45, s27
	s_cbranch_execz .LBB85_126
.LBB85_125:                             ;   in Loop: Header=BB85_109 Depth=2
	global_load_u16 v0, v[0:1], off offset:960
	s_waitcnt vmcnt(0)
	v_lshl_or_b32 v10, v0, 16, v10
.LBB85_126:                             ;   in Loop: Header=BB85_109 Depth=2
	s_or_b32 exec_lo, exec_lo, s45
	s_waitcnt vmcnt(0)
	ds_store_b16 v37, v3
	ds_store_b16 v37, v2 offset:64
	ds_store_b16 v38, v4 offset:128
	ds_store_b16_d16_hi v39, v4 offset:192
	ds_store_b16 v40, v5 offset:256
	ds_store_b16_d16_hi v41, v5 offset:320
	;; [unrolled: 2-line block ×7, first 2 shown]
	; wave barrier
	ds_load_b128 v[12:15], v52
	ds_load_b128 v[8:11], v52 offset:16
	s_mov_b32 s55, s67
	v_dual_mov_b32 v2, 0 :: v_dual_mov_b32 v3, 0
	s_lshl_b64 s[92:93], s[54:55], 1
	s_delay_alu instid0(SALU_CYCLE_1)
	v_add_co_u32 v0, vcc_lo, v129, s92
	v_add_co_ci_u32_e32 v1, vcc_lo, s93, v130, vcc_lo
	s_and_saveexec_b32 s45, s12
	s_cbranch_execnz .LBB85_160
; %bb.127:                              ;   in Loop: Header=BB85_109 Depth=2
	s_or_b32 exec_lo, exec_lo, s45
	s_and_saveexec_b32 s45, s13
	s_cbranch_execnz .LBB85_161
.LBB85_128:                             ;   in Loop: Header=BB85_109 Depth=2
	s_or_b32 exec_lo, exec_lo, s45
	v_mov_b32_e32 v4, 0
	s_and_saveexec_b32 s45, s14
	s_cbranch_execnz .LBB85_162
.LBB85_129:                             ;   in Loop: Header=BB85_109 Depth=2
	s_or_b32 exec_lo, exec_lo, s45
	s_and_saveexec_b32 s45, s15
	s_cbranch_execnz .LBB85_163
.LBB85_130:                             ;   in Loop: Header=BB85_109 Depth=2
	s_or_b32 exec_lo, exec_lo, s45
	v_mov_b32_e32 v5, 0
	s_and_saveexec_b32 s45, s16
	s_cbranch_execnz .LBB85_164
.LBB85_131:                             ;   in Loop: Header=BB85_109 Depth=2
	s_or_b32 exec_lo, exec_lo, s45
	s_and_saveexec_b32 s45, s17
	s_cbranch_execnz .LBB85_165
.LBB85_132:                             ;   in Loop: Header=BB85_109 Depth=2
	s_or_b32 exec_lo, exec_lo, s45
	v_mov_b32_e32 v6, 0
	s_and_saveexec_b32 s45, s18
	s_cbranch_execnz .LBB85_166
.LBB85_133:                             ;   in Loop: Header=BB85_109 Depth=2
	s_or_b32 exec_lo, exec_lo, s45
	s_and_saveexec_b32 s45, s19
	s_cbranch_execnz .LBB85_167
.LBB85_134:                             ;   in Loop: Header=BB85_109 Depth=2
	s_or_b32 exec_lo, exec_lo, s45
	v_mov_b32_e32 v7, 0
	s_and_saveexec_b32 s45, s20
	s_cbranch_execnz .LBB85_168
.LBB85_135:                             ;   in Loop: Header=BB85_109 Depth=2
	s_or_b32 exec_lo, exec_lo, s45
	s_and_saveexec_b32 s45, s21
	s_cbranch_execnz .LBB85_169
.LBB85_136:                             ;   in Loop: Header=BB85_109 Depth=2
	s_or_b32 exec_lo, exec_lo, s45
	v_mov_b32_e32 v16, 0
	s_and_saveexec_b32 s45, s22
	s_cbranch_execnz .LBB85_170
.LBB85_137:                             ;   in Loop: Header=BB85_109 Depth=2
	s_or_b32 exec_lo, exec_lo, s45
	s_and_saveexec_b32 s45, s23
	s_cbranch_execnz .LBB85_171
.LBB85_138:                             ;   in Loop: Header=BB85_109 Depth=2
	s_or_b32 exec_lo, exec_lo, s45
	v_mov_b32_e32 v17, 0
	s_and_saveexec_b32 s45, s24
	s_cbranch_execnz .LBB85_172
.LBB85_139:                             ;   in Loop: Header=BB85_109 Depth=2
	s_or_b32 exec_lo, exec_lo, s45
	s_and_saveexec_b32 s45, s25
	s_cbranch_execnz .LBB85_173
.LBB85_140:                             ;   in Loop: Header=BB85_109 Depth=2
	s_or_b32 exec_lo, exec_lo, s45
	v_mov_b32_e32 v147, 0
	s_and_saveexec_b32 s45, s26
	s_cbranch_execnz .LBB85_174
.LBB85_141:                             ;   in Loop: Header=BB85_109 Depth=2
	s_or_b32 exec_lo, exec_lo, s45
	s_and_saveexec_b32 s45, s27
	s_cbranch_execz .LBB85_143
.LBB85_142:                             ;   in Loop: Header=BB85_109 Depth=2
	global_load_u16 v0, v[0:1], off offset:960
	s_waitcnt vmcnt(0)
	v_lshl_or_b32 v147, v0, 16, v147
.LBB85_143:                             ;   in Loop: Header=BB85_109 Depth=2
	s_or_b32 exec_lo, exec_lo, s45
	s_waitcnt vmcnt(0)
	ds_store_b16 v37, v3 offset:2112
	ds_store_b16 v53, v2 offset:64
	;; [unrolled: 1-line block ×3, first 2 shown]
	ds_store_b16_d16_hi v55, v4 offset:192
	ds_store_b16 v56, v5 offset:256
	ds_store_b16_d16_hi v57, v5 offset:320
	ds_store_b16 v58, v6 offset:384
	ds_store_b16_d16_hi v59, v6 offset:448
	ds_store_b16 v60, v7 offset:512
	ds_store_b16_d16_hi v61, v7 offset:576
	ds_store_b16 v62, v16 offset:640
	ds_store_b16_d16_hi v63, v16 offset:704
	ds_store_b16 v64, v17 offset:768
	ds_store_b16_d16_hi v65, v17 offset:832
	ds_store_b16 v66, v147 offset:896
	ds_store_b16_d16_hi v67, v147 offset:960
	; wave barrier
	ds_load_b128 v[4:7], v52 offset:2112
	ds_load_b128 v[0:3], v68 offset:16
	s_and_not1_b32 vcc_lo, exec_lo, s51
	s_cbranch_vccnz .LBB85_175
; %bb.144:                              ;   in Loop: Header=BB85_109 Depth=2
	v_mov_b32_e32 v16, s90
	ds_load_b64 v[16:17], v16
	s_cbranch_execz .LBB85_176
	s_branch .LBB85_179
.LBB85_145:                             ;   in Loop: Header=BB85_109 Depth=2
	global_load_u16 v3, v[0:1], off
	s_or_b32 exec_lo, exec_lo, s45
	s_and_saveexec_b32 s45, s13
	s_cbranch_execz .LBB85_111
.LBB85_146:                             ;   in Loop: Header=BB85_109 Depth=2
	global_load_u16 v2, v[0:1], off offset:64
	s_or_b32 exec_lo, exec_lo, s45
	v_mov_b32_e32 v4, 0
	s_and_saveexec_b32 s45, s14
	s_cbranch_execz .LBB85_112
.LBB85_147:                             ;   in Loop: Header=BB85_109 Depth=2
	global_load_u16 v4, v[0:1], off offset:128
	s_or_b32 exec_lo, exec_lo, s45
	s_and_saveexec_b32 s45, s15
	s_cbranch_execz .LBB85_113
.LBB85_148:                             ;   in Loop: Header=BB85_109 Depth=2
	global_load_u16 v5, v[0:1], off offset:192
	s_waitcnt vmcnt(0)
	v_lshl_or_b32 v4, v5, 16, v4
	s_or_b32 exec_lo, exec_lo, s45
	v_mov_b32_e32 v5, 0
	s_and_saveexec_b32 s45, s16
	s_cbranch_execz .LBB85_114
.LBB85_149:                             ;   in Loop: Header=BB85_109 Depth=2
	global_load_u16 v5, v[0:1], off offset:256
	s_or_b32 exec_lo, exec_lo, s45
	s_and_saveexec_b32 s45, s17
	s_cbranch_execz .LBB85_115
.LBB85_150:                             ;   in Loop: Header=BB85_109 Depth=2
	global_load_u16 v6, v[0:1], off offset:320
	s_waitcnt vmcnt(0)
	v_lshl_or_b32 v5, v6, 16, v5
	s_or_b32 exec_lo, exec_lo, s45
	v_mov_b32_e32 v6, 0
	s_and_saveexec_b32 s45, s18
	s_cbranch_execz .LBB85_116
.LBB85_151:                             ;   in Loop: Header=BB85_109 Depth=2
	global_load_u16 v6, v[0:1], off offset:384
	s_or_b32 exec_lo, exec_lo, s45
	s_and_saveexec_b32 s45, s19
	s_cbranch_execz .LBB85_117
.LBB85_152:                             ;   in Loop: Header=BB85_109 Depth=2
	global_load_u16 v7, v[0:1], off offset:448
	s_waitcnt vmcnt(0)
	v_lshl_or_b32 v6, v7, 16, v6
	s_or_b32 exec_lo, exec_lo, s45
	v_mov_b32_e32 v7, 0
	s_and_saveexec_b32 s45, s20
	s_cbranch_execz .LBB85_118
.LBB85_153:                             ;   in Loop: Header=BB85_109 Depth=2
	global_load_u16 v7, v[0:1], off offset:512
	s_or_b32 exec_lo, exec_lo, s45
	s_and_saveexec_b32 s45, s21
	s_cbranch_execz .LBB85_119
.LBB85_154:                             ;   in Loop: Header=BB85_109 Depth=2
	global_load_u16 v8, v[0:1], off offset:576
	s_waitcnt vmcnt(0)
	v_lshl_or_b32 v7, v8, 16, v7
	s_or_b32 exec_lo, exec_lo, s45
	v_mov_b32_e32 v8, 0
	s_and_saveexec_b32 s45, s22
	s_cbranch_execz .LBB85_120
.LBB85_155:                             ;   in Loop: Header=BB85_109 Depth=2
	global_load_u16 v8, v[0:1], off offset:640
	s_or_b32 exec_lo, exec_lo, s45
	s_and_saveexec_b32 s45, s23
	s_cbranch_execz .LBB85_121
.LBB85_156:                             ;   in Loop: Header=BB85_109 Depth=2
	global_load_u16 v9, v[0:1], off offset:704
	s_waitcnt vmcnt(0)
	v_lshl_or_b32 v8, v9, 16, v8
	s_or_b32 exec_lo, exec_lo, s45
	v_mov_b32_e32 v9, 0
	s_and_saveexec_b32 s45, s24
	s_cbranch_execz .LBB85_122
.LBB85_157:                             ;   in Loop: Header=BB85_109 Depth=2
	global_load_u16 v9, v[0:1], off offset:768
	s_or_b32 exec_lo, exec_lo, s45
	s_and_saveexec_b32 s45, s25
	s_cbranch_execz .LBB85_123
.LBB85_158:                             ;   in Loop: Header=BB85_109 Depth=2
	global_load_u16 v10, v[0:1], off offset:832
	s_waitcnt vmcnt(0)
	v_lshl_or_b32 v9, v10, 16, v9
	s_or_b32 exec_lo, exec_lo, s45
	v_mov_b32_e32 v10, 0
	s_and_saveexec_b32 s45, s26
	s_cbranch_execz .LBB85_124
.LBB85_159:                             ;   in Loop: Header=BB85_109 Depth=2
	global_load_u16 v10, v[0:1], off offset:896
	s_or_b32 exec_lo, exec_lo, s45
	s_and_saveexec_b32 s45, s27
	s_cbranch_execnz .LBB85_125
	s_branch .LBB85_126
.LBB85_160:                             ;   in Loop: Header=BB85_109 Depth=2
	global_load_u16 v3, v[0:1], off
	s_or_b32 exec_lo, exec_lo, s45
	s_and_saveexec_b32 s45, s13
	s_cbranch_execz .LBB85_128
.LBB85_161:                             ;   in Loop: Header=BB85_109 Depth=2
	global_load_u16 v2, v[0:1], off offset:64
	s_or_b32 exec_lo, exec_lo, s45
	v_mov_b32_e32 v4, 0
	s_and_saveexec_b32 s45, s14
	s_cbranch_execz .LBB85_129
.LBB85_162:                             ;   in Loop: Header=BB85_109 Depth=2
	global_load_u16 v4, v[0:1], off offset:128
	s_or_b32 exec_lo, exec_lo, s45
	s_and_saveexec_b32 s45, s15
	s_cbranch_execz .LBB85_130
.LBB85_163:                             ;   in Loop: Header=BB85_109 Depth=2
	global_load_u16 v5, v[0:1], off offset:192
	s_waitcnt vmcnt(0)
	v_lshl_or_b32 v4, v5, 16, v4
	s_or_b32 exec_lo, exec_lo, s45
	v_mov_b32_e32 v5, 0
	s_and_saveexec_b32 s45, s16
	s_cbranch_execz .LBB85_131
.LBB85_164:                             ;   in Loop: Header=BB85_109 Depth=2
	global_load_u16 v5, v[0:1], off offset:256
	s_or_b32 exec_lo, exec_lo, s45
	s_and_saveexec_b32 s45, s17
	s_cbranch_execz .LBB85_132
.LBB85_165:                             ;   in Loop: Header=BB85_109 Depth=2
	global_load_u16 v6, v[0:1], off offset:320
	s_waitcnt vmcnt(0)
	v_lshl_or_b32 v5, v6, 16, v5
	s_or_b32 exec_lo, exec_lo, s45
	v_mov_b32_e32 v6, 0
	s_and_saveexec_b32 s45, s18
	s_cbranch_execz .LBB85_133
.LBB85_166:                             ;   in Loop: Header=BB85_109 Depth=2
	global_load_u16 v6, v[0:1], off offset:384
	s_or_b32 exec_lo, exec_lo, s45
	s_and_saveexec_b32 s45, s19
	s_cbranch_execz .LBB85_134
.LBB85_167:                             ;   in Loop: Header=BB85_109 Depth=2
	global_load_u16 v7, v[0:1], off offset:448
	s_waitcnt vmcnt(0)
	v_lshl_or_b32 v6, v7, 16, v6
	s_or_b32 exec_lo, exec_lo, s45
	v_mov_b32_e32 v7, 0
	s_and_saveexec_b32 s45, s20
	s_cbranch_execz .LBB85_135
.LBB85_168:                             ;   in Loop: Header=BB85_109 Depth=2
	global_load_u16 v7, v[0:1], off offset:512
	s_or_b32 exec_lo, exec_lo, s45
	s_and_saveexec_b32 s45, s21
	s_cbranch_execz .LBB85_136
.LBB85_169:                             ;   in Loop: Header=BB85_109 Depth=2
	global_load_u16 v16, v[0:1], off offset:576
	s_waitcnt vmcnt(0)
	v_lshl_or_b32 v7, v16, 16, v7
	s_or_b32 exec_lo, exec_lo, s45
	v_mov_b32_e32 v16, 0
	s_and_saveexec_b32 s45, s22
	s_cbranch_execz .LBB85_137
.LBB85_170:                             ;   in Loop: Header=BB85_109 Depth=2
	global_load_u16 v16, v[0:1], off offset:640
	s_or_b32 exec_lo, exec_lo, s45
	s_and_saveexec_b32 s45, s23
	s_cbranch_execz .LBB85_138
.LBB85_171:                             ;   in Loop: Header=BB85_109 Depth=2
	global_load_u16 v17, v[0:1], off offset:704
	s_waitcnt vmcnt(0)
	v_lshl_or_b32 v16, v17, 16, v16
	s_or_b32 exec_lo, exec_lo, s45
	v_mov_b32_e32 v17, 0
	s_and_saveexec_b32 s45, s24
	s_cbranch_execz .LBB85_139
.LBB85_172:                             ;   in Loop: Header=BB85_109 Depth=2
	global_load_u16 v17, v[0:1], off offset:768
	s_or_b32 exec_lo, exec_lo, s45
	s_and_saveexec_b32 s45, s25
	s_cbranch_execz .LBB85_140
.LBB85_173:                             ;   in Loop: Header=BB85_109 Depth=2
	global_load_u16 v147, v[0:1], off offset:832
	s_waitcnt vmcnt(0)
	v_lshl_or_b32 v17, v147, 16, v17
	s_or_b32 exec_lo, exec_lo, s45
	v_mov_b32_e32 v147, 0
	s_and_saveexec_b32 s45, s26
	s_cbranch_execz .LBB85_141
.LBB85_174:                             ;   in Loop: Header=BB85_109 Depth=2
	global_load_u16 v147, v[0:1], off offset:896
	s_or_b32 exec_lo, exec_lo, s45
	s_and_saveexec_b32 s45, s27
	s_cbranch_execnz .LBB85_142
	s_branch .LBB85_143
.LBB85_175:                             ;   in Loop: Header=BB85_109 Depth=2
                                        ; implicit-def: $vgpr16
.LBB85_176:                             ;   in Loop: Header=BB85_109 Depth=2
	s_waitcnt lgkmcnt(0)
	v_mov_b32_e32 v17, 0
	s_and_not1_b32 vcc_lo, exec_lo, s47
	s_cbranch_vccnz .LBB85_178
; %bb.177:                              ;   in Loop: Header=BB85_109 Depth=2
	s_mov_b32 s59, s67
	s_delay_alu instid0(SALU_CYCLE_1) | instskip(NEXT) | instid1(SALU_CYCLE_1)
	s_lshl_b64 s[92:93], s[58:59], 1
	s_add_u32 s92, s76, s92
	s_addc_u32 s93, s77, s93
	global_load_u16 v16, v21, s[92:93]
	s_waitcnt vmcnt(0)
	v_cvt_f32_f16_e32 v17, v16
.LBB85_178:                             ;   in Loop: Header=BB85_109 Depth=2
	v_mov_b32_e32 v16, 1.0
.LBB85_179:                             ;   in Loop: Header=BB85_109 Depth=2
	v_mul_f32_e32 v168, 0x3fb8aa3b, v146
	s_waitcnt lgkmcnt(19)
	v_lshrrev_b32_e32 v148, 16, v13
	v_lshrrev_b32_e32 v149, 16, v14
	v_cvt_f32_f16_e32 v13, v13
	v_cvt_f32_f16_e64 v156, v14
	v_mul_f32_e32 v14, v168, v94
	v_lshrrev_b32_e32 v147, 16, v12
	v_lshrrev_b32_e32 v150, 16, v15
	v_mul_f32_e32 v13, v143, v13
	v_cvt_f32_f16_e32 v12, v12
	v_cmp_gt_f32_e32 vcc_lo, 0xc2fc0000, v14
	v_cvt_f32_f16_e64 v157, v15
	v_mul_f32_e32 v15, v168, v95
	v_cvt_f32_f16_e64 v155, v148
	v_mul_f32_e32 v12, v145, v12
	v_cndmask_b32_e64 v14, 0, 0x42800000, vcc_lo
	v_mul_f32_e32 v146, v168, v96
	v_cmp_gt_f32_e64 s45, 0xc2fc0000, v15
	v_cndmask_b32_e64 v148, 1.0, 0x1f800000, vcc_lo
	s_waitcnt lgkmcnt(18)
	v_lshrrev_b32_e32 v151, 16, v8
	v_fmac_f32_e32 v14, v168, v94
	v_cvt_f32_f16_e64 v147, v147
	v_cndmask_b32_e64 v15, 0, 0x42800000, s45
	v_cvt_f32_f16_e64 v158, v150
	v_cmp_gt_f32_e32 vcc_lo, 0xc2fc0000, v146
	v_exp_f32_e32 v14, v14
	v_mul_f32_e32 v146, v168, v97
	v_fmac_f32_e32 v15, v168, v95
	v_cvt_f32_f16_e64 v159, v151
	v_cndmask_b32_e64 v151, 0, 0x42800000, vcc_lo
	v_lshrrev_b32_e32 v152, 16, v9
	v_lshrrev_b32_e32 v153, 16, v10
	;; [unrolled: 1-line block ×3, first 2 shown]
	v_cvt_f32_f16_e32 v9, v9
	v_cvt_f32_f16_e32 v8, v8
	v_mul_f32_e32 v14, v14, v148
	v_exp_f32_e32 v150, v15
	v_cndmask_b32_e64 v15, 0, v12, s28
	v_cndmask_b32_e64 v12, 1.0, 0x1f800000, s45
	v_cmp_gt_f32_e64 s45, 0xc2fc0000, v146
	v_cndmask_b32_e64 v146, 1.0, v14, s28
	v_mul_f32_e32 v14, v144, v147
	v_cvt_f32_f16_e64 v164, v152
	v_cvt_f32_f16_e64 v166, v153
	v_cndmask_b32_e64 v148, 0, 0x42800000, s45
	v_cvt_f32_f16_e64 v171, v154
	v_mul_f32_e32 v147, v150, v12
	v_cndmask_b32_e64 v12, 0, v14, s29
	v_cndmask_b32_e64 v14, 1.0, 0x1f800000, vcc_lo
	v_fmac_f32_e32 v151, v168, v96
	v_fmac_f32_e32 v148, v168, v97
	v_dual_mul_f32 v153, v168, v99 :: v_dual_mul_f32 v158, v138, v158
	v_dual_mul_f32 v154, v168, v100 :: v_dual_mul_f32 v9, v135, v9
	s_delay_alu instid0(VALU_DEP_4)
	v_exp_f32_e32 v150, v151
	v_mul_f32_e32 v151, v168, v98
	v_exp_f32_e32 v152, v148
	v_cndmask_b32_e64 v148, 1.0, v147, s29
	v_cndmask_b32_e64 v147, 1.0, 0x1f800000, s45
	v_cmp_gt_f32_e64 s45, 0xc2fc0000, v153
	v_cvt_f32_f16_e32 v10, v10
	v_cvt_f32_f16_e32 v11, v11
	v_mul_f32_e32 v169, v168, v122
	s_delay_alu instid0(TRANS32_DEP_2) | instskip(SKIP_1) | instid1(TRANS32_DEP_1)
	v_dual_mul_f32 v159, v136, v159 :: v_dual_mul_f32 v14, v150, v14
	v_cndmask_b32_e64 v153, 0, 0x42800000, s45
	v_dual_mul_f32 v147, v152, v147 :: v_dual_mul_f32 v10, v133, v10
	v_cndmask_b32_e64 v13, 0, v13, s30
	s_delay_alu instid0(VALU_DEP_4)
	v_cndmask_b32_e64 v150, 1.0, v14, s30
	v_mul_f32_e32 v14, v142, v155
	v_cmp_gt_f32_e32 vcc_lo, 0xc2fc0000, v151
	v_cndmask_b32_e64 v152, 1.0, v147, s31
	v_dual_fmac_f32 v153, v168, v99 :: v_dual_mul_f32 v8, v137, v8
	v_mul_f32_e32 v155, v168, v101
	v_cndmask_b32_e64 v151, 0, 0x42800000, vcc_lo
	v_cndmask_b32_e64 v147, 1.0, 0x1f800000, vcc_lo
	v_cmp_gt_f32_e32 vcc_lo, 0xc2fc0000, v154
	v_exp_f32_e32 v153, v153
	v_cmp_gt_f32_e64 s46, 0xc2fc0000, v155
	v_fmac_f32_e32 v151, v168, v98
	v_mul_f32_e32 v162, v168, v115
	v_cndmask_b32_e64 v154, 0, 0x42800000, vcc_lo
	v_cvt_f32_f16_e64 v149, v149
	v_cndmask_b32_e64 v155, 0, 0x42800000, s46
	v_exp_f32_e32 v151, v151
	v_cndmask_b32_e64 v14, 0, v14, s31
	v_dual_fmac_f32 v154, v168, v100 :: v_dual_mul_f32 v11, v131, v11
	s_delay_alu instid0(VALU_DEP_3) | instskip(SKIP_2) | instid1(VALU_DEP_4)
	v_fmac_f32_e32 v155, v168, v101
	v_mul_f32_e32 v170, v168, v123
	v_mul_f32_e32 v166, v132, v166
	v_exp_f32_e32 v160, v154
	s_delay_alu instid0(TRANS32_DEP_2)
	v_mul_f32_e32 v151, v151, v147
	v_mul_f32_e32 v147, v141, v156
	v_cndmask_b32_e64 v156, 1.0, 0x1f800000, s45
	v_cmp_gt_f32_e64 s45, 0xc2fc0000, v162
	v_mul_f32_e32 v162, v168, v121
	v_cndmask_b32_e64 v154, 1.0, v151, s33
	v_cndmask_b32_e64 v147, 0, v147, s33
	v_mul_f32_e32 v151, v153, v156
	v_cndmask_b32_e64 v153, 1.0, 0x1f800000, vcc_lo
	v_exp_f32_e32 v156, v155
	v_cndmask_b32_e64 v166, 0, v166, s42
	s_delay_alu instid0(VALU_DEP_3) | instskip(NEXT) | instid1(VALU_DEP_3)
	v_cndmask_b32_e64 v155, 1.0, v151, s34
	v_mul_f32_e32 v153, v160, v153
	v_mul_f32_e32 v151, v139, v157
	v_cndmask_b32_e64 v160, 1.0, 0x1f800000, s46
	s_delay_alu instid0(VALU_DEP_3)
	v_cndmask_b32_e64 v157, 1.0, v153, s35
	v_mul_f32_e32 v161, v168, v104
	v_cndmask_b32_e64 v153, 0, v158, s36
	v_mul_f32_e32 v158, v168, v118
	v_mul_f32_e32 v156, v156, v160
	v_cndmask_b32_e64 v151, 0, v151, s35
	v_cmp_gt_f32_e32 vcc_lo, 0xc2fc0000, v161
	s_delay_alu instid0(VALU_DEP_4) | instskip(NEXT) | instid1(VALU_DEP_4)
	v_cmp_gt_f32_e64 s46, 0xc2fc0000, v158
	v_cndmask_b32_e64 v160, 1.0, v156, s36
	v_cndmask_b32_e64 v161, 0, 0x42800000, vcc_lo
	v_cndmask_b32_e64 v163, 1.0, 0x1f800000, vcc_lo
	s_delay_alu instid0(VALU_DEP_4) | instskip(SKIP_1) | instid1(VALU_DEP_4)
	v_cndmask_b32_e64 v158, 0, 0x42800000, s46
	v_cmp_gt_f32_e32 vcc_lo, 0xc2fc0000, v162
	v_fmac_f32_e32 v161, v168, v104
	s_delay_alu instid0(VALU_DEP_3) | instskip(SKIP_1) | instid1(VALU_DEP_3)
	v_fmac_f32_e32 v158, v168, v118
	v_cndmask_b32_e64 v162, 0, 0x42800000, vcc_lo
	v_exp_f32_e32 v156, v161
	v_cndmask_b32_e64 v161, 0, 0x42800000, s45
	s_delay_alu instid0(VALU_DEP_2) | instskip(NEXT) | instid1(VALU_DEP_2)
	v_fmac_f32_e32 v162, v168, v121
	v_fmac_f32_e32 v161, v168, v115
	s_delay_alu instid0(VALU_DEP_2) | instskip(NEXT) | instid1(VALU_DEP_1)
	v_exp_f32_e32 v167, v162
	v_exp_f32_e32 v165, v161
	s_delay_alu instid0(TRANS32_DEP_3)
	v_mul_f32_e32 v161, v156, v163
	v_cndmask_b32_e64 v156, 0, v8, s37
	v_exp_f32_e32 v8, v158
	v_cndmask_b32_e64 v158, 1.0, 0x1f800000, s45
	v_cndmask_b32_e64 v163, 1.0, 0x1f800000, s46
	v_cmp_gt_f32_e64 s45, 0xc2fc0000, v170
	v_cndmask_b32_e64 v161, 1.0, v161, s37
	s_delay_alu instid0(TRANS32_DEP_2) | instid1(VALU_DEP_4)
	v_mul_f32_e32 v162, v165, v158
	v_cndmask_b32_e64 v165, 1.0, 0x1f800000, vcc_lo
	v_cmp_gt_f32_e32 vcc_lo, 0xc2fc0000, v169
	s_delay_alu instid0(TRANS32_DEP_1)
	v_mul_f32_e32 v8, v8, v163
	v_cndmask_b32_e64 v158, 0, v159, s38
	v_cndmask_b32_e64 v159, 0, v9, s39
	v_mul_f32_e32 v9, v134, v164
	v_fma_f32 v169, v148, v15, v12
	v_cndmask_b32_e64 v163, 1.0, v8, s39
	v_mul_f32_e32 v8, v167, v165
	v_cndmask_b32_e64 v165, 0, 0x42800000, vcc_lo
	v_mul_f32_e32 v167, v148, v146
	v_cndmask_b32_e64 v164, 0, v9, s40
	v_cndmask_b32_e64 v162, 1.0, v162, s38
	v_cndmask_b32_e64 v170, 1.0, v8, s40
	v_fmac_f32_e32 v165, v168, v122
	v_mul_f32_e32 v9, v167, v150
	v_fma_f32 v167, v169, v150, v13
	v_cndmask_b32_e64 v8, 1.0, 0x1f800000, vcc_lo
	v_cndmask_b32_e64 v169, 0, 0x42800000, s45
	v_exp_f32_e32 v165, v165
	v_mul_f32_e32 v149, v140, v149
	v_mul_f32_e32 v9, v9, v152
	v_fma_f32 v167, v167, v152, v14
	v_fmac_f32_e32 v169, v168, v123
	s_delay_alu instid0(VALU_DEP_3) | instskip(NEXT) | instid1(VALU_DEP_3)
	v_mul_f32_e32 v9, v9, v154
	v_fma_f32 v167, v167, v154, v147
	s_delay_alu instid0(VALU_DEP_3) | instskip(NEXT) | instid1(TRANS32_DEP_2)
	v_exp_f32_e32 v169, v169
	v_mul_f32_e32 v8, v165, v8
	v_cndmask_b32_e64 v149, 0, v149, s34
	v_mul_f32_e32 v9, v9, v155
	v_cndmask_b32_e64 v165, 0, v10, s41
	v_cndmask_b32_e64 v10, 1.0, 0x1f800000, s45
	s_delay_alu instid0(VALU_DEP_4)
	v_fma_f32 v172, v167, v155, v149
	v_cndmask_b32_e64 v167, 1.0, v8, s41
	v_mul_f32_e32 v8, v9, v157
	s_delay_alu instid0(TRANS32_DEP_1) | instid1(VALU_DEP_4)
	v_mul_f32_e32 v10, v169, v10
	s_delay_alu instid0(VALU_DEP_4) | instskip(SKIP_1) | instid1(VALU_DEP_4)
	v_fma_f32 v9, v172, v157, v151
	v_mul_f32_e32 v172, v168, v124
	v_mul_f32_e32 v8, v8, v160
	s_delay_alu instid0(VALU_DEP_3) | instskip(NEXT) | instid1(VALU_DEP_3)
	v_fma_f32 v9, v9, v160, v153
	v_cmp_gt_f32_e32 vcc_lo, 0xc2fc0000, v172
	v_mul_f32_e32 v172, v168, v125
	s_delay_alu instid0(VALU_DEP_4) | instskip(NEXT) | instid1(VALU_DEP_4)
	v_mul_f32_e32 v8, v8, v161
	v_fma_f32 v9, v9, v161, v156
	v_cndmask_b32_e64 v169, 0, 0x42800000, vcc_lo
	s_delay_alu instid0(VALU_DEP_4) | instskip(NEXT) | instid1(VALU_DEP_4)
	v_cmp_gt_f32_e64 s45, 0xc2fc0000, v172
	v_mul_f32_e32 v8, v8, v162
	s_delay_alu instid0(VALU_DEP_4) | instskip(NEXT) | instid1(VALU_DEP_4)
	v_fma_f32 v9, v9, v162, v158
	v_fmac_f32_e32 v169, v168, v124
	s_delay_alu instid0(VALU_DEP_4) | instskip(NEXT) | instid1(VALU_DEP_4)
	v_cndmask_b32_e64 v172, 0, 0x42800000, s45
	v_mul_f32_e32 v8, v8, v163
	s_delay_alu instid0(VALU_DEP_4) | instskip(NEXT) | instid1(VALU_DEP_4)
	v_fma_f32 v9, v9, v163, v159
	v_exp_f32_e32 v173, v169
	s_delay_alu instid0(VALU_DEP_3)
	v_fmac_f32_e32 v172, v168, v125
	v_cndmask_b32_e64 v169, 1.0, v10, s42
	v_cndmask_b32_e64 v10, 1.0, 0x1f800000, vcc_lo
	v_mul_f32_e32 v8, v8, v170
	v_fma_f32 v9, v9, v170, v164
	v_exp_f32_e32 v174, v172
	v_cndmask_b32_e64 v168, 0, v11, s43
	v_cndmask_b32_e64 v11, 1.0, 0x1f800000, s45
	v_mul_f32_e32 v8, v8, v167
	v_mul_f32_e32 v10, v173, v10
	v_fma_f32 v9, v9, v167, v165
	s_delay_alu instid0(VALU_DEP_3) | instskip(NEXT) | instid1(VALU_DEP_3)
	v_mul_f32_e32 v8, v8, v169
	v_cndmask_b32_e64 v172, 1.0, v10, s43
	v_mul_f32_e32 v10, v126, v171
	s_delay_alu instid0(TRANS32_DEP_1) | instskip(SKIP_1) | instid1(VALU_DEP_4)
	v_mul_f32_e32 v11, v174, v11
	v_fma_f32 v9, v9, v169, v166
	v_mul_f32_e32 v8, v8, v172
	s_delay_alu instid0(VALU_DEP_4) | instskip(NEXT) | instid1(VALU_DEP_4)
	v_cndmask_b32_e64 v171, 0, v10, s44
	v_cndmask_b32_e64 v173, 1.0, v11, s44
	s_delay_alu instid0(VALU_DEP_4) | instskip(NEXT) | instid1(VALU_DEP_2)
	v_fma_f32 v9, v9, v172, v168
	v_mul_f32_e32 v8, v8, v173
	s_delay_alu instid0(VALU_DEP_2) | instskip(NEXT) | instid1(VALU_DEP_2)
	v_fma_f32 v9, v9, v173, v171
	v_mov_b32_dpp v11, v8 row_shr:1 row_mask:0xf bank_mask:0xf
	s_delay_alu instid0(VALU_DEP_2)
	v_mov_b32_dpp v10, v9 row_shr:1 row_mask:0xf bank_mask:0xf
	s_and_saveexec_b32 s45, s0
; %bb.180:                              ;   in Loop: Header=BB85_109 Depth=2
	s_delay_alu instid0(VALU_DEP_2) | instskip(NEXT) | instid1(VALU_DEP_1)
	v_mul_f32_e32 v11, v8, v11
	v_dual_fmac_f32 v9, v8, v10 :: v_dual_mov_b32 v8, v11
; %bb.181:                              ;   in Loop: Header=BB85_109 Depth=2
	s_or_b32 exec_lo, exec_lo, s45
	s_delay_alu instid0(VALU_DEP_1) | instskip(NEXT) | instid1(VALU_DEP_2)
	v_mov_b32_dpp v10, v8 row_shr:2 row_mask:0xf bank_mask:0xf
	v_mov_b32_dpp v11, v9 row_shr:2 row_mask:0xf bank_mask:0xf
	s_and_saveexec_b32 s45, s1
; %bb.182:                              ;   in Loop: Header=BB85_109 Depth=2
	s_delay_alu instid0(VALU_DEP_1) | instskip(NEXT) | instid1(VALU_DEP_3)
	v_fmac_f32_e32 v9, v8, v11
	v_mul_f32_e32 v8, v8, v10
; %bb.183:                              ;   in Loop: Header=BB85_109 Depth=2
	s_or_b32 exec_lo, exec_lo, s45
	s_delay_alu instid0(VALU_DEP_1) | instskip(NEXT) | instid1(VALU_DEP_3)
	v_mov_b32_dpp v10, v8 row_shr:4 row_mask:0xf bank_mask:0xf
	v_mov_b32_dpp v11, v9 row_shr:4 row_mask:0xf bank_mask:0xf
	s_and_saveexec_b32 s45, s2
; %bb.184:                              ;   in Loop: Header=BB85_109 Depth=2
	s_delay_alu instid0(VALU_DEP_1) | instskip(NEXT) | instid1(VALU_DEP_3)
	v_fmac_f32_e32 v9, v8, v11
	v_mul_f32_e32 v8, v8, v10
; %bb.185:                              ;   in Loop: Header=BB85_109 Depth=2
	s_or_b32 exec_lo, exec_lo, s45
	s_delay_alu instid0(VALU_DEP_1) | instskip(NEXT) | instid1(VALU_DEP_3)
	v_mov_b32_dpp v10, v8 row_shr:8 row_mask:0xf bank_mask:0xf
	v_mov_b32_dpp v11, v9 row_shr:8 row_mask:0xf bank_mask:0xf
	s_and_saveexec_b32 s45, s3
; %bb.186:                              ;   in Loop: Header=BB85_109 Depth=2
	s_delay_alu instid0(VALU_DEP_1) | instskip(NEXT) | instid1(VALU_DEP_3)
	v_fmac_f32_e32 v9, v8, v11
	v_mul_f32_e32 v8, v8, v10
; %bb.187:                              ;   in Loop: Header=BB85_109 Depth=2
	s_or_b32 exec_lo, exec_lo, s45
	ds_swizzle_b32 v11, v8 offset:swizzle(BROADCAST,32,15)
	ds_swizzle_b32 v10, v9 offset:swizzle(BROADCAST,32,15)
	s_and_saveexec_b32 s45, s4
	s_cbranch_execz .LBB85_189
; %bb.188:                              ;   in Loop: Header=BB85_109 Depth=2
	s_waitcnt lgkmcnt(1)
	v_mul_f32_e32 v11, v8, v11
	s_waitcnt lgkmcnt(0)
	s_delay_alu instid0(VALU_DEP_1)
	v_dual_fmac_f32 v9, v8, v10 :: v_dual_mov_b32 v8, v11
.LBB85_189:                             ;   in Loop: Header=BB85_109 Depth=2
	s_or_b32 exec_lo, exec_lo, s45
	s_and_saveexec_b32 s45, s5
	s_cbranch_execz .LBB85_191
; %bb.190:                              ;   in Loop: Header=BB85_109 Depth=2
	ds_store_b64 v69, v[8:9] offset:4224
.LBB85_191:                             ;   in Loop: Header=BB85_109 Depth=2
	s_or_b32 exec_lo, exec_lo, s45
	s_waitcnt lgkmcnt(0)
	s_waitcnt_vscnt null, 0x0
	s_barrier
	buffer_gl0_inv
	s_and_saveexec_b32 s45, s6
	s_cbranch_execz .LBB85_193
; %bb.192:                              ;   in Loop: Header=BB85_109 Depth=2
	ds_load_b64 v[10:11], v70 offset:4224
	s_waitcnt lgkmcnt(0)
	v_mov_b32_dpp v174, v10 row_shr:1 row_mask:0xf bank_mask:0xf
	v_mov_b32_dpp v175, v11 row_shr:1 row_mask:0xf bank_mask:0xf
	s_delay_alu instid0(VALU_DEP_2) | instskip(NEXT) | instid1(VALU_DEP_2)
	v_mul_f32_e32 v174, v10, v174
	v_fma_f32 v175, v10, v175, v11
	s_delay_alu instid0(VALU_DEP_2) | instskip(NEXT) | instid1(VALU_DEP_2)
	v_cndmask_b32_e64 v10, v174, v10, s7
	v_cndmask_b32_e64 v11, v175, v11, s7
	ds_store_b64 v70, v[10:11] offset:4224
.LBB85_193:                             ;   in Loop: Header=BB85_109 Depth=2
	s_or_b32 exec_lo, exec_lo, s45
	s_waitcnt lgkmcnt(0)
	s_barrier
	buffer_gl0_inv
                                        ; implicit-def: $vgpr11
	s_and_saveexec_b32 s45, s9
	s_cbranch_execz .LBB85_195
; %bb.194:                              ;   in Loop: Header=BB85_109 Depth=2
	ds_load_b64 v[10:11], v69 offset:4216
	s_waitcnt lgkmcnt(0)
	v_mul_f32_e32 v174, v8, v10
	s_delay_alu instid0(VALU_DEP_1)
	v_dual_fmac_f32 v9, v8, v11 :: v_dual_mov_b32 v8, v174
.LBB85_195:                             ;   in Loop: Header=BB85_109 Depth=2
	s_or_b32 exec_lo, exec_lo, s45
	ds_bpermute_b32 v174, v71, v8
	ds_bpermute_b32 v175, v71, v9
	s_and_saveexec_b32 s45, s8
	s_cbranch_execz .LBB85_199
; %bb.196:                              ;   in Loop: Header=BB85_109 Depth=2
	ds_load_b64 v[8:9], v21 offset:4232
	s_and_saveexec_b32 s46, s10
	s_cbranch_execz .LBB85_198
; %bb.197:                              ;   in Loop: Header=BB85_109 Depth=2
	ds_store_b64 v21, v[16:17] offset:4232
.LBB85_198:                             ;   in Loop: Header=BB85_109 Depth=2
	s_or_b32 exec_lo, exec_lo, s46
	s_waitcnt lgkmcnt(0)
	v_fmac_f32_e32 v9, v17, v8
	s_delay_alu instid0(VALU_DEP_1)
	v_dual_mul_f32 v16, v16, v8 :: v_dual_mov_b32 v17, v9
.LBB85_199:                             ;   in Loop: Header=BB85_109 Depth=2
	s_or_b32 exec_lo, exec_lo, s45
	s_waitcnt lgkmcnt(0)
	s_barrier
	buffer_gl0_inv
	ds_load_b32 v8, v21 offset:4236
	s_and_saveexec_b32 s45, s10
	s_cbranch_execz .LBB85_108
; %bb.200:                              ;   in Loop: Header=BB85_109 Depth=2
	v_mov_b32_e32 v9, s90
	s_and_not1_b32 vcc_lo, exec_lo, s88
	ds_store_b64 v9, v[16:17]
	s_cbranch_vccnz .LBB85_108
; %bb.201:                              ;   in Loop: Header=BB85_109 Depth=2
	s_mov_b32 s59, s67
	v_cvt_f16_f32_e32 v9, v17
	s_lshl_b64 s[92:93], s[58:59], 1
	s_delay_alu instid0(SALU_CYCLE_1)
	s_add_u32 s92, s76, s92
	s_addc_u32 s93, s77, s93
	global_store_b16 v21, v9, s[92:93]
	s_branch .LBB85_108
.LBB85_202:                             ;   in Loop: Header=BB85_12 Depth=1
	v_cvt_f16_f32_e32 v0, v120
	v_cvt_f16_f32_e32 v4, v113
	;; [unrolled: 1-line block ×16, first 2 shown]
	v_pack_b32_f16 v3, v3, v7
	v_pack_b32_f16 v2, v2, v6
	;; [unrolled: 1-line block ×8, first 2 shown]
	s_waitcnt_vscnt null, 0x0
	s_barrier
	buffer_gl0_inv
	ds_store_b128 v52, v[0:3]
	ds_store_b128 v52, v[4:7] offset:16
	; wave barrier
	ds_load_u16 v16, v37 offset:64
	ds_load_u16 v15, v38 offset:128
	;; [unrolled: 1-line block ×15, first 2 shown]
	s_mov_b32 s51, s67
	s_delay_alu instid0(SALU_CYCLE_1) | instskip(NEXT) | instid1(SALU_CYCLE_1)
	s_lshl_b64 s[34:35], s[50:51], 1
	v_add_co_u32 v0, vcc_lo, v72, s34
	v_add_co_ci_u32_e32 v1, vcc_lo, s35, v73, vcc_lo
	s_and_saveexec_b32 s28, s12
	s_cbranch_execnz .LBB85_269
; %bb.203:                              ;   in Loop: Header=BB85_12 Depth=1
	s_or_b32 exec_lo, exec_lo, s28
	s_and_saveexec_b32 s28, s13
	s_cbranch_execnz .LBB85_270
.LBB85_204:                             ;   in Loop: Header=BB85_12 Depth=1
	s_or_b32 exec_lo, exec_lo, s28
	s_and_saveexec_b32 s28, s14
	s_cbranch_execnz .LBB85_271
.LBB85_205:                             ;   in Loop: Header=BB85_12 Depth=1
	s_or_b32 exec_lo, exec_lo, s28
	s_and_saveexec_b32 s28, s15
	s_cbranch_execnz .LBB85_272
.LBB85_206:                             ;   in Loop: Header=BB85_12 Depth=1
	s_or_b32 exec_lo, exec_lo, s28
	s_and_saveexec_b32 s28, s16
	s_cbranch_execnz .LBB85_273
.LBB85_207:                             ;   in Loop: Header=BB85_12 Depth=1
	s_or_b32 exec_lo, exec_lo, s28
	s_and_saveexec_b32 s28, s17
	s_cbranch_execnz .LBB85_274
.LBB85_208:                             ;   in Loop: Header=BB85_12 Depth=1
	s_or_b32 exec_lo, exec_lo, s28
	s_and_saveexec_b32 s28, s18
	s_cbranch_execnz .LBB85_275
.LBB85_209:                             ;   in Loop: Header=BB85_12 Depth=1
	s_or_b32 exec_lo, exec_lo, s28
	s_and_saveexec_b32 s28, s19
	s_cbranch_execnz .LBB85_276
.LBB85_210:                             ;   in Loop: Header=BB85_12 Depth=1
	s_or_b32 exec_lo, exec_lo, s28
	s_and_saveexec_b32 s28, s20
	s_cbranch_execnz .LBB85_277
.LBB85_211:                             ;   in Loop: Header=BB85_12 Depth=1
	s_or_b32 exec_lo, exec_lo, s28
	s_and_saveexec_b32 s28, s21
	s_cbranch_execnz .LBB85_278
.LBB85_212:                             ;   in Loop: Header=BB85_12 Depth=1
	s_or_b32 exec_lo, exec_lo, s28
	s_and_saveexec_b32 s28, s22
	s_cbranch_execnz .LBB85_279
.LBB85_213:                             ;   in Loop: Header=BB85_12 Depth=1
	s_or_b32 exec_lo, exec_lo, s28
	s_and_saveexec_b32 s28, s23
	s_cbranch_execnz .LBB85_280
.LBB85_214:                             ;   in Loop: Header=BB85_12 Depth=1
	s_or_b32 exec_lo, exec_lo, s28
	s_and_saveexec_b32 s28, s24
	s_cbranch_execnz .LBB85_281
.LBB85_215:                             ;   in Loop: Header=BB85_12 Depth=1
	s_or_b32 exec_lo, exec_lo, s28
	s_and_saveexec_b32 s28, s25
	s_cbranch_execnz .LBB85_282
.LBB85_216:                             ;   in Loop: Header=BB85_12 Depth=1
	s_or_b32 exec_lo, exec_lo, s28
	s_and_saveexec_b32 s28, s26
	s_cbranch_execnz .LBB85_283
.LBB85_217:                             ;   in Loop: Header=BB85_12 Depth=1
	s_or_b32 exec_lo, exec_lo, s28
	s_and_saveexec_b32 s28, s27
	s_cbranch_execz .LBB85_219
.LBB85_218:                             ;   in Loop: Header=BB85_12 Depth=1
	s_waitcnt lgkmcnt(0)
	global_store_b16 v[0:1], v2, off offset:960
.LBB85_219:                             ;   in Loop: Header=BB85_12 Depth=1
	s_or_b32 exec_lo, exec_lo, s28
	v_add_co_u32 v0, vcc_lo, v74, s34
	v_add_co_ci_u32_e32 v1, vcc_lo, s35, v75, vcc_lo
	s_waitcnt lgkmcnt(0)
	v_dual_mov_b32 v2, 0 :: v_dual_mov_b32 v3, 0
	s_waitcnt_vscnt null, 0x0
	s_barrier
	buffer_gl0_inv
	s_and_saveexec_b32 s28, s12
	s_cbranch_execz .LBB85_221
; %bb.220:                              ;   in Loop: Header=BB85_12 Depth=1
	global_load_u16 v3, v[0:1], off
.LBB85_221:                             ;   in Loop: Header=BB85_12 Depth=1
	s_or_b32 exec_lo, exec_lo, s28
	s_and_saveexec_b32 s28, s13
	s_cbranch_execz .LBB85_223
; %bb.222:                              ;   in Loop: Header=BB85_12 Depth=1
	global_load_u16 v2, v[0:1], off offset:64
.LBB85_223:                             ;   in Loop: Header=BB85_12 Depth=1
	s_or_b32 exec_lo, exec_lo, s28
	v_dual_mov_b32 v4, 0 :: v_dual_mov_b32 v5, 0
	s_and_saveexec_b32 s28, s14
	s_cbranch_execz .LBB85_225
; %bb.224:                              ;   in Loop: Header=BB85_12 Depth=1
	global_load_u16 v5, v[0:1], off offset:128
.LBB85_225:                             ;   in Loop: Header=BB85_12 Depth=1
	s_or_b32 exec_lo, exec_lo, s28
	s_and_saveexec_b32 s28, s15
	s_cbranch_execz .LBB85_227
; %bb.226:                              ;   in Loop: Header=BB85_12 Depth=1
	global_load_u16 v4, v[0:1], off offset:192
.LBB85_227:                             ;   in Loop: Header=BB85_12 Depth=1
	s_or_b32 exec_lo, exec_lo, s28
	v_dual_mov_b32 v6, 0 :: v_dual_mov_b32 v7, 0
	s_and_saveexec_b32 s28, s16
	s_cbranch_execz .LBB85_229
; %bb.228:                              ;   in Loop: Header=BB85_12 Depth=1
	global_load_u16 v7, v[0:1], off offset:256
.LBB85_229:                             ;   in Loop: Header=BB85_12 Depth=1
	;; [unrolled: 13-line block ×7, first 2 shown]
	s_or_b32 exec_lo, exec_lo, s28
	s_and_saveexec_b32 s28, s27
	s_cbranch_execz .LBB85_251
; %bb.250:                              ;   in Loop: Header=BB85_12 Depth=1
	global_load_u16 v16, v[0:1], off offset:960
.LBB85_251:                             ;   in Loop: Header=BB85_12 Depth=1
	s_or_b32 exec_lo, exec_lo, s28
	s_waitcnt vmcnt(0)
	ds_store_b16 v37, v3
	ds_store_b16 v37, v2 offset:64
	ds_store_b16 v38, v5 offset:128
	;; [unrolled: 1-line block ×15, first 2 shown]
	; wave barrier
	ds_load_b128 v[4:7], v52
	ds_load_b128 v[0:3], v52 offset:16
	s_waitcnt lgkmcnt(0)
	s_barrier
	buffer_gl0_inv
	v_lshrrev_b32_e32 v8, 16, v4
	v_lshrrev_b32_e32 v9, 16, v5
	v_cvt_f32_f16_e32 v10, v5
	v_cvt_f32_f16_e32 v11, v4
	v_lshrrev_b32_e32 v104, 16, v6
	v_cvt_f32_f16_e32 v8, v8
	v_cvt_f32_f16_e32 v9, v9
	v_mul_f32_e32 v12, 0xbfb8aa3b, v10
	v_mul_f32_e32 v14, 0xbfb8aa3b, v11
	v_cvt_f32_f16_e32 v104, v104
	v_mul_f32_e32 v13, 0xbfb8aa3b, v8
	v_mul_f32_e32 v15, 0xbfb8aa3b, v9
	v_rndne_f32_e32 v16, v12
	v_fma_mix_f32 v17, v5, s85, -v12 op_sel_hi:[1,0,0]
	v_cmp_nlt_f32_e32 vcc_lo, 0x42ce8ed0, v8
	v_rndne_f32_e32 v94, v13
	v_fma_mix_f32 v95, v4, s85, -v13 op_sel:[1,0,0] op_sel_hi:[1,0,0]
	v_fma_mix_f32 v97, v5, s85, -v15 op_sel:[1,0,0] op_sel_hi:[1,0,0]
	v_rndne_f32_e32 v96, v15
	s_delay_alu instid0(VALU_DEP_4) | instskip(NEXT) | instid1(VALU_DEP_4)
	v_dual_sub_f32 v12, v12, v16 :: v_dual_sub_f32 v13, v13, v94
	v_fma_mix_f32 v95, v4, s86, v95 op_sel:[1,0,0] op_sel_hi:[1,0,0]
	s_delay_alu instid0(VALU_DEP_4) | instskip(SKIP_4) | instid1(VALU_DEP_4)
	v_fma_mix_f32 v97, v5, s86, v97 op_sel:[1,0,0] op_sel_hi:[1,0,0]
	v_fma_mix_f32 v5, v5, s86, v17 op_sel_hi:[1,0,0]
	v_rndne_f32_e32 v17, v14
	v_sub_f32_e32 v15, v15, v96
	v_cvt_i32_f32_e32 v16, v16
	v_add_f32_e32 v5, v12, v5
	s_delay_alu instid0(VALU_DEP_4) | instskip(SKIP_2) | instid1(VALU_DEP_4)
	v_dual_sub_f32 v12, v14, v17 :: v_dual_add_f32 v13, v13, v95
	v_fma_mix_f32 v95, v4, s85, -v14 op_sel_hi:[1,0,0]
	v_add_f32_e32 v15, v15, v97
	v_exp_f32_e32 v5, v5
	v_cvt_i32_f32_e32 v17, v17
	s_delay_alu instid0(VALU_DEP_3) | instskip(NEXT) | instid1(VALU_DEP_3)
	v_fma_mix_f32 v4, v4, s86, v95 op_sel_hi:[1,0,0]
	v_exp_f32_e32 v14, v15
	v_cvt_i32_f32_e32 v15, v94
	s_delay_alu instid0(VALU_DEP_2) | instskip(SKIP_2) | instid1(TRANS32_DEP_3)
	v_add_f32_e32 v4, v12, v4
	v_exp_f32_e32 v13, v13
	v_cvt_i32_f32_e32 v12, v96
	v_ldexp_f32 v5, v5, v16
	s_delay_alu instid0(VALU_DEP_3)
	v_exp_f32_e32 v4, v4
	s_delay_alu instid0(TRANS32_DEP_3) | instid1(VALU_DEP_2)
	v_ldexp_f32 v12, v14, v12
	s_waitcnt_depctr 0xfff
	v_ldexp_f32 v13, v13, v15
	v_ldexp_f32 v4, v4, v17
	s_delay_alu instid0(VALU_DEP_2)
	v_cndmask_b32_e32 v13, 0, v13, vcc_lo
	v_cmp_nlt_f32_e32 vcc_lo, 0x42ce8ed0, v9
	v_cndmask_b32_e32 v12, 0, v12, vcc_lo
	v_cmp_nlt_f32_e32 vcc_lo, 0x42ce8ed0, v10
	v_cndmask_b32_e32 v5, 0, v5, vcc_lo
	v_cmp_ngt_f32_e32 vcc_lo, 0xc2b17218, v8
	v_cndmask_b32_e32 v13, 0x7f800000, v13, vcc_lo
	v_cmp_ngt_f32_e32 vcc_lo, 0xc2b17218, v9
	;; [unrolled: 2-line block ×3, first 2 shown]
	s_delay_alu instid0(VALU_DEP_2) | instskip(NEXT) | instid1(VALU_DEP_1)
	v_add_f32_e32 v12, 1.0, v12
	v_div_scale_f32 v15, null, v12, v12, v9
	v_div_scale_f32 v99, s28, v9, v12, v9
	s_delay_alu instid0(VALU_DEP_2) | instskip(SKIP_4) | instid1(VALU_DEP_3)
	v_rcp_f32_e32 v94, v15
	s_waitcnt_depctr 0xfff
	v_fma_f32 v98, -v15, v94, 1.0
	v_cndmask_b32_e32 v5, 0x7f800000, v5, vcc_lo
	v_cmp_nlt_f32_e32 vcc_lo, 0x42ce8ed0, v11
	v_fmac_f32_e32 v94, v98, v94
	s_delay_alu instid0(VALU_DEP_3) | instskip(SKIP_2) | instid1(VALU_DEP_3)
	v_add_f32_e32 v14, 1.0, v5
	v_cndmask_b32_e32 v4, 0, v4, vcc_lo
	v_cmp_ngt_f32_e32 vcc_lo, 0xc2b17218, v11
	v_div_scale_f32 v16, null, v14, v14, v10
	s_delay_alu instid0(VALU_DEP_3) | instskip(NEXT) | instid1(VALU_DEP_2)
	v_cndmask_b32_e32 v4, 0x7f800000, v4, vcc_lo
	v_rcp_f32_e32 v95, v16
	s_delay_alu instid0(VALU_DEP_1) | instskip(NEXT) | instid1(VALU_DEP_1)
	v_dual_add_f32 v96, 1.0, v4 :: v_dual_add_f32 v13, 1.0, v13
	v_div_scale_f32 v101, null, v96, v96, v11
	s_waitcnt_depctr 0xfff
	v_fma_f32 v100, -v16, v95, 1.0
	v_rcp_f32_e32 v122, v101
	s_delay_alu instid0(VALU_DEP_1) | instskip(SKIP_2) | instid1(VALU_DEP_3)
	v_dual_fmac_f32 v95, v100, v95 :: v_dual_mul_f32 v100, v99, v94
	v_div_scale_f32 v5, null, v13, v13, v8
	v_div_scale_f32 v4, vcc_lo, v8, v13, v8
	v_fma_f32 v121, -v15, v100, v99
	s_delay_alu instid0(VALU_DEP_3) | instskip(SKIP_2) | instid1(VALU_DEP_1)
	v_rcp_f32_e32 v17, v5
	s_waitcnt_depctr 0xfff
	v_fma_f32 v97, -v5, v17, 1.0
	v_fmac_f32_e32 v17, v97, v17
	v_div_scale_f32 v97, s29, v10, v14, v10
	s_delay_alu instid0(VALU_DEP_1) | instskip(NEXT) | instid1(VALU_DEP_1)
	v_dual_mul_f32 v98, v4, v17 :: v_dual_mul_f32 v115, v97, v95
	v_fma_f32 v118, -v5, v98, v4
	s_delay_alu instid0(VALU_DEP_2) | instskip(SKIP_1) | instid1(VALU_DEP_3)
	v_fma_f32 v123, -v16, v115, v97
	v_dual_fmac_f32 v100, v121, v94 :: v_dual_mul_f32 v121, 0xbfb8aa3b, v104
	v_fmac_f32_e32 v98, v118, v17
	v_lshrrev_b32_e32 v118, 16, v7
	s_delay_alu instid0(VALU_DEP_4) | instskip(NEXT) | instid1(VALU_DEP_3)
	v_fmac_f32_e32 v115, v123, v95
	v_fma_f32 v4, -v5, v98, v4
	v_fma_f32 v5, -v15, v100, v99
	v_fma_f32 v15, -v101, v122, 1.0
	v_cvt_f32_f16_e32 v99, v118
	v_rndne_f32_e32 v118, v121
	v_div_fmas_f32 v4, v4, v17, v98
	s_mov_b32 vcc_lo, s28
	v_fma_mix_f32 v17, v6, s85, -v121 op_sel:[1,0,0] op_sel_hi:[1,0,0]
	v_div_fmas_f32 v5, v5, v94, v100
	v_fmac_f32_e32 v122, v15, v122
	v_div_fixup_f32 v4, v4, v13, v8
	v_mul_f32_e32 v13, 0xbfb8aa3b, v99
	v_div_scale_f32 v8, s28, v11, v96, v11
	v_div_fixup_f32 v5, v5, v12, v9
	v_sub_f32_e32 v9, v121, v118
	v_fma_mix_f32 v12, v6, s86, v17 op_sel:[1,0,0] op_sel_hi:[1,0,0]
	v_fma_f32 v15, -v16, v115, v97
	v_mul_f32_e32 v16, v8, v122
	s_mov_b32 vcc_lo, s29
	v_rndne_f32_e32 v17, v13
	v_add_f32_e32 v9, v9, v12
	v_cvt_f32_f16_e32 v12, v7
	v_div_fmas_f32 v15, v15, v95, v115
	v_fma_mix_f32 v94, v7, s85, -v13 op_sel:[1,0,0] op_sel_hi:[1,0,0]
	v_fma_f32 v97, -v101, v16, v8
	v_sub_f32_e32 v13, v13, v17
	v_mul_f32_e32 v95, 0xbfb8aa3b, v12
	v_exp_f32_e32 v9, v9
	v_fma_mix_f32 v94, v7, s86, v94 op_sel:[1,0,0] op_sel_hi:[1,0,0]
	v_fmac_f32_e32 v16, v97, v122
	v_cvt_i32_f32_e32 v98, v118
	v_rndne_f32_e32 v100, v95
	v_fma_mix_f32 v115, v7, s85, -v95 op_sel_hi:[1,0,0]
	v_add_f32_e32 v13, v13, v94
	v_cmp_nlt_f32_e32 vcc_lo, 0x42ce8ed0, v104
	v_cvt_i32_f32_e32 v17, v17
	v_sub_f32_e32 v94, v95, v100
	v_fma_mix_f32 v7, v7, s86, v115 op_sel_hi:[1,0,0]
	v_cvt_f32_f16_e32 v95, v6
	v_ldexp_f32 v9, v9, v98
	v_fma_f32 v8, -v101, v16, v8
	v_div_fixup_f32 v10, v15, v14, v10
	v_add_f32_e32 v7, v94, v7
	v_mul_f32_e32 v94, 0xbfb8aa3b, v95
	s_delay_alu instid0(VALU_DEP_2) | instskip(NEXT) | instid1(VALU_DEP_1)
	v_exp_f32_e32 v7, v7
	v_rndne_f32_e32 v97, v94
	v_fma_mix_f32 v98, v6, s85, -v94 op_sel_hi:[1,0,0]
	s_delay_alu instid0(VALU_DEP_2) | instskip(SKIP_1) | instid1(VALU_DEP_2)
	v_sub_f32_e32 v94, v94, v97
	v_exp_f32_e32 v13, v13
	v_fma_mix_f32 v6, v6, s86, v98 op_sel_hi:[1,0,0]
	v_cndmask_b32_e32 v9, 0, v9, vcc_lo
	v_cmp_ngt_f32_e32 vcc_lo, 0xc2b17218, v104
	s_delay_alu instid0(VALU_DEP_3) | instskip(SKIP_1) | instid1(VALU_DEP_4)
	v_add_f32_e32 v6, v94, v6
	v_cvt_i32_f32_e32 v94, v97
	v_cndmask_b32_e32 v9, 0x7f800000, v9, vcc_lo
	v_cmp_nlt_f32_e32 vcc_lo, 0x42ce8ed0, v99
	s_delay_alu instid0(TRANS32_DEP_1) | instskip(SKIP_2) | instid1(VALU_DEP_2)
	v_ldexp_f32 v13, v13, v17
	v_cvt_i32_f32_e32 v17, v100
	v_exp_f32_e32 v6, v6
	v_cndmask_b32_e32 v13, 0, v13, vcc_lo
	v_cmp_ngt_f32_e32 vcc_lo, 0xc2b17218, v99
	s_delay_alu instid0(VALU_DEP_3) | instskip(NEXT) | instid1(VALU_DEP_3)
	v_ldexp_f32 v7, v7, v17
	v_cndmask_b32_e32 v13, 0x7f800000, v13, vcc_lo
	v_cmp_nlt_f32_e32 vcc_lo, 0x42ce8ed0, v12
	s_waitcnt_depctr 0xfff
	v_ldexp_f32 v6, v6, v94
	v_add_f32_e32 v13, 1.0, v13
	v_cndmask_b32_e32 v7, 0, v7, vcc_lo
	v_cmp_ngt_f32_e32 vcc_lo, 0xc2b17218, v12
	s_delay_alu instid0(VALU_DEP_3) | instskip(NEXT) | instid1(VALU_DEP_3)
	v_div_scale_f32 v100, null, v13, v13, v99
	v_cndmask_b32_e32 v7, 0x7f800000, v7, vcc_lo
	s_mov_b32 vcc_lo, s28
	v_cmp_nlt_f32_e64 s28, 0x42ce8ed0, v95
	v_div_fmas_f32 v8, v8, v122, v16
	v_rcp_f32_e32 v16, v100
	v_add_f32_e32 v94, 1.0, v7
	s_delay_alu instid0(VALU_DEP_3) | instskip(SKIP_2) | instid1(VALU_DEP_2)
	v_cndmask_b32_e64 v6, 0, v6, s28
	v_cmp_ngt_f32_e64 s28, 0xc2b17218, v95
	v_div_fixup_f32 v8, v8, v96, v11
	v_cndmask_b32_e64 v6, 0x7f800000, v6, s28
	s_waitcnt_depctr 0xfff
	v_fma_f32 v115, -v100, v16, 1.0
	s_delay_alu instid0(VALU_DEP_1) | instskip(SKIP_1) | instid1(VALU_DEP_1)
	v_dual_add_f32 v11, 1.0, v6 :: v_dual_fmac_f32 v16, v115, v16
	v_div_scale_f32 v115, s28, v99, v13, v99
	v_dual_add_f32 v9, 1.0, v9 :: v_dual_mul_f32 v14, v115, v16
	s_delay_alu instid0(VALU_DEP_1) | instskip(SKIP_1) | instid1(VALU_DEP_3)
	v_div_scale_f32 v98, null, v9, v9, v104
	v_div_scale_f32 v7, vcc_lo, v104, v9, v104
	v_fma_f32 v96, -v100, v14, v115
	s_delay_alu instid0(VALU_DEP_3) | instskip(NEXT) | instid1(VALU_DEP_1)
	v_rcp_f32_e32 v17, v98
	v_fmac_f32_e32 v14, v96, v16
	s_waitcnt_depctr 0xfff
	v_fma_f32 v97, -v98, v17, 1.0
	s_delay_alu instid0(VALU_DEP_1) | instskip(SKIP_1) | instid1(VALU_DEP_2)
	v_fmac_f32_e32 v17, v97, v17
	v_div_scale_f32 v97, null, v94, v94, v12
	v_mul_f32_e32 v101, v7, v17
	s_delay_alu instid0(VALU_DEP_2) | instskip(NEXT) | instid1(VALU_DEP_1)
	v_rcp_f32_e32 v118, v97
	v_fma_f32 v121, -v98, v101, v7
	s_delay_alu instid0(VALU_DEP_1) | instskip(SKIP_3) | instid1(VALU_DEP_2)
	v_fmac_f32_e32 v101, v121, v17
	s_waitcnt_depctr 0xfff
	v_fma_f32 v6, -v97, v118, 1.0
	v_fma_f32 v7, -v98, v101, v7
	v_fmac_f32_e32 v118, v6, v118
	v_div_scale_f32 v98, s29, v12, v94, v12
	v_fma_mixlo_f16 v6, v120, v8, 0
	s_delay_alu instid0(VALU_DEP_4) | instskip(SKIP_1) | instid1(VALU_DEP_4)
	v_div_fmas_f32 v17, v7, v17, v101
	v_fma_f32 v8, -v100, v14, v115
	v_mul_f32_e32 v96, v98, v118
	v_lshrrev_b32_e32 v101, 16, v0
	s_mov_b32 vcc_lo, s28
	v_fma_mixlo_f16 v7, v119, v10, 0
	v_div_fixup_f32 v10, v17, v9, v104
	v_fma_f32 v9, -v97, v96, v98
	v_div_fmas_f32 v8, v8, v16, v14
	v_cvt_f32_f16_e32 v14, v101
	v_lshrrev_b32_e32 v100, 16, v1
	s_mov_b32 vcc_lo, s29
	v_fmac_f32_e32 v96, v9, v118
	v_div_fixup_f32 v13, v8, v13, v99
	v_mul_f32_e32 v8, 0xbfb8aa3b, v14
	v_cvt_f32_f16_e32 v16, v100
	v_cvt_f32_f16_e32 v99, v1
	v_fma_mixhi_f16 v7, v114, v5, 0
	v_fma_mixhi_f16 v6, v113, v4, 0
	v_rndne_f32_e32 v100, v8
	v_fma_mix_f32 v101, v0, s85, -v8 op_sel:[1,0,0] op_sel_hi:[1,0,0]
	s_delay_alu instid0(VALU_DEP_2) | instskip(NEXT) | instid1(VALU_DEP_2)
	v_sub_f32_e32 v8, v8, v100
	v_fma_mix_f32 v101, v0, s86, v101 op_sel:[1,0,0] op_sel_hi:[1,0,0]
	v_cvt_i32_f32_e32 v100, v100
	s_delay_alu instid0(VALU_DEP_2) | instskip(SKIP_2) | instid1(VALU_DEP_3)
	v_add_f32_e32 v8, v8, v101
	v_div_scale_f32 v15, null, v11, v11, v95
	v_div_scale_f32 v9, s28, v95, v11, v95
	v_exp_f32_e32 v8, v8
	s_delay_alu instid0(VALU_DEP_2) | instskip(SKIP_3) | instid1(VALU_DEP_1)
	v_rcp_f32_e32 v121, v15
	s_waitcnt_depctr 0xfff
	v_ldexp_f32 v8, v8, v100
	v_fma_f32 v17, -v15, v121, 1.0
	v_fmac_f32_e32 v121, v17, v121
	v_fma_f32 v17, -v97, v96, v98
	v_mul_f32_e32 v97, 0xbfb8aa3b, v16
	s_delay_alu instid0(VALU_DEP_2) | instskip(NEXT) | instid1(VALU_DEP_2)
	v_div_fmas_f32 v17, v17, v118, v96
	v_rndne_f32_e32 v104, v97
	v_fma_mix_f32 v115, v1, s85, -v97 op_sel:[1,0,0] op_sel_hi:[1,0,0]
	v_cmp_nlt_f32_e32 vcc_lo, 0x42ce8ed0, v14
	s_delay_alu instid0(VALU_DEP_4) | instskip(NEXT) | instid1(VALU_DEP_4)
	v_div_fixup_f32 v12, v17, v94, v12
	v_sub_f32_e32 v97, v97, v104
	s_delay_alu instid0(VALU_DEP_4) | instskip(SKIP_3) | instid1(VALU_DEP_4)
	v_fma_mix_f32 v115, v1, s86, v115 op_sel:[1,0,0] op_sel_hi:[1,0,0]
	v_cndmask_b32_e32 v8, 0, v8, vcc_lo
	v_cvt_i32_f32_e32 v96, v104
	v_cmp_nlt_f32_e32 vcc_lo, 0x42ce8ed0, v16
	v_add_f32_e32 v97, v97, v115
	s_delay_alu instid0(VALU_DEP_1) | instskip(SKIP_2) | instid1(VALU_DEP_1)
	v_exp_f32_e32 v97, v97
	s_waitcnt_depctr 0xfff
	v_ldexp_f32 v96, v97, v96
	v_cndmask_b32_e32 v96, 0, v96, vcc_lo
	v_cmp_ngt_f32_e32 vcc_lo, 0xc2b17218, v14
	v_mul_f32_e32 v98, v9, v121
	v_cndmask_b32_e32 v8, 0x7f800000, v8, vcc_lo
	v_mul_f32_e32 v119, 0xbfb8aa3b, v99
	s_delay_alu instid0(VALU_DEP_3) | instskip(SKIP_1) | instid1(VALU_DEP_4)
	v_fma_f32 v101, -v15, v98, v9
	v_cmp_ngt_f32_e32 vcc_lo, 0xc2b17218, v16
	v_add_f32_e32 v100, 1.0, v8
	s_delay_alu instid0(VALU_DEP_4)
	v_rndne_f32_e32 v120, v119
	v_fma_mix_f32 v122, v1, s85, -v119 op_sel_hi:[1,0,0]
	v_fmac_f32_e32 v98, v101, v121
	v_cndmask_b32_e32 v96, 0x7f800000, v96, vcc_lo
	v_cmp_nlt_f32_e32 vcc_lo, 0x42ce8ed0, v99
	v_sub_f32_e32 v115, v119, v120
	v_fma_mix_f32 v1, v1, s86, v122 op_sel_hi:[1,0,0]
	v_fma_f32 v9, -v15, v98, v9
	v_cvt_f32_f16_e32 v15, v0
	v_cvt_i32_f32_e32 v97, v120
	s_delay_alu instid0(VALU_DEP_4) | instskip(SKIP_1) | instid1(VALU_DEP_4)
	v_dual_add_f32 v96, 1.0, v96 :: v_dual_add_f32 v1, v115, v1
	v_div_scale_f32 v101, null, v100, v100, v14
	v_cmp_nlt_f32_e64 s29, 0x42ce8ed0, v15
	v_cmp_ngt_f32_e64 s30, 0xc2b17218, v15
	s_delay_alu instid0(VALU_DEP_4) | instskip(NEXT) | instid1(VALU_DEP_3)
	v_exp_f32_e32 v1, v1
	v_rcp_f32_e32 v115, v101
	s_waitcnt_depctr 0xfff
	v_ldexp_f32 v1, v1, v97
	v_mul_f32_e32 v97, 0xbfb8aa3b, v15
	s_delay_alu instid0(VALU_DEP_1) | instskip(SKIP_1) | instid1(VALU_DEP_2)
	v_rndne_f32_e32 v8, v97
	v_fma_mix_f32 v104, v0, s85, -v97 op_sel_hi:[1,0,0]
	v_sub_f32_e32 v97, v97, v8
	s_delay_alu instid0(VALU_DEP_2) | instskip(SKIP_3) | instid1(VALU_DEP_4)
	v_fma_mix_f32 v0, v0, s86, v104 op_sel_hi:[1,0,0]
	v_cndmask_b32_e32 v1, 0, v1, vcc_lo
	v_cmp_ngt_f32_e32 vcc_lo, 0xc2b17218, v99
	v_div_scale_f32 v104, null, v96, v96, v16
	v_add_f32_e32 v0, v97, v0
	v_fma_f32 v97, -v101, v115, 1.0
	v_cndmask_b32_e32 v1, 0x7f800000, v1, vcc_lo
	s_mov_b32 vcc_lo, s28
	v_div_scale_f32 v17, s28, v16, v96, v16
	v_div_fmas_f32 v9, v9, v121, v98
	v_exp_f32_e32 v0, v0
	v_rcp_f32_e32 v98, v104
	v_fmac_f32_e32 v115, v97, v115
	v_div_scale_f32 v97, vcc_lo, v14, v100, v14
	v_div_fixup_f32 v9, v9, v11, v95
	v_cvt_i32_f32_e32 v11, v8
	s_delay_alu instid0(VALU_DEP_2)
	v_fma_mixlo_f16 v8, v117, v9, 0
	s_delay_alu instid0(TRANS32_DEP_2) | instid1(VALU_DEP_2)
	v_ldexp_f32 v0, v0, v11
	s_delay_alu instid0(TRANS32_DEP_1) | instskip(SKIP_1) | instid1(VALU_DEP_4)
	v_fma_f32 v119, -v104, v98, 1.0
	v_mul_f32_e32 v11, v97, v115
	v_fma_mixhi_f16 v8, v110, v10, 0
	s_delay_alu instid0(VALU_DEP_4) | instskip(NEXT) | instid1(VALU_DEP_4)
	v_cndmask_b32_e64 v0, 0, v0, s29
	v_fmac_f32_e32 v98, v119, v98
	s_delay_alu instid0(VALU_DEP_4) | instskip(NEXT) | instid1(VALU_DEP_3)
	v_fma_f32 v94, -v101, v11, v97
	v_cndmask_b32_e64 v0, 0x7f800000, v0, s30
	v_add_f32_e32 v1, 1.0, v1
	s_delay_alu instid0(VALU_DEP_4) | instskip(NEXT) | instid1(VALU_DEP_3)
	v_mul_f32_e32 v117, v17, v98
	v_dual_fmac_f32 v11, v94, v115 :: v_dual_add_f32 v0, 1.0, v0
	s_delay_alu instid0(VALU_DEP_3) | instskip(SKIP_1) | instid1(VALU_DEP_4)
	v_div_scale_f32 v118, null, v1, v1, v99
	v_div_scale_f32 v119, s29, v99, v1, v99
	v_fma_f32 v94, -v104, v117, v17
	s_delay_alu instid0(VALU_DEP_3) | instskip(NEXT) | instid1(VALU_DEP_1)
	v_rcp_f32_e32 v95, v118
	v_fmac_f32_e32 v117, v94, v98
	s_delay_alu instid0(VALU_DEP_1) | instskip(SKIP_3) | instid1(VALU_DEP_2)
	v_fma_f32 v17, -v104, v117, v17
	s_waitcnt_depctr 0xfff
	v_fma_f32 v9, -v118, v95, 1.0
	v_lshrrev_b32_e32 v104, 16, v3
	v_fmac_f32_e32 v95, v9, v95
	v_fma_mixlo_f16 v9, v116, v12, 0
	v_fma_f32 v12, -v101, v11, v97
	s_delay_alu instid0(VALU_DEP_4) | instskip(NEXT) | instid1(VALU_DEP_4)
	v_cvt_f32_f16_e32 v104, v104
	v_mul_f32_e32 v120, v119, v95
	s_delay_alu instid0(VALU_DEP_4) | instskip(NEXT) | instid1(VALU_DEP_4)
	v_fma_mixhi_f16 v9, v109, v13, 0
	v_div_fmas_f32 v11, v12, v115, v11
	v_lshrrev_b32_e32 v12, 16, v2
	s_mov_b32 vcc_lo, s28
	v_fma_f32 v94, -v118, v120, v119
	v_div_fmas_f32 v17, v17, v98, v117
	s_mov_b32 vcc_lo, s29
	v_cvt_f32_f16_e32 v12, v12
	v_cvt_f32_f16_e32 v117, v3
	v_fmac_f32_e32 v120, v94, v95
	v_div_scale_f32 v94, null, v0, v0, v15
	s_delay_alu instid0(VALU_DEP_4) | instskip(SKIP_1) | instid1(VALU_DEP_4)
	v_mul_f32_e32 v101, 0xbfb8aa3b, v12
	v_cmp_nlt_f32_e64 s28, 0x42ce8ed0, v12
	v_fma_f32 v98, -v118, v120, v119
	s_delay_alu instid0(VALU_DEP_4)
	v_rcp_f32_e32 v97, v94
	v_mul_f32_e32 v118, 0xbfb8aa3b, v104
	v_fma_mix_f32 v115, v2, s85, -v101 op_sel:[1,0,0] op_sel_hi:[1,0,0]
	v_cvt_f32_f16_e32 v119, v2
	v_div_fmas_f32 v95, v98, v95, v120
	v_rndne_f32_e32 v98, v101
	v_fma_mix_f32 v120, v3, s85, -v118 op_sel:[1,0,0] op_sel_hi:[1,0,0]
	v_fma_mix_f32 v115, v2, s86, v115 op_sel:[1,0,0] op_sel_hi:[1,0,0]
	v_div_scale_f32 v123, vcc_lo, v15, v0, v15
	s_delay_alu instid0(TRANS32_DEP_1)
	v_fma_f32 v116, -v94, v97, 1.0
	v_sub_f32_e32 v101, v101, v98
	v_fma_mix_f32 v120, v3, s86, v120 op_sel:[1,0,0] op_sel_hi:[1,0,0]
	v_cvt_i32_f32_e32 v98, v98
	v_div_fixup_f32 v1, v95, v1, v99
	v_fmac_f32_e32 v97, v116, v97
	v_dual_mul_f32 v116, 0xbfb8aa3b, v117 :: v_dual_add_f32 v101, v101, v115
	v_rndne_f32_e32 v115, v118
	v_div_fixup_f32 v11, v11, v100, v14
	v_div_fixup_f32 v14, v17, v96, v16
	s_delay_alu instid0(VALU_DEP_4)
	v_rndne_f32_e32 v121, v116
	v_fma_mix_f32 v122, v3, s85, -v116 op_sel_hi:[1,0,0]
	v_exp_f32_e32 v101, v101
	v_sub_f32_e32 v118, v118, v115
	v_cvt_i32_f32_e32 v115, v115
	v_sub_f32_e32 v116, v116, v121
	v_fma_mix_f32 v3, v3, s86, v122 op_sel_hi:[1,0,0]
	v_mul_f32_e32 v122, 0xbfb8aa3b, v119
	v_add_f32_e32 v118, v118, v120
	v_fma_mixlo_f16 v1, v108, v1, 0
	s_delay_alu instid0(VALU_DEP_4) | instskip(NEXT) | instid1(VALU_DEP_4)
	v_add_f32_e32 v3, v116, v3
	v_rndne_f32_e32 v116, v122
	v_fma_mix_f32 v120, v2, s85, -v122 op_sel_hi:[1,0,0]
	v_exp_f32_e32 v118, v118
	v_ldexp_f32 v98, v101, v98
	v_exp_f32_e32 v3, v3
	v_sub_f32_e32 v101, v122, v116
	v_fma_mix_f32 v2, v2, s86, v120 op_sel_hi:[1,0,0]
	v_cvt_i32_f32_e32 v120, v121
	v_cndmask_b32_e64 v98, 0, v98, s28
	v_cmp_ngt_f32_e64 s28, 0xc2b17218, v12
	v_fma_mixhi_f16 v1, v103, v14, 0
	v_add_f32_e32 v2, v101, v2
	v_ldexp_f32 v101, v118, v115
	v_cvt_i32_f32_e32 v115, v116
	v_cndmask_b32_e64 v98, 0x7f800000, v98, s28
	v_cmp_nlt_f32_e64 s28, 0x42ce8ed0, v104
	v_ldexp_f32 v3, v3, v120
	v_exp_f32_e32 v2, v2
	s_delay_alu instid0(VALU_DEP_3) | instskip(NEXT) | instid1(VALU_DEP_3)
	v_add_f32_e32 v98, 1.0, v98
	v_cndmask_b32_e64 v101, 0, v101, s28
	v_cmp_nlt_f32_e64 s28, 0x42ce8ed0, v117
	s_delay_alu instid0(VALU_DEP_1)
	v_cndmask_b32_e64 v3, 0, v3, s28
	v_cmp_ngt_f32_e64 s28, 0xc2b17218, v104
	s_waitcnt_depctr 0xfff
	v_ldexp_f32 v2, v2, v115
	v_div_scale_f32 v115, null, v98, v98, v12
	v_cndmask_b32_e64 v101, 0x7f800000, v101, s28
	v_cmp_ngt_f32_e64 s28, 0xc2b17218, v117
	s_delay_alu instid0(VALU_DEP_3) | instskip(NEXT) | instid1(VALU_DEP_2)
	v_rcp_f32_e32 v116, v115
	v_add_f32_e32 v101, 1.0, v101
	s_delay_alu instid0(VALU_DEP_2) | instskip(SKIP_1) | instid1(VALU_DEP_3)
	v_cndmask_b32_e64 v3, 0x7f800000, v3, s28
	v_cmp_nlt_f32_e64 s28, 0x42ce8ed0, v119
	v_div_scale_f32 v118, null, v101, v101, v104
	s_delay_alu instid0(VALU_DEP_2) | instskip(SKIP_1) | instid1(TRANS32_DEP_1)
	v_cndmask_b32_e64 v2, 0, v2, s28
	v_cmp_ngt_f32_e64 s28, 0xc2b17218, v119
	v_fma_f32 v124, -v115, v116, 1.0
	s_delay_alu instid0(VALU_DEP_4) | instskip(NEXT) | instid1(VALU_DEP_2)
	v_rcp_f32_e32 v122, v118
	v_cndmask_b32_e64 v2, 0x7f800000, v2, s28
	s_delay_alu instid0(VALU_DEP_2) | instskip(SKIP_1) | instid1(VALU_DEP_3)
	v_fmac_f32_e32 v116, v124, v116
	v_div_scale_f32 v124, s28, v12, v98, v12
	v_dual_add_f32 v2, 1.0, v2 :: v_dual_mul_f32 v121, v123, v97
	s_waitcnt_depctr 0xfff
	v_fma_f32 v128, -v118, v122, 1.0
	v_mul_f32_e32 v130, v124, v116
	v_div_scale_f32 v127, null, v2, v2, v119
	v_fma_f32 v126, -v94, v121, v123
	s_delay_alu instid0(VALU_DEP_4) | instskip(SKIP_1) | instid1(VALU_DEP_4)
	v_fmac_f32_e32 v122, v128, v122
	v_div_scale_f32 v128, s29, v104, v101, v104
	v_rcp_f32_e32 v129, v127
	s_delay_alu instid0(VALU_DEP_1) | instskip(NEXT) | instid1(VALU_DEP_1)
	v_dual_fmac_f32 v121, v126, v97 :: v_dual_mul_f32 v132, v128, v122
	v_fma_f32 v94, -v94, v121, v123
	v_fma_f32 v123, -v115, v130, v124
	s_waitcnt_depctr 0xfff
	v_fma_f32 v131, -v127, v129, 1.0
	v_div_fmas_f32 v94, v94, v97, v121
	v_fma_f32 v97, -v118, v132, v128
	v_dual_add_f32 v3, 1.0, v3 :: v_dual_fmac_f32 v130, v123, v116
	s_delay_alu instid0(VALU_DEP_4) | instskip(SKIP_1) | instid1(VALU_DEP_4)
	v_fmac_f32_e32 v129, v131, v129
	v_div_scale_f32 v131, s31, v119, v2, v119
	v_fmac_f32_e32 v132, v97, v122
	s_delay_alu instid0(VALU_DEP_4) | instskip(NEXT) | instid1(VALU_DEP_3)
	v_div_scale_f32 v120, null, v3, v3, v117
	v_mul_f32_e32 v123, v131, v129
	v_div_fixup_f32 v0, v94, v0, v15
	v_fma_f32 v15, -v115, v130, v124
	s_delay_alu instid0(VALU_DEP_4)
	v_rcp_f32_e32 v125, v120
	v_fma_f32 v97, -v118, v132, v128
	v_fma_f32 v94, -v127, v123, v131
	s_mov_b32 vcc_lo, s28
	v_fma_mixlo_f16 v0, v111, v0, 0
	v_div_fmas_f32 v15, v15, v116, v130
	s_mov_b32 vcc_lo, s29
	v_fmac_f32_e32 v123, v94, v129
	v_div_fmas_f32 v97, v97, v122, v132
	v_fma_mixhi_f16 v0, v105, v11, 0
	v_fma_f32 v126, -v120, v125, 1.0
	v_div_fixup_f32 v12, v15, v98, v12
	v_fma_f32 v115, -v127, v123, v131
	v_div_fixup_f32 v15, v97, v101, v104
	s_delay_alu instid0(VALU_DEP_4) | instskip(SKIP_1) | instid1(VALU_DEP_1)
	v_fmac_f32_e32 v125, v126, v125
	v_div_scale_f32 v126, s30, v117, v3, v117
	s_mov_b32 vcc_lo, s30
	s_delay_alu instid0(VALU_DEP_1) | instskip(NEXT) | instid1(VALU_DEP_1)
	v_mul_f32_e32 v133, v126, v125
	v_fma_f32 v121, -v120, v133, v126
	s_delay_alu instid0(VALU_DEP_1) | instskip(NEXT) | instid1(VALU_DEP_1)
	v_fmac_f32_e32 v133, v121, v125
	v_fma_f32 v94, -v120, v133, v126
	s_delay_alu instid0(VALU_DEP_1) | instskip(SKIP_2) | instid1(VALU_DEP_2)
	v_div_fmas_f32 v94, v94, v125, v133
	s_mov_b32 vcc_lo, s31
	v_div_fmas_f32 v115, v115, v129, v123
	v_div_fixup_f32 v3, v94, v3, v117
	s_delay_alu instid0(VALU_DEP_2) | instskip(NEXT) | instid1(VALU_DEP_2)
	v_div_fixup_f32 v2, v115, v2, v119
	v_fma_mixlo_f16 v3, v106, v3, 0
	s_delay_alu instid0(VALU_DEP_2) | instskip(NEXT) | instid1(VALU_DEP_2)
	v_fma_mixlo_f16 v2, v107, v2, 0
	v_fma_mixhi_f16 v3, v112, v15, 0
	s_delay_alu instid0(VALU_DEP_2)
	v_fma_mixhi_f16 v2, v102, v12, 0
	ds_store_b128 v52, v[6:9]
	ds_store_b128 v52, v[0:3] offset:16
	; wave barrier
	ds_load_u16 v16, v37 offset:64
	ds_load_u16 v15, v38 offset:128
	;; [unrolled: 1-line block ×15, first 2 shown]
	v_add_co_u32 v0, vcc_lo, v76, s34
	v_add_co_ci_u32_e32 v1, vcc_lo, s35, v77, vcc_lo
	s_and_saveexec_b32 s28, s12
	s_cbranch_execnz .LBB85_284
; %bb.252:                              ;   in Loop: Header=BB85_12 Depth=1
	s_or_b32 exec_lo, exec_lo, s28
	s_and_saveexec_b32 s12, s13
	s_cbranch_execnz .LBB85_285
.LBB85_253:                             ;   in Loop: Header=BB85_12 Depth=1
	s_or_b32 exec_lo, exec_lo, s12
	s_and_saveexec_b32 s12, s14
	s_cbranch_execnz .LBB85_286
.LBB85_254:                             ;   in Loop: Header=BB85_12 Depth=1
	s_or_b32 exec_lo, exec_lo, s12
	s_and_saveexec_b32 s12, s15
	s_cbranch_execnz .LBB85_287
.LBB85_255:                             ;   in Loop: Header=BB85_12 Depth=1
	s_or_b32 exec_lo, exec_lo, s12
	s_and_saveexec_b32 s12, s16
	s_cbranch_execnz .LBB85_288
.LBB85_256:                             ;   in Loop: Header=BB85_12 Depth=1
	s_or_b32 exec_lo, exec_lo, s12
	s_and_saveexec_b32 s12, s17
	s_cbranch_execnz .LBB85_289
.LBB85_257:                             ;   in Loop: Header=BB85_12 Depth=1
	s_or_b32 exec_lo, exec_lo, s12
	s_and_saveexec_b32 s12, s18
	s_cbranch_execnz .LBB85_290
.LBB85_258:                             ;   in Loop: Header=BB85_12 Depth=1
	s_or_b32 exec_lo, exec_lo, s12
	s_and_saveexec_b32 s12, s19
	s_cbranch_execnz .LBB85_291
.LBB85_259:                             ;   in Loop: Header=BB85_12 Depth=1
	s_or_b32 exec_lo, exec_lo, s12
	s_and_saveexec_b32 s12, s20
	s_cbranch_execnz .LBB85_292
.LBB85_260:                             ;   in Loop: Header=BB85_12 Depth=1
	s_or_b32 exec_lo, exec_lo, s12
	s_and_saveexec_b32 s12, s21
	s_cbranch_execnz .LBB85_293
.LBB85_261:                             ;   in Loop: Header=BB85_12 Depth=1
	s_or_b32 exec_lo, exec_lo, s12
	s_and_saveexec_b32 s12, s22
	s_cbranch_execnz .LBB85_294
.LBB85_262:                             ;   in Loop: Header=BB85_12 Depth=1
	s_or_b32 exec_lo, exec_lo, s12
	s_and_saveexec_b32 s12, s23
	s_cbranch_execnz .LBB85_295
.LBB85_263:                             ;   in Loop: Header=BB85_12 Depth=1
	s_or_b32 exec_lo, exec_lo, s12
	s_and_saveexec_b32 s12, s24
	s_cbranch_execnz .LBB85_296
.LBB85_264:                             ;   in Loop: Header=BB85_12 Depth=1
	s_or_b32 exec_lo, exec_lo, s12
	s_and_saveexec_b32 s12, s25
	s_cbranch_execnz .LBB85_297
.LBB85_265:                             ;   in Loop: Header=BB85_12 Depth=1
	s_or_b32 exec_lo, exec_lo, s12
	s_and_saveexec_b32 s12, s26
	s_cbranch_execnz .LBB85_298
.LBB85_266:                             ;   in Loop: Header=BB85_12 Depth=1
	s_or_b32 exec_lo, exec_lo, s12
	s_and_saveexec_b32 s12, s27
	s_cbranch_execz .LBB85_11
	s_branch .LBB85_299
.LBB85_267:                             ;   in Loop: Header=BB85_12 Depth=1
	global_load_u16 v101, v[8:9], off offset:832
	s_or_b32 exec_lo, exec_lo, s28
	s_and_saveexec_b32 s28, s26
	s_cbranch_execz .LBB85_72
.LBB85_268:                             ;   in Loop: Header=BB85_12 Depth=1
	global_load_u16 v100, v[8:9], off offset:896
	s_or_b32 exec_lo, exec_lo, s28
	v_mov_b32_e32 v102, 0
	s_and_saveexec_b32 s28, s27
	s_cbranch_execnz .LBB85_73
	s_branch .LBB85_74
.LBB85_269:                             ;   in Loop: Header=BB85_12 Depth=1
	ds_load_u16 v17, v37
	s_waitcnt lgkmcnt(0)
	global_store_b16 v[0:1], v17, off
	s_or_b32 exec_lo, exec_lo, s28
	s_and_saveexec_b32 s28, s13
	s_cbranch_execz .LBB85_204
.LBB85_270:                             ;   in Loop: Header=BB85_12 Depth=1
	s_waitcnt lgkmcnt(14)
	global_store_b16 v[0:1], v16, off offset:64
	s_or_b32 exec_lo, exec_lo, s28
	s_and_saveexec_b32 s28, s14
	s_cbranch_execz .LBB85_205
.LBB85_271:                             ;   in Loop: Header=BB85_12 Depth=1
	s_waitcnt lgkmcnt(13)
	global_store_b16 v[0:1], v15, off offset:128
	s_or_b32 exec_lo, exec_lo, s28
	s_and_saveexec_b32 s28, s15
	s_cbranch_execz .LBB85_206
.LBB85_272:                             ;   in Loop: Header=BB85_12 Depth=1
	s_waitcnt lgkmcnt(12)
	global_store_b16 v[0:1], v14, off offset:192
	s_or_b32 exec_lo, exec_lo, s28
	s_and_saveexec_b32 s28, s16
	s_cbranch_execz .LBB85_207
.LBB85_273:                             ;   in Loop: Header=BB85_12 Depth=1
	s_waitcnt lgkmcnt(11)
	global_store_b16 v[0:1], v13, off offset:256
	s_or_b32 exec_lo, exec_lo, s28
	s_and_saveexec_b32 s28, s17
	s_cbranch_execz .LBB85_208
.LBB85_274:                             ;   in Loop: Header=BB85_12 Depth=1
	s_waitcnt lgkmcnt(10)
	global_store_b16 v[0:1], v12, off offset:320
	s_or_b32 exec_lo, exec_lo, s28
	s_and_saveexec_b32 s28, s18
	s_cbranch_execz .LBB85_209
.LBB85_275:                             ;   in Loop: Header=BB85_12 Depth=1
	s_waitcnt lgkmcnt(9)
	global_store_b16 v[0:1], v11, off offset:384
	s_or_b32 exec_lo, exec_lo, s28
	s_and_saveexec_b32 s28, s19
	s_cbranch_execz .LBB85_210
.LBB85_276:                             ;   in Loop: Header=BB85_12 Depth=1
	s_waitcnt lgkmcnt(8)
	global_store_b16 v[0:1], v10, off offset:448
	s_or_b32 exec_lo, exec_lo, s28
	s_and_saveexec_b32 s28, s20
	s_cbranch_execz .LBB85_211
.LBB85_277:                             ;   in Loop: Header=BB85_12 Depth=1
	s_waitcnt lgkmcnt(7)
	global_store_b16 v[0:1], v9, off offset:512
	s_or_b32 exec_lo, exec_lo, s28
	s_and_saveexec_b32 s28, s21
	s_cbranch_execz .LBB85_212
.LBB85_278:                             ;   in Loop: Header=BB85_12 Depth=1
	s_waitcnt lgkmcnt(6)
	global_store_b16 v[0:1], v8, off offset:576
	s_or_b32 exec_lo, exec_lo, s28
	s_and_saveexec_b32 s28, s22
	s_cbranch_execz .LBB85_213
.LBB85_279:                             ;   in Loop: Header=BB85_12 Depth=1
	s_waitcnt lgkmcnt(5)
	global_store_b16 v[0:1], v7, off offset:640
	s_or_b32 exec_lo, exec_lo, s28
	s_and_saveexec_b32 s28, s23
	s_cbranch_execz .LBB85_214
.LBB85_280:                             ;   in Loop: Header=BB85_12 Depth=1
	s_waitcnt lgkmcnt(4)
	global_store_b16 v[0:1], v6, off offset:704
	s_or_b32 exec_lo, exec_lo, s28
	s_and_saveexec_b32 s28, s24
	s_cbranch_execz .LBB85_215
.LBB85_281:                             ;   in Loop: Header=BB85_12 Depth=1
	s_waitcnt lgkmcnt(3)
	global_store_b16 v[0:1], v5, off offset:768
	s_or_b32 exec_lo, exec_lo, s28
	s_and_saveexec_b32 s28, s25
	s_cbranch_execz .LBB85_216
.LBB85_282:                             ;   in Loop: Header=BB85_12 Depth=1
	s_waitcnt lgkmcnt(2)
	global_store_b16 v[0:1], v4, off offset:832
	s_or_b32 exec_lo, exec_lo, s28
	s_and_saveexec_b32 s28, s26
	s_cbranch_execz .LBB85_217
.LBB85_283:                             ;   in Loop: Header=BB85_12 Depth=1
	s_waitcnt lgkmcnt(1)
	global_store_b16 v[0:1], v3, off offset:896
	s_or_b32 exec_lo, exec_lo, s28
	s_and_saveexec_b32 s28, s27
	s_cbranch_execnz .LBB85_218
	s_branch .LBB85_219
.LBB85_284:                             ;   in Loop: Header=BB85_12 Depth=1
	ds_load_u16 v17, v37
	s_waitcnt lgkmcnt(0)
	global_store_b16 v[0:1], v17, off
	s_or_b32 exec_lo, exec_lo, s28
	s_and_saveexec_b32 s12, s13
	s_cbranch_execz .LBB85_253
.LBB85_285:                             ;   in Loop: Header=BB85_12 Depth=1
	s_waitcnt lgkmcnt(14)
	global_store_b16 v[0:1], v16, off offset:64
	s_or_b32 exec_lo, exec_lo, s12
	s_and_saveexec_b32 s12, s14
	s_cbranch_execz .LBB85_254
.LBB85_286:                             ;   in Loop: Header=BB85_12 Depth=1
	s_waitcnt lgkmcnt(13)
	global_store_b16 v[0:1], v15, off offset:128
	s_or_b32 exec_lo, exec_lo, s12
	s_and_saveexec_b32 s12, s15
	s_cbranch_execz .LBB85_255
.LBB85_287:                             ;   in Loop: Header=BB85_12 Depth=1
	s_waitcnt lgkmcnt(12)
	global_store_b16 v[0:1], v14, off offset:192
	s_or_b32 exec_lo, exec_lo, s12
	s_and_saveexec_b32 s12, s16
	s_cbranch_execz .LBB85_256
.LBB85_288:                             ;   in Loop: Header=BB85_12 Depth=1
	s_waitcnt lgkmcnt(11)
	global_store_b16 v[0:1], v13, off offset:256
	s_or_b32 exec_lo, exec_lo, s12
	s_and_saveexec_b32 s12, s17
	s_cbranch_execz .LBB85_257
.LBB85_289:                             ;   in Loop: Header=BB85_12 Depth=1
	s_waitcnt lgkmcnt(10)
	global_store_b16 v[0:1], v12, off offset:320
	s_or_b32 exec_lo, exec_lo, s12
	s_and_saveexec_b32 s12, s18
	s_cbranch_execz .LBB85_258
.LBB85_290:                             ;   in Loop: Header=BB85_12 Depth=1
	s_waitcnt lgkmcnt(9)
	global_store_b16 v[0:1], v11, off offset:384
	s_or_b32 exec_lo, exec_lo, s12
	s_and_saveexec_b32 s12, s19
	s_cbranch_execz .LBB85_259
.LBB85_291:                             ;   in Loop: Header=BB85_12 Depth=1
	s_waitcnt lgkmcnt(8)
	global_store_b16 v[0:1], v10, off offset:448
	s_or_b32 exec_lo, exec_lo, s12
	s_and_saveexec_b32 s12, s20
	s_cbranch_execz .LBB85_260
.LBB85_292:                             ;   in Loop: Header=BB85_12 Depth=1
	s_waitcnt lgkmcnt(7)
	global_store_b16 v[0:1], v9, off offset:512
	s_or_b32 exec_lo, exec_lo, s12
	s_and_saveexec_b32 s12, s21
	s_cbranch_execz .LBB85_261
.LBB85_293:                             ;   in Loop: Header=BB85_12 Depth=1
	s_waitcnt lgkmcnt(6)
	global_store_b16 v[0:1], v8, off offset:576
	s_or_b32 exec_lo, exec_lo, s12
	s_and_saveexec_b32 s12, s22
	s_cbranch_execz .LBB85_262
.LBB85_294:                             ;   in Loop: Header=BB85_12 Depth=1
	s_waitcnt lgkmcnt(5)
	global_store_b16 v[0:1], v7, off offset:640
	s_or_b32 exec_lo, exec_lo, s12
	s_and_saveexec_b32 s12, s23
	s_cbranch_execz .LBB85_263
.LBB85_295:                             ;   in Loop: Header=BB85_12 Depth=1
	s_waitcnt lgkmcnt(4)
	global_store_b16 v[0:1], v6, off offset:704
	s_or_b32 exec_lo, exec_lo, s12
	s_and_saveexec_b32 s12, s24
	s_cbranch_execz .LBB85_264
.LBB85_296:                             ;   in Loop: Header=BB85_12 Depth=1
	s_waitcnt lgkmcnt(3)
	global_store_b16 v[0:1], v5, off offset:768
	s_or_b32 exec_lo, exec_lo, s12
	s_and_saveexec_b32 s12, s25
	s_cbranch_execz .LBB85_265
.LBB85_297:                             ;   in Loop: Header=BB85_12 Depth=1
	s_waitcnt lgkmcnt(2)
	global_store_b16 v[0:1], v4, off offset:832
	s_or_b32 exec_lo, exec_lo, s12
	s_and_saveexec_b32 s12, s26
	s_cbranch_execz .LBB85_266
.LBB85_298:                             ;   in Loop: Header=BB85_12 Depth=1
	s_waitcnt lgkmcnt(1)
	global_store_b16 v[0:1], v3, off offset:896
	s_or_b32 exec_lo, exec_lo, s12
	s_and_saveexec_b32 s12, s27
	s_cbranch_execz .LBB85_11
.LBB85_299:                             ;   in Loop: Header=BB85_12 Depth=1
	s_waitcnt lgkmcnt(0)
	global_store_b16 v[0:1], v2, off offset:960
	s_branch .LBB85_11
.LBB85_300:
	s_nop 0
	s_sendmsg sendmsg(MSG_DEALLOC_VGPRS)
	s_endpgm
	.section	.rodata,"a",@progbits
	.p2align	6, 0x0
	.amdhsa_kernel _Z25selective_scan_fwd_kernelI32Selective_Scan_fwd_kernel_traitsILi64ELi16ELi1ELb0ELb1ELb1ELb1ELb0EN3c104HalfEfS2_EEv13SSMParamsBase
		.amdhsa_group_segment_fixed_size 0
		.amdhsa_private_segment_fixed_size 0
		.amdhsa_kernarg_size 248
		.amdhsa_user_sgpr_count 14
		.amdhsa_user_sgpr_dispatch_ptr 0
		.amdhsa_user_sgpr_queue_ptr 0
		.amdhsa_user_sgpr_kernarg_segment_ptr 1
		.amdhsa_user_sgpr_dispatch_id 0
		.amdhsa_user_sgpr_private_segment_size 0
		.amdhsa_wavefront_size32 1
		.amdhsa_uses_dynamic_stack 0
		.amdhsa_enable_private_segment 0
		.amdhsa_system_sgpr_workgroup_id_x 1
		.amdhsa_system_sgpr_workgroup_id_y 1
		.amdhsa_system_sgpr_workgroup_id_z 0
		.amdhsa_system_sgpr_workgroup_info 0
		.amdhsa_system_vgpr_workitem_id 0
		.amdhsa_next_free_vgpr 176
		.amdhsa_next_free_sgpr 94
		.amdhsa_reserve_vcc 1
		.amdhsa_float_round_mode_32 0
		.amdhsa_float_round_mode_16_64 0
		.amdhsa_float_denorm_mode_32 3
		.amdhsa_float_denorm_mode_16_64 3
		.amdhsa_dx10_clamp 1
		.amdhsa_ieee_mode 1
		.amdhsa_fp16_overflow 0
		.amdhsa_workgroup_processor_mode 1
		.amdhsa_memory_ordered 1
		.amdhsa_forward_progress 0
		.amdhsa_shared_vgpr_count 0
		.amdhsa_exception_fp_ieee_invalid_op 0
		.amdhsa_exception_fp_denorm_src 0
		.amdhsa_exception_fp_ieee_div_zero 0
		.amdhsa_exception_fp_ieee_overflow 0
		.amdhsa_exception_fp_ieee_underflow 0
		.amdhsa_exception_fp_ieee_inexact 0
		.amdhsa_exception_int_div_zero 0
	.end_amdhsa_kernel
	.section	.text._Z25selective_scan_fwd_kernelI32Selective_Scan_fwd_kernel_traitsILi64ELi16ELi1ELb0ELb1ELb1ELb1ELb0EN3c104HalfEfS2_EEv13SSMParamsBase,"axG",@progbits,_Z25selective_scan_fwd_kernelI32Selective_Scan_fwd_kernel_traitsILi64ELi16ELi1ELb0ELb1ELb1ELb1ELb0EN3c104HalfEfS2_EEv13SSMParamsBase,comdat
.Lfunc_end85:
	.size	_Z25selective_scan_fwd_kernelI32Selective_Scan_fwd_kernel_traitsILi64ELi16ELi1ELb0ELb1ELb1ELb1ELb0EN3c104HalfEfS2_EEv13SSMParamsBase, .Lfunc_end85-_Z25selective_scan_fwd_kernelI32Selective_Scan_fwd_kernel_traitsILi64ELi16ELi1ELb0ELb1ELb1ELb1ELb0EN3c104HalfEfS2_EEv13SSMParamsBase
                                        ; -- End function
	.section	.AMDGPU.csdata,"",@progbits
; Kernel info:
; codeLenInByte = 26096
; NumSgprs: 96
; NumVgprs: 176
; ScratchSize: 0
; MemoryBound: 0
; FloatMode: 240
; IeeeMode: 1
; LDSByteSize: 0 bytes/workgroup (compile time only)
; SGPRBlocks: 11
; VGPRBlocks: 21
; NumSGPRsForWavesPerEU: 96
; NumVGPRsForWavesPerEU: 176
; Occupancy: 8
; WaveLimiterHint : 0
; COMPUTE_PGM_RSRC2:SCRATCH_EN: 0
; COMPUTE_PGM_RSRC2:USER_SGPR: 14
; COMPUTE_PGM_RSRC2:TRAP_HANDLER: 0
; COMPUTE_PGM_RSRC2:TGID_X_EN: 1
; COMPUTE_PGM_RSRC2:TGID_Y_EN: 1
; COMPUTE_PGM_RSRC2:TGID_Z_EN: 0
; COMPUTE_PGM_RSRC2:TIDIG_COMP_CNT: 0
	.section	.text._Z25selective_scan_fwd_kernelI32Selective_Scan_fwd_kernel_traitsILi64ELi16ELi1ELb0ELb1ELb1ELb0ELb1EN3c104HalfEfS2_EEv13SSMParamsBase,"axG",@progbits,_Z25selective_scan_fwd_kernelI32Selective_Scan_fwd_kernel_traitsILi64ELi16ELi1ELb0ELb1ELb1ELb0ELb1EN3c104HalfEfS2_EEv13SSMParamsBase,comdat
	.protected	_Z25selective_scan_fwd_kernelI32Selective_Scan_fwd_kernel_traitsILi64ELi16ELi1ELb0ELb1ELb1ELb0ELb1EN3c104HalfEfS2_EEv13SSMParamsBase ; -- Begin function _Z25selective_scan_fwd_kernelI32Selective_Scan_fwd_kernel_traitsILi64ELi16ELi1ELb0ELb1ELb1ELb0ELb1EN3c104HalfEfS2_EEv13SSMParamsBase
	.globl	_Z25selective_scan_fwd_kernelI32Selective_Scan_fwd_kernel_traitsILi64ELi16ELi1ELb0ELb1ELb1ELb0ELb1EN3c104HalfEfS2_EEv13SSMParamsBase
	.p2align	8
	.type	_Z25selective_scan_fwd_kernelI32Selective_Scan_fwd_kernel_traitsILi64ELi16ELi1ELb0ELb1ELb1ELb0ELb1EN3c104HalfEfS2_EEv13SSMParamsBase,@function
_Z25selective_scan_fwd_kernelI32Selective_Scan_fwd_kernel_traitsILi64ELi16ELi1ELb0ELb1ELb1ELb0ELb1EN3c104HalfEfS2_EEv13SSMParamsBase: ; @_Z25selective_scan_fwd_kernelI32Selective_Scan_fwd_kernel_traitsILi64ELi16ELi1ELb0ELb1ELb1ELb0ELb1EN3c104HalfEfS2_EEv13SSMParamsBase
; %bb.0:
	s_clause 0x2
	s_load_b32 s34, s[0:1], 0x18
	s_load_b128 s[4:7], s[0:1], 0xe0
	s_load_b64 s[10:11], s[0:1], 0xf0
	s_mov_b32 s12, s15
	s_ashr_i32 s15, s14, 31
	s_mov_b32 s47, 0
	s_lshl_b64 s[8:9], s[14:15], 2
	s_waitcnt lgkmcnt(0)
	s_abs_i32 s33, s34
	s_add_u32 s2, s4, s8
	v_cvt_f32_u32_e32 v1, s33
	s_addc_u32 s3, s5, s9
	s_cmp_eq_u64 s[10:11], 0
	s_delay_alu instid0(VALU_DEP_1) | instskip(SKIP_2) | instid1(VALU_DEP_1)
	v_rcp_iflag_f32_e32 v1, v1
	s_waitcnt_depctr 0xfff
	v_mul_f32_e32 v1, 0x4f7ffffe, v1
	v_cvt_u32_f32_e32 v1, v1
	s_delay_alu instid0(VALU_DEP_1)
	v_readfirstlane_b32 s35, v1
	s_cbranch_scc1 .LBB86_2
; %bb.1:
	v_mov_b32_e32 v1, 0
	s_add_u32 s4, s10, s14
	s_addc_u32 s5, s11, s15
	global_load_u8 v1, v1, s[4:5]
	s_waitcnt vmcnt(0)
	v_and_b32_e32 v1, 1, v1
	s_delay_alu instid0(VALU_DEP_1)
	v_cmp_eq_u32_e64 s47, 1, v1
.LBB86_2:
	s_load_b64 s[4:5], s[0:1], 0x20
	s_cmp_eq_u64 s[6:7], 0
	s_cbranch_scc1 .LBB86_4
; %bb.3:
	s_add_u32 s6, s6, s8
	s_addc_u32 s7, s7, s9
	s_load_b32 s14, s[6:7], 0x0
	s_waitcnt lgkmcnt(0)
	s_ashr_i32 s15, s14, 31
.LBB86_4:
	s_waitcnt lgkmcnt(0)
	s_cmp_eq_u64 s[4:5], s[14:15]
	s_cbranch_scc1 .LBB86_236
; %bb.5:
	s_load_b512 s[16:31], s[0:1], 0x88
	s_load_b64 s[10:11], s[2:3], 0x0
	s_mov_b32 s66, 0
	s_mov_b32 s67, 0
	s_waitcnt lgkmcnt(0)
	s_cmp_eq_u64 s[22:23], 0
	s_cbranch_scc1 .LBB86_7
; %bb.6:
	s_ashr_i32 s13, s12, 31
	s_delay_alu instid0(SALU_CYCLE_1) | instskip(NEXT) | instid1(SALU_CYCLE_1)
	s_lshl_b64 s[2:3], s[12:13], 2
	s_add_u32 s2, s22, s2
	s_addc_u32 s3, s23, s3
	s_load_b32 s67, s[2:3], 0x0
.LBB86_7:
	s_cmp_eq_u64 s[28:29], 0
	s_cbranch_scc1 .LBB86_9
; %bb.8:
	s_ashr_i32 s13, s12, 31
	s_delay_alu instid0(SALU_CYCLE_1) | instskip(NEXT) | instid1(SALU_CYCLE_1)
	s_lshl_b64 s[2:3], s[12:13], 2
	s_add_u32 s2, s28, s2
	s_addc_u32 s3, s29, s3
	s_load_b32 s66, s[2:3], 0x0
.LBB86_9:
	s_sub_i32 s68, s11, s10
	s_delay_alu instid0(SALU_CYCLE_1)
	s_cmp_lt_i32 s68, 1
	s_cbranch_scc1 .LBB86_236
; %bb.10:
	s_sub_i32 s2, 0, s33
	s_abs_i32 s5, s12
	s_mul_i32 s4, s2, s35
	s_clause 0x1
	s_load_b64 s[2:3], s[0:1], 0x5c
	s_load_b128 s[56:59], s[0:1], 0x4c
	s_mul_hi_u32 s4, s35, s4
	s_ashr_i32 s7, s34, 31
	s_add_i32 s35, s35, s4
	s_ashr_i32 s4, s12, 31
	s_mul_hi_u32 s6, s5, s35
	s_xor_b32 s7, s4, s7
	s_mul_i32 s8, s6, s33
	s_load_b256 s[48:55], s[0:1], 0x2c
	s_sub_i32 s4, s5, s8
	s_add_i32 s5, s6, 1
	s_sub_i32 s8, s4, s33
	s_cmp_ge_u32 s4, s33
	s_mov_b32 s65, 0
	s_cselect_b32 s5, s5, s6
	s_cselect_b32 s4, s8, s4
	s_add_i32 s6, s5, 1
	s_cmp_ge_u32 s4, s33
	s_load_b128 s[60:63], s[0:1], 0x7c
	s_cselect_b32 s4, s6, s5
	s_waitcnt lgkmcnt(0)
	s_mul_i32 s64, s10, s58
	s_xor_b32 s6, s4, s7
	s_lshl_b64 s[4:5], s[64:65], 1
	s_sub_i32 s6, s6, s7
	s_mul_i32 s64, s59, s12
	s_add_u32 s7, s24, s4
	s_addc_u32 s8, s25, s5
	s_lshl_b64 s[4:5], s[64:65], 1
	s_mul_i32 s64, s10, s2
	s_add_u32 s69, s7, s4
	s_addc_u32 s70, s8, s5
	s_lshl_b64 s[4:5], s[64:65], 1
	;; [unrolled: 4-line block ×3, first 2 shown]
	v_dual_mov_b32 v21, 0 :: v_dual_lshlrev_b32 v18, 4, v0
	s_add_u32 s71, s4, s2
	s_mul_i32 s64, s48, s12
	s_addc_u32 s48, s5, s3
	s_load_b64 s[4:5], s[0:1], 0xc8
	s_lshl_b64 s[2:3], s[64:65], 2
	v_mbcnt_lo_u32_b32 v19, -1, 0
	v_and_b32_e32 v1, 0x200, v18
	s_mul_i32 s64, s10, s50
	s_add_u32 s72, s16, s2
	s_addc_u32 s63, s17, s3
	s_lshl_b64 s[2:3], s[64:65], 1
	s_mul_i32 s64, s6, s53
	s_clause 0x2
	s_load_b64 s[16:17], s[0:1], 0x6c
	s_load_b32 s77, s[0:1], 0xc
	s_load_b32 s0, s[0:1], 0x28
	s_add_u32 s7, s18, s2
	v_or_b32_e32 v20, v19, v1
	s_addc_u32 s8, s19, s3
	s_lshl_b64 s[2:3], s[64:65], 1
	s_mul_i32 s64, s10, s54
	s_add_u32 s53, s7, s2
	s_addc_u32 s73, s8, s3
	s_lshl_b64 s[2:3], s[64:65], 1
	s_mul_i32 s64, s6, s57
	v_or_b32_e32 v24, 0x60, v20
	v_and_b32_e32 v14, 32, v0
	s_add_u32 s7, s20, s2
	s_addc_u32 s6, s21, s3
	s_lshl_b64 s[2:3], s[64:65], 1
	s_mul_i32 s64, s14, s60
	s_add_u32 s57, s7, s2
	s_addc_u32 s74, s6, s3
	s_lshl_b64 s[2:3], s[64:65], 1
	v_or_b32_e32 v26, 0xa0, v20
	v_or_b32_e32 v28, 0xe0, v20
	;; [unrolled: 1-line block ×5, first 2 shown]
	v_lshrrev_b32_e32 v2, 5, v24
	v_or_b32_e32 v36, 0x1e0, v20
	v_or_b32_e32 v16, v19, v14
	s_mul_i32 s64, s61, s12
	s_waitcnt lgkmcnt(0)
	s_add_u32 s4, s4, s2
	s_addc_u32 s5, s5, s3
	s_lshl_b64 s[2:3], s[64:65], 1
	v_or_b32_e32 v23, 64, v20
	s_add_u32 s75, s4, s2
	v_or_b32_e32 v25, 0x80, v20
	v_or_b32_e32 v27, 0xc0, v20
	;; [unrolled: 1-line block ×6, first 2 shown]
	v_and_b32_e32 v2, 18, v2
	v_lshrrev_b32_e32 v5, 5, v26
	v_lshrrev_b32_e32 v8, 5, v28
	;; [unrolled: 1-line block ×6, first 2 shown]
	v_lshrrev_b16 v50, 1, v16
	s_addc_u32 s76, s5, s3
	s_add_i32 s2, s68, 0x7ff
	v_lshrrev_b32_e32 v3, 5, v1
	s_lshr_b32 s78, s2, 11
	s_bitcmp1_b32 s0, 0
	v_lshrrev_b32_e32 v4, 5, v23
	v_lshrrev_b32_e32 v6, 5, v25
	v_add_lshl_u32 v2, v2, v20, 1
	v_and_b32_e32 v5, 20, v5
	v_lshrrev_b32_e32 v7, 5, v27
	v_and_b32_e32 v8, 22, v8
	v_lshrrev_b32_e32 v10, 5, v29
	;; [unrolled: 2-line block ×5, first 2 shown]
	v_and_b32_e32 v51, 30, v49
	v_lshlrev_b32_e32 v16, 4, v16
	v_and_b32_e32 v52, 30, v50
	s_cselect_b32 s79, -1, 0
	s_cmp_gt_i32 s77, 0
	v_add_lshl_u32 v3, v3, v20, 1
	s_cselect_b32 s80, -1, 0
	s_add_i32 s0, 0, 0x840
	v_add_lshl_u32 v4, v4, v20, 1
	v_add_lshl_u32 v6, v6, v20, 1
	v_add_nc_u32_e32 v39, 0, v2
	v_add_lshl_u32 v5, v5, v20, 1
	v_add_lshl_u32 v7, v7, v20, 1
	;; [unrolled: 1-line block ×12, first 2 shown]
	v_add_nc_u32_e32 v55, s0, v2
	v_and_b32_e32 v2, 15, v19
	s_and_b32 s1, s68, 0x3ff
	v_add_nc_u32_e32 v51, 0, v67
	v_add_nc_u32_e32 v53, s0, v3
	;; [unrolled: 1-line block ×15, first 2 shown]
	s_cmp_eq_u32 s1, 0
	v_add_nc_u32_e32 v68, s0, v16
	v_cmp_ne_u32_e64 s0, 0, v2
	v_cmp_lt_u32_e64 s1, 1, v2
	v_cmp_lt_u32_e64 s2, 3, v2
	;; [unrolled: 1-line block ×3, first 2 shown]
	v_add_nc_u32_e32 v2, -1, v19
	v_add_nc_u32_e32 v37, 0, v3
	v_lshrrev_b32_e32 v3, 2, v0
	v_add_nc_u32_e32 v41, 0, v5
	v_or_b32_e32 v5, 31, v14
	v_cmp_gt_i32_e32 vcc_lo, 0, v2
	s_mul_i32 s64, s10, s16
	v_and_b32_e32 v3, 8, v3
	s_cselect_b32 s81, -1, 0
	s_lshl_b64 s[14:15], s[64:65], 1
	v_cndmask_b32_e32 v2, v2, v19, vcc_lo
	s_add_i32 s82, s78, -1
	s_mul_i32 s64, s17, s12
	v_cmp_eq_u32_e64 s5, v5, v0
	v_cmp_gt_u32_e64 s6, 2, v0
	v_lshl_add_u32 v70, v0, 3, 0
	v_cmp_gt_u32_e64 s8, 32, v0
	v_cmp_lt_u32_e64 s9, 31, v0
	v_cmp_eq_u32_e64 s10, 0, v0
	s_add_u32 s11, s30, s14
	v_lshlrev_b32_e32 v0, 1, v19
	s_addc_u32 s14, s31, s15
	s_lshl_b64 s[12:13], s[64:65], 1
	v_add_nc_u32_e32 v69, 0, v3
	v_and_b32_e32 v3, 1, v19
	s_add_u32 s11, s11, s12
	v_lshlrev_b32_e32 v71, 2, v2
	s_addc_u32 s12, s14, s13
	v_lshlrev_b32_e32 v2, 1, v1
	v_add_co_u32 v0, s11, s11, v0
	v_add_nc_u32_e32 v38, 0, v4
	v_and_b32_e32 v4, 16, v19
	v_cmp_eq_u32_e64 s7, 0, v3
	v_add_co_ci_u32_e64 v3, null, s12, 0, s11
	v_add_co_u32 v72, vcc_lo, v0, v2
	v_or_b32_e32 v22, 32, v20
	v_add_nc_u32_e32 v40, 0, v6
	v_add_nc_u32_e32 v42, 0, v7
	;; [unrolled: 1-line block ×11, first 2 shown]
	v_cmp_ne_u32_e64 s4, 0, v4
	v_cmp_eq_u32_e64 s11, 0, v19
	v_add_co_ci_u32_e32 v73, vcc_lo, 0, v3, vcc_lo
	v_or_b32_e32 v74, 1, v18
	v_or_b32_e32 v75, 2, v18
	;; [unrolled: 1-line block ×15, first 2 shown]
	v_lshlrev_b32_e32 v89, 1, v1
	s_mov_b32 s83, 0x3e9b6dac
	s_add_i32 s84, 0, 0x1090
	s_mov_b32 s85, 0
	s_branch .LBB86_12
.LBB86_11:                              ;   in Loop: Header=BB86_12 Depth=1
	s_or_b32 exec_lo, exec_lo, s12
	s_add_u32 s71, s71, 0x800
	s_addc_u32 s48, s48, 0
	s_add_u32 s69, s69, 0x800
	s_addc_u32 s70, s70, 0
	;; [unrolled: 2-line block ×4, first 2 shown]
	s_add_i32 s85, s85, 1
	s_delay_alu instid0(SALU_CYCLE_1)
	s_cmp_eq_u32 s85, s78
	s_cbranch_scc1 .LBB86_236
.LBB86_12:                              ; =>This Loop Header: Depth=1
                                        ;     Child Loop BB86_109 Depth 2
	s_waitcnt lgkmcnt(14)
	v_lshlrev_b32_e32 v16, 1, v19
	s_lshl_b32 s50, s85, 10
	s_waitcnt lgkmcnt(0)
	v_mov_b32_e32 v2, 0
	s_sub_i32 s40, s68, s50
	v_add_co_u32 v0, s12, s69, v16
	s_delay_alu instid0(VALU_DEP_1) | instskip(SKIP_1) | instid1(VALU_DEP_3)
	v_add_co_ci_u32_e64 v1, null, s70, 0, s12
	v_cmp_gt_u32_e64 s12, s40, v20
	v_add_co_u32 v0, vcc_lo, v0, v89
	s_delay_alu instid0(VALU_DEP_3)
	v_add_co_ci_u32_e32 v1, vcc_lo, 0, v1, vcc_lo
	s_waitcnt_vscnt null, 0x0
	s_barrier
	buffer_gl0_inv
	s_and_saveexec_b32 s13, s12
	s_cbranch_execz .LBB86_14
; %bb.13:                               ;   in Loop: Header=BB86_12 Depth=1
	global_load_u16 v2, v[0:1], off
.LBB86_14:                              ;   in Loop: Header=BB86_12 Depth=1
	s_or_b32 exec_lo, exec_lo, s13
	v_cmp_gt_u32_e64 s13, s40, v22
	v_dual_mov_b32 v3, 0 :: v_dual_mov_b32 v4, 0
	s_delay_alu instid0(VALU_DEP_2)
	s_and_saveexec_b32 s14, s13
	s_cbranch_execz .LBB86_16
; %bb.15:                               ;   in Loop: Header=BB86_12 Depth=1
	global_load_u16 v4, v[0:1], off offset:64
.LBB86_16:                              ;   in Loop: Header=BB86_12 Depth=1
	s_or_b32 exec_lo, exec_lo, s14
	v_cmp_gt_u32_e64 s14, s40, v23
	s_delay_alu instid0(VALU_DEP_1)
	s_and_saveexec_b32 s15, s14
	s_cbranch_execz .LBB86_18
; %bb.17:                               ;   in Loop: Header=BB86_12 Depth=1
	global_load_u16 v3, v[0:1], off offset:128
.LBB86_18:                              ;   in Loop: Header=BB86_12 Depth=1
	s_or_b32 exec_lo, exec_lo, s15
	v_cmp_gt_u32_e64 s15, s40, v24
	v_dual_mov_b32 v5, 0 :: v_dual_mov_b32 v6, 0
	s_delay_alu instid0(VALU_DEP_2)
	s_and_saveexec_b32 s16, s15
	s_cbranch_execz .LBB86_20
; %bb.19:                               ;   in Loop: Header=BB86_12 Depth=1
	global_load_u16 v6, v[0:1], off offset:192
.LBB86_20:                              ;   in Loop: Header=BB86_12 Depth=1
	s_or_b32 exec_lo, exec_lo, s16
	v_cmp_gt_u32_e64 s16, s40, v25
	s_delay_alu instid0(VALU_DEP_1)
	s_and_saveexec_b32 s17, s16
	s_cbranch_execz .LBB86_22
; %bb.21:                               ;   in Loop: Header=BB86_12 Depth=1
	global_load_u16 v5, v[0:1], off offset:256
.LBB86_22:                              ;   in Loop: Header=BB86_12 Depth=1
	;; [unrolled: 17-line block ×3, first 2 shown]
	s_or_b32 exec_lo, exec_lo, s19
	v_cmp_gt_u32_e64 s19, s40, v28
	v_mov_b32_e32 v9, 0
	v_mov_b32_e32 v11, 0
	s_delay_alu instid0(VALU_DEP_3)
	s_and_saveexec_b32 s20, s19
	s_cbranch_execz .LBB86_28
; %bb.27:                               ;   in Loop: Header=BB86_12 Depth=1
	global_load_u16 v11, v[0:1], off offset:448
.LBB86_28:                              ;   in Loop: Header=BB86_12 Depth=1
	s_or_b32 exec_lo, exec_lo, s20
	v_cmp_gt_u32_e64 s20, s40, v29
	s_delay_alu instid0(VALU_DEP_1)
	s_and_saveexec_b32 s21, s20
	s_cbranch_execz .LBB86_30
; %bb.29:                               ;   in Loop: Header=BB86_12 Depth=1
	global_load_u16 v9, v[0:1], off offset:512
.LBB86_30:                              ;   in Loop: Header=BB86_12 Depth=1
	s_or_b32 exec_lo, exec_lo, s21
	v_cmp_gt_u32_e64 s21, s40, v30
	v_dual_mov_b32 v12, 0 :: v_dual_mov_b32 v13, 0
	s_delay_alu instid0(VALU_DEP_2)
	s_and_saveexec_b32 s22, s21
	s_cbranch_execz .LBB86_32
; %bb.31:                               ;   in Loop: Header=BB86_12 Depth=1
	global_load_u16 v13, v[0:1], off offset:576
.LBB86_32:                              ;   in Loop: Header=BB86_12 Depth=1
	s_or_b32 exec_lo, exec_lo, s22
	v_cmp_gt_u32_e64 s22, s40, v31
	s_delay_alu instid0(VALU_DEP_1)
	s_and_saveexec_b32 s23, s22
	s_cbranch_execz .LBB86_34
; %bb.33:                               ;   in Loop: Header=BB86_12 Depth=1
	global_load_u16 v12, v[0:1], off offset:640
.LBB86_34:                              ;   in Loop: Header=BB86_12 Depth=1
	s_or_b32 exec_lo, exec_lo, s23
	v_cmp_gt_u32_e64 s23, s40, v32
	v_dual_mov_b32 v14, 0 :: v_dual_mov_b32 v15, 0
	s_delay_alu instid0(VALU_DEP_2)
	;; [unrolled: 17-line block ×4, first 2 shown]
	s_and_saveexec_b32 s28, s27
	s_cbranch_execz .LBB86_44
; %bb.43:                               ;   in Loop: Header=BB86_12 Depth=1
	global_load_u16 v91, v[0:1], off offset:960
.LBB86_44:                              ;   in Loop: Header=BB86_12 Depth=1
	s_or_b32 exec_lo, exec_lo, s28
	s_waitcnt vmcnt(0)
	ds_store_b16 v37, v2
	ds_store_b16 v37, v4 offset:64
	ds_store_b16 v38, v3 offset:128
	;; [unrolled: 1-line block ×15, first 2 shown]
	; wave barrier
	ds_load_b128 v[0:3], v52
	ds_load_b128 v[4:7], v52 offset:16
	v_add_co_u32 v8, s28, s71, v16
	s_delay_alu instid0(VALU_DEP_1) | instskip(SKIP_1) | instid1(VALU_DEP_2)
	v_add_co_ci_u32_e64 v9, null, s48, 0, s28
	s_waitcnt lgkmcnt(0)
	v_add_co_u32 v8, vcc_lo, v8, v89
	s_delay_alu instid0(VALU_DEP_2)
	v_add_co_ci_u32_e32 v9, vcc_lo, 0, v9, vcc_lo
	s_barrier
	buffer_gl0_inv
	s_and_saveexec_b32 s28, s12
	s_cbranch_execz .LBB86_46
; %bb.45:                               ;   in Loop: Header=BB86_12 Depth=1
	global_load_u16 v10, v[8:9], off
.LBB86_46:                              ;   in Loop: Header=BB86_12 Depth=1
	s_or_b32 exec_lo, exec_lo, s28
	v_dual_mov_b32 v11, 0 :: v_dual_mov_b32 v12, 0
	s_and_saveexec_b32 s28, s13
	s_cbranch_execz .LBB86_48
; %bb.47:                               ;   in Loop: Header=BB86_12 Depth=1
	global_load_u16 v12, v[8:9], off offset:64
.LBB86_48:                              ;   in Loop: Header=BB86_12 Depth=1
	s_or_b32 exec_lo, exec_lo, s28
	s_and_saveexec_b32 s28, s14
	s_cbranch_execz .LBB86_50
; %bb.49:                               ;   in Loop: Header=BB86_12 Depth=1
	global_load_u16 v11, v[8:9], off offset:128
.LBB86_50:                              ;   in Loop: Header=BB86_12 Depth=1
	s_or_b32 exec_lo, exec_lo, s28
	v_dual_mov_b32 v13, 0 :: v_dual_mov_b32 v14, 0
	s_and_saveexec_b32 s28, s15
	s_cbranch_execz .LBB86_52
; %bb.51:                               ;   in Loop: Header=BB86_12 Depth=1
	global_load_u16 v14, v[8:9], off offset:192
.LBB86_52:                              ;   in Loop: Header=BB86_12 Depth=1
	s_or_b32 exec_lo, exec_lo, s28
	s_and_saveexec_b32 s28, s16
	s_cbranch_execz .LBB86_54
; %bb.53:                               ;   in Loop: Header=BB86_12 Depth=1
	global_load_u16 v13, v[8:9], off offset:256
.LBB86_54:                              ;   in Loop: Header=BB86_12 Depth=1
	s_or_b32 exec_lo, exec_lo, s28
	v_mov_b32_e32 v15, 0
	v_mov_b32_e32 v17, 0
	s_and_saveexec_b32 s28, s17
	s_cbranch_execz .LBB86_56
; %bb.55:                               ;   in Loop: Header=BB86_12 Depth=1
	global_load_u16 v17, v[8:9], off offset:320
.LBB86_56:                              ;   in Loop: Header=BB86_12 Depth=1
	s_or_b32 exec_lo, exec_lo, s28
	s_and_saveexec_b32 s28, s18
	s_cbranch_execz .LBB86_58
; %bb.57:                               ;   in Loop: Header=BB86_12 Depth=1
	global_load_u16 v15, v[8:9], off offset:384
.LBB86_58:                              ;   in Loop: Header=BB86_12 Depth=1
	s_or_b32 exec_lo, exec_lo, s28
	v_dual_mov_b32 v90, 0 :: v_dual_mov_b32 v91, 0
	s_and_saveexec_b32 s28, s19
	s_cbranch_execz .LBB86_60
; %bb.59:                               ;   in Loop: Header=BB86_12 Depth=1
	global_load_u16 v91, v[8:9], off offset:448
.LBB86_60:                              ;   in Loop: Header=BB86_12 Depth=1
	s_or_b32 exec_lo, exec_lo, s28
	s_and_saveexec_b32 s28, s20
	s_cbranch_execz .LBB86_62
; %bb.61:                               ;   in Loop: Header=BB86_12 Depth=1
	global_load_u16 v90, v[8:9], off offset:512
.LBB86_62:                              ;   in Loop: Header=BB86_12 Depth=1
	s_or_b32 exec_lo, exec_lo, s28
	v_dual_mov_b32 v92, 0 :: v_dual_mov_b32 v93, 0
	;; [unrolled: 13-line block ×4, first 2 shown]
	s_and_saveexec_b32 s28, s25
	s_cbranch_execnz .LBB86_218
; %bb.71:                               ;   in Loop: Header=BB86_12 Depth=1
	s_or_b32 exec_lo, exec_lo, s28
	s_and_saveexec_b32 s28, s26
	s_cbranch_execnz .LBB86_219
.LBB86_72:                              ;   in Loop: Header=BB86_12 Depth=1
	s_or_b32 exec_lo, exec_lo, s28
	v_mov_b32_e32 v98, 0
	s_and_saveexec_b32 s28, s27
	s_cbranch_execz .LBB86_74
.LBB86_73:                              ;   in Loop: Header=BB86_12 Depth=1
	global_load_u16 v98, v[8:9], off offset:960
.LBB86_74:                              ;   in Loop: Header=BB86_12 Depth=1
	s_or_b32 exec_lo, exec_lo, s28
	s_waitcnt vmcnt(0)
	ds_store_b16 v37, v10
	ds_store_b16 v37, v12 offset:64
	ds_store_b16 v38, v11 offset:128
	;; [unrolled: 1-line block ×15, first 2 shown]
	; wave barrier
	ds_load_b128 v[12:15], v52
	ds_load_b128 v[8:11], v52 offset:16
	s_waitcnt lgkmcnt(1)
	v_cvt_f32_f16_e32 v17, v12
	s_delay_alu instid0(VALU_DEP_1) | instskip(NEXT) | instid1(VALU_DEP_1)
	v_add_f32_e32 v90, s66, v17
	v_cmp_ge_f32_e32 vcc_lo, 0x41a00000, v90
	s_and_b32 s28, s79, vcc_lo
	s_delay_alu instid0(SALU_CYCLE_1)
	s_and_saveexec_b32 s29, s28
	s_cbranch_execz .LBB86_76
; %bb.75:                               ;   in Loop: Header=BB86_12 Depth=1
	v_mul_f32_e32 v17, 0x3fb8aa3b, v90
	v_cmp_ngt_f32_e32 vcc_lo, 0xc2ce8ed0, v90
	s_delay_alu instid0(VALU_DEP_2) | instskip(SKIP_1) | instid1(VALU_DEP_1)
	v_rndne_f32_e32 v91, v17
	v_fma_f32 v92, 0x3fb8aa3b, v90, -v17
	v_dual_sub_f32 v17, v17, v91 :: v_dual_fmac_f32 v92, 0x32a5705f, v90
	v_cvt_i32_f32_e32 v91, v91
	s_delay_alu instid0(VALU_DEP_2) | instskip(NEXT) | instid1(VALU_DEP_1)
	v_add_f32_e32 v17, v17, v92
	v_exp_f32_e32 v17, v17
	s_waitcnt_depctr 0xfff
	v_ldexp_f32 v17, v17, v91
	s_delay_alu instid0(VALU_DEP_1) | instskip(SKIP_1) | instid1(VALU_DEP_2)
	v_cndmask_b32_e32 v17, 0, v17, vcc_lo
	v_cmp_nlt_f32_e32 vcc_lo, 0x42b17218, v90
	v_cndmask_b32_e32 v17, 0x7f800000, v17, vcc_lo
	s_delay_alu instid0(VALU_DEP_1) | instskip(NEXT) | instid1(VALU_DEP_1)
	v_add_f32_e32 v92, 1.0, v17
	v_cvt_f64_f32_e32 v[90:91], v92
	s_delay_alu instid0(VALU_DEP_1) | instskip(SKIP_1) | instid1(VALU_DEP_1)
	v_frexp_exp_i32_f64_e32 v90, v[90:91]
	v_frexp_mant_f32_e32 v91, v92
	v_cmp_gt_f32_e32 vcc_lo, 0x3f2aaaab, v91
	v_add_f32_e32 v91, -1.0, v92
	s_delay_alu instid0(VALU_DEP_1) | instskip(NEXT) | instid1(VALU_DEP_1)
	v_dual_sub_f32 v94, v91, v92 :: v_dual_sub_f32 v91, v17, v91
	v_add_f32_e32 v94, 1.0, v94
	v_subrev_co_ci_u32_e32 v90, vcc_lo, 0, v90, vcc_lo
	s_delay_alu instid0(VALU_DEP_1) | instskip(SKIP_1) | instid1(VALU_DEP_2)
	v_sub_nc_u32_e32 v93, 0, v90
	v_cvt_f32_i32_e32 v90, v90
	v_ldexp_f32 v92, v92, v93
	v_add_f32_e32 v91, v91, v94
	s_delay_alu instid0(VALU_DEP_1) | instskip(NEXT) | instid1(VALU_DEP_3)
	v_ldexp_f32 v91, v91, v93
	v_add_f32_e32 v95, 1.0, v92
	s_delay_alu instid0(VALU_DEP_1) | instskip(NEXT) | instid1(VALU_DEP_1)
	v_add_f32_e32 v94, -1.0, v95
	v_sub_f32_e32 v94, v92, v94
	v_cmp_eq_f32_e32 vcc_lo, 0x7f800000, v17
	v_cmp_gt_f32_e64 s28, 0x33800000, v17
	s_delay_alu instid0(VALU_DEP_3) | instskip(NEXT) | instid1(VALU_DEP_2)
	v_dual_add_f32 v94, v91, v94 :: v_dual_add_f32 v93, -1.0, v92
	s_or_b32 vcc_lo, s28, vcc_lo
	s_delay_alu instid0(VALU_DEP_1) | instskip(NEXT) | instid1(VALU_DEP_1)
	v_add_f32_e32 v96, 1.0, v93
	v_sub_f32_e32 v92, v92, v96
	s_delay_alu instid0(VALU_DEP_3) | instskip(NEXT) | instid1(VALU_DEP_1)
	v_add_f32_e32 v96, v95, v94
	v_sub_f32_e32 v95, v95, v96
	s_delay_alu instid0(VALU_DEP_3) | instskip(SKIP_1) | instid1(VALU_DEP_2)
	v_add_f32_e32 v91, v91, v92
	v_rcp_f32_e32 v92, v96
	v_add_f32_e32 v94, v94, v95
	s_delay_alu instid0(VALU_DEP_2) | instskip(NEXT) | instid1(VALU_DEP_1)
	v_add_f32_e32 v97, v93, v91
	v_sub_f32_e32 v93, v93, v97
	s_waitcnt_depctr 0xfff
	v_dual_mul_f32 v98, v97, v92 :: v_dual_add_f32 v91, v91, v93
	s_delay_alu instid0(VALU_DEP_1) | instskip(NEXT) | instid1(VALU_DEP_1)
	v_mul_f32_e32 v99, v96, v98
	v_fma_f32 v95, v98, v96, -v99
	s_delay_alu instid0(VALU_DEP_1) | instskip(NEXT) | instid1(VALU_DEP_1)
	v_fmac_f32_e32 v95, v98, v94
	v_add_f32_e32 v100, v99, v95
	s_delay_alu instid0(VALU_DEP_1) | instskip(NEXT) | instid1(VALU_DEP_1)
	v_sub_f32_e32 v101, v97, v100
	v_sub_f32_e32 v97, v97, v101
	;; [unrolled: 1-line block ×3, first 2 shown]
	s_delay_alu instid0(VALU_DEP_2) | instskip(NEXT) | instid1(VALU_DEP_2)
	v_sub_f32_e32 v97, v97, v100
	v_sub_f32_e32 v93, v93, v95
	s_delay_alu instid0(VALU_DEP_2) | instskip(NEXT) | instid1(VALU_DEP_1)
	v_add_f32_e32 v91, v91, v97
	v_add_f32_e32 v91, v93, v91
	s_delay_alu instid0(VALU_DEP_1) | instskip(NEXT) | instid1(VALU_DEP_1)
	v_add_f32_e32 v93, v101, v91
	v_mul_f32_e32 v95, v92, v93
	s_delay_alu instid0(VALU_DEP_1) | instskip(NEXT) | instid1(VALU_DEP_1)
	v_dual_sub_f32 v100, v101, v93 :: v_dual_mul_f32 v97, v96, v95
	v_add_f32_e32 v91, v91, v100
	s_delay_alu instid0(VALU_DEP_2) | instskip(NEXT) | instid1(VALU_DEP_1)
	v_fma_f32 v96, v95, v96, -v97
	v_fmac_f32_e32 v96, v95, v94
	s_delay_alu instid0(VALU_DEP_1) | instskip(NEXT) | instid1(VALU_DEP_1)
	v_add_f32_e32 v94, v97, v96
	v_sub_f32_e32 v99, v93, v94
	v_sub_f32_e32 v97, v94, v97
	s_delay_alu instid0(VALU_DEP_2) | instskip(NEXT) | instid1(VALU_DEP_1)
	v_sub_f32_e32 v93, v93, v99
	v_sub_f32_e32 v93, v93, v94
	s_delay_alu instid0(VALU_DEP_1) | instskip(SKIP_1) | instid1(VALU_DEP_1)
	v_dual_sub_f32 v94, v97, v96 :: v_dual_add_f32 v91, v91, v93
	v_add_f32_e32 v93, v98, v95
	v_dual_add_f32 v91, v94, v91 :: v_dual_sub_f32 v94, v93, v98
	s_delay_alu instid0(VALU_DEP_1) | instskip(NEXT) | instid1(VALU_DEP_1)
	v_add_f32_e32 v91, v99, v91
	v_dual_sub_f32 v94, v95, v94 :: v_dual_mul_f32 v91, v92, v91
	s_delay_alu instid0(VALU_DEP_1) | instskip(NEXT) | instid1(VALU_DEP_1)
	v_add_f32_e32 v91, v94, v91
	v_add_f32_e32 v92, v93, v91
	s_delay_alu instid0(VALU_DEP_1) | instskip(NEXT) | instid1(VALU_DEP_1)
	v_mul_f32_e32 v94, v92, v92
	v_fmaak_f32 v95, s83, v94, 0x3ecc95a3
	v_mul_f32_e32 v96, v92, v94
	s_delay_alu instid0(VALU_DEP_2) | instskip(SKIP_2) | instid1(VALU_DEP_3)
	v_fmaak_f32 v94, v94, v95, 0x3f2aaada
	v_ldexp_f32 v95, v92, 1
	v_sub_f32_e32 v92, v92, v93
	v_mul_f32_e32 v94, v96, v94
	s_delay_alu instid0(VALU_DEP_2) | instskip(NEXT) | instid1(VALU_DEP_2)
	v_dual_mul_f32 v96, 0x3f317218, v90 :: v_dual_sub_f32 v91, v91, v92
	v_add_f32_e32 v93, v95, v94
	s_delay_alu instid0(VALU_DEP_2) | instskip(NEXT) | instid1(VALU_DEP_2)
	v_ldexp_f32 v91, v91, 1
	v_sub_f32_e32 v92, v93, v95
	s_delay_alu instid0(VALU_DEP_4) | instskip(NEXT) | instid1(VALU_DEP_1)
	v_fma_f32 v95, 0x3f317218, v90, -v96
	v_dual_sub_f32 v92, v94, v92 :: v_dual_fmac_f32 v95, 0xb102e308, v90
	s_delay_alu instid0(VALU_DEP_1) | instskip(NEXT) | instid1(VALU_DEP_1)
	v_dual_add_f32 v90, v91, v92 :: v_dual_add_f32 v91, v96, v95
	v_add_f32_e32 v92, v93, v90
	s_delay_alu instid0(VALU_DEP_2) | instskip(NEXT) | instid1(VALU_DEP_2)
	v_sub_f32_e32 v96, v91, v96
	v_dual_add_f32 v94, v91, v92 :: v_dual_sub_f32 v93, v92, v93
	s_delay_alu instid0(VALU_DEP_2) | instskip(NEXT) | instid1(VALU_DEP_2)
	v_sub_f32_e32 v95, v95, v96
	v_sub_f32_e32 v97, v94, v91
	s_delay_alu instid0(VALU_DEP_3) | instskip(NEXT) | instid1(VALU_DEP_2)
	v_sub_f32_e32 v90, v90, v93
	v_sub_f32_e32 v98, v94, v97
	s_delay_alu instid0(VALU_DEP_2) | instskip(NEXT) | instid1(VALU_DEP_2)
	v_dual_sub_f32 v92, v92, v97 :: v_dual_add_f32 v93, v95, v90
	v_sub_f32_e32 v91, v91, v98
	s_delay_alu instid0(VALU_DEP_1) | instskip(NEXT) | instid1(VALU_DEP_3)
	v_add_f32_e32 v91, v92, v91
	v_sub_f32_e32 v92, v93, v95
	s_delay_alu instid0(VALU_DEP_2) | instskip(NEXT) | instid1(VALU_DEP_2)
	v_add_f32_e32 v91, v93, v91
	v_sub_f32_e32 v93, v93, v92
	v_sub_f32_e32 v90, v90, v92
	s_delay_alu instid0(VALU_DEP_2) | instskip(NEXT) | instid1(VALU_DEP_1)
	v_dual_add_f32 v96, v94, v91 :: v_dual_sub_f32 v93, v95, v93
	v_sub_f32_e32 v92, v96, v94
	s_delay_alu instid0(VALU_DEP_1) | instskip(NEXT) | instid1(VALU_DEP_1)
	v_dual_add_f32 v90, v90, v93 :: v_dual_sub_f32 v91, v91, v92
	v_add_f32_e32 v90, v90, v91
	s_delay_alu instid0(VALU_DEP_1) | instskip(NEXT) | instid1(VALU_DEP_1)
	v_add_f32_e32 v90, v96, v90
	v_cndmask_b32_e32 v90, v90, v17, vcc_lo
.LBB86_76:                              ;   in Loop: Header=BB86_12 Depth=1
	s_or_b32 exec_lo, exec_lo, s29
	v_lshrrev_b32_e32 v12, 16, v12
	s_delay_alu instid0(VALU_DEP_1) | instskip(NEXT) | instid1(VALU_DEP_1)
	v_cvt_f32_f16_e32 v12, v12
	v_add_f32_e32 v91, s66, v12
	s_delay_alu instid0(VALU_DEP_1) | instskip(SKIP_1) | instid1(SALU_CYCLE_1)
	v_cmp_ge_f32_e32 vcc_lo, 0x41a00000, v91
	s_and_b32 s28, s79, vcc_lo
	s_and_saveexec_b32 s29, s28
	s_cbranch_execz .LBB86_78
; %bb.77:                               ;   in Loop: Header=BB86_12 Depth=1
	v_mul_f32_e32 v12, 0x3fb8aa3b, v91
	v_cmp_ngt_f32_e32 vcc_lo, 0xc2ce8ed0, v91
	s_delay_alu instid0(VALU_DEP_2) | instskip(SKIP_1) | instid1(VALU_DEP_2)
	v_rndne_f32_e32 v17, v12
	v_fma_f32 v92, 0x3fb8aa3b, v91, -v12
	v_sub_f32_e32 v12, v12, v17
	s_delay_alu instid0(VALU_DEP_2) | instskip(SKIP_1) | instid1(VALU_DEP_2)
	v_fmac_f32_e32 v92, 0x32a5705f, v91
	v_cvt_i32_f32_e32 v17, v17
	v_add_f32_e32 v12, v12, v92
	s_delay_alu instid0(VALU_DEP_1) | instskip(SKIP_2) | instid1(VALU_DEP_1)
	v_exp_f32_e32 v12, v12
	s_waitcnt_depctr 0xfff
	v_ldexp_f32 v12, v12, v17
	v_cndmask_b32_e32 v12, 0, v12, vcc_lo
	v_cmp_nlt_f32_e32 vcc_lo, 0x42b17218, v91
	s_delay_alu instid0(VALU_DEP_2) | instskip(NEXT) | instid1(VALU_DEP_1)
	v_cndmask_b32_e32 v12, 0x7f800000, v12, vcc_lo
	v_add_f32_e32 v17, 1.0, v12
	s_delay_alu instid0(VALU_DEP_1) | instskip(NEXT) | instid1(VALU_DEP_1)
	v_cvt_f64_f32_e32 v[91:92], v17
	v_frexp_exp_i32_f64_e32 v91, v[91:92]
	v_frexp_mant_f32_e32 v92, v17
	s_delay_alu instid0(VALU_DEP_1) | instskip(SKIP_1) | instid1(VALU_DEP_1)
	v_cmp_gt_f32_e32 vcc_lo, 0x3f2aaaab, v92
	v_add_f32_e32 v92, -1.0, v17
	v_sub_f32_e32 v94, v92, v17
	v_sub_f32_e32 v92, v12, v92
	s_delay_alu instid0(VALU_DEP_2) | instskip(NEXT) | instid1(VALU_DEP_1)
	v_add_f32_e32 v94, 1.0, v94
	v_add_f32_e32 v92, v92, v94
	v_subrev_co_ci_u32_e32 v91, vcc_lo, 0, v91, vcc_lo
	s_delay_alu instid0(VALU_DEP_1) | instskip(SKIP_1) | instid1(VALU_DEP_2)
	v_sub_nc_u32_e32 v93, 0, v91
	v_cvt_f32_i32_e32 v91, v91
	v_ldexp_f32 v17, v17, v93
	v_ldexp_f32 v92, v92, v93
	s_delay_alu instid0(VALU_DEP_2) | instskip(NEXT) | instid1(VALU_DEP_1)
	v_add_f32_e32 v95, 1.0, v17
	v_dual_add_f32 v93, -1.0, v17 :: v_dual_add_f32 v94, -1.0, v95
	s_delay_alu instid0(VALU_DEP_1) | instskip(NEXT) | instid1(VALU_DEP_2)
	v_add_f32_e32 v96, 1.0, v93
	v_sub_f32_e32 v94, v17, v94
	s_delay_alu instid0(VALU_DEP_2) | instskip(NEXT) | instid1(VALU_DEP_1)
	v_sub_f32_e32 v17, v17, v96
	v_add_f32_e32 v17, v92, v17
	s_delay_alu instid0(VALU_DEP_1) | instskip(SKIP_2) | instid1(VALU_DEP_3)
	v_add_f32_e32 v97, v93, v17
	v_cmp_eq_f32_e32 vcc_lo, 0x7f800000, v12
	v_cmp_gt_f32_e64 s28, 0x33800000, v12
	v_dual_sub_f32 v93, v93, v97 :: v_dual_add_f32 v94, v92, v94
	s_delay_alu instid0(VALU_DEP_2) | instskip(NEXT) | instid1(VALU_DEP_1)
	s_or_b32 vcc_lo, s28, vcc_lo
	v_dual_add_f32 v17, v17, v93 :: v_dual_add_f32 v96, v95, v94
	s_delay_alu instid0(VALU_DEP_1) | instskip(SKIP_1) | instid1(VALU_DEP_1)
	v_rcp_f32_e32 v92, v96
	v_sub_f32_e32 v95, v95, v96
	v_add_f32_e32 v94, v94, v95
	s_waitcnt_depctr 0xfff
	v_mul_f32_e32 v98, v97, v92
	s_delay_alu instid0(VALU_DEP_1) | instskip(NEXT) | instid1(VALU_DEP_1)
	v_mul_f32_e32 v99, v96, v98
	v_fma_f32 v95, v98, v96, -v99
	s_delay_alu instid0(VALU_DEP_1) | instskip(NEXT) | instid1(VALU_DEP_1)
	v_fmac_f32_e32 v95, v98, v94
	v_add_f32_e32 v100, v99, v95
	s_delay_alu instid0(VALU_DEP_1) | instskip(SKIP_1) | instid1(VALU_DEP_2)
	v_sub_f32_e32 v101, v97, v100
	v_sub_f32_e32 v93, v100, v99
	;; [unrolled: 1-line block ×3, first 2 shown]
	s_delay_alu instid0(VALU_DEP_2) | instskip(NEXT) | instid1(VALU_DEP_2)
	v_sub_f32_e32 v93, v93, v95
	v_sub_f32_e32 v97, v97, v100
	s_delay_alu instid0(VALU_DEP_1) | instskip(NEXT) | instid1(VALU_DEP_1)
	v_add_f32_e32 v17, v17, v97
	v_add_f32_e32 v17, v93, v17
	s_delay_alu instid0(VALU_DEP_1) | instskip(NEXT) | instid1(VALU_DEP_1)
	v_add_f32_e32 v93, v101, v17
	v_mul_f32_e32 v95, v92, v93
	s_delay_alu instid0(VALU_DEP_1) | instskip(NEXT) | instid1(VALU_DEP_1)
	v_mul_f32_e32 v97, v96, v95
	v_fma_f32 v96, v95, v96, -v97
	s_delay_alu instid0(VALU_DEP_1) | instskip(SKIP_1) | instid1(VALU_DEP_2)
	v_fmac_f32_e32 v96, v95, v94
	v_sub_f32_e32 v100, v101, v93
	v_add_f32_e32 v94, v97, v96
	s_delay_alu instid0(VALU_DEP_2) | instskip(NEXT) | instid1(VALU_DEP_2)
	v_add_f32_e32 v17, v17, v100
	v_sub_f32_e32 v99, v93, v94
	s_delay_alu instid0(VALU_DEP_1) | instskip(NEXT) | instid1(VALU_DEP_1)
	v_sub_f32_e32 v93, v93, v99
	v_sub_f32_e32 v93, v93, v94
	s_delay_alu instid0(VALU_DEP_1) | instskip(SKIP_2) | instid1(VALU_DEP_1)
	v_add_f32_e32 v17, v17, v93
	v_add_f32_e32 v93, v98, v95
	v_sub_f32_e32 v97, v94, v97
	v_sub_f32_e32 v94, v97, v96
	s_delay_alu instid0(VALU_DEP_1) | instskip(NEXT) | instid1(VALU_DEP_1)
	v_dual_add_f32 v17, v94, v17 :: v_dual_sub_f32 v94, v93, v98
	v_add_f32_e32 v17, v99, v17
	s_delay_alu instid0(VALU_DEP_1) | instskip(NEXT) | instid1(VALU_DEP_1)
	v_dual_sub_f32 v94, v95, v94 :: v_dual_mul_f32 v17, v92, v17
	v_add_f32_e32 v17, v94, v17
	s_delay_alu instid0(VALU_DEP_1) | instskip(NEXT) | instid1(VALU_DEP_1)
	v_add_f32_e32 v92, v93, v17
	v_mul_f32_e32 v94, v92, v92
	s_delay_alu instid0(VALU_DEP_1) | instskip(SKIP_1) | instid1(VALU_DEP_2)
	v_fmaak_f32 v95, s83, v94, 0x3ecc95a3
	v_mul_f32_e32 v96, v92, v94
	v_fmaak_f32 v94, v94, v95, 0x3f2aaada
	v_ldexp_f32 v95, v92, 1
	s_delay_alu instid0(VALU_DEP_2) | instskip(SKIP_1) | instid1(VALU_DEP_2)
	v_mul_f32_e32 v94, v96, v94
	v_sub_f32_e32 v92, v92, v93
	v_dual_mul_f32 v96, 0x3f317218, v91 :: v_dual_add_f32 v93, v95, v94
	s_delay_alu instid0(VALU_DEP_2) | instskip(NEXT) | instid1(VALU_DEP_2)
	v_sub_f32_e32 v17, v17, v92
	v_sub_f32_e32 v92, v93, v95
	s_delay_alu instid0(VALU_DEP_3) | instskip(NEXT) | instid1(VALU_DEP_3)
	v_fma_f32 v95, 0x3f317218, v91, -v96
	v_ldexp_f32 v17, v17, 1
	s_delay_alu instid0(VALU_DEP_2) | instskip(NEXT) | instid1(VALU_DEP_1)
	v_dual_sub_f32 v92, v94, v92 :: v_dual_fmac_f32 v95, 0xb102e308, v91
	v_add_f32_e32 v17, v17, v92
	s_delay_alu instid0(VALU_DEP_1) | instskip(NEXT) | instid1(VALU_DEP_1)
	v_dual_add_f32 v91, v96, v95 :: v_dual_add_f32 v92, v93, v17
	v_sub_f32_e32 v96, v91, v96
	s_delay_alu instid0(VALU_DEP_2) | instskip(NEXT) | instid1(VALU_DEP_2)
	v_dual_add_f32 v94, v91, v92 :: v_dual_sub_f32 v93, v92, v93
	v_sub_f32_e32 v95, v95, v96
	s_delay_alu instid0(VALU_DEP_2) | instskip(NEXT) | instid1(VALU_DEP_1)
	v_sub_f32_e32 v97, v94, v91
	v_sub_f32_e32 v98, v94, v97
	;; [unrolled: 1-line block ×4, first 2 shown]
	s_delay_alu instid0(VALU_DEP_1) | instskip(NEXT) | instid1(VALU_DEP_4)
	v_add_f32_e32 v93, v95, v17
	v_sub_f32_e32 v91, v91, v98
	s_delay_alu instid0(VALU_DEP_1) | instskip(NEXT) | instid1(VALU_DEP_3)
	v_add_f32_e32 v91, v92, v91
	v_sub_f32_e32 v92, v93, v95
	s_delay_alu instid0(VALU_DEP_2) | instskip(NEXT) | instid1(VALU_DEP_2)
	v_add_f32_e32 v91, v93, v91
	v_sub_f32_e32 v93, v93, v92
	s_delay_alu instid0(VALU_DEP_2) | instskip(NEXT) | instid1(VALU_DEP_1)
	v_dual_sub_f32 v17, v17, v92 :: v_dual_add_f32 v96, v94, v91
	v_dual_sub_f32 v92, v96, v94 :: v_dual_sub_f32 v93, v95, v93
	s_delay_alu instid0(VALU_DEP_1) | instskip(NEXT) | instid1(VALU_DEP_2)
	v_sub_f32_e32 v91, v91, v92
	v_add_f32_e32 v17, v17, v93
	s_delay_alu instid0(VALU_DEP_1) | instskip(NEXT) | instid1(VALU_DEP_1)
	v_add_f32_e32 v17, v17, v91
	v_add_f32_e32 v17, v96, v17
	s_delay_alu instid0(VALU_DEP_1)
	v_cndmask_b32_e32 v91, v17, v12, vcc_lo
.LBB86_78:                              ;   in Loop: Header=BB86_12 Depth=1
	s_or_b32 exec_lo, exec_lo, s29
	v_cvt_f32_f16_e32 v12, v13
	s_delay_alu instid0(VALU_DEP_1) | instskip(NEXT) | instid1(VALU_DEP_1)
	v_add_f32_e32 v92, s66, v12
	v_cmp_ge_f32_e32 vcc_lo, 0x41a00000, v92
	s_and_b32 s28, s79, vcc_lo
	s_delay_alu instid0(SALU_CYCLE_1)
	s_and_saveexec_b32 s29, s28
	s_cbranch_execz .LBB86_80
; %bb.79:                               ;   in Loop: Header=BB86_12 Depth=1
	v_mul_f32_e32 v12, 0x3fb8aa3b, v92
	v_cmp_ngt_f32_e32 vcc_lo, 0xc2ce8ed0, v92
	s_delay_alu instid0(VALU_DEP_2) | instskip(SKIP_1) | instid1(VALU_DEP_1)
	v_rndne_f32_e32 v17, v12
	v_fma_f32 v93, 0x3fb8aa3b, v92, -v12
	v_dual_sub_f32 v12, v12, v17 :: v_dual_fmac_f32 v93, 0x32a5705f, v92
	v_cvt_i32_f32_e32 v17, v17
	s_delay_alu instid0(VALU_DEP_2) | instskip(NEXT) | instid1(VALU_DEP_1)
	v_add_f32_e32 v12, v12, v93
	v_exp_f32_e32 v12, v12
	s_waitcnt_depctr 0xfff
	v_ldexp_f32 v12, v12, v17
	s_delay_alu instid0(VALU_DEP_1) | instskip(SKIP_1) | instid1(VALU_DEP_2)
	v_cndmask_b32_e32 v12, 0, v12, vcc_lo
	v_cmp_nlt_f32_e32 vcc_lo, 0x42b17218, v92
	v_cndmask_b32_e32 v12, 0x7f800000, v12, vcc_lo
	s_delay_alu instid0(VALU_DEP_1) | instskip(NEXT) | instid1(VALU_DEP_1)
	v_add_f32_e32 v17, 1.0, v12
	v_cvt_f64_f32_e32 v[92:93], v17
	s_delay_alu instid0(VALU_DEP_1) | instskip(SKIP_1) | instid1(VALU_DEP_1)
	v_frexp_exp_i32_f64_e32 v92, v[92:93]
	v_frexp_mant_f32_e32 v93, v17
	v_cmp_gt_f32_e32 vcc_lo, 0x3f2aaaab, v93
	v_add_f32_e32 v93, -1.0, v17
	s_delay_alu instid0(VALU_DEP_1) | instskip(SKIP_1) | instid1(VALU_DEP_2)
	v_sub_f32_e32 v95, v93, v17
	v_sub_f32_e32 v93, v12, v93
	v_add_f32_e32 v95, 1.0, v95
	s_delay_alu instid0(VALU_DEP_1) | instskip(SKIP_3) | instid1(VALU_DEP_2)
	v_add_f32_e32 v93, v93, v95
	v_cmp_gt_f32_e64 s28, 0x33800000, v12
	v_subrev_co_ci_u32_e32 v92, vcc_lo, 0, v92, vcc_lo
	v_cmp_eq_f32_e32 vcc_lo, 0x7f800000, v12
	v_sub_nc_u32_e32 v94, 0, v92
	v_cvt_f32_i32_e32 v92, v92
	s_or_b32 vcc_lo, s28, vcc_lo
	s_delay_alu instid0(VALU_DEP_2) | instskip(SKIP_1) | instid1(VALU_DEP_2)
	v_ldexp_f32 v17, v17, v94
	v_ldexp_f32 v93, v93, v94
	v_add_f32_e32 v96, 1.0, v17
	s_delay_alu instid0(VALU_DEP_1) | instskip(NEXT) | instid1(VALU_DEP_1)
	v_dual_add_f32 v94, -1.0, v17 :: v_dual_add_f32 v95, -1.0, v96
	v_add_f32_e32 v97, 1.0, v94
	s_delay_alu instid0(VALU_DEP_2) | instskip(NEXT) | instid1(VALU_DEP_2)
	v_sub_f32_e32 v95, v17, v95
	v_sub_f32_e32 v17, v17, v97
	s_delay_alu instid0(VALU_DEP_1) | instskip(NEXT) | instid1(VALU_DEP_1)
	v_add_f32_e32 v17, v93, v17
	v_dual_add_f32 v98, v94, v17 :: v_dual_add_f32 v95, v93, v95
	s_delay_alu instid0(VALU_DEP_1) | instskip(NEXT) | instid1(VALU_DEP_1)
	v_dual_sub_f32 v94, v94, v98 :: v_dual_add_f32 v97, v96, v95
	v_rcp_f32_e32 v93, v97
	v_sub_f32_e32 v96, v96, v97
	s_delay_alu instid0(VALU_DEP_1) | instskip(SKIP_2) | instid1(VALU_DEP_1)
	v_add_f32_e32 v95, v95, v96
	s_waitcnt_depctr 0xfff
	v_mul_f32_e32 v99, v98, v93
	v_mul_f32_e32 v100, v97, v99
	s_delay_alu instid0(VALU_DEP_1) | instskip(NEXT) | instid1(VALU_DEP_1)
	v_fma_f32 v96, v99, v97, -v100
	v_fmac_f32_e32 v96, v99, v95
	s_delay_alu instid0(VALU_DEP_1) | instskip(NEXT) | instid1(VALU_DEP_1)
	v_add_f32_e32 v101, v100, v96
	v_sub_f32_e32 v102, v98, v101
	s_delay_alu instid0(VALU_DEP_1) | instskip(SKIP_2) | instid1(VALU_DEP_3)
	v_sub_f32_e32 v98, v98, v102
	v_add_f32_e32 v17, v17, v94
	v_sub_f32_e32 v94, v101, v100
	v_sub_f32_e32 v98, v98, v101
	s_delay_alu instid0(VALU_DEP_1) | instskip(NEXT) | instid1(VALU_DEP_1)
	v_dual_sub_f32 v94, v94, v96 :: v_dual_add_f32 v17, v17, v98
	v_add_f32_e32 v17, v94, v17
	s_delay_alu instid0(VALU_DEP_1) | instskip(NEXT) | instid1(VALU_DEP_1)
	v_add_f32_e32 v94, v102, v17
	v_mul_f32_e32 v96, v93, v94
	s_delay_alu instid0(VALU_DEP_1) | instskip(NEXT) | instid1(VALU_DEP_1)
	v_dual_sub_f32 v101, v102, v94 :: v_dual_mul_f32 v98, v97, v96
	v_add_f32_e32 v17, v17, v101
	s_delay_alu instid0(VALU_DEP_2) | instskip(NEXT) | instid1(VALU_DEP_1)
	v_fma_f32 v97, v96, v97, -v98
	v_fmac_f32_e32 v97, v96, v95
	s_delay_alu instid0(VALU_DEP_1) | instskip(NEXT) | instid1(VALU_DEP_1)
	v_add_f32_e32 v95, v98, v97
	v_sub_f32_e32 v100, v94, v95
	s_delay_alu instid0(VALU_DEP_1) | instskip(NEXT) | instid1(VALU_DEP_1)
	v_sub_f32_e32 v94, v94, v100
	v_sub_f32_e32 v94, v94, v95
	s_delay_alu instid0(VALU_DEP_1) | instskip(SKIP_1) | instid1(VALU_DEP_1)
	v_dual_add_f32 v17, v17, v94 :: v_dual_add_f32 v94, v99, v96
	v_sub_f32_e32 v98, v95, v98
	v_sub_f32_e32 v95, v98, v97
	s_delay_alu instid0(VALU_DEP_1) | instskip(NEXT) | instid1(VALU_DEP_4)
	v_add_f32_e32 v17, v95, v17
	v_sub_f32_e32 v95, v94, v99
	s_delay_alu instid0(VALU_DEP_2) | instskip(NEXT) | instid1(VALU_DEP_2)
	v_add_f32_e32 v17, v100, v17
	v_sub_f32_e32 v95, v96, v95
	s_delay_alu instid0(VALU_DEP_2) | instskip(NEXT) | instid1(VALU_DEP_1)
	v_mul_f32_e32 v17, v93, v17
	v_add_f32_e32 v17, v95, v17
	s_delay_alu instid0(VALU_DEP_1) | instskip(NEXT) | instid1(VALU_DEP_1)
	v_add_f32_e32 v93, v94, v17
	v_mul_f32_e32 v95, v93, v93
	s_delay_alu instid0(VALU_DEP_1) | instskip(SKIP_1) | instid1(VALU_DEP_2)
	v_fmaak_f32 v96, s83, v95, 0x3ecc95a3
	v_mul_f32_e32 v97, v93, v95
	v_fmaak_f32 v95, v95, v96, 0x3f2aaada
	v_ldexp_f32 v96, v93, 1
	v_sub_f32_e32 v93, v93, v94
	s_delay_alu instid0(VALU_DEP_3) | instskip(SKIP_1) | instid1(VALU_DEP_2)
	v_mul_f32_e32 v95, v97, v95
	v_mul_f32_e32 v97, 0x3f317218, v92
	v_dual_sub_f32 v17, v17, v93 :: v_dual_add_f32 v94, v96, v95
	s_delay_alu instid0(VALU_DEP_1) | instskip(NEXT) | instid1(VALU_DEP_2)
	v_ldexp_f32 v17, v17, 1
	v_sub_f32_e32 v93, v94, v96
	s_delay_alu instid0(VALU_DEP_4) | instskip(NEXT) | instid1(VALU_DEP_1)
	v_fma_f32 v96, 0x3f317218, v92, -v97
	v_dual_sub_f32 v93, v95, v93 :: v_dual_fmac_f32 v96, 0xb102e308, v92
	s_delay_alu instid0(VALU_DEP_1) | instskip(NEXT) | instid1(VALU_DEP_1)
	v_add_f32_e32 v17, v17, v93
	v_dual_add_f32 v92, v97, v96 :: v_dual_add_f32 v93, v94, v17
	s_delay_alu instid0(VALU_DEP_1) | instskip(NEXT) | instid1(VALU_DEP_2)
	v_sub_f32_e32 v97, v92, v97
	v_dual_add_f32 v95, v92, v93 :: v_dual_sub_f32 v94, v93, v94
	s_delay_alu instid0(VALU_DEP_2) | instskip(NEXT) | instid1(VALU_DEP_2)
	v_sub_f32_e32 v96, v96, v97
	v_dual_sub_f32 v98, v95, v92 :: v_dual_sub_f32 v17, v17, v94
	s_delay_alu instid0(VALU_DEP_1) | instskip(NEXT) | instid1(VALU_DEP_2)
	v_sub_f32_e32 v99, v95, v98
	v_dual_sub_f32 v93, v93, v98 :: v_dual_add_f32 v94, v96, v17
	s_delay_alu instid0(VALU_DEP_2) | instskip(NEXT) | instid1(VALU_DEP_1)
	v_sub_f32_e32 v92, v92, v99
	v_add_f32_e32 v92, v93, v92
	s_delay_alu instid0(VALU_DEP_3) | instskip(NEXT) | instid1(VALU_DEP_2)
	v_sub_f32_e32 v93, v94, v96
	v_add_f32_e32 v92, v94, v92
	s_delay_alu instid0(VALU_DEP_2) | instskip(SKIP_1) | instid1(VALU_DEP_2)
	v_sub_f32_e32 v94, v94, v93
	v_sub_f32_e32 v17, v17, v93
	v_dual_add_f32 v97, v95, v92 :: v_dual_sub_f32 v94, v96, v94
	s_delay_alu instid0(VALU_DEP_1) | instskip(NEXT) | instid1(VALU_DEP_1)
	v_sub_f32_e32 v93, v97, v95
	v_dual_add_f32 v17, v17, v94 :: v_dual_sub_f32 v92, v92, v93
	s_delay_alu instid0(VALU_DEP_1) | instskip(NEXT) | instid1(VALU_DEP_1)
	v_add_f32_e32 v17, v17, v92
	v_add_f32_e32 v17, v97, v17
	s_delay_alu instid0(VALU_DEP_1)
	v_cndmask_b32_e32 v92, v17, v12, vcc_lo
.LBB86_80:                              ;   in Loop: Header=BB86_12 Depth=1
	s_or_b32 exec_lo, exec_lo, s29
	v_lshrrev_b32_e32 v12, 16, v13
	s_delay_alu instid0(VALU_DEP_1) | instskip(NEXT) | instid1(VALU_DEP_1)
	v_cvt_f32_f16_e32 v12, v12
	v_add_f32_e32 v93, s66, v12
	s_delay_alu instid0(VALU_DEP_1) | instskip(SKIP_1) | instid1(SALU_CYCLE_1)
	v_cmp_ge_f32_e32 vcc_lo, 0x41a00000, v93
	s_and_b32 s28, s79, vcc_lo
	s_and_saveexec_b32 s29, s28
	s_cbranch_execz .LBB86_82
; %bb.81:                               ;   in Loop: Header=BB86_12 Depth=1
	v_mul_f32_e32 v12, 0x3fb8aa3b, v93
	v_cmp_ngt_f32_e32 vcc_lo, 0xc2ce8ed0, v93
	s_delay_alu instid0(VALU_DEP_2) | instskip(SKIP_1) | instid1(VALU_DEP_2)
	v_rndne_f32_e32 v13, v12
	v_fma_f32 v17, 0x3fb8aa3b, v93, -v12
	v_sub_f32_e32 v12, v12, v13
	s_delay_alu instid0(VALU_DEP_2) | instskip(SKIP_1) | instid1(VALU_DEP_2)
	v_fmac_f32_e32 v17, 0x32a5705f, v93
	v_cvt_i32_f32_e32 v13, v13
	v_add_f32_e32 v12, v12, v17
	s_delay_alu instid0(VALU_DEP_1) | instskip(SKIP_2) | instid1(VALU_DEP_1)
	v_exp_f32_e32 v12, v12
	s_waitcnt_depctr 0xfff
	v_ldexp_f32 v12, v12, v13
	v_cndmask_b32_e32 v12, 0, v12, vcc_lo
	v_cmp_nlt_f32_e32 vcc_lo, 0x42b17218, v93
	s_delay_alu instid0(VALU_DEP_2) | instskip(NEXT) | instid1(VALU_DEP_1)
	v_cndmask_b32_e32 v17, 0x7f800000, v12, vcc_lo
	v_add_f32_e32 v93, 1.0, v17
	s_delay_alu instid0(VALU_DEP_1) | instskip(NEXT) | instid1(VALU_DEP_1)
	v_cvt_f64_f32_e32 v[12:13], v93
	v_frexp_exp_i32_f64_e32 v12, v[12:13]
	v_frexp_mant_f32_e32 v13, v93
	s_delay_alu instid0(VALU_DEP_1) | instskip(SKIP_1) | instid1(VALU_DEP_1)
	v_cmp_gt_f32_e32 vcc_lo, 0x3f2aaaab, v13
	v_add_f32_e32 v13, -1.0, v93
	v_sub_f32_e32 v95, v13, v93
	s_delay_alu instid0(VALU_DEP_1) | instskip(SKIP_1) | instid1(VALU_DEP_1)
	v_add_f32_e32 v95, 1.0, v95
	v_subrev_co_ci_u32_e32 v12, vcc_lo, 0, v12, vcc_lo
	v_sub_nc_u32_e32 v94, 0, v12
	v_cvt_f32_i32_e32 v12, v12
	s_delay_alu instid0(VALU_DEP_2) | instskip(NEXT) | instid1(VALU_DEP_1)
	v_ldexp_f32 v93, v93, v94
	v_add_f32_e32 v96, 1.0, v93
	v_sub_f32_e32 v13, v17, v13
	v_cmp_eq_f32_e32 vcc_lo, 0x7f800000, v17
	v_cmp_gt_f32_e64 s28, 0x33800000, v17
	s_delay_alu instid0(VALU_DEP_3) | instskip(SKIP_1) | instid1(VALU_DEP_3)
	v_add_f32_e32 v13, v13, v95
	v_add_f32_e32 v95, -1.0, v96
	s_or_b32 vcc_lo, s28, vcc_lo
	s_delay_alu instid0(VALU_DEP_2) | instskip(NEXT) | instid1(VALU_DEP_2)
	v_ldexp_f32 v13, v13, v94
	v_dual_add_f32 v94, -1.0, v93 :: v_dual_sub_f32 v95, v93, v95
	s_delay_alu instid0(VALU_DEP_1) | instskip(NEXT) | instid1(VALU_DEP_2)
	v_add_f32_e32 v97, 1.0, v94
	v_add_f32_e32 v95, v13, v95
	s_delay_alu instid0(VALU_DEP_2) | instskip(NEXT) | instid1(VALU_DEP_1)
	v_sub_f32_e32 v93, v93, v97
	v_add_f32_e32 v13, v13, v93
	s_delay_alu instid0(VALU_DEP_1) | instskip(NEXT) | instid1(VALU_DEP_1)
	v_dual_add_f32 v98, v94, v13 :: v_dual_add_f32 v97, v96, v95
	v_sub_f32_e32 v94, v94, v98
	s_delay_alu instid0(VALU_DEP_2) | instskip(NEXT) | instid1(VALU_DEP_1)
	v_rcp_f32_e32 v93, v97
	v_dual_sub_f32 v96, v96, v97 :: v_dual_add_f32 v13, v13, v94
	s_delay_alu instid0(VALU_DEP_1) | instskip(SKIP_2) | instid1(VALU_DEP_1)
	v_add_f32_e32 v95, v95, v96
	s_waitcnt_depctr 0xfff
	v_mul_f32_e32 v99, v98, v93
	v_mul_f32_e32 v100, v97, v99
	s_delay_alu instid0(VALU_DEP_1) | instskip(NEXT) | instid1(VALU_DEP_1)
	v_fma_f32 v96, v99, v97, -v100
	v_fmac_f32_e32 v96, v99, v95
	s_delay_alu instid0(VALU_DEP_1) | instskip(NEXT) | instid1(VALU_DEP_1)
	v_add_f32_e32 v101, v100, v96
	v_sub_f32_e32 v102, v98, v101
	v_sub_f32_e32 v94, v101, v100
	s_delay_alu instid0(VALU_DEP_2) | instskip(NEXT) | instid1(VALU_DEP_2)
	v_sub_f32_e32 v98, v98, v102
	v_sub_f32_e32 v94, v94, v96
	s_delay_alu instid0(VALU_DEP_2) | instskip(NEXT) | instid1(VALU_DEP_1)
	v_sub_f32_e32 v98, v98, v101
	v_add_f32_e32 v13, v13, v98
	s_delay_alu instid0(VALU_DEP_1) | instskip(NEXT) | instid1(VALU_DEP_1)
	v_add_f32_e32 v13, v94, v13
	v_add_f32_e32 v94, v102, v13
	s_delay_alu instid0(VALU_DEP_1) | instskip(NEXT) | instid1(VALU_DEP_1)
	v_mul_f32_e32 v96, v93, v94
	v_dual_sub_f32 v101, v102, v94 :: v_dual_mul_f32 v98, v97, v96
	s_delay_alu instid0(VALU_DEP_1) | instskip(NEXT) | instid1(VALU_DEP_1)
	v_fma_f32 v97, v96, v97, -v98
	v_fmac_f32_e32 v97, v96, v95
	s_delay_alu instid0(VALU_DEP_1) | instskip(NEXT) | instid1(VALU_DEP_1)
	v_add_f32_e32 v95, v98, v97
	v_dual_add_f32 v13, v13, v101 :: v_dual_sub_f32 v100, v94, v95
	s_delay_alu instid0(VALU_DEP_1) | instskip(NEXT) | instid1(VALU_DEP_1)
	v_sub_f32_e32 v94, v94, v100
	v_sub_f32_e32 v94, v94, v95
	s_delay_alu instid0(VALU_DEP_1) | instskip(SKIP_1) | instid1(VALU_DEP_1)
	v_dual_add_f32 v13, v13, v94 :: v_dual_add_f32 v94, v99, v96
	v_sub_f32_e32 v98, v95, v98
	v_sub_f32_e32 v95, v98, v97
	s_delay_alu instid0(VALU_DEP_1) | instskip(NEXT) | instid1(VALU_DEP_4)
	v_add_f32_e32 v13, v95, v13
	v_sub_f32_e32 v95, v94, v99
	s_delay_alu instid0(VALU_DEP_2) | instskip(NEXT) | instid1(VALU_DEP_2)
	v_add_f32_e32 v13, v100, v13
	v_sub_f32_e32 v95, v96, v95
	s_delay_alu instid0(VALU_DEP_2) | instskip(NEXT) | instid1(VALU_DEP_1)
	v_mul_f32_e32 v13, v93, v13
	v_add_f32_e32 v13, v95, v13
	s_delay_alu instid0(VALU_DEP_1) | instskip(NEXT) | instid1(VALU_DEP_1)
	v_add_f32_e32 v93, v94, v13
	v_mul_f32_e32 v95, v93, v93
	s_delay_alu instid0(VALU_DEP_1) | instskip(SKIP_1) | instid1(VALU_DEP_2)
	v_fmaak_f32 v96, s83, v95, 0x3ecc95a3
	v_mul_f32_e32 v97, v93, v95
	v_fmaak_f32 v95, v95, v96, 0x3f2aaada
	v_ldexp_f32 v96, v93, 1
	v_sub_f32_e32 v93, v93, v94
	s_delay_alu instid0(VALU_DEP_3) | instskip(SKIP_1) | instid1(VALU_DEP_2)
	v_mul_f32_e32 v95, v97, v95
	v_mul_f32_e32 v97, 0x3f317218, v12
	v_dual_sub_f32 v13, v13, v93 :: v_dual_add_f32 v94, v96, v95
	s_delay_alu instid0(VALU_DEP_1) | instskip(NEXT) | instid1(VALU_DEP_2)
	v_ldexp_f32 v13, v13, 1
	v_sub_f32_e32 v93, v94, v96
	s_delay_alu instid0(VALU_DEP_4) | instskip(NEXT) | instid1(VALU_DEP_1)
	v_fma_f32 v96, 0x3f317218, v12, -v97
	v_dual_sub_f32 v93, v95, v93 :: v_dual_fmac_f32 v96, 0xb102e308, v12
	s_delay_alu instid0(VALU_DEP_1) | instskip(NEXT) | instid1(VALU_DEP_2)
	v_add_f32_e32 v12, v13, v93
	v_add_f32_e32 v13, v97, v96
	s_delay_alu instid0(VALU_DEP_2) | instskip(NEXT) | instid1(VALU_DEP_2)
	v_add_f32_e32 v93, v94, v12
	v_sub_f32_e32 v97, v13, v97
	s_delay_alu instid0(VALU_DEP_2) | instskip(SKIP_1) | instid1(VALU_DEP_3)
	v_add_f32_e32 v95, v13, v93
	v_sub_f32_e32 v94, v93, v94
	v_sub_f32_e32 v96, v96, v97
	s_delay_alu instid0(VALU_DEP_3) | instskip(NEXT) | instid1(VALU_DEP_3)
	v_sub_f32_e32 v98, v95, v13
	v_sub_f32_e32 v12, v12, v94
	s_delay_alu instid0(VALU_DEP_2) | instskip(NEXT) | instid1(VALU_DEP_2)
	v_sub_f32_e32 v99, v95, v98
	v_dual_sub_f32 v93, v93, v98 :: v_dual_add_f32 v94, v96, v12
	s_delay_alu instid0(VALU_DEP_2) | instskip(NEXT) | instid1(VALU_DEP_1)
	v_sub_f32_e32 v13, v13, v99
	v_add_f32_e32 v13, v93, v13
	s_delay_alu instid0(VALU_DEP_3) | instskip(NEXT) | instid1(VALU_DEP_2)
	v_sub_f32_e32 v93, v94, v96
	v_add_f32_e32 v13, v94, v13
	s_delay_alu instid0(VALU_DEP_2) | instskip(SKIP_1) | instid1(VALU_DEP_1)
	v_sub_f32_e32 v12, v12, v93
	v_sub_f32_e32 v94, v94, v93
	v_dual_add_f32 v97, v95, v13 :: v_dual_sub_f32 v94, v96, v94
	s_delay_alu instid0(VALU_DEP_1) | instskip(NEXT) | instid1(VALU_DEP_1)
	v_dual_sub_f32 v93, v97, v95 :: v_dual_add_f32 v12, v12, v94
	v_sub_f32_e32 v13, v13, v93
	s_delay_alu instid0(VALU_DEP_1) | instskip(NEXT) | instid1(VALU_DEP_1)
	v_add_f32_e32 v12, v12, v13
	v_add_f32_e32 v12, v97, v12
	s_delay_alu instid0(VALU_DEP_1)
	v_cndmask_b32_e32 v93, v12, v17, vcc_lo
.LBB86_82:                              ;   in Loop: Header=BB86_12 Depth=1
	s_or_b32 exec_lo, exec_lo, s29
	v_cvt_f32_f16_e32 v12, v14
	s_delay_alu instid0(VALU_DEP_1) | instskip(NEXT) | instid1(VALU_DEP_1)
	v_add_f32_e32 v94, s66, v12
	v_cmp_ge_f32_e32 vcc_lo, 0x41a00000, v94
	s_and_b32 s28, s79, vcc_lo
	s_delay_alu instid0(SALU_CYCLE_1)
	s_and_saveexec_b32 s29, s28
	s_cbranch_execz .LBB86_84
; %bb.83:                               ;   in Loop: Header=BB86_12 Depth=1
	v_mul_f32_e32 v12, 0x3fb8aa3b, v94
	v_cmp_ngt_f32_e32 vcc_lo, 0xc2ce8ed0, v94
	s_delay_alu instid0(VALU_DEP_2) | instskip(SKIP_1) | instid1(VALU_DEP_1)
	v_rndne_f32_e32 v13, v12
	v_fma_f32 v17, 0x3fb8aa3b, v94, -v12
	v_dual_sub_f32 v12, v12, v13 :: v_dual_fmac_f32 v17, 0x32a5705f, v94
	v_cvt_i32_f32_e32 v13, v13
	s_delay_alu instid0(VALU_DEP_2) | instskip(NEXT) | instid1(VALU_DEP_1)
	v_add_f32_e32 v12, v12, v17
	v_exp_f32_e32 v12, v12
	s_waitcnt_depctr 0xfff
	v_ldexp_f32 v12, v12, v13
	s_delay_alu instid0(VALU_DEP_1) | instskip(SKIP_1) | instid1(VALU_DEP_2)
	v_cndmask_b32_e32 v12, 0, v12, vcc_lo
	v_cmp_nlt_f32_e32 vcc_lo, 0x42b17218, v94
	v_cndmask_b32_e32 v17, 0x7f800000, v12, vcc_lo
	s_delay_alu instid0(VALU_DEP_1) | instskip(NEXT) | instid1(VALU_DEP_1)
	v_add_f32_e32 v94, 1.0, v17
	v_cvt_f64_f32_e32 v[12:13], v94
	s_delay_alu instid0(VALU_DEP_1) | instskip(SKIP_1) | instid1(VALU_DEP_1)
	v_frexp_exp_i32_f64_e32 v12, v[12:13]
	v_frexp_mant_f32_e32 v13, v94
	v_cmp_gt_f32_e32 vcc_lo, 0x3f2aaaab, v13
	v_add_f32_e32 v13, -1.0, v94
	s_delay_alu instid0(VALU_DEP_1) | instskip(SKIP_2) | instid1(VALU_DEP_3)
	v_sub_f32_e32 v96, v13, v94
	v_sub_f32_e32 v13, v17, v13
	v_cmp_gt_f32_e64 s28, 0x33800000, v17
	v_add_f32_e32 v96, 1.0, v96
	s_delay_alu instid0(VALU_DEP_1) | instskip(SKIP_2) | instid1(VALU_DEP_2)
	v_add_f32_e32 v13, v13, v96
	v_subrev_co_ci_u32_e32 v12, vcc_lo, 0, v12, vcc_lo
	v_cmp_eq_f32_e32 vcc_lo, 0x7f800000, v17
	v_sub_nc_u32_e32 v95, 0, v12
	v_cvt_f32_i32_e32 v12, v12
	s_or_b32 vcc_lo, s28, vcc_lo
	s_delay_alu instid0(VALU_DEP_2) | instskip(SKIP_1) | instid1(VALU_DEP_2)
	v_ldexp_f32 v94, v94, v95
	v_ldexp_f32 v13, v13, v95
	v_add_f32_e32 v95, -1.0, v94
	s_delay_alu instid0(VALU_DEP_1) | instskip(NEXT) | instid1(VALU_DEP_1)
	v_dual_add_f32 v97, 1.0, v94 :: v_dual_add_f32 v98, 1.0, v95
	v_add_f32_e32 v96, -1.0, v97
	s_delay_alu instid0(VALU_DEP_1) | instskip(NEXT) | instid1(VALU_DEP_3)
	v_sub_f32_e32 v96, v94, v96
	v_sub_f32_e32 v94, v94, v98
	s_delay_alu instid0(VALU_DEP_2) | instskip(NEXT) | instid1(VALU_DEP_2)
	v_add_f32_e32 v96, v13, v96
	v_add_f32_e32 v13, v13, v94
	s_delay_alu instid0(VALU_DEP_1) | instskip(NEXT) | instid1(VALU_DEP_1)
	v_dual_add_f32 v99, v95, v13 :: v_dual_add_f32 v98, v97, v96
	v_sub_f32_e32 v95, v95, v99
	s_delay_alu instid0(VALU_DEP_2) | instskip(SKIP_1) | instid1(VALU_DEP_1)
	v_rcp_f32_e32 v94, v98
	v_sub_f32_e32 v97, v97, v98
	v_dual_add_f32 v13, v13, v95 :: v_dual_add_f32 v96, v96, v97
	s_waitcnt_depctr 0xfff
	v_mul_f32_e32 v100, v99, v94
	s_delay_alu instid0(VALU_DEP_1) | instskip(NEXT) | instid1(VALU_DEP_1)
	v_mul_f32_e32 v101, v98, v100
	v_fma_f32 v97, v100, v98, -v101
	s_delay_alu instid0(VALU_DEP_1) | instskip(NEXT) | instid1(VALU_DEP_1)
	v_fmac_f32_e32 v97, v100, v96
	v_add_f32_e32 v102, v101, v97
	s_delay_alu instid0(VALU_DEP_1) | instskip(SKIP_1) | instid1(VALU_DEP_2)
	v_sub_f32_e32 v103, v99, v102
	v_sub_f32_e32 v95, v102, v101
	;; [unrolled: 1-line block ×3, first 2 shown]
	s_delay_alu instid0(VALU_DEP_2) | instskip(NEXT) | instid1(VALU_DEP_2)
	v_sub_f32_e32 v95, v95, v97
	v_sub_f32_e32 v99, v99, v102
	s_delay_alu instid0(VALU_DEP_1) | instskip(NEXT) | instid1(VALU_DEP_1)
	v_add_f32_e32 v13, v13, v99
	v_add_f32_e32 v13, v95, v13
	s_delay_alu instid0(VALU_DEP_1) | instskip(NEXT) | instid1(VALU_DEP_1)
	v_add_f32_e32 v95, v103, v13
	v_mul_f32_e32 v97, v94, v95
	s_delay_alu instid0(VALU_DEP_1) | instskip(NEXT) | instid1(VALU_DEP_1)
	v_dual_sub_f32 v102, v103, v95 :: v_dual_mul_f32 v99, v98, v97
	v_add_f32_e32 v13, v13, v102
	s_delay_alu instid0(VALU_DEP_2) | instskip(NEXT) | instid1(VALU_DEP_1)
	v_fma_f32 v98, v97, v98, -v99
	v_fmac_f32_e32 v98, v97, v96
	s_delay_alu instid0(VALU_DEP_1) | instskip(NEXT) | instid1(VALU_DEP_1)
	v_add_f32_e32 v96, v99, v98
	v_sub_f32_e32 v101, v95, v96
	s_delay_alu instid0(VALU_DEP_1) | instskip(NEXT) | instid1(VALU_DEP_1)
	v_sub_f32_e32 v95, v95, v101
	v_sub_f32_e32 v95, v95, v96
	s_delay_alu instid0(VALU_DEP_1) | instskip(SKIP_2) | instid1(VALU_DEP_1)
	v_add_f32_e32 v13, v13, v95
	v_add_f32_e32 v95, v100, v97
	v_sub_f32_e32 v99, v96, v99
	v_sub_f32_e32 v96, v99, v98
	s_delay_alu instid0(VALU_DEP_1) | instskip(NEXT) | instid1(VALU_DEP_1)
	v_dual_add_f32 v13, v96, v13 :: v_dual_sub_f32 v96, v95, v100
	v_add_f32_e32 v13, v101, v13
	s_delay_alu instid0(VALU_DEP_1) | instskip(NEXT) | instid1(VALU_DEP_1)
	v_dual_sub_f32 v96, v97, v96 :: v_dual_mul_f32 v13, v94, v13
	v_add_f32_e32 v13, v96, v13
	s_delay_alu instid0(VALU_DEP_1) | instskip(NEXT) | instid1(VALU_DEP_1)
	v_add_f32_e32 v94, v95, v13
	v_mul_f32_e32 v96, v94, v94
	s_delay_alu instid0(VALU_DEP_1) | instskip(SKIP_1) | instid1(VALU_DEP_2)
	v_fmaak_f32 v97, s83, v96, 0x3ecc95a3
	v_mul_f32_e32 v98, v94, v96
	v_fmaak_f32 v96, v96, v97, 0x3f2aaada
	v_ldexp_f32 v97, v94, 1
	v_sub_f32_e32 v94, v94, v95
	s_delay_alu instid0(VALU_DEP_3) | instskip(NEXT) | instid1(VALU_DEP_2)
	v_mul_f32_e32 v96, v98, v96
	v_dual_mul_f32 v98, 0x3f317218, v12 :: v_dual_sub_f32 v13, v13, v94
	s_delay_alu instid0(VALU_DEP_2) | instskip(NEXT) | instid1(VALU_DEP_2)
	v_add_f32_e32 v95, v97, v96
	v_ldexp_f32 v13, v13, 1
	s_delay_alu instid0(VALU_DEP_2) | instskip(NEXT) | instid1(VALU_DEP_4)
	v_sub_f32_e32 v94, v95, v97
	v_fma_f32 v97, 0x3f317218, v12, -v98
	s_delay_alu instid0(VALU_DEP_1) | instskip(NEXT) | instid1(VALU_DEP_1)
	v_dual_sub_f32 v94, v96, v94 :: v_dual_fmac_f32 v97, 0xb102e308, v12
	v_add_f32_e32 v12, v13, v94
	s_delay_alu instid0(VALU_DEP_1) | instskip(NEXT) | instid1(VALU_DEP_1)
	v_add_f32_e32 v94, v95, v12
	v_sub_f32_e32 v95, v94, v95
	s_delay_alu instid0(VALU_DEP_1) | instskip(NEXT) | instid1(VALU_DEP_1)
	v_dual_sub_f32 v12, v12, v95 :: v_dual_add_f32 v13, v98, v97
	v_add_f32_e32 v96, v13, v94
	s_delay_alu instid0(VALU_DEP_1) | instskip(NEXT) | instid1(VALU_DEP_1)
	v_dual_sub_f32 v98, v13, v98 :: v_dual_sub_f32 v99, v96, v13
	v_dual_sub_f32 v97, v97, v98 :: v_dual_sub_f32 v100, v96, v99
	s_delay_alu instid0(VALU_DEP_1) | instskip(NEXT) | instid1(VALU_DEP_2)
	v_dual_sub_f32 v94, v94, v99 :: v_dual_add_f32 v95, v97, v12
	v_sub_f32_e32 v13, v13, v100
	s_delay_alu instid0(VALU_DEP_1) | instskip(NEXT) | instid1(VALU_DEP_3)
	v_add_f32_e32 v13, v94, v13
	v_sub_f32_e32 v94, v95, v97
	s_delay_alu instid0(VALU_DEP_2) | instskip(NEXT) | instid1(VALU_DEP_2)
	v_add_f32_e32 v13, v95, v13
	v_sub_f32_e32 v95, v95, v94
	v_sub_f32_e32 v12, v12, v94
	s_delay_alu instid0(VALU_DEP_2) | instskip(NEXT) | instid1(VALU_DEP_1)
	v_dual_add_f32 v98, v96, v13 :: v_dual_sub_f32 v95, v97, v95
	v_sub_f32_e32 v94, v98, v96
	s_delay_alu instid0(VALU_DEP_1) | instskip(NEXT) | instid1(VALU_DEP_1)
	v_dual_add_f32 v12, v12, v95 :: v_dual_sub_f32 v13, v13, v94
	v_add_f32_e32 v12, v12, v13
	s_delay_alu instid0(VALU_DEP_1) | instskip(NEXT) | instid1(VALU_DEP_1)
	v_add_f32_e32 v12, v98, v12
	v_cndmask_b32_e32 v94, v12, v17, vcc_lo
.LBB86_84:                              ;   in Loop: Header=BB86_12 Depth=1
	s_or_b32 exec_lo, exec_lo, s29
	v_lshrrev_b32_e32 v12, 16, v14
	s_delay_alu instid0(VALU_DEP_1) | instskip(NEXT) | instid1(VALU_DEP_1)
	v_cvt_f32_f16_e32 v12, v12
	v_add_f32_e32 v95, s66, v12
	s_delay_alu instid0(VALU_DEP_1) | instskip(SKIP_1) | instid1(SALU_CYCLE_1)
	v_cmp_ge_f32_e32 vcc_lo, 0x41a00000, v95
	s_and_b32 s28, s79, vcc_lo
	s_and_saveexec_b32 s29, s28
	s_cbranch_execz .LBB86_86
; %bb.85:                               ;   in Loop: Header=BB86_12 Depth=1
	v_mul_f32_e32 v12, 0x3fb8aa3b, v95
	v_cmp_ngt_f32_e32 vcc_lo, 0xc2ce8ed0, v95
	s_delay_alu instid0(VALU_DEP_2) | instskip(SKIP_1) | instid1(VALU_DEP_2)
	v_rndne_f32_e32 v13, v12
	v_fma_f32 v14, 0x3fb8aa3b, v95, -v12
	v_sub_f32_e32 v12, v12, v13
	s_delay_alu instid0(VALU_DEP_2) | instskip(SKIP_1) | instid1(VALU_DEP_2)
	v_fmac_f32_e32 v14, 0x32a5705f, v95
	v_cvt_i32_f32_e32 v13, v13
	v_add_f32_e32 v12, v12, v14
	s_delay_alu instid0(VALU_DEP_1) | instskip(SKIP_2) | instid1(VALU_DEP_1)
	v_exp_f32_e32 v12, v12
	s_waitcnt_depctr 0xfff
	v_ldexp_f32 v12, v12, v13
	v_cndmask_b32_e32 v12, 0, v12, vcc_lo
	v_cmp_nlt_f32_e32 vcc_lo, 0x42b17218, v95
	s_delay_alu instid0(VALU_DEP_2) | instskip(NEXT) | instid1(VALU_DEP_1)
	v_cndmask_b32_e32 v14, 0x7f800000, v12, vcc_lo
	v_add_f32_e32 v17, 1.0, v14
	s_delay_alu instid0(VALU_DEP_1) | instskip(NEXT) | instid1(VALU_DEP_1)
	v_cvt_f64_f32_e32 v[12:13], v17
	v_frexp_exp_i32_f64_e32 v12, v[12:13]
	v_frexp_mant_f32_e32 v13, v17
	s_delay_alu instid0(VALU_DEP_1) | instskip(SKIP_1) | instid1(VALU_DEP_1)
	v_cmp_gt_f32_e32 vcc_lo, 0x3f2aaaab, v13
	v_add_f32_e32 v13, -1.0, v17
	v_sub_f32_e32 v96, v13, v17
	v_sub_f32_e32 v13, v14, v13
	v_subrev_co_ci_u32_e32 v12, vcc_lo, 0, v12, vcc_lo
	s_delay_alu instid0(VALU_DEP_1) | instskip(SKIP_1) | instid1(VALU_DEP_2)
	v_sub_nc_u32_e32 v95, 0, v12
	v_cvt_f32_i32_e32 v12, v12
	v_ldexp_f32 v17, v17, v95
	s_delay_alu instid0(VALU_DEP_1) | instskip(NEXT) | instid1(VALU_DEP_1)
	v_dual_add_f32 v96, 1.0, v96 :: v_dual_add_f32 v97, 1.0, v17
	v_dual_add_f32 v13, v13, v96 :: v_dual_add_f32 v96, -1.0, v97
	s_delay_alu instid0(VALU_DEP_1) | instskip(SKIP_4) | instid1(VALU_DEP_4)
	v_ldexp_f32 v13, v13, v95
	v_add_f32_e32 v95, -1.0, v17
	v_cmp_eq_f32_e32 vcc_lo, 0x7f800000, v14
	v_cmp_gt_f32_e64 s28, 0x33800000, v14
	v_sub_f32_e32 v96, v17, v96
	v_add_f32_e32 v98, 1.0, v95
	s_delay_alu instid0(VALU_DEP_3) | instskip(NEXT) | instid1(VALU_DEP_2)
	s_or_b32 vcc_lo, s28, vcc_lo
	v_add_f32_e32 v96, v13, v96
	s_delay_alu instid0(VALU_DEP_2) | instskip(NEXT) | instid1(VALU_DEP_1)
	v_sub_f32_e32 v17, v17, v98
	v_add_f32_e32 v13, v13, v17
	s_delay_alu instid0(VALU_DEP_1) | instskip(NEXT) | instid1(VALU_DEP_1)
	v_dual_add_f32 v99, v95, v13 :: v_dual_add_f32 v98, v97, v96
	v_sub_f32_e32 v95, v95, v99
	s_delay_alu instid0(VALU_DEP_2) | instskip(SKIP_1) | instid1(VALU_DEP_1)
	v_rcp_f32_e32 v17, v98
	v_sub_f32_e32 v97, v97, v98
	v_dual_add_f32 v13, v13, v95 :: v_dual_add_f32 v96, v96, v97
	s_waitcnt_depctr 0xfff
	v_mul_f32_e32 v100, v99, v17
	s_delay_alu instid0(VALU_DEP_1) | instskip(NEXT) | instid1(VALU_DEP_1)
	v_mul_f32_e32 v101, v98, v100
	v_fma_f32 v97, v100, v98, -v101
	s_delay_alu instid0(VALU_DEP_1) | instskip(NEXT) | instid1(VALU_DEP_1)
	v_fmac_f32_e32 v97, v100, v96
	v_add_f32_e32 v102, v101, v97
	s_delay_alu instid0(VALU_DEP_1) | instskip(NEXT) | instid1(VALU_DEP_1)
	v_sub_f32_e32 v103, v99, v102
	v_sub_f32_e32 v99, v99, v103
	;; [unrolled: 1-line block ×3, first 2 shown]
	s_delay_alu instid0(VALU_DEP_2) | instskip(NEXT) | instid1(VALU_DEP_2)
	v_sub_f32_e32 v99, v99, v102
	v_sub_f32_e32 v95, v95, v97
	s_delay_alu instid0(VALU_DEP_2) | instskip(NEXT) | instid1(VALU_DEP_1)
	v_add_f32_e32 v13, v13, v99
	v_add_f32_e32 v13, v95, v13
	s_delay_alu instid0(VALU_DEP_1) | instskip(NEXT) | instid1(VALU_DEP_1)
	v_add_f32_e32 v95, v103, v13
	v_mul_f32_e32 v97, v17, v95
	s_delay_alu instid0(VALU_DEP_1) | instskip(NEXT) | instid1(VALU_DEP_1)
	v_dual_sub_f32 v102, v103, v95 :: v_dual_mul_f32 v99, v98, v97
	v_add_f32_e32 v13, v13, v102
	s_delay_alu instid0(VALU_DEP_2) | instskip(NEXT) | instid1(VALU_DEP_1)
	v_fma_f32 v98, v97, v98, -v99
	v_fmac_f32_e32 v98, v97, v96
	s_delay_alu instid0(VALU_DEP_1) | instskip(NEXT) | instid1(VALU_DEP_1)
	v_add_f32_e32 v96, v99, v98
	v_sub_f32_e32 v101, v95, v96
	v_sub_f32_e32 v99, v96, v99
	s_delay_alu instid0(VALU_DEP_2) | instskip(NEXT) | instid1(VALU_DEP_1)
	v_sub_f32_e32 v95, v95, v101
	v_sub_f32_e32 v95, v95, v96
	s_delay_alu instid0(VALU_DEP_1) | instskip(SKIP_1) | instid1(VALU_DEP_1)
	v_dual_sub_f32 v96, v99, v98 :: v_dual_add_f32 v13, v13, v95
	v_add_f32_e32 v95, v100, v97
	v_dual_add_f32 v13, v96, v13 :: v_dual_sub_f32 v96, v95, v100
	s_delay_alu instid0(VALU_DEP_1) | instskip(NEXT) | instid1(VALU_DEP_2)
	v_add_f32_e32 v13, v101, v13
	v_sub_f32_e32 v96, v97, v96
	s_delay_alu instid0(VALU_DEP_2) | instskip(NEXT) | instid1(VALU_DEP_1)
	v_mul_f32_e32 v13, v17, v13
	v_add_f32_e32 v13, v96, v13
	s_delay_alu instid0(VALU_DEP_1) | instskip(NEXT) | instid1(VALU_DEP_1)
	v_add_f32_e32 v17, v95, v13
	v_mul_f32_e32 v96, v17, v17
	s_delay_alu instid0(VALU_DEP_1) | instskip(SKIP_1) | instid1(VALU_DEP_2)
	v_fmaak_f32 v97, s83, v96, 0x3ecc95a3
	v_mul_f32_e32 v98, v17, v96
	v_fmaak_f32 v96, v96, v97, 0x3f2aaada
	v_ldexp_f32 v97, v17, 1
	s_delay_alu instid0(VALU_DEP_2) | instskip(NEXT) | instid1(VALU_DEP_1)
	v_dual_sub_f32 v17, v17, v95 :: v_dual_mul_f32 v96, v98, v96
	v_dual_mul_f32 v98, 0x3f317218, v12 :: v_dual_sub_f32 v13, v13, v17
	s_delay_alu instid0(VALU_DEP_2) | instskip(NEXT) | instid1(VALU_DEP_2)
	v_add_f32_e32 v95, v97, v96
	v_ldexp_f32 v13, v13, 1
	s_delay_alu instid0(VALU_DEP_2) | instskip(NEXT) | instid1(VALU_DEP_4)
	v_sub_f32_e32 v17, v95, v97
	v_fma_f32 v97, 0x3f317218, v12, -v98
	s_delay_alu instid0(VALU_DEP_2) | instskip(NEXT) | instid1(VALU_DEP_1)
	v_sub_f32_e32 v17, v96, v17
	v_dual_fmac_f32 v97, 0xb102e308, v12 :: v_dual_add_f32 v12, v13, v17
	s_delay_alu instid0(VALU_DEP_1) | instskip(NEXT) | instid1(VALU_DEP_1)
	v_add_f32_e32 v13, v98, v97
	v_dual_add_f32 v17, v95, v12 :: v_dual_sub_f32 v98, v13, v98
	s_delay_alu instid0(VALU_DEP_1) | instskip(SKIP_1) | instid1(VALU_DEP_3)
	v_add_f32_e32 v96, v13, v17
	v_sub_f32_e32 v95, v17, v95
	v_sub_f32_e32 v97, v97, v98
	s_delay_alu instid0(VALU_DEP_3) | instskip(NEXT) | instid1(VALU_DEP_3)
	v_sub_f32_e32 v99, v96, v13
	v_sub_f32_e32 v12, v12, v95
	s_delay_alu instid0(VALU_DEP_2) | instskip(SKIP_1) | instid1(VALU_DEP_3)
	v_sub_f32_e32 v100, v96, v99
	v_sub_f32_e32 v17, v17, v99
	v_add_f32_e32 v95, v97, v12
	s_delay_alu instid0(VALU_DEP_3) | instskip(NEXT) | instid1(VALU_DEP_1)
	v_sub_f32_e32 v13, v13, v100
	v_add_f32_e32 v13, v17, v13
	s_delay_alu instid0(VALU_DEP_3) | instskip(NEXT) | instid1(VALU_DEP_2)
	v_sub_f32_e32 v17, v95, v97
	v_add_f32_e32 v13, v95, v13
	s_delay_alu instid0(VALU_DEP_2) | instskip(SKIP_1) | instid1(VALU_DEP_2)
	v_sub_f32_e32 v95, v95, v17
	v_sub_f32_e32 v12, v12, v17
	v_dual_add_f32 v98, v96, v13 :: v_dual_sub_f32 v95, v97, v95
	s_delay_alu instid0(VALU_DEP_1) | instskip(NEXT) | instid1(VALU_DEP_1)
	v_dual_sub_f32 v17, v98, v96 :: v_dual_add_f32 v12, v12, v95
	v_sub_f32_e32 v13, v13, v17
	s_delay_alu instid0(VALU_DEP_1) | instskip(NEXT) | instid1(VALU_DEP_1)
	v_add_f32_e32 v12, v12, v13
	v_add_f32_e32 v12, v98, v12
	s_delay_alu instid0(VALU_DEP_1)
	v_cndmask_b32_e32 v95, v12, v14, vcc_lo
.LBB86_86:                              ;   in Loop: Header=BB86_12 Depth=1
	s_or_b32 exec_lo, exec_lo, s29
	v_cvt_f32_f16_e32 v12, v15
	s_delay_alu instid0(VALU_DEP_1) | instskip(NEXT) | instid1(VALU_DEP_1)
	v_add_f32_e32 v96, s66, v12
	v_cmp_ge_f32_e32 vcc_lo, 0x41a00000, v96
	s_and_b32 s28, s79, vcc_lo
	s_delay_alu instid0(SALU_CYCLE_1)
	s_and_saveexec_b32 s29, s28
	s_cbranch_execz .LBB86_88
; %bb.87:                               ;   in Loop: Header=BB86_12 Depth=1
	v_mul_f32_e32 v12, 0x3fb8aa3b, v96
	v_cmp_ngt_f32_e32 vcc_lo, 0xc2ce8ed0, v96
	s_delay_alu instid0(VALU_DEP_2) | instskip(SKIP_1) | instid1(VALU_DEP_2)
	v_rndne_f32_e32 v13, v12
	v_fma_f32 v14, 0x3fb8aa3b, v96, -v12
	v_sub_f32_e32 v12, v12, v13
	s_delay_alu instid0(VALU_DEP_2) | instskip(SKIP_1) | instid1(VALU_DEP_2)
	v_fmac_f32_e32 v14, 0x32a5705f, v96
	v_cvt_i32_f32_e32 v13, v13
	v_add_f32_e32 v12, v12, v14
	s_delay_alu instid0(VALU_DEP_1) | instskip(SKIP_2) | instid1(VALU_DEP_1)
	v_exp_f32_e32 v12, v12
	s_waitcnt_depctr 0xfff
	v_ldexp_f32 v12, v12, v13
	v_cndmask_b32_e32 v12, 0, v12, vcc_lo
	v_cmp_nlt_f32_e32 vcc_lo, 0x42b17218, v96
	s_delay_alu instid0(VALU_DEP_2) | instskip(NEXT) | instid1(VALU_DEP_1)
	v_cndmask_b32_e32 v14, 0x7f800000, v12, vcc_lo
	v_add_f32_e32 v17, 1.0, v14
	s_delay_alu instid0(VALU_DEP_1) | instskip(NEXT) | instid1(VALU_DEP_1)
	v_cvt_f64_f32_e32 v[12:13], v17
	v_frexp_exp_i32_f64_e32 v12, v[12:13]
	v_frexp_mant_f32_e32 v13, v17
	s_delay_alu instid0(VALU_DEP_1) | instskip(SKIP_1) | instid1(VALU_DEP_1)
	v_cmp_gt_f32_e32 vcc_lo, 0x3f2aaaab, v13
	v_add_f32_e32 v13, -1.0, v17
	v_sub_f32_e32 v97, v13, v17
	s_delay_alu instid0(VALU_DEP_1) | instskip(SKIP_2) | instid1(VALU_DEP_2)
	v_add_f32_e32 v97, 1.0, v97
	v_sub_f32_e32 v13, v14, v13
	v_cmp_gt_f32_e64 s28, 0x33800000, v14
	v_add_f32_e32 v13, v13, v97
	v_subrev_co_ci_u32_e32 v12, vcc_lo, 0, v12, vcc_lo
	v_cmp_eq_f32_e32 vcc_lo, 0x7f800000, v14
	s_delay_alu instid0(VALU_DEP_2) | instskip(SKIP_2) | instid1(VALU_DEP_2)
	v_sub_nc_u32_e32 v96, 0, v12
	v_cvt_f32_i32_e32 v12, v12
	s_or_b32 vcc_lo, s28, vcc_lo
	v_ldexp_f32 v17, v17, v96
	v_ldexp_f32 v13, v13, v96
	s_delay_alu instid0(VALU_DEP_2) | instskip(NEXT) | instid1(VALU_DEP_1)
	v_add_f32_e32 v96, -1.0, v17
	v_dual_add_f32 v98, 1.0, v17 :: v_dual_add_f32 v99, 1.0, v96
	s_delay_alu instid0(VALU_DEP_1) | instskip(NEXT) | instid1(VALU_DEP_1)
	v_add_f32_e32 v97, -1.0, v98
	v_sub_f32_e32 v97, v17, v97
	s_delay_alu instid0(VALU_DEP_3) | instskip(NEXT) | instid1(VALU_DEP_2)
	v_sub_f32_e32 v17, v17, v99
	v_add_f32_e32 v97, v13, v97
	s_delay_alu instid0(VALU_DEP_2) | instskip(NEXT) | instid1(VALU_DEP_1)
	v_add_f32_e32 v13, v13, v17
	v_add_f32_e32 v100, v96, v13
	s_delay_alu instid0(VALU_DEP_1) | instskip(NEXT) | instid1(VALU_DEP_1)
	v_dual_sub_f32 v96, v96, v100 :: v_dual_add_f32 v99, v98, v97
	v_add_f32_e32 v13, v13, v96
	s_delay_alu instid0(VALU_DEP_2) | instskip(SKIP_1) | instid1(VALU_DEP_1)
	v_rcp_f32_e32 v17, v99
	v_sub_f32_e32 v98, v98, v99
	v_add_f32_e32 v97, v97, v98
	s_waitcnt_depctr 0xfff
	v_mul_f32_e32 v101, v100, v17
	s_delay_alu instid0(VALU_DEP_1) | instskip(NEXT) | instid1(VALU_DEP_1)
	v_mul_f32_e32 v102, v99, v101
	v_fma_f32 v98, v101, v99, -v102
	s_delay_alu instid0(VALU_DEP_1) | instskip(NEXT) | instid1(VALU_DEP_1)
	v_fmac_f32_e32 v98, v101, v97
	v_add_f32_e32 v103, v102, v98
	s_delay_alu instid0(VALU_DEP_1) | instskip(SKIP_1) | instid1(VALU_DEP_2)
	v_sub_f32_e32 v104, v100, v103
	v_sub_f32_e32 v96, v103, v102
	;; [unrolled: 1-line block ×3, first 2 shown]
	s_delay_alu instid0(VALU_DEP_1) | instskip(NEXT) | instid1(VALU_DEP_1)
	v_sub_f32_e32 v100, v100, v103
	v_dual_sub_f32 v96, v96, v98 :: v_dual_add_f32 v13, v13, v100
	s_delay_alu instid0(VALU_DEP_1) | instskip(NEXT) | instid1(VALU_DEP_1)
	v_add_f32_e32 v13, v96, v13
	v_add_f32_e32 v96, v104, v13
	s_delay_alu instid0(VALU_DEP_1) | instskip(NEXT) | instid1(VALU_DEP_1)
	v_mul_f32_e32 v98, v17, v96
	v_dual_sub_f32 v103, v104, v96 :: v_dual_mul_f32 v100, v99, v98
	s_delay_alu instid0(VALU_DEP_1) | instskip(NEXT) | instid1(VALU_DEP_2)
	v_add_f32_e32 v13, v13, v103
	v_fma_f32 v99, v98, v99, -v100
	s_delay_alu instid0(VALU_DEP_1) | instskip(NEXT) | instid1(VALU_DEP_1)
	v_fmac_f32_e32 v99, v98, v97
	v_add_f32_e32 v97, v100, v99
	s_delay_alu instid0(VALU_DEP_1) | instskip(NEXT) | instid1(VALU_DEP_1)
	v_sub_f32_e32 v102, v96, v97
	v_sub_f32_e32 v96, v96, v102
	s_delay_alu instid0(VALU_DEP_1) | instskip(NEXT) | instid1(VALU_DEP_1)
	v_sub_f32_e32 v96, v96, v97
	v_add_f32_e32 v13, v13, v96
	v_add_f32_e32 v96, v101, v98
	v_sub_f32_e32 v100, v97, v100
	s_delay_alu instid0(VALU_DEP_1) | instskip(NEXT) | instid1(VALU_DEP_1)
	v_sub_f32_e32 v97, v100, v99
	v_add_f32_e32 v13, v97, v13
	s_delay_alu instid0(VALU_DEP_4) | instskip(NEXT) | instid1(VALU_DEP_2)
	v_sub_f32_e32 v97, v96, v101
	v_add_f32_e32 v13, v102, v13
	s_delay_alu instid0(VALU_DEP_2) | instskip(NEXT) | instid1(VALU_DEP_2)
	v_sub_f32_e32 v97, v98, v97
	v_mul_f32_e32 v13, v17, v13
	s_delay_alu instid0(VALU_DEP_1) | instskip(NEXT) | instid1(VALU_DEP_1)
	v_add_f32_e32 v13, v97, v13
	v_add_f32_e32 v17, v96, v13
	s_delay_alu instid0(VALU_DEP_1) | instskip(NEXT) | instid1(VALU_DEP_1)
	v_mul_f32_e32 v97, v17, v17
	v_fmaak_f32 v98, s83, v97, 0x3ecc95a3
	v_mul_f32_e32 v99, v17, v97
	s_delay_alu instid0(VALU_DEP_2) | instskip(SKIP_1) | instid1(VALU_DEP_2)
	v_fmaak_f32 v97, v97, v98, 0x3f2aaada
	v_ldexp_f32 v98, v17, 1
	v_mul_f32_e32 v97, v99, v97
	s_delay_alu instid0(VALU_DEP_1) | instskip(NEXT) | instid1(VALU_DEP_1)
	v_dual_sub_f32 v17, v17, v96 :: v_dual_add_f32 v96, v98, v97
	v_sub_f32_e32 v13, v13, v17
	s_delay_alu instid0(VALU_DEP_2) | instskip(NEXT) | instid1(VALU_DEP_2)
	v_sub_f32_e32 v17, v96, v98
	v_ldexp_f32 v13, v13, 1
	s_delay_alu instid0(VALU_DEP_2) | instskip(SKIP_1) | instid1(VALU_DEP_1)
	v_sub_f32_e32 v17, v97, v17
	v_mul_f32_e32 v99, 0x3f317218, v12
	v_fma_f32 v98, 0x3f317218, v12, -v99
	s_delay_alu instid0(VALU_DEP_1) | instskip(NEXT) | instid1(VALU_DEP_1)
	v_fmac_f32_e32 v98, 0xb102e308, v12
	v_dual_add_f32 v12, v13, v17 :: v_dual_add_f32 v13, v99, v98
	s_delay_alu instid0(VALU_DEP_1) | instskip(NEXT) | instid1(VALU_DEP_1)
	v_add_f32_e32 v17, v96, v12
	v_add_f32_e32 v97, v13, v17
	v_sub_f32_e32 v96, v17, v96
	s_delay_alu instid0(VALU_DEP_2) | instskip(NEXT) | instid1(VALU_DEP_2)
	v_sub_f32_e32 v100, v97, v13
	v_dual_sub_f32 v12, v12, v96 :: v_dual_sub_f32 v99, v13, v99
	s_delay_alu instid0(VALU_DEP_2) | instskip(NEXT) | instid1(VALU_DEP_2)
	v_sub_f32_e32 v101, v97, v100
	v_dual_sub_f32 v17, v17, v100 :: v_dual_sub_f32 v98, v98, v99
	s_delay_alu instid0(VALU_DEP_1) | instskip(NEXT) | instid1(VALU_DEP_1)
	v_dual_sub_f32 v13, v13, v101 :: v_dual_add_f32 v96, v98, v12
	v_add_f32_e32 v13, v17, v13
	s_delay_alu instid0(VALU_DEP_2) | instskip(NEXT) | instid1(VALU_DEP_2)
	v_sub_f32_e32 v17, v96, v98
	v_add_f32_e32 v13, v96, v13
	s_delay_alu instid0(VALU_DEP_2) | instskip(SKIP_1) | instid1(VALU_DEP_2)
	v_sub_f32_e32 v96, v96, v17
	v_sub_f32_e32 v12, v12, v17
	v_dual_add_f32 v99, v97, v13 :: v_dual_sub_f32 v96, v98, v96
	s_delay_alu instid0(VALU_DEP_1) | instskip(NEXT) | instid1(VALU_DEP_1)
	v_dual_sub_f32 v17, v99, v97 :: v_dual_add_f32 v12, v12, v96
	v_sub_f32_e32 v13, v13, v17
	s_delay_alu instid0(VALU_DEP_1) | instskip(NEXT) | instid1(VALU_DEP_1)
	v_add_f32_e32 v12, v12, v13
	v_add_f32_e32 v12, v99, v12
	s_delay_alu instid0(VALU_DEP_1)
	v_cndmask_b32_e32 v96, v12, v14, vcc_lo
.LBB86_88:                              ;   in Loop: Header=BB86_12 Depth=1
	s_or_b32 exec_lo, exec_lo, s29
	v_lshrrev_b32_e32 v12, 16, v15
	s_delay_alu instid0(VALU_DEP_1) | instskip(NEXT) | instid1(VALU_DEP_1)
	v_cvt_f32_f16_e32 v12, v12
	v_add_f32_e32 v97, s66, v12
	s_delay_alu instid0(VALU_DEP_1) | instskip(SKIP_1) | instid1(SALU_CYCLE_1)
	v_cmp_ge_f32_e32 vcc_lo, 0x41a00000, v97
	s_and_b32 s28, s79, vcc_lo
	s_and_saveexec_b32 s29, s28
	s_cbranch_execz .LBB86_90
; %bb.89:                               ;   in Loop: Header=BB86_12 Depth=1
	v_mul_f32_e32 v12, 0x3fb8aa3b, v97
	v_cmp_ngt_f32_e32 vcc_lo, 0xc2ce8ed0, v97
	s_delay_alu instid0(VALU_DEP_2) | instskip(SKIP_1) | instid1(VALU_DEP_2)
	v_rndne_f32_e32 v13, v12
	v_fma_f32 v14, 0x3fb8aa3b, v97, -v12
	v_sub_f32_e32 v12, v12, v13
	s_delay_alu instid0(VALU_DEP_2) | instskip(SKIP_1) | instid1(VALU_DEP_2)
	v_fmac_f32_e32 v14, 0x32a5705f, v97
	v_cvt_i32_f32_e32 v13, v13
	v_add_f32_e32 v12, v12, v14
	s_delay_alu instid0(VALU_DEP_1) | instskip(SKIP_2) | instid1(VALU_DEP_1)
	v_exp_f32_e32 v12, v12
	s_waitcnt_depctr 0xfff
	v_ldexp_f32 v12, v12, v13
	v_cndmask_b32_e32 v12, 0, v12, vcc_lo
	v_cmp_nlt_f32_e32 vcc_lo, 0x42b17218, v97
	s_delay_alu instid0(VALU_DEP_2) | instskip(NEXT) | instid1(VALU_DEP_1)
	v_cndmask_b32_e32 v14, 0x7f800000, v12, vcc_lo
	v_add_f32_e32 v15, 1.0, v14
	s_delay_alu instid0(VALU_DEP_1) | instskip(NEXT) | instid1(VALU_DEP_1)
	v_cvt_f64_f32_e32 v[12:13], v15
	v_frexp_exp_i32_f64_e32 v12, v[12:13]
	v_frexp_mant_f32_e32 v13, v15
	s_delay_alu instid0(VALU_DEP_1) | instskip(SKIP_1) | instid1(VALU_DEP_1)
	v_cmp_gt_f32_e32 vcc_lo, 0x3f2aaaab, v13
	v_add_f32_e32 v13, -1.0, v15
	v_sub_f32_e32 v97, v13, v15
	v_sub_f32_e32 v13, v14, v13
	s_delay_alu instid0(VALU_DEP_2) | instskip(NEXT) | instid1(VALU_DEP_1)
	v_add_f32_e32 v97, 1.0, v97
	v_add_f32_e32 v13, v13, v97
	v_cmp_gt_f32_e64 s28, 0x33800000, v14
	v_subrev_co_ci_u32_e32 v12, vcc_lo, 0, v12, vcc_lo
	v_cmp_eq_f32_e32 vcc_lo, 0x7f800000, v14
	s_delay_alu instid0(VALU_DEP_2) | instskip(SKIP_2) | instid1(VALU_DEP_2)
	v_sub_nc_u32_e32 v17, 0, v12
	v_cvt_f32_i32_e32 v12, v12
	s_or_b32 vcc_lo, s28, vcc_lo
	v_ldexp_f32 v15, v15, v17
	v_ldexp_f32 v13, v13, v17
	s_delay_alu instid0(VALU_DEP_2) | instskip(SKIP_1) | instid1(VALU_DEP_2)
	v_add_f32_e32 v98, 1.0, v15
	v_add_f32_e32 v17, -1.0, v15
	v_add_f32_e32 v97, -1.0, v98
	s_delay_alu instid0(VALU_DEP_2) | instskip(NEXT) | instid1(VALU_DEP_2)
	v_add_f32_e32 v99, 1.0, v17
	v_sub_f32_e32 v97, v15, v97
	s_delay_alu instid0(VALU_DEP_2) | instskip(NEXT) | instid1(VALU_DEP_2)
	v_sub_f32_e32 v15, v15, v99
	v_add_f32_e32 v97, v13, v97
	s_delay_alu instid0(VALU_DEP_2) | instskip(NEXT) | instid1(VALU_DEP_1)
	v_add_f32_e32 v13, v13, v15
	v_add_f32_e32 v100, v17, v13
	s_delay_alu instid0(VALU_DEP_3) | instskip(NEXT) | instid1(VALU_DEP_1)
	v_add_f32_e32 v99, v98, v97
	v_rcp_f32_e32 v15, v99
	v_sub_f32_e32 v98, v98, v99
	s_delay_alu instid0(VALU_DEP_1) | instskip(SKIP_2) | instid1(VALU_DEP_1)
	v_add_f32_e32 v97, v97, v98
	s_waitcnt_depctr 0xfff
	v_mul_f32_e32 v101, v100, v15
	v_dual_mul_f32 v102, v99, v101 :: v_dual_sub_f32 v17, v17, v100
	s_delay_alu instid0(VALU_DEP_1) | instskip(NEXT) | instid1(VALU_DEP_2)
	v_fma_f32 v98, v101, v99, -v102
	v_add_f32_e32 v13, v13, v17
	s_delay_alu instid0(VALU_DEP_2) | instskip(NEXT) | instid1(VALU_DEP_1)
	v_fmac_f32_e32 v98, v101, v97
	v_add_f32_e32 v103, v102, v98
	s_delay_alu instid0(VALU_DEP_1) | instskip(NEXT) | instid1(VALU_DEP_1)
	v_dual_sub_f32 v104, v100, v103 :: v_dual_sub_f32 v17, v103, v102
	v_dual_sub_f32 v100, v100, v104 :: v_dual_sub_f32 v17, v17, v98
	s_delay_alu instid0(VALU_DEP_1) | instskip(NEXT) | instid1(VALU_DEP_1)
	v_sub_f32_e32 v100, v100, v103
	v_add_f32_e32 v13, v13, v100
	s_delay_alu instid0(VALU_DEP_1) | instskip(NEXT) | instid1(VALU_DEP_1)
	v_add_f32_e32 v13, v17, v13
	v_add_f32_e32 v17, v104, v13
	s_delay_alu instid0(VALU_DEP_1) | instskip(NEXT) | instid1(VALU_DEP_1)
	v_mul_f32_e32 v98, v15, v17
	v_dual_sub_f32 v103, v104, v17 :: v_dual_mul_f32 v100, v99, v98
	s_delay_alu instid0(VALU_DEP_1) | instskip(NEXT) | instid1(VALU_DEP_2)
	v_add_f32_e32 v13, v13, v103
	v_fma_f32 v99, v98, v99, -v100
	s_delay_alu instid0(VALU_DEP_1) | instskip(NEXT) | instid1(VALU_DEP_1)
	v_fmac_f32_e32 v99, v98, v97
	v_add_f32_e32 v97, v100, v99
	s_delay_alu instid0(VALU_DEP_1) | instskip(SKIP_1) | instid1(VALU_DEP_2)
	v_sub_f32_e32 v102, v17, v97
	v_sub_f32_e32 v100, v97, v100
	;; [unrolled: 1-line block ×3, first 2 shown]
	s_delay_alu instid0(VALU_DEP_1) | instskip(NEXT) | instid1(VALU_DEP_3)
	v_sub_f32_e32 v17, v17, v97
	v_sub_f32_e32 v97, v100, v99
	s_delay_alu instid0(VALU_DEP_2) | instskip(SKIP_1) | instid1(VALU_DEP_2)
	v_add_f32_e32 v13, v13, v17
	v_add_f32_e32 v17, v101, v98
	;; [unrolled: 1-line block ×3, first 2 shown]
	s_delay_alu instid0(VALU_DEP_2) | instskip(NEXT) | instid1(VALU_DEP_2)
	v_sub_f32_e32 v97, v17, v101
	v_add_f32_e32 v13, v102, v13
	s_delay_alu instid0(VALU_DEP_2) | instskip(NEXT) | instid1(VALU_DEP_2)
	v_sub_f32_e32 v97, v98, v97
	v_mul_f32_e32 v13, v15, v13
	s_delay_alu instid0(VALU_DEP_1) | instskip(NEXT) | instid1(VALU_DEP_1)
	v_add_f32_e32 v13, v97, v13
	v_add_f32_e32 v15, v17, v13
	s_delay_alu instid0(VALU_DEP_1) | instskip(NEXT) | instid1(VALU_DEP_1)
	v_mul_f32_e32 v97, v15, v15
	v_fmaak_f32 v98, s83, v97, 0x3ecc95a3
	v_mul_f32_e32 v99, v15, v97
	s_delay_alu instid0(VALU_DEP_2) | instskip(SKIP_2) | instid1(VALU_DEP_3)
	v_fmaak_f32 v97, v97, v98, 0x3f2aaada
	v_ldexp_f32 v98, v15, 1
	v_sub_f32_e32 v15, v15, v17
	v_mul_f32_e32 v97, v99, v97
	v_mul_f32_e32 v99, 0x3f317218, v12
	s_delay_alu instid0(VALU_DEP_3) | instskip(NEXT) | instid1(VALU_DEP_3)
	v_sub_f32_e32 v13, v13, v15
	v_add_f32_e32 v17, v98, v97
	s_delay_alu instid0(VALU_DEP_2) | instskip(NEXT) | instid1(VALU_DEP_2)
	v_ldexp_f32 v13, v13, 1
	v_sub_f32_e32 v15, v17, v98
	v_fma_f32 v98, 0x3f317218, v12, -v99
	s_delay_alu instid0(VALU_DEP_1) | instskip(NEXT) | instid1(VALU_DEP_1)
	v_dual_sub_f32 v15, v97, v15 :: v_dual_fmac_f32 v98, 0xb102e308, v12
	v_dual_add_f32 v12, v13, v15 :: v_dual_add_f32 v13, v99, v98
	s_delay_alu instid0(VALU_DEP_1) | instskip(NEXT) | instid1(VALU_DEP_1)
	v_add_f32_e32 v15, v17, v12
	v_add_f32_e32 v97, v13, v15
	v_sub_f32_e32 v17, v15, v17
	s_delay_alu instid0(VALU_DEP_2) | instskip(NEXT) | instid1(VALU_DEP_2)
	v_sub_f32_e32 v100, v97, v13
	v_dual_sub_f32 v99, v13, v99 :: v_dual_sub_f32 v12, v12, v17
	s_delay_alu instid0(VALU_DEP_1) | instskip(SKIP_1) | instid1(VALU_DEP_2)
	v_dual_sub_f32 v101, v97, v100 :: v_dual_sub_f32 v98, v98, v99
	v_sub_f32_e32 v15, v15, v100
	v_sub_f32_e32 v13, v13, v101
	s_delay_alu instid0(VALU_DEP_3) | instskip(NEXT) | instid1(VALU_DEP_2)
	v_add_f32_e32 v17, v98, v12
	v_add_f32_e32 v13, v15, v13
	s_delay_alu instid0(VALU_DEP_2) | instskip(NEXT) | instid1(VALU_DEP_2)
	v_sub_f32_e32 v15, v17, v98
	v_add_f32_e32 v13, v17, v13
	s_delay_alu instid0(VALU_DEP_2) | instskip(NEXT) | instid1(VALU_DEP_2)
	v_sub_f32_e32 v17, v17, v15
	v_dual_sub_f32 v12, v12, v15 :: v_dual_add_f32 v99, v97, v13
	s_delay_alu instid0(VALU_DEP_2) | instskip(NEXT) | instid1(VALU_DEP_2)
	v_sub_f32_e32 v17, v98, v17
	v_sub_f32_e32 v15, v99, v97
	s_delay_alu instid0(VALU_DEP_1) | instskip(NEXT) | instid1(VALU_DEP_1)
	v_dual_add_f32 v12, v12, v17 :: v_dual_sub_f32 v13, v13, v15
	v_add_f32_e32 v12, v12, v13
	s_delay_alu instid0(VALU_DEP_1) | instskip(NEXT) | instid1(VALU_DEP_1)
	v_add_f32_e32 v12, v99, v12
	v_cndmask_b32_e32 v97, v12, v14, vcc_lo
.LBB86_90:                              ;   in Loop: Header=BB86_12 Depth=1
	s_or_b32 exec_lo, exec_lo, s29
	s_waitcnt lgkmcnt(0)
	v_cvt_f32_f16_e32 v12, v8
	s_delay_alu instid0(VALU_DEP_1) | instskip(NEXT) | instid1(VALU_DEP_1)
	v_add_f32_e32 v98, s66, v12
	v_cmp_ge_f32_e32 vcc_lo, 0x41a00000, v98
	s_and_b32 s28, s79, vcc_lo
	s_delay_alu instid0(SALU_CYCLE_1)
	s_and_saveexec_b32 s29, s28
	s_cbranch_execz .LBB86_92
; %bb.91:                               ;   in Loop: Header=BB86_12 Depth=1
	v_mul_f32_e32 v12, 0x3fb8aa3b, v98
	v_cmp_ngt_f32_e32 vcc_lo, 0xc2ce8ed0, v98
	s_delay_alu instid0(VALU_DEP_2) | instskip(SKIP_1) | instid1(VALU_DEP_2)
	v_rndne_f32_e32 v13, v12
	v_fma_f32 v14, 0x3fb8aa3b, v98, -v12
	v_sub_f32_e32 v12, v12, v13
	s_delay_alu instid0(VALU_DEP_2) | instskip(SKIP_1) | instid1(VALU_DEP_2)
	v_fmac_f32_e32 v14, 0x32a5705f, v98
	v_cvt_i32_f32_e32 v13, v13
	v_add_f32_e32 v12, v12, v14
	s_delay_alu instid0(VALU_DEP_1) | instskip(SKIP_2) | instid1(VALU_DEP_1)
	v_exp_f32_e32 v12, v12
	s_waitcnt_depctr 0xfff
	v_ldexp_f32 v12, v12, v13
	v_cndmask_b32_e32 v12, 0, v12, vcc_lo
	v_cmp_nlt_f32_e32 vcc_lo, 0x42b17218, v98
	s_delay_alu instid0(VALU_DEP_2) | instskip(NEXT) | instid1(VALU_DEP_1)
	v_cndmask_b32_e32 v14, 0x7f800000, v12, vcc_lo
	v_add_f32_e32 v15, 1.0, v14
	s_delay_alu instid0(VALU_DEP_1) | instskip(NEXT) | instid1(VALU_DEP_1)
	v_cvt_f64_f32_e32 v[12:13], v15
	v_frexp_exp_i32_f64_e32 v12, v[12:13]
	v_frexp_mant_f32_e32 v13, v15
	s_delay_alu instid0(VALU_DEP_1) | instskip(SKIP_1) | instid1(VALU_DEP_1)
	v_cmp_gt_f32_e32 vcc_lo, 0x3f2aaaab, v13
	v_add_f32_e32 v13, -1.0, v15
	v_dual_sub_f32 v98, v13, v15 :: v_dual_sub_f32 v13, v14, v13
	s_delay_alu instid0(VALU_DEP_1) | instskip(NEXT) | instid1(VALU_DEP_1)
	v_add_f32_e32 v98, 1.0, v98
	v_add_f32_e32 v13, v13, v98
	v_subrev_co_ci_u32_e32 v12, vcc_lo, 0, v12, vcc_lo
	s_delay_alu instid0(VALU_DEP_1) | instskip(SKIP_1) | instid1(VALU_DEP_2)
	v_sub_nc_u32_e32 v17, 0, v12
	v_cvt_f32_i32_e32 v12, v12
	v_ldexp_f32 v15, v15, v17
	v_ldexp_f32 v13, v13, v17
	s_delay_alu instid0(VALU_DEP_2) | instskip(SKIP_3) | instid1(VALU_DEP_4)
	v_add_f32_e32 v99, 1.0, v15
	v_add_f32_e32 v17, -1.0, v15
	v_cmp_eq_f32_e32 vcc_lo, 0x7f800000, v14
	v_cmp_gt_f32_e64 s28, 0x33800000, v14
	v_add_f32_e32 v98, -1.0, v99
	s_delay_alu instid0(VALU_DEP_4) | instskip(NEXT) | instid1(VALU_DEP_3)
	v_add_f32_e32 v100, 1.0, v17
	s_or_b32 vcc_lo, s28, vcc_lo
	s_delay_alu instid0(VALU_DEP_2) | instskip(NEXT) | instid1(VALU_DEP_1)
	v_sub_f32_e32 v98, v15, v98
	v_dual_sub_f32 v15, v15, v100 :: v_dual_add_f32 v98, v13, v98
	s_delay_alu instid0(VALU_DEP_1) | instskip(NEXT) | instid1(VALU_DEP_1)
	v_add_f32_e32 v13, v13, v15
	v_dual_add_f32 v101, v17, v13 :: v_dual_add_f32 v100, v99, v98
	s_delay_alu instid0(VALU_DEP_1) | instskip(NEXT) | instid1(VALU_DEP_2)
	v_sub_f32_e32 v17, v17, v101
	v_rcp_f32_e32 v15, v100
	v_sub_f32_e32 v99, v99, v100
	s_delay_alu instid0(VALU_DEP_1) | instskip(SKIP_2) | instid1(VALU_DEP_1)
	v_dual_add_f32 v98, v98, v99 :: v_dual_add_f32 v13, v13, v17
	s_waitcnt_depctr 0xfff
	v_mul_f32_e32 v102, v101, v15
	v_mul_f32_e32 v103, v100, v102
	s_delay_alu instid0(VALU_DEP_1) | instskip(NEXT) | instid1(VALU_DEP_1)
	v_fma_f32 v99, v102, v100, -v103
	v_fmac_f32_e32 v99, v102, v98
	s_delay_alu instid0(VALU_DEP_1) | instskip(NEXT) | instid1(VALU_DEP_1)
	v_add_f32_e32 v104, v103, v99
	v_sub_f32_e32 v105, v101, v104
	s_delay_alu instid0(VALU_DEP_1) | instskip(SKIP_1) | instid1(VALU_DEP_2)
	v_sub_f32_e32 v101, v101, v105
	v_sub_f32_e32 v17, v104, v103
	v_sub_f32_e32 v101, v101, v104
	s_delay_alu instid0(VALU_DEP_2) | instskip(NEXT) | instid1(VALU_DEP_2)
	v_sub_f32_e32 v17, v17, v99
	v_add_f32_e32 v13, v13, v101
	s_delay_alu instid0(VALU_DEP_1) | instskip(NEXT) | instid1(VALU_DEP_1)
	v_add_f32_e32 v13, v17, v13
	v_add_f32_e32 v17, v105, v13
	s_delay_alu instid0(VALU_DEP_1) | instskip(NEXT) | instid1(VALU_DEP_1)
	v_mul_f32_e32 v99, v15, v17
	v_dual_sub_f32 v104, v105, v17 :: v_dual_mul_f32 v101, v100, v99
	s_delay_alu instid0(VALU_DEP_1) | instskip(NEXT) | instid1(VALU_DEP_2)
	v_add_f32_e32 v13, v13, v104
	v_fma_f32 v100, v99, v100, -v101
	s_delay_alu instid0(VALU_DEP_1) | instskip(NEXT) | instid1(VALU_DEP_1)
	v_fmac_f32_e32 v100, v99, v98
	v_add_f32_e32 v98, v101, v100
	s_delay_alu instid0(VALU_DEP_1) | instskip(NEXT) | instid1(VALU_DEP_1)
	v_sub_f32_e32 v103, v17, v98
	v_sub_f32_e32 v17, v17, v103
	s_delay_alu instid0(VALU_DEP_1) | instskip(NEXT) | instid1(VALU_DEP_1)
	v_sub_f32_e32 v17, v17, v98
	v_add_f32_e32 v13, v13, v17
	v_add_f32_e32 v17, v102, v99
	v_sub_f32_e32 v101, v98, v101
	s_delay_alu instid0(VALU_DEP_1) | instskip(NEXT) | instid1(VALU_DEP_1)
	v_sub_f32_e32 v98, v101, v100
	v_dual_add_f32 v13, v98, v13 :: v_dual_sub_f32 v98, v17, v102
	s_delay_alu instid0(VALU_DEP_1) | instskip(NEXT) | instid1(VALU_DEP_2)
	v_add_f32_e32 v13, v103, v13
	v_sub_f32_e32 v98, v99, v98
	s_delay_alu instid0(VALU_DEP_2) | instskip(NEXT) | instid1(VALU_DEP_1)
	v_mul_f32_e32 v13, v15, v13
	v_add_f32_e32 v13, v98, v13
	s_delay_alu instid0(VALU_DEP_1) | instskip(NEXT) | instid1(VALU_DEP_1)
	v_add_f32_e32 v15, v17, v13
	v_mul_f32_e32 v98, v15, v15
	s_delay_alu instid0(VALU_DEP_1) | instskip(SKIP_1) | instid1(VALU_DEP_2)
	v_fmaak_f32 v99, s83, v98, 0x3ecc95a3
	v_mul_f32_e32 v100, v15, v98
	v_fmaak_f32 v98, v98, v99, 0x3f2aaada
	v_ldexp_f32 v99, v15, 1
	s_delay_alu instid0(VALU_DEP_2) | instskip(NEXT) | instid1(VALU_DEP_1)
	v_dual_sub_f32 v15, v15, v17 :: v_dual_mul_f32 v98, v100, v98
	v_dual_mul_f32 v100, 0x3f317218, v12 :: v_dual_sub_f32 v13, v13, v15
	s_delay_alu instid0(VALU_DEP_2) | instskip(NEXT) | instid1(VALU_DEP_2)
	v_add_f32_e32 v17, v99, v98
	v_ldexp_f32 v13, v13, 1
	s_delay_alu instid0(VALU_DEP_2) | instskip(NEXT) | instid1(VALU_DEP_4)
	v_sub_f32_e32 v15, v17, v99
	v_fma_f32 v99, 0x3f317218, v12, -v100
	s_delay_alu instid0(VALU_DEP_2) | instskip(NEXT) | instid1(VALU_DEP_1)
	v_sub_f32_e32 v15, v98, v15
	v_dual_fmac_f32 v99, 0xb102e308, v12 :: v_dual_add_f32 v12, v13, v15
	s_delay_alu instid0(VALU_DEP_1) | instskip(NEXT) | instid1(VALU_DEP_2)
	v_add_f32_e32 v13, v100, v99
	v_add_f32_e32 v15, v17, v12
	s_delay_alu instid0(VALU_DEP_2) | instskip(NEXT) | instid1(VALU_DEP_2)
	v_sub_f32_e32 v100, v13, v100
	v_dual_add_f32 v98, v13, v15 :: v_dual_sub_f32 v17, v15, v17
	s_delay_alu instid0(VALU_DEP_2) | instskip(NEXT) | instid1(VALU_DEP_2)
	v_sub_f32_e32 v99, v99, v100
	v_sub_f32_e32 v101, v98, v13
	s_delay_alu instid0(VALU_DEP_3) | instskip(NEXT) | instid1(VALU_DEP_2)
	v_sub_f32_e32 v12, v12, v17
	v_sub_f32_e32 v102, v98, v101
	;; [unrolled: 1-line block ×3, first 2 shown]
	s_delay_alu instid0(VALU_DEP_3) | instskip(NEXT) | instid1(VALU_DEP_3)
	v_add_f32_e32 v17, v99, v12
	v_sub_f32_e32 v13, v13, v102
	s_delay_alu instid0(VALU_DEP_1) | instskip(NEXT) | instid1(VALU_DEP_3)
	v_add_f32_e32 v13, v15, v13
	v_sub_f32_e32 v15, v17, v99
	s_delay_alu instid0(VALU_DEP_2) | instskip(NEXT) | instid1(VALU_DEP_2)
	v_add_f32_e32 v13, v17, v13
	v_sub_f32_e32 v17, v17, v15
	v_sub_f32_e32 v12, v12, v15
	s_delay_alu instid0(VALU_DEP_3) | instskip(NEXT) | instid1(VALU_DEP_3)
	v_add_f32_e32 v100, v98, v13
	v_sub_f32_e32 v17, v99, v17
	s_delay_alu instid0(VALU_DEP_2) | instskip(NEXT) | instid1(VALU_DEP_1)
	v_sub_f32_e32 v15, v100, v98
	v_dual_add_f32 v12, v12, v17 :: v_dual_sub_f32 v13, v13, v15
	s_delay_alu instid0(VALU_DEP_1) | instskip(NEXT) | instid1(VALU_DEP_1)
	v_add_f32_e32 v12, v12, v13
	v_add_f32_e32 v12, v100, v12
	s_delay_alu instid0(VALU_DEP_1)
	v_cndmask_b32_e32 v98, v12, v14, vcc_lo
.LBB86_92:                              ;   in Loop: Header=BB86_12 Depth=1
	s_or_b32 exec_lo, exec_lo, s29
	v_lshrrev_b32_e32 v8, 16, v8
	s_delay_alu instid0(VALU_DEP_1) | instskip(NEXT) | instid1(VALU_DEP_1)
	v_cvt_f32_f16_e32 v8, v8
	v_add_f32_e32 v99, s66, v8
	s_delay_alu instid0(VALU_DEP_1) | instskip(SKIP_1) | instid1(SALU_CYCLE_1)
	v_cmp_ge_f32_e32 vcc_lo, 0x41a00000, v99
	s_and_b32 s28, s79, vcc_lo
	s_and_saveexec_b32 s29, s28
	s_cbranch_execz .LBB86_94
; %bb.93:                               ;   in Loop: Header=BB86_12 Depth=1
	v_mul_f32_e32 v8, 0x3fb8aa3b, v99
	v_cmp_ngt_f32_e32 vcc_lo, 0xc2ce8ed0, v99
	s_delay_alu instid0(VALU_DEP_2) | instskip(SKIP_1) | instid1(VALU_DEP_1)
	v_rndne_f32_e32 v12, v8
	v_fma_f32 v13, 0x3fb8aa3b, v99, -v8
	v_dual_sub_f32 v8, v8, v12 :: v_dual_fmac_f32 v13, 0x32a5705f, v99
	v_cvt_i32_f32_e32 v12, v12
	s_delay_alu instid0(VALU_DEP_2) | instskip(NEXT) | instid1(VALU_DEP_1)
	v_add_f32_e32 v8, v8, v13
	v_exp_f32_e32 v8, v8
	s_waitcnt_depctr 0xfff
	v_ldexp_f32 v8, v8, v12
	s_delay_alu instid0(VALU_DEP_1) | instskip(SKIP_1) | instid1(VALU_DEP_2)
	v_cndmask_b32_e32 v8, 0, v8, vcc_lo
	v_cmp_nlt_f32_e32 vcc_lo, 0x42b17218, v99
	v_cndmask_b32_e32 v8, 0x7f800000, v8, vcc_lo
	s_delay_alu instid0(VALU_DEP_1) | instskip(NEXT) | instid1(VALU_DEP_1)
	v_add_f32_e32 v14, 1.0, v8
	v_cvt_f64_f32_e32 v[12:13], v14
	s_delay_alu instid0(VALU_DEP_1) | instskip(SKIP_1) | instid1(VALU_DEP_1)
	v_frexp_exp_i32_f64_e32 v12, v[12:13]
	v_frexp_mant_f32_e32 v13, v14
	v_cmp_gt_f32_e32 vcc_lo, 0x3f2aaaab, v13
	v_add_f32_e32 v13, -1.0, v14
	s_delay_alu instid0(VALU_DEP_1) | instskip(NEXT) | instid1(VALU_DEP_1)
	v_sub_f32_e32 v17, v13, v14
	v_add_f32_e32 v17, 1.0, v17
	v_subrev_co_ci_u32_e32 v12, vcc_lo, 0, v12, vcc_lo
	s_delay_alu instid0(VALU_DEP_1) | instskip(SKIP_1) | instid1(VALU_DEP_2)
	v_sub_nc_u32_e32 v15, 0, v12
	v_cvt_f32_i32_e32 v12, v12
	v_ldexp_f32 v14, v14, v15
	s_delay_alu instid0(VALU_DEP_1) | instskip(SKIP_3) | instid1(VALU_DEP_3)
	v_add_f32_e32 v99, 1.0, v14
	v_sub_f32_e32 v13, v8, v13
	v_cmp_eq_f32_e32 vcc_lo, 0x7f800000, v8
	v_cmp_gt_f32_e64 s28, 0x33800000, v8
	v_add_f32_e32 v13, v13, v17
	s_delay_alu instid0(VALU_DEP_2) | instskip(NEXT) | instid1(VALU_DEP_1)
	s_or_b32 vcc_lo, s28, vcc_lo
	v_ldexp_f32 v13, v13, v15
	v_add_f32_e32 v15, -1.0, v14
	s_delay_alu instid0(VALU_DEP_1) | instskip(SKIP_1) | instid1(VALU_DEP_1)
	v_add_f32_e32 v100, 1.0, v15
	v_add_f32_e32 v17, -1.0, v99
	v_sub_f32_e32 v17, v14, v17
	s_delay_alu instid0(VALU_DEP_1) | instskip(NEXT) | instid1(VALU_DEP_1)
	v_dual_sub_f32 v14, v14, v100 :: v_dual_add_f32 v17, v13, v17
	v_add_f32_e32 v100, v99, v17
	s_delay_alu instid0(VALU_DEP_1) | instskip(NEXT) | instid1(VALU_DEP_1)
	v_sub_f32_e32 v99, v99, v100
	v_add_f32_e32 v17, v17, v99
	s_delay_alu instid0(VALU_DEP_4) | instskip(SKIP_1) | instid1(VALU_DEP_1)
	v_add_f32_e32 v13, v13, v14
	v_rcp_f32_e32 v14, v100
	v_add_f32_e32 v101, v15, v13
	s_waitcnt_depctr 0xfff
	v_dual_sub_f32 v15, v15, v101 :: v_dual_mul_f32 v102, v101, v14
	s_delay_alu instid0(VALU_DEP_1) | instskip(NEXT) | instid1(VALU_DEP_2)
	v_add_f32_e32 v13, v13, v15
	v_mul_f32_e32 v103, v100, v102
	s_delay_alu instid0(VALU_DEP_1) | instskip(NEXT) | instid1(VALU_DEP_1)
	v_fma_f32 v99, v102, v100, -v103
	v_fmac_f32_e32 v99, v102, v17
	s_delay_alu instid0(VALU_DEP_1) | instskip(NEXT) | instid1(VALU_DEP_1)
	v_add_f32_e32 v104, v103, v99
	v_sub_f32_e32 v105, v101, v104
	v_sub_f32_e32 v15, v104, v103
	s_delay_alu instid0(VALU_DEP_2) | instskip(NEXT) | instid1(VALU_DEP_2)
	v_sub_f32_e32 v101, v101, v105
	v_sub_f32_e32 v15, v15, v99
	s_delay_alu instid0(VALU_DEP_2) | instskip(NEXT) | instid1(VALU_DEP_1)
	v_sub_f32_e32 v101, v101, v104
	v_add_f32_e32 v13, v13, v101
	s_delay_alu instid0(VALU_DEP_1) | instskip(NEXT) | instid1(VALU_DEP_1)
	v_add_f32_e32 v13, v15, v13
	v_add_f32_e32 v15, v105, v13
	s_delay_alu instid0(VALU_DEP_1) | instskip(SKIP_1) | instid1(VALU_DEP_2)
	v_mul_f32_e32 v99, v14, v15
	v_sub_f32_e32 v104, v105, v15
	v_mul_f32_e32 v101, v100, v99
	s_delay_alu instid0(VALU_DEP_2) | instskip(NEXT) | instid1(VALU_DEP_2)
	v_add_f32_e32 v13, v13, v104
	v_fma_f32 v100, v99, v100, -v101
	s_delay_alu instid0(VALU_DEP_1) | instskip(NEXT) | instid1(VALU_DEP_1)
	v_fmac_f32_e32 v100, v99, v17
	v_add_f32_e32 v17, v101, v100
	s_delay_alu instid0(VALU_DEP_1) | instskip(SKIP_1) | instid1(VALU_DEP_2)
	v_sub_f32_e32 v103, v15, v17
	v_sub_f32_e32 v101, v17, v101
	;; [unrolled: 1-line block ×3, first 2 shown]
	s_delay_alu instid0(VALU_DEP_1) | instskip(NEXT) | instid1(VALU_DEP_3)
	v_sub_f32_e32 v15, v15, v17
	v_sub_f32_e32 v17, v101, v100
	s_delay_alu instid0(VALU_DEP_2) | instskip(SKIP_1) | instid1(VALU_DEP_2)
	v_add_f32_e32 v13, v13, v15
	v_add_f32_e32 v15, v102, v99
	;; [unrolled: 1-line block ×3, first 2 shown]
	s_delay_alu instid0(VALU_DEP_2) | instskip(NEXT) | instid1(VALU_DEP_2)
	v_sub_f32_e32 v17, v15, v102
	v_add_f32_e32 v13, v103, v13
	s_delay_alu instid0(VALU_DEP_2) | instskip(NEXT) | instid1(VALU_DEP_2)
	v_sub_f32_e32 v17, v99, v17
	v_mul_f32_e32 v13, v14, v13
	s_delay_alu instid0(VALU_DEP_1) | instskip(NEXT) | instid1(VALU_DEP_1)
	v_add_f32_e32 v13, v17, v13
	v_add_f32_e32 v14, v15, v13
	s_delay_alu instid0(VALU_DEP_1) | instskip(NEXT) | instid1(VALU_DEP_1)
	v_mul_f32_e32 v17, v14, v14
	v_fmaak_f32 v99, s83, v17, 0x3ecc95a3
	s_delay_alu instid0(VALU_DEP_1) | instskip(SKIP_1) | instid1(VALU_DEP_2)
	v_dual_mul_f32 v100, v14, v17 :: v_dual_fmaak_f32 v17, v17, v99, 0x3f2aaada
	v_ldexp_f32 v99, v14, 1
	v_dual_sub_f32 v14, v14, v15 :: v_dual_mul_f32 v17, v100, v17
	s_delay_alu instid0(VALU_DEP_1) | instskip(NEXT) | instid1(VALU_DEP_2)
	v_dual_mul_f32 v100, 0x3f317218, v12 :: v_dual_sub_f32 v13, v13, v14
	v_add_f32_e32 v15, v99, v17
	s_delay_alu instid0(VALU_DEP_2) | instskip(NEXT) | instid1(VALU_DEP_2)
	v_ldexp_f32 v13, v13, 1
	v_sub_f32_e32 v14, v15, v99
	s_delay_alu instid0(VALU_DEP_4) | instskip(NEXT) | instid1(VALU_DEP_1)
	v_fma_f32 v99, 0x3f317218, v12, -v100
	v_dual_sub_f32 v14, v17, v14 :: v_dual_fmac_f32 v99, 0xb102e308, v12
	s_delay_alu instid0(VALU_DEP_1) | instskip(NEXT) | instid1(VALU_DEP_1)
	v_dual_add_f32 v12, v13, v14 :: v_dual_add_f32 v13, v100, v99
	v_add_f32_e32 v14, v15, v12
	s_delay_alu instid0(VALU_DEP_2) | instskip(NEXT) | instid1(VALU_DEP_2)
	v_sub_f32_e32 v100, v13, v100
	v_add_f32_e32 v17, v13, v14
	v_sub_f32_e32 v15, v14, v15
	s_delay_alu instid0(VALU_DEP_3) | instskip(NEXT) | instid1(VALU_DEP_2)
	v_sub_f32_e32 v99, v99, v100
	v_dual_sub_f32 v101, v17, v13 :: v_dual_sub_f32 v12, v12, v15
	s_delay_alu instid0(VALU_DEP_1) | instskip(NEXT) | instid1(VALU_DEP_2)
	v_sub_f32_e32 v102, v17, v101
	v_dual_sub_f32 v14, v14, v101 :: v_dual_add_f32 v15, v99, v12
	s_delay_alu instid0(VALU_DEP_2) | instskip(NEXT) | instid1(VALU_DEP_1)
	v_sub_f32_e32 v13, v13, v102
	v_dual_add_f32 v13, v14, v13 :: v_dual_sub_f32 v14, v15, v99
	s_delay_alu instid0(VALU_DEP_1) | instskip(NEXT) | instid1(VALU_DEP_2)
	v_add_f32_e32 v13, v15, v13
	v_sub_f32_e32 v15, v15, v14
	v_sub_f32_e32 v12, v12, v14
	s_delay_alu instid0(VALU_DEP_2) | instskip(NEXT) | instid1(VALU_DEP_1)
	v_dual_add_f32 v100, v17, v13 :: v_dual_sub_f32 v15, v99, v15
	v_sub_f32_e32 v14, v100, v17
	s_delay_alu instid0(VALU_DEP_1) | instskip(NEXT) | instid1(VALU_DEP_1)
	v_dual_add_f32 v12, v12, v15 :: v_dual_sub_f32 v13, v13, v14
	v_add_f32_e32 v12, v12, v13
	s_delay_alu instid0(VALU_DEP_1) | instskip(NEXT) | instid1(VALU_DEP_1)
	v_add_f32_e32 v12, v100, v12
	v_cndmask_b32_e32 v99, v12, v8, vcc_lo
.LBB86_94:                              ;   in Loop: Header=BB86_12 Depth=1
	s_or_b32 exec_lo, exec_lo, s29
	v_cvt_f32_f16_e32 v8, v9
	s_delay_alu instid0(VALU_DEP_1) | instskip(NEXT) | instid1(VALU_DEP_1)
	v_add_f32_e32 v100, s66, v8
	v_cmp_ge_f32_e32 vcc_lo, 0x41a00000, v100
	s_and_b32 s28, s79, vcc_lo
	s_delay_alu instid0(SALU_CYCLE_1)
	s_and_saveexec_b32 s29, s28
	s_cbranch_execz .LBB86_96
; %bb.95:                               ;   in Loop: Header=BB86_12 Depth=1
	v_mul_f32_e32 v8, 0x3fb8aa3b, v100
	v_cmp_ngt_f32_e32 vcc_lo, 0xc2ce8ed0, v100
	s_delay_alu instid0(VALU_DEP_2) | instskip(SKIP_1) | instid1(VALU_DEP_2)
	v_rndne_f32_e32 v12, v8
	v_fma_f32 v13, 0x3fb8aa3b, v100, -v8
	v_sub_f32_e32 v8, v8, v12
	s_delay_alu instid0(VALU_DEP_2) | instskip(SKIP_1) | instid1(VALU_DEP_2)
	v_fmac_f32_e32 v13, 0x32a5705f, v100
	v_cvt_i32_f32_e32 v12, v12
	v_add_f32_e32 v8, v8, v13
	s_delay_alu instid0(VALU_DEP_1) | instskip(SKIP_2) | instid1(VALU_DEP_1)
	v_exp_f32_e32 v8, v8
	s_waitcnt_depctr 0xfff
	v_ldexp_f32 v8, v8, v12
	v_cndmask_b32_e32 v8, 0, v8, vcc_lo
	v_cmp_nlt_f32_e32 vcc_lo, 0x42b17218, v100
	s_delay_alu instid0(VALU_DEP_2) | instskip(NEXT) | instid1(VALU_DEP_1)
	v_cndmask_b32_e32 v8, 0x7f800000, v8, vcc_lo
	v_add_f32_e32 v14, 1.0, v8
	s_delay_alu instid0(VALU_DEP_1) | instskip(NEXT) | instid1(VALU_DEP_1)
	v_cvt_f64_f32_e32 v[12:13], v14
	v_frexp_exp_i32_f64_e32 v12, v[12:13]
	v_frexp_mant_f32_e32 v13, v14
	s_delay_alu instid0(VALU_DEP_1) | instskip(SKIP_1) | instid1(VALU_DEP_1)
	v_cmp_gt_f32_e32 vcc_lo, 0x3f2aaaab, v13
	v_add_f32_e32 v13, -1.0, v14
	v_sub_f32_e32 v17, v13, v14
	v_sub_f32_e32 v13, v8, v13
	s_delay_alu instid0(VALU_DEP_2) | instskip(NEXT) | instid1(VALU_DEP_1)
	v_add_f32_e32 v17, 1.0, v17
	v_add_f32_e32 v13, v13, v17
	v_cmp_gt_f32_e64 s28, 0x33800000, v8
	v_subrev_co_ci_u32_e32 v12, vcc_lo, 0, v12, vcc_lo
	v_cmp_eq_f32_e32 vcc_lo, 0x7f800000, v8
	s_delay_alu instid0(VALU_DEP_2) | instskip(SKIP_2) | instid1(VALU_DEP_2)
	v_sub_nc_u32_e32 v15, 0, v12
	v_cvt_f32_i32_e32 v12, v12
	s_or_b32 vcc_lo, s28, vcc_lo
	v_ldexp_f32 v14, v14, v15
	v_ldexp_f32 v13, v13, v15
	s_delay_alu instid0(VALU_DEP_2) | instskip(SKIP_1) | instid1(VALU_DEP_2)
	v_add_f32_e32 v100, 1.0, v14
	v_add_f32_e32 v15, -1.0, v14
	v_add_f32_e32 v17, -1.0, v100
	s_delay_alu instid0(VALU_DEP_2) | instskip(NEXT) | instid1(VALU_DEP_2)
	v_add_f32_e32 v101, 1.0, v15
	v_sub_f32_e32 v17, v14, v17
	s_delay_alu instid0(VALU_DEP_2) | instskip(NEXT) | instid1(VALU_DEP_2)
	v_sub_f32_e32 v14, v14, v101
	v_add_f32_e32 v17, v13, v17
	s_delay_alu instid0(VALU_DEP_1) | instskip(NEXT) | instid1(VALU_DEP_1)
	v_add_f32_e32 v101, v100, v17
	v_dual_add_f32 v13, v13, v14 :: v_dual_sub_f32 v100, v100, v101
	v_rcp_f32_e32 v14, v101
	s_delay_alu instid0(VALU_DEP_1) | instskip(NEXT) | instid1(VALU_DEP_1)
	v_dual_add_f32 v102, v15, v13 :: v_dual_add_f32 v17, v17, v100
	v_sub_f32_e32 v15, v15, v102
	s_waitcnt_depctr 0xfff
	v_mul_f32_e32 v103, v102, v14
	v_add_f32_e32 v13, v13, v15
	s_delay_alu instid0(VALU_DEP_2) | instskip(NEXT) | instid1(VALU_DEP_1)
	v_mul_f32_e32 v104, v101, v103
	v_fma_f32 v100, v103, v101, -v104
	s_delay_alu instid0(VALU_DEP_1) | instskip(NEXT) | instid1(VALU_DEP_1)
	v_fmac_f32_e32 v100, v103, v17
	v_add_f32_e32 v105, v104, v100
	s_delay_alu instid0(VALU_DEP_1) | instskip(NEXT) | instid1(VALU_DEP_1)
	v_dual_sub_f32 v106, v102, v105 :: v_dual_sub_f32 v15, v105, v104
	v_dual_sub_f32 v102, v102, v106 :: v_dual_sub_f32 v15, v15, v100
	s_delay_alu instid0(VALU_DEP_1) | instskip(NEXT) | instid1(VALU_DEP_1)
	v_sub_f32_e32 v102, v102, v105
	v_add_f32_e32 v13, v13, v102
	s_delay_alu instid0(VALU_DEP_1) | instskip(NEXT) | instid1(VALU_DEP_1)
	v_add_f32_e32 v13, v15, v13
	v_add_f32_e32 v15, v106, v13
	s_delay_alu instid0(VALU_DEP_1) | instskip(NEXT) | instid1(VALU_DEP_1)
	v_mul_f32_e32 v100, v14, v15
	v_dual_sub_f32 v105, v106, v15 :: v_dual_mul_f32 v102, v101, v100
	s_delay_alu instid0(VALU_DEP_1) | instskip(NEXT) | instid1(VALU_DEP_2)
	v_add_f32_e32 v13, v13, v105
	v_fma_f32 v101, v100, v101, -v102
	s_delay_alu instid0(VALU_DEP_1) | instskip(NEXT) | instid1(VALU_DEP_1)
	v_fmac_f32_e32 v101, v100, v17
	v_add_f32_e32 v17, v102, v101
	s_delay_alu instid0(VALU_DEP_1) | instskip(NEXT) | instid1(VALU_DEP_1)
	v_sub_f32_e32 v104, v15, v17
	v_dual_sub_f32 v102, v17, v102 :: v_dual_sub_f32 v15, v15, v104
	s_delay_alu instid0(VALU_DEP_1) | instskip(NEXT) | instid1(VALU_DEP_2)
	v_sub_f32_e32 v15, v15, v17
	v_sub_f32_e32 v17, v102, v101
	s_delay_alu instid0(VALU_DEP_2) | instskip(SKIP_1) | instid1(VALU_DEP_2)
	v_add_f32_e32 v13, v13, v15
	v_add_f32_e32 v15, v103, v100
	;; [unrolled: 1-line block ×3, first 2 shown]
	s_delay_alu instid0(VALU_DEP_2) | instskip(NEXT) | instid1(VALU_DEP_2)
	v_sub_f32_e32 v17, v15, v103
	v_add_f32_e32 v13, v104, v13
	s_delay_alu instid0(VALU_DEP_2) | instskip(NEXT) | instid1(VALU_DEP_2)
	v_sub_f32_e32 v17, v100, v17
	v_mul_f32_e32 v13, v14, v13
	s_delay_alu instid0(VALU_DEP_1) | instskip(NEXT) | instid1(VALU_DEP_1)
	v_add_f32_e32 v13, v17, v13
	v_add_f32_e32 v14, v15, v13
	s_delay_alu instid0(VALU_DEP_1) | instskip(NEXT) | instid1(VALU_DEP_1)
	v_mul_f32_e32 v17, v14, v14
	v_fmaak_f32 v100, s83, v17, 0x3ecc95a3
	v_mul_f32_e32 v101, v14, v17
	s_delay_alu instid0(VALU_DEP_2) | instskip(SKIP_1) | instid1(VALU_DEP_2)
	v_fmaak_f32 v17, v17, v100, 0x3f2aaada
	v_ldexp_f32 v100, v14, 1
	v_dual_sub_f32 v14, v14, v15 :: v_dual_mul_f32 v17, v101, v17
	v_mul_f32_e32 v101, 0x3f317218, v12
	s_delay_alu instid0(VALU_DEP_2) | instskip(NEXT) | instid1(VALU_DEP_3)
	v_sub_f32_e32 v13, v13, v14
	v_add_f32_e32 v15, v100, v17
	s_delay_alu instid0(VALU_DEP_2) | instskip(NEXT) | instid1(VALU_DEP_2)
	v_ldexp_f32 v13, v13, 1
	v_sub_f32_e32 v14, v15, v100
	v_fma_f32 v100, 0x3f317218, v12, -v101
	s_delay_alu instid0(VALU_DEP_2) | instskip(NEXT) | instid1(VALU_DEP_2)
	v_sub_f32_e32 v14, v17, v14
	v_fmac_f32_e32 v100, 0xb102e308, v12
	s_delay_alu instid0(VALU_DEP_2) | instskip(NEXT) | instid1(VALU_DEP_2)
	v_add_f32_e32 v12, v13, v14
	v_add_f32_e32 v13, v101, v100
	s_delay_alu instid0(VALU_DEP_1) | instskip(NEXT) | instid1(VALU_DEP_1)
	v_dual_add_f32 v14, v15, v12 :: v_dual_sub_f32 v101, v13, v101
	v_add_f32_e32 v17, v13, v14
	s_delay_alu instid0(VALU_DEP_2) | instskip(NEXT) | instid1(VALU_DEP_2)
	v_dual_sub_f32 v15, v14, v15 :: v_dual_sub_f32 v100, v100, v101
	v_sub_f32_e32 v102, v17, v13
	s_delay_alu instid0(VALU_DEP_1) | instskip(NEXT) | instid1(VALU_DEP_1)
	v_dual_sub_f32 v12, v12, v15 :: v_dual_sub_f32 v103, v17, v102
	v_dual_sub_f32 v14, v14, v102 :: v_dual_add_f32 v15, v100, v12
	s_delay_alu instid0(VALU_DEP_2) | instskip(NEXT) | instid1(VALU_DEP_1)
	v_sub_f32_e32 v13, v13, v103
	v_dual_add_f32 v13, v14, v13 :: v_dual_sub_f32 v14, v15, v100
	s_delay_alu instid0(VALU_DEP_1) | instskip(NEXT) | instid1(VALU_DEP_2)
	v_add_f32_e32 v13, v15, v13
	v_sub_f32_e32 v15, v15, v14
	s_delay_alu instid0(VALU_DEP_2) | instskip(NEXT) | instid1(VALU_DEP_1)
	v_dual_sub_f32 v12, v12, v14 :: v_dual_add_f32 v101, v17, v13
	v_dual_sub_f32 v15, v100, v15 :: v_dual_sub_f32 v14, v101, v17
	s_delay_alu instid0(VALU_DEP_1) | instskip(NEXT) | instid1(VALU_DEP_1)
	v_dual_add_f32 v12, v12, v15 :: v_dual_sub_f32 v13, v13, v14
	v_add_f32_e32 v12, v12, v13
	s_delay_alu instid0(VALU_DEP_1) | instskip(NEXT) | instid1(VALU_DEP_1)
	v_add_f32_e32 v12, v101, v12
	v_cndmask_b32_e32 v100, v12, v8, vcc_lo
.LBB86_96:                              ;   in Loop: Header=BB86_12 Depth=1
	s_or_b32 exec_lo, exec_lo, s29
	v_lshrrev_b32_e32 v8, 16, v9
	s_delay_alu instid0(VALU_DEP_1) | instskip(NEXT) | instid1(VALU_DEP_1)
	v_cvt_f32_f16_e32 v8, v8
	v_add_f32_e32 v101, s66, v8
	s_delay_alu instid0(VALU_DEP_1) | instskip(SKIP_1) | instid1(SALU_CYCLE_1)
	v_cmp_ge_f32_e32 vcc_lo, 0x41a00000, v101
	s_and_b32 s28, s79, vcc_lo
	s_and_saveexec_b32 s29, s28
	s_cbranch_execz .LBB86_98
; %bb.97:                               ;   in Loop: Header=BB86_12 Depth=1
	v_mul_f32_e32 v8, 0x3fb8aa3b, v101
	v_cmp_ngt_f32_e32 vcc_lo, 0xc2ce8ed0, v101
	s_delay_alu instid0(VALU_DEP_2) | instskip(SKIP_1) | instid1(VALU_DEP_2)
	v_rndne_f32_e32 v9, v8
	v_fma_f32 v12, 0x3fb8aa3b, v101, -v8
	v_sub_f32_e32 v8, v8, v9
	s_delay_alu instid0(VALU_DEP_2) | instskip(SKIP_1) | instid1(VALU_DEP_2)
	v_fmac_f32_e32 v12, 0x32a5705f, v101
	v_cvt_i32_f32_e32 v9, v9
	v_add_f32_e32 v8, v8, v12
	s_delay_alu instid0(VALU_DEP_1) | instskip(SKIP_2) | instid1(VALU_DEP_1)
	v_exp_f32_e32 v8, v8
	s_waitcnt_depctr 0xfff
	v_ldexp_f32 v8, v8, v9
	v_cndmask_b32_e32 v8, 0, v8, vcc_lo
	v_cmp_nlt_f32_e32 vcc_lo, 0x42b17218, v101
	s_delay_alu instid0(VALU_DEP_2) | instskip(NEXT) | instid1(VALU_DEP_1)
	v_cndmask_b32_e32 v12, 0x7f800000, v8, vcc_lo
	v_add_f32_e32 v13, 1.0, v12
	s_delay_alu instid0(VALU_DEP_1) | instskip(NEXT) | instid1(VALU_DEP_1)
	v_cvt_f64_f32_e32 v[8:9], v13
	v_frexp_exp_i32_f64_e32 v8, v[8:9]
	v_frexp_mant_f32_e32 v9, v13
	s_delay_alu instid0(VALU_DEP_1) | instskip(SKIP_1) | instid1(VALU_DEP_1)
	v_cmp_gt_f32_e32 vcc_lo, 0x3f2aaaab, v9
	v_add_f32_e32 v9, -1.0, v13
	v_sub_f32_e32 v15, v9, v13
	s_delay_alu instid0(VALU_DEP_1) | instskip(SKIP_1) | instid1(VALU_DEP_1)
	v_add_f32_e32 v15, 1.0, v15
	v_subrev_co_ci_u32_e32 v8, vcc_lo, 0, v8, vcc_lo
	v_sub_nc_u32_e32 v14, 0, v8
	v_cvt_f32_i32_e32 v8, v8
	s_delay_alu instid0(VALU_DEP_2) | instskip(NEXT) | instid1(VALU_DEP_1)
	v_ldexp_f32 v13, v13, v14
	v_add_f32_e32 v17, 1.0, v13
	v_sub_f32_e32 v9, v12, v9
	v_cmp_eq_f32_e32 vcc_lo, 0x7f800000, v12
	v_cmp_gt_f32_e64 s28, 0x33800000, v12
	s_delay_alu instid0(VALU_DEP_3) | instskip(NEXT) | instid1(VALU_DEP_2)
	v_add_f32_e32 v9, v9, v15
	s_or_b32 vcc_lo, s28, vcc_lo
	s_delay_alu instid0(VALU_DEP_1) | instskip(SKIP_2) | instid1(VALU_DEP_1)
	v_ldexp_f32 v9, v9, v14
	v_add_f32_e32 v14, -1.0, v13
	v_add_f32_e32 v15, -1.0, v17
	v_sub_f32_e32 v15, v13, v15
	s_delay_alu instid0(VALU_DEP_3) | instskip(NEXT) | instid1(VALU_DEP_2)
	v_add_f32_e32 v101, 1.0, v14
	v_add_f32_e32 v15, v9, v15
	s_delay_alu instid0(VALU_DEP_2) | instskip(NEXT) | instid1(VALU_DEP_2)
	v_sub_f32_e32 v13, v13, v101
	v_add_f32_e32 v101, v17, v15
	s_delay_alu instid0(VALU_DEP_2) | instskip(NEXT) | instid1(VALU_DEP_2)
	v_add_f32_e32 v9, v9, v13
	v_rcp_f32_e32 v13, v101
	s_delay_alu instid0(VALU_DEP_1) | instskip(NEXT) | instid1(VALU_DEP_1)
	v_add_f32_e32 v102, v14, v9
	v_dual_sub_f32 v17, v17, v101 :: v_dual_sub_f32 v14, v14, v102
	s_delay_alu instid0(VALU_DEP_1) | instskip(SKIP_2) | instid1(VALU_DEP_1)
	v_add_f32_e32 v15, v15, v17
	s_waitcnt_depctr 0xfff
	v_mul_f32_e32 v103, v102, v13
	v_mul_f32_e32 v104, v101, v103
	s_delay_alu instid0(VALU_DEP_1) | instskip(NEXT) | instid1(VALU_DEP_1)
	v_fma_f32 v17, v103, v101, -v104
	v_fmac_f32_e32 v17, v103, v15
	v_add_f32_e32 v9, v9, v14
	s_delay_alu instid0(VALU_DEP_2) | instskip(NEXT) | instid1(VALU_DEP_1)
	v_add_f32_e32 v105, v104, v17
	v_sub_f32_e32 v106, v102, v105
	v_sub_f32_e32 v14, v105, v104
	s_delay_alu instid0(VALU_DEP_2) | instskip(NEXT) | instid1(VALU_DEP_2)
	v_sub_f32_e32 v102, v102, v106
	v_sub_f32_e32 v14, v14, v17
	s_delay_alu instid0(VALU_DEP_2) | instskip(NEXT) | instid1(VALU_DEP_1)
	v_sub_f32_e32 v102, v102, v105
	v_add_f32_e32 v9, v9, v102
	s_delay_alu instid0(VALU_DEP_1) | instskip(NEXT) | instid1(VALU_DEP_1)
	v_add_f32_e32 v9, v14, v9
	v_add_f32_e32 v14, v106, v9
	s_delay_alu instid0(VALU_DEP_1) | instskip(NEXT) | instid1(VALU_DEP_1)
	v_mul_f32_e32 v17, v13, v14
	v_dual_sub_f32 v105, v106, v14 :: v_dual_mul_f32 v102, v101, v17
	s_delay_alu instid0(VALU_DEP_1) | instskip(NEXT) | instid1(VALU_DEP_2)
	v_add_f32_e32 v9, v9, v105
	v_fma_f32 v101, v17, v101, -v102
	s_delay_alu instid0(VALU_DEP_1) | instskip(NEXT) | instid1(VALU_DEP_1)
	v_fmac_f32_e32 v101, v17, v15
	v_add_f32_e32 v15, v102, v101
	s_delay_alu instid0(VALU_DEP_1) | instskip(SKIP_1) | instid1(VALU_DEP_2)
	v_sub_f32_e32 v104, v14, v15
	v_sub_f32_e32 v102, v15, v102
	;; [unrolled: 1-line block ×3, first 2 shown]
	s_delay_alu instid0(VALU_DEP_1) | instskip(NEXT) | instid1(VALU_DEP_1)
	v_sub_f32_e32 v14, v14, v15
	v_dual_add_f32 v9, v9, v14 :: v_dual_add_f32 v14, v103, v17
	s_delay_alu instid0(VALU_DEP_4) | instskip(NEXT) | instid1(VALU_DEP_1)
	v_sub_f32_e32 v15, v102, v101
	v_add_f32_e32 v9, v15, v9
	s_delay_alu instid0(VALU_DEP_3) | instskip(NEXT) | instid1(VALU_DEP_2)
	v_sub_f32_e32 v15, v14, v103
	v_add_f32_e32 v9, v104, v9
	s_delay_alu instid0(VALU_DEP_2) | instskip(NEXT) | instid1(VALU_DEP_2)
	v_sub_f32_e32 v15, v17, v15
	v_mul_f32_e32 v9, v13, v9
	s_delay_alu instid0(VALU_DEP_1) | instskip(NEXT) | instid1(VALU_DEP_1)
	v_add_f32_e32 v9, v15, v9
	v_add_f32_e32 v13, v14, v9
	s_delay_alu instid0(VALU_DEP_1) | instskip(NEXT) | instid1(VALU_DEP_1)
	v_mul_f32_e32 v15, v13, v13
	v_fmaak_f32 v17, s83, v15, 0x3ecc95a3
	v_mul_f32_e32 v101, v13, v15
	s_delay_alu instid0(VALU_DEP_2) | instskip(SKIP_2) | instid1(VALU_DEP_3)
	v_fmaak_f32 v15, v15, v17, 0x3f2aaada
	v_ldexp_f32 v17, v13, 1
	v_sub_f32_e32 v13, v13, v14
	v_mul_f32_e32 v15, v101, v15
	v_mul_f32_e32 v101, 0x3f317218, v8
	s_delay_alu instid0(VALU_DEP_3) | instskip(NEXT) | instid1(VALU_DEP_3)
	v_sub_f32_e32 v9, v9, v13
	v_add_f32_e32 v14, v17, v15
	s_delay_alu instid0(VALU_DEP_2) | instskip(NEXT) | instid1(VALU_DEP_2)
	v_ldexp_f32 v9, v9, 1
	v_sub_f32_e32 v13, v14, v17
	v_fma_f32 v17, 0x3f317218, v8, -v101
	s_delay_alu instid0(VALU_DEP_2) | instskip(NEXT) | instid1(VALU_DEP_1)
	v_sub_f32_e32 v13, v15, v13
	v_dual_fmac_f32 v17, 0xb102e308, v8 :: v_dual_add_f32 v8, v9, v13
	s_delay_alu instid0(VALU_DEP_1) | instskip(NEXT) | instid1(VALU_DEP_2)
	v_add_f32_e32 v9, v101, v17
	v_add_f32_e32 v13, v14, v8
	s_delay_alu instid0(VALU_DEP_2) | instskip(NEXT) | instid1(VALU_DEP_2)
	v_sub_f32_e32 v101, v9, v101
	v_add_f32_e32 v15, v9, v13
	v_sub_f32_e32 v14, v13, v14
	s_delay_alu instid0(VALU_DEP_3) | instskip(NEXT) | instid1(VALU_DEP_3)
	v_sub_f32_e32 v17, v17, v101
	v_sub_f32_e32 v102, v15, v9
	s_delay_alu instid0(VALU_DEP_3) | instskip(NEXT) | instid1(VALU_DEP_2)
	v_sub_f32_e32 v8, v8, v14
	v_sub_f32_e32 v103, v15, v102
	;; [unrolled: 1-line block ×3, first 2 shown]
	s_delay_alu instid0(VALU_DEP_3) | instskip(NEXT) | instid1(VALU_DEP_3)
	v_add_f32_e32 v14, v17, v8
	v_sub_f32_e32 v9, v9, v103
	s_delay_alu instid0(VALU_DEP_1) | instskip(NEXT) | instid1(VALU_DEP_3)
	v_add_f32_e32 v9, v13, v9
	v_sub_f32_e32 v13, v14, v17
	s_delay_alu instid0(VALU_DEP_2) | instskip(NEXT) | instid1(VALU_DEP_2)
	v_add_f32_e32 v9, v14, v9
	v_sub_f32_e32 v14, v14, v13
	v_sub_f32_e32 v8, v8, v13
	s_delay_alu instid0(VALU_DEP_2) | instskip(NEXT) | instid1(VALU_DEP_1)
	v_dual_add_f32 v101, v15, v9 :: v_dual_sub_f32 v14, v17, v14
	v_dual_sub_f32 v13, v101, v15 :: v_dual_add_f32 v8, v8, v14
	s_delay_alu instid0(VALU_DEP_1) | instskip(NEXT) | instid1(VALU_DEP_1)
	v_sub_f32_e32 v9, v9, v13
	v_add_f32_e32 v8, v8, v9
	s_delay_alu instid0(VALU_DEP_1) | instskip(NEXT) | instid1(VALU_DEP_1)
	v_add_f32_e32 v8, v101, v8
	v_cndmask_b32_e32 v101, v8, v12, vcc_lo
.LBB86_98:                              ;   in Loop: Header=BB86_12 Depth=1
	s_or_b32 exec_lo, exec_lo, s29
	v_cvt_f32_f16_e32 v8, v10
	s_delay_alu instid0(VALU_DEP_1) | instskip(NEXT) | instid1(VALU_DEP_1)
	v_add_f32_e32 v102, s66, v8
	v_cmp_ge_f32_e32 vcc_lo, 0x41a00000, v102
	s_and_b32 s28, s79, vcc_lo
	s_delay_alu instid0(SALU_CYCLE_1)
	s_and_saveexec_b32 s29, s28
	s_cbranch_execz .LBB86_100
; %bb.99:                               ;   in Loop: Header=BB86_12 Depth=1
	v_mul_f32_e32 v8, 0x3fb8aa3b, v102
	v_cmp_ngt_f32_e32 vcc_lo, 0xc2ce8ed0, v102
	s_delay_alu instid0(VALU_DEP_2) | instskip(SKIP_1) | instid1(VALU_DEP_2)
	v_rndne_f32_e32 v9, v8
	v_fma_f32 v12, 0x3fb8aa3b, v102, -v8
	v_sub_f32_e32 v8, v8, v9
	s_delay_alu instid0(VALU_DEP_2) | instskip(SKIP_1) | instid1(VALU_DEP_2)
	v_fmac_f32_e32 v12, 0x32a5705f, v102
	v_cvt_i32_f32_e32 v9, v9
	v_add_f32_e32 v8, v8, v12
	s_delay_alu instid0(VALU_DEP_1) | instskip(SKIP_2) | instid1(VALU_DEP_1)
	v_exp_f32_e32 v8, v8
	s_waitcnt_depctr 0xfff
	v_ldexp_f32 v8, v8, v9
	v_cndmask_b32_e32 v8, 0, v8, vcc_lo
	v_cmp_nlt_f32_e32 vcc_lo, 0x42b17218, v102
	s_delay_alu instid0(VALU_DEP_2) | instskip(NEXT) | instid1(VALU_DEP_1)
	v_cndmask_b32_e32 v12, 0x7f800000, v8, vcc_lo
	v_add_f32_e32 v13, 1.0, v12
	s_delay_alu instid0(VALU_DEP_1) | instskip(NEXT) | instid1(VALU_DEP_1)
	v_cvt_f64_f32_e32 v[8:9], v13
	v_frexp_exp_i32_f64_e32 v8, v[8:9]
	v_frexp_mant_f32_e32 v9, v13
	s_delay_alu instid0(VALU_DEP_1) | instskip(SKIP_1) | instid1(VALU_DEP_1)
	v_cmp_gt_f32_e32 vcc_lo, 0x3f2aaaab, v9
	v_add_f32_e32 v9, -1.0, v13
	v_sub_f32_e32 v15, v9, v13
	s_delay_alu instid0(VALU_DEP_1) | instskip(SKIP_1) | instid1(VALU_DEP_1)
	v_add_f32_e32 v15, 1.0, v15
	v_subrev_co_ci_u32_e32 v8, vcc_lo, 0, v8, vcc_lo
	v_sub_nc_u32_e32 v14, 0, v8
	v_cvt_f32_i32_e32 v8, v8
	s_delay_alu instid0(VALU_DEP_2) | instskip(NEXT) | instid1(VALU_DEP_1)
	v_ldexp_f32 v13, v13, v14
	v_add_f32_e32 v17, 1.0, v13
	v_sub_f32_e32 v9, v12, v9
	v_cmp_eq_f32_e32 vcc_lo, 0x7f800000, v12
	v_cmp_gt_f32_e64 s28, 0x33800000, v12
	s_delay_alu instid0(VALU_DEP_3) | instskip(NEXT) | instid1(VALU_DEP_2)
	v_add_f32_e32 v9, v9, v15
	s_or_b32 vcc_lo, s28, vcc_lo
	s_delay_alu instid0(VALU_DEP_1) | instskip(SKIP_1) | instid1(VALU_DEP_1)
	v_ldexp_f32 v9, v9, v14
	v_add_f32_e32 v14, -1.0, v13
	v_dual_add_f32 v15, -1.0, v17 :: v_dual_add_f32 v102, 1.0, v14
	s_delay_alu instid0(VALU_DEP_1) | instskip(NEXT) | instid1(VALU_DEP_2)
	v_sub_f32_e32 v15, v13, v15
	v_sub_f32_e32 v13, v13, v102
	s_delay_alu instid0(VALU_DEP_2) | instskip(NEXT) | instid1(VALU_DEP_2)
	v_add_f32_e32 v15, v9, v15
	v_add_f32_e32 v9, v9, v13
	s_delay_alu instid0(VALU_DEP_1) | instskip(NEXT) | instid1(VALU_DEP_1)
	v_dual_add_f32 v102, v17, v15 :: v_dual_add_f32 v103, v14, v9
	v_rcp_f32_e32 v13, v102
	s_delay_alu instid0(VALU_DEP_1) | instskip(NEXT) | instid1(VALU_DEP_1)
	v_dual_sub_f32 v17, v17, v102 :: v_dual_sub_f32 v14, v14, v103
	v_add_f32_e32 v15, v15, v17
	s_waitcnt_depctr 0xfff
	v_dual_add_f32 v9, v9, v14 :: v_dual_mul_f32 v104, v103, v13
	s_delay_alu instid0(VALU_DEP_1) | instskip(NEXT) | instid1(VALU_DEP_1)
	v_mul_f32_e32 v105, v102, v104
	v_fma_f32 v17, v104, v102, -v105
	s_delay_alu instid0(VALU_DEP_1) | instskip(NEXT) | instid1(VALU_DEP_1)
	v_fmac_f32_e32 v17, v104, v15
	v_add_f32_e32 v106, v105, v17
	s_delay_alu instid0(VALU_DEP_1) | instskip(NEXT) | instid1(VALU_DEP_1)
	v_sub_f32_e32 v107, v103, v106
	v_dual_sub_f32 v103, v103, v107 :: v_dual_sub_f32 v14, v106, v105
	s_delay_alu instid0(VALU_DEP_1) | instskip(NEXT) | instid1(VALU_DEP_1)
	v_dual_sub_f32 v103, v103, v106 :: v_dual_sub_f32 v14, v14, v17
	v_add_f32_e32 v9, v9, v103
	s_delay_alu instid0(VALU_DEP_1) | instskip(NEXT) | instid1(VALU_DEP_1)
	v_add_f32_e32 v9, v14, v9
	v_add_f32_e32 v14, v107, v9
	s_delay_alu instid0(VALU_DEP_1) | instskip(NEXT) | instid1(VALU_DEP_1)
	v_mul_f32_e32 v17, v13, v14
	v_dual_sub_f32 v106, v107, v14 :: v_dual_mul_f32 v103, v102, v17
	s_delay_alu instid0(VALU_DEP_1) | instskip(NEXT) | instid1(VALU_DEP_2)
	v_add_f32_e32 v9, v9, v106
	v_fma_f32 v102, v17, v102, -v103
	s_delay_alu instid0(VALU_DEP_1) | instskip(NEXT) | instid1(VALU_DEP_1)
	v_fmac_f32_e32 v102, v17, v15
	v_add_f32_e32 v15, v103, v102
	s_delay_alu instid0(VALU_DEP_1) | instskip(NEXT) | instid1(VALU_DEP_1)
	v_sub_f32_e32 v105, v14, v15
	v_dual_sub_f32 v103, v15, v103 :: v_dual_sub_f32 v14, v14, v105
	s_delay_alu instid0(VALU_DEP_1) | instskip(NEXT) | instid1(VALU_DEP_1)
	v_dual_sub_f32 v14, v14, v15 :: v_dual_sub_f32 v15, v103, v102
	v_dual_add_f32 v9, v9, v14 :: v_dual_add_f32 v14, v104, v17
	s_delay_alu instid0(VALU_DEP_1) | instskip(NEXT) | instid1(VALU_DEP_2)
	v_add_f32_e32 v9, v15, v9
	v_sub_f32_e32 v15, v14, v104
	s_delay_alu instid0(VALU_DEP_2) | instskip(NEXT) | instid1(VALU_DEP_2)
	v_add_f32_e32 v9, v105, v9
	v_sub_f32_e32 v15, v17, v15
	s_delay_alu instid0(VALU_DEP_2) | instskip(NEXT) | instid1(VALU_DEP_1)
	v_mul_f32_e32 v9, v13, v9
	v_add_f32_e32 v9, v15, v9
	s_delay_alu instid0(VALU_DEP_1) | instskip(NEXT) | instid1(VALU_DEP_1)
	v_add_f32_e32 v13, v14, v9
	v_mul_f32_e32 v15, v13, v13
	s_delay_alu instid0(VALU_DEP_1) | instskip(NEXT) | instid1(VALU_DEP_1)
	v_fmaak_f32 v17, s83, v15, 0x3ecc95a3
	v_dual_mul_f32 v102, v13, v15 :: v_dual_fmaak_f32 v15, v15, v17, 0x3f2aaada
	v_ldexp_f32 v17, v13, 1
	v_sub_f32_e32 v13, v13, v14
	s_delay_alu instid0(VALU_DEP_3) | instskip(NEXT) | instid1(VALU_DEP_2)
	v_dual_mul_f32 v15, v102, v15 :: v_dual_mul_f32 v102, 0x3f317218, v8
	v_sub_f32_e32 v9, v9, v13
	s_delay_alu instid0(VALU_DEP_2) | instskip(NEXT) | instid1(VALU_DEP_2)
	v_add_f32_e32 v14, v17, v15
	v_ldexp_f32 v9, v9, 1
	s_delay_alu instid0(VALU_DEP_2) | instskip(SKIP_1) | instid1(VALU_DEP_2)
	v_sub_f32_e32 v13, v14, v17
	v_fma_f32 v17, 0x3f317218, v8, -v102
	v_sub_f32_e32 v13, v15, v13
	s_delay_alu instid0(VALU_DEP_1) | instskip(NEXT) | instid1(VALU_DEP_1)
	v_dual_fmac_f32 v17, 0xb102e308, v8 :: v_dual_add_f32 v8, v9, v13
	v_add_f32_e32 v9, v102, v17
	s_delay_alu instid0(VALU_DEP_1) | instskip(NEXT) | instid1(VALU_DEP_1)
	v_dual_add_f32 v13, v14, v8 :: v_dual_sub_f32 v102, v9, v102
	v_add_f32_e32 v15, v9, v13
	v_sub_f32_e32 v14, v13, v14
	s_delay_alu instid0(VALU_DEP_3) | instskip(NEXT) | instid1(VALU_DEP_2)
	v_sub_f32_e32 v17, v17, v102
	v_dual_sub_f32 v103, v15, v9 :: v_dual_sub_f32 v8, v8, v14
	s_delay_alu instid0(VALU_DEP_1) | instskip(SKIP_1) | instid1(VALU_DEP_3)
	v_sub_f32_e32 v104, v15, v103
	v_sub_f32_e32 v13, v13, v103
	v_add_f32_e32 v14, v17, v8
	s_delay_alu instid0(VALU_DEP_3) | instskip(NEXT) | instid1(VALU_DEP_1)
	v_sub_f32_e32 v9, v9, v104
	v_add_f32_e32 v9, v13, v9
	s_delay_alu instid0(VALU_DEP_3) | instskip(NEXT) | instid1(VALU_DEP_2)
	v_sub_f32_e32 v13, v14, v17
	v_add_f32_e32 v9, v14, v9
	s_delay_alu instid0(VALU_DEP_2) | instskip(SKIP_1) | instid1(VALU_DEP_3)
	v_sub_f32_e32 v14, v14, v13
	v_sub_f32_e32 v8, v8, v13
	v_add_f32_e32 v102, v15, v9
	s_delay_alu instid0(VALU_DEP_1) | instskip(NEXT) | instid1(VALU_DEP_1)
	v_dual_sub_f32 v14, v17, v14 :: v_dual_sub_f32 v13, v102, v15
	v_dual_add_f32 v8, v8, v14 :: v_dual_sub_f32 v9, v9, v13
	s_delay_alu instid0(VALU_DEP_1) | instskip(NEXT) | instid1(VALU_DEP_1)
	v_add_f32_e32 v8, v8, v9
	v_add_f32_e32 v8, v102, v8
	s_delay_alu instid0(VALU_DEP_1)
	v_cndmask_b32_e32 v102, v8, v12, vcc_lo
.LBB86_100:                             ;   in Loop: Header=BB86_12 Depth=1
	s_or_b32 exec_lo, exec_lo, s29
	v_lshrrev_b32_e32 v8, 16, v10
	s_delay_alu instid0(VALU_DEP_1) | instskip(NEXT) | instid1(VALU_DEP_1)
	v_cvt_f32_f16_e32 v8, v8
	v_add_f32_e32 v103, s66, v8
	s_delay_alu instid0(VALU_DEP_1) | instskip(SKIP_1) | instid1(SALU_CYCLE_1)
	v_cmp_ge_f32_e32 vcc_lo, 0x41a00000, v103
	s_and_b32 s28, s79, vcc_lo
	s_and_saveexec_b32 s29, s28
	s_cbranch_execz .LBB86_102
; %bb.101:                              ;   in Loop: Header=BB86_12 Depth=1
	v_mul_f32_e32 v8, 0x3fb8aa3b, v103
	v_cmp_ngt_f32_e32 vcc_lo, 0xc2ce8ed0, v103
	s_delay_alu instid0(VALU_DEP_2) | instskip(SKIP_1) | instid1(VALU_DEP_2)
	v_rndne_f32_e32 v9, v8
	v_fma_f32 v10, 0x3fb8aa3b, v103, -v8
	v_sub_f32_e32 v8, v8, v9
	s_delay_alu instid0(VALU_DEP_2) | instskip(SKIP_1) | instid1(VALU_DEP_2)
	v_fmac_f32_e32 v10, 0x32a5705f, v103
	v_cvt_i32_f32_e32 v9, v9
	v_add_f32_e32 v8, v8, v10
	s_delay_alu instid0(VALU_DEP_1) | instskip(SKIP_2) | instid1(VALU_DEP_1)
	v_exp_f32_e32 v8, v8
	s_waitcnt_depctr 0xfff
	v_ldexp_f32 v8, v8, v9
	v_cndmask_b32_e32 v8, 0, v8, vcc_lo
	v_cmp_nlt_f32_e32 vcc_lo, 0x42b17218, v103
	s_delay_alu instid0(VALU_DEP_2) | instskip(NEXT) | instid1(VALU_DEP_1)
	v_cndmask_b32_e32 v10, 0x7f800000, v8, vcc_lo
	v_add_f32_e32 v12, 1.0, v10
	s_delay_alu instid0(VALU_DEP_1) | instskip(NEXT) | instid1(VALU_DEP_1)
	v_cvt_f64_f32_e32 v[8:9], v12
	v_frexp_exp_i32_f64_e32 v8, v[8:9]
	v_frexp_mant_f32_e32 v9, v12
	s_delay_alu instid0(VALU_DEP_1) | instskip(SKIP_1) | instid1(VALU_DEP_1)
	v_cmp_gt_f32_e32 vcc_lo, 0x3f2aaaab, v9
	v_add_f32_e32 v9, -1.0, v12
	v_dual_sub_f32 v14, v9, v12 :: v_dual_sub_f32 v9, v10, v9
	v_subrev_co_ci_u32_e32 v8, vcc_lo, 0, v8, vcc_lo
	s_delay_alu instid0(VALU_DEP_1) | instskip(SKIP_1) | instid1(VALU_DEP_2)
	v_sub_nc_u32_e32 v13, 0, v8
	v_cvt_f32_i32_e32 v8, v8
	v_ldexp_f32 v12, v12, v13
	s_delay_alu instid0(VALU_DEP_1) | instskip(NEXT) | instid1(VALU_DEP_1)
	v_dual_add_f32 v14, 1.0, v14 :: v_dual_add_f32 v15, 1.0, v12
	v_add_f32_e32 v9, v9, v14
	s_delay_alu instid0(VALU_DEP_1) | instskip(NEXT) | instid1(VALU_DEP_3)
	v_ldexp_f32 v9, v9, v13
	v_dual_add_f32 v13, -1.0, v12 :: v_dual_add_f32 v14, -1.0, v15
	s_delay_alu instid0(VALU_DEP_1) | instskip(NEXT) | instid1(VALU_DEP_1)
	v_dual_add_f32 v17, 1.0, v13 :: v_dual_sub_f32 v14, v12, v14
	v_sub_f32_e32 v12, v12, v17
	s_delay_alu instid0(VALU_DEP_2) | instskip(NEXT) | instid1(VALU_DEP_2)
	v_add_f32_e32 v14, v9, v14
	v_add_f32_e32 v9, v9, v12
	s_delay_alu instid0(VALU_DEP_2) | instskip(SKIP_2) | instid1(VALU_DEP_4)
	v_add_f32_e32 v17, v15, v14
	v_cmp_eq_f32_e32 vcc_lo, 0x7f800000, v10
	v_cmp_gt_f32_e64 s28, 0x33800000, v10
	v_add_f32_e32 v103, v13, v9
	s_delay_alu instid0(VALU_DEP_4) | instskip(SKIP_1) | instid1(VALU_DEP_3)
	v_rcp_f32_e32 v12, v17
	v_sub_f32_e32 v15, v15, v17
	s_or_b32 vcc_lo, s28, vcc_lo
	s_delay_alu instid0(VALU_DEP_2) | instskip(NEXT) | instid1(VALU_DEP_1)
	v_sub_f32_e32 v13, v13, v103
	v_dual_add_f32 v14, v14, v15 :: v_dual_add_f32 v9, v9, v13
	s_waitcnt_depctr 0xfff
	v_mul_f32_e32 v104, v103, v12
	s_delay_alu instid0(VALU_DEP_1) | instskip(NEXT) | instid1(VALU_DEP_1)
	v_mul_f32_e32 v105, v17, v104
	v_fma_f32 v15, v104, v17, -v105
	s_delay_alu instid0(VALU_DEP_1) | instskip(NEXT) | instid1(VALU_DEP_1)
	v_fmac_f32_e32 v15, v104, v14
	v_add_f32_e32 v106, v105, v15
	s_delay_alu instid0(VALU_DEP_1) | instskip(SKIP_1) | instid1(VALU_DEP_2)
	v_sub_f32_e32 v107, v103, v106
	v_sub_f32_e32 v13, v106, v105
	;; [unrolled: 1-line block ×3, first 2 shown]
	s_delay_alu instid0(VALU_DEP_2) | instskip(NEXT) | instid1(VALU_DEP_2)
	v_sub_f32_e32 v13, v13, v15
	v_sub_f32_e32 v103, v103, v106
	s_delay_alu instid0(VALU_DEP_1) | instskip(NEXT) | instid1(VALU_DEP_1)
	v_add_f32_e32 v9, v9, v103
	v_add_f32_e32 v9, v13, v9
	s_delay_alu instid0(VALU_DEP_1) | instskip(NEXT) | instid1(VALU_DEP_1)
	v_add_f32_e32 v13, v107, v9
	v_mul_f32_e32 v15, v12, v13
	s_delay_alu instid0(VALU_DEP_1) | instskip(NEXT) | instid1(VALU_DEP_1)
	v_dual_sub_f32 v106, v107, v13 :: v_dual_mul_f32 v103, v17, v15
	v_add_f32_e32 v9, v9, v106
	s_delay_alu instid0(VALU_DEP_2) | instskip(NEXT) | instid1(VALU_DEP_1)
	v_fma_f32 v17, v15, v17, -v103
	v_fmac_f32_e32 v17, v15, v14
	s_delay_alu instid0(VALU_DEP_1) | instskip(NEXT) | instid1(VALU_DEP_1)
	v_add_f32_e32 v14, v103, v17
	v_sub_f32_e32 v105, v13, v14
	v_sub_f32_e32 v103, v14, v103
	s_delay_alu instid0(VALU_DEP_2) | instskip(NEXT) | instid1(VALU_DEP_1)
	v_sub_f32_e32 v13, v13, v105
	v_dual_sub_f32 v13, v13, v14 :: v_dual_sub_f32 v14, v103, v17
	s_delay_alu instid0(VALU_DEP_1) | instskip(SKIP_1) | instid1(VALU_DEP_1)
	v_add_f32_e32 v9, v9, v13
	v_add_f32_e32 v13, v104, v15
	v_dual_add_f32 v9, v14, v9 :: v_dual_sub_f32 v14, v13, v104
	s_delay_alu instid0(VALU_DEP_1) | instskip(NEXT) | instid1(VALU_DEP_1)
	v_dual_add_f32 v9, v105, v9 :: v_dual_sub_f32 v14, v15, v14
	v_mul_f32_e32 v9, v12, v9
	s_delay_alu instid0(VALU_DEP_1) | instskip(NEXT) | instid1(VALU_DEP_1)
	v_add_f32_e32 v9, v14, v9
	v_add_f32_e32 v12, v13, v9
	s_delay_alu instid0(VALU_DEP_1) | instskip(NEXT) | instid1(VALU_DEP_1)
	v_mul_f32_e32 v14, v12, v12
	v_fmaak_f32 v15, s83, v14, 0x3ecc95a3
	s_delay_alu instid0(VALU_DEP_1) | instskip(SKIP_2) | instid1(VALU_DEP_3)
	v_dual_mul_f32 v17, v12, v14 :: v_dual_fmaak_f32 v14, v14, v15, 0x3f2aaada
	v_ldexp_f32 v15, v12, 1
	v_sub_f32_e32 v12, v12, v13
	v_dual_mul_f32 v14, v17, v14 :: v_dual_mul_f32 v17, 0x3f317218, v8
	s_delay_alu instid0(VALU_DEP_2) | instskip(NEXT) | instid1(VALU_DEP_2)
	v_sub_f32_e32 v9, v9, v12
	v_add_f32_e32 v13, v15, v14
	s_delay_alu instid0(VALU_DEP_2) | instskip(NEXT) | instid1(VALU_DEP_2)
	v_ldexp_f32 v9, v9, 1
	v_sub_f32_e32 v12, v13, v15
	v_fma_f32 v15, 0x3f317218, v8, -v17
	s_delay_alu instid0(VALU_DEP_2) | instskip(NEXT) | instid1(VALU_DEP_2)
	v_sub_f32_e32 v12, v14, v12
	v_fmac_f32_e32 v15, 0xb102e308, v8
	s_delay_alu instid0(VALU_DEP_2) | instskip(NEXT) | instid1(VALU_DEP_2)
	v_add_f32_e32 v8, v9, v12
	v_add_f32_e32 v9, v17, v15
	s_delay_alu instid0(VALU_DEP_2) | instskip(NEXT) | instid1(VALU_DEP_2)
	v_add_f32_e32 v12, v13, v8
	v_sub_f32_e32 v17, v9, v17
	s_delay_alu instid0(VALU_DEP_2) | instskip(NEXT) | instid1(VALU_DEP_2)
	v_dual_add_f32 v14, v9, v12 :: v_dual_sub_f32 v13, v12, v13
	v_sub_f32_e32 v15, v15, v17
	s_delay_alu instid0(VALU_DEP_2) | instskip(NEXT) | instid1(VALU_DEP_3)
	v_sub_f32_e32 v103, v14, v9
	v_sub_f32_e32 v8, v8, v13
	s_delay_alu instid0(VALU_DEP_2) | instskip(NEXT) | instid1(VALU_DEP_2)
	v_sub_f32_e32 v104, v14, v103
	v_dual_sub_f32 v12, v12, v103 :: v_dual_add_f32 v13, v15, v8
	s_delay_alu instid0(VALU_DEP_2) | instskip(NEXT) | instid1(VALU_DEP_1)
	v_sub_f32_e32 v9, v9, v104
	v_dual_add_f32 v9, v12, v9 :: v_dual_sub_f32 v12, v13, v15
	s_delay_alu instid0(VALU_DEP_1) | instskip(NEXT) | instid1(VALU_DEP_2)
	v_add_f32_e32 v9, v13, v9
	v_sub_f32_e32 v13, v13, v12
	s_delay_alu instid0(VALU_DEP_2) | instskip(NEXT) | instid1(VALU_DEP_1)
	v_dual_sub_f32 v8, v8, v12 :: v_dual_add_f32 v17, v14, v9
	v_dual_sub_f32 v13, v15, v13 :: v_dual_sub_f32 v12, v17, v14
	s_delay_alu instid0(VALU_DEP_1) | instskip(NEXT) | instid1(VALU_DEP_1)
	v_dual_add_f32 v8, v8, v13 :: v_dual_sub_f32 v9, v9, v12
	v_add_f32_e32 v8, v8, v9
	s_delay_alu instid0(VALU_DEP_1) | instskip(NEXT) | instid1(VALU_DEP_1)
	v_add_f32_e32 v8, v17, v8
	v_cndmask_b32_e32 v103, v8, v10, vcc_lo
.LBB86_102:                             ;   in Loop: Header=BB86_12 Depth=1
	s_or_b32 exec_lo, exec_lo, s29
	v_cvt_f32_f16_e32 v8, v11
	s_delay_alu instid0(VALU_DEP_1) | instskip(NEXT) | instid1(VALU_DEP_1)
	v_add_f32_e32 v104, s66, v8
	v_cmp_ge_f32_e32 vcc_lo, 0x41a00000, v104
	s_and_b32 s28, s79, vcc_lo
	s_delay_alu instid0(SALU_CYCLE_1)
	s_and_saveexec_b32 s29, s28
	s_cbranch_execz .LBB86_104
; %bb.103:                              ;   in Loop: Header=BB86_12 Depth=1
	v_mul_f32_e32 v8, 0x3fb8aa3b, v104
	v_cmp_ngt_f32_e32 vcc_lo, 0xc2ce8ed0, v104
	s_delay_alu instid0(VALU_DEP_2) | instskip(SKIP_1) | instid1(VALU_DEP_2)
	v_rndne_f32_e32 v9, v8
	v_fma_f32 v10, 0x3fb8aa3b, v104, -v8
	v_sub_f32_e32 v8, v8, v9
	s_delay_alu instid0(VALU_DEP_2) | instskip(SKIP_1) | instid1(VALU_DEP_2)
	v_fmac_f32_e32 v10, 0x32a5705f, v104
	v_cvt_i32_f32_e32 v9, v9
	v_add_f32_e32 v8, v8, v10
	s_delay_alu instid0(VALU_DEP_1) | instskip(SKIP_2) | instid1(VALU_DEP_1)
	v_exp_f32_e32 v8, v8
	s_waitcnt_depctr 0xfff
	v_ldexp_f32 v8, v8, v9
	v_cndmask_b32_e32 v8, 0, v8, vcc_lo
	v_cmp_nlt_f32_e32 vcc_lo, 0x42b17218, v104
	s_delay_alu instid0(VALU_DEP_2) | instskip(NEXT) | instid1(VALU_DEP_1)
	v_cndmask_b32_e32 v10, 0x7f800000, v8, vcc_lo
	v_add_f32_e32 v12, 1.0, v10
	s_delay_alu instid0(VALU_DEP_1) | instskip(NEXT) | instid1(VALU_DEP_1)
	v_cvt_f64_f32_e32 v[8:9], v12
	v_frexp_exp_i32_f64_e32 v8, v[8:9]
	v_frexp_mant_f32_e32 v9, v12
	s_delay_alu instid0(VALU_DEP_1) | instskip(SKIP_1) | instid1(VALU_DEP_1)
	v_cmp_gt_f32_e32 vcc_lo, 0x3f2aaaab, v9
	v_add_f32_e32 v9, -1.0, v12
	v_dual_sub_f32 v14, v9, v12 :: v_dual_sub_f32 v9, v10, v9
	v_subrev_co_ci_u32_e32 v8, vcc_lo, 0, v8, vcc_lo
	s_delay_alu instid0(VALU_DEP_1) | instskip(SKIP_1) | instid1(VALU_DEP_2)
	v_sub_nc_u32_e32 v13, 0, v8
	v_cvt_f32_i32_e32 v8, v8
	v_ldexp_f32 v12, v12, v13
	s_delay_alu instid0(VALU_DEP_1) | instskip(NEXT) | instid1(VALU_DEP_1)
	v_dual_add_f32 v14, 1.0, v14 :: v_dual_add_f32 v15, 1.0, v12
	v_add_f32_e32 v9, v9, v14
	s_delay_alu instid0(VALU_DEP_1) | instskip(NEXT) | instid1(VALU_DEP_3)
	v_ldexp_f32 v9, v9, v13
	v_dual_add_f32 v13, -1.0, v12 :: v_dual_add_f32 v14, -1.0, v15
	s_delay_alu instid0(VALU_DEP_1) | instskip(NEXT) | instid1(VALU_DEP_1)
	v_dual_add_f32 v17, 1.0, v13 :: v_dual_sub_f32 v14, v12, v14
	v_sub_f32_e32 v12, v12, v17
	s_delay_alu instid0(VALU_DEP_2) | instskip(NEXT) | instid1(VALU_DEP_2)
	v_add_f32_e32 v14, v9, v14
	v_add_f32_e32 v9, v9, v12
	s_delay_alu instid0(VALU_DEP_2) | instskip(SKIP_2) | instid1(VALU_DEP_4)
	v_add_f32_e32 v17, v15, v14
	v_cmp_eq_f32_e32 vcc_lo, 0x7f800000, v10
	v_cmp_gt_f32_e64 s28, 0x33800000, v10
	v_add_f32_e32 v104, v13, v9
	s_delay_alu instid0(VALU_DEP_4) | instskip(SKIP_1) | instid1(VALU_DEP_3)
	v_rcp_f32_e32 v12, v17
	v_sub_f32_e32 v15, v15, v17
	s_or_b32 vcc_lo, s28, vcc_lo
	s_delay_alu instid0(VALU_DEP_2) | instskip(NEXT) | instid1(VALU_DEP_1)
	v_sub_f32_e32 v13, v13, v104
	v_add_f32_e32 v9, v9, v13
	s_waitcnt_depctr 0xfff
	v_dual_mul_f32 v105, v104, v12 :: v_dual_add_f32 v14, v14, v15
	s_delay_alu instid0(VALU_DEP_1) | instskip(NEXT) | instid1(VALU_DEP_1)
	v_mul_f32_e32 v106, v17, v105
	v_fma_f32 v15, v105, v17, -v106
	s_delay_alu instid0(VALU_DEP_1) | instskip(NEXT) | instid1(VALU_DEP_1)
	v_fmac_f32_e32 v15, v105, v14
	v_add_f32_e32 v107, v106, v15
	s_delay_alu instid0(VALU_DEP_1) | instskip(NEXT) | instid1(VALU_DEP_1)
	v_dual_sub_f32 v13, v107, v106 :: v_dual_sub_f32 v108, v104, v107
	v_dual_sub_f32 v13, v13, v15 :: v_dual_sub_f32 v104, v104, v108
	s_delay_alu instid0(VALU_DEP_1) | instskip(NEXT) | instid1(VALU_DEP_1)
	v_sub_f32_e32 v104, v104, v107
	v_add_f32_e32 v9, v9, v104
	s_delay_alu instid0(VALU_DEP_1) | instskip(NEXT) | instid1(VALU_DEP_1)
	v_add_f32_e32 v9, v13, v9
	v_add_f32_e32 v13, v108, v9
	s_delay_alu instid0(VALU_DEP_1) | instskip(NEXT) | instid1(VALU_DEP_1)
	v_mul_f32_e32 v15, v12, v13
	v_mul_f32_e32 v104, v17, v15
	s_delay_alu instid0(VALU_DEP_1) | instskip(NEXT) | instid1(VALU_DEP_1)
	v_fma_f32 v17, v15, v17, -v104
	v_fmac_f32_e32 v17, v15, v14
	s_delay_alu instid0(VALU_DEP_1) | instskip(NEXT) | instid1(VALU_DEP_1)
	v_add_f32_e32 v14, v104, v17
	v_dual_sub_f32 v107, v108, v13 :: v_dual_sub_f32 v106, v13, v14
	s_delay_alu instid0(VALU_DEP_1) | instskip(NEXT) | instid1(VALU_DEP_2)
	v_dual_sub_f32 v13, v13, v106 :: v_dual_sub_f32 v104, v14, v104
	v_add_f32_e32 v9, v9, v107
	s_delay_alu instid0(VALU_DEP_2) | instskip(NEXT) | instid1(VALU_DEP_1)
	v_dual_sub_f32 v13, v13, v14 :: v_dual_sub_f32 v14, v104, v17
	v_add_f32_e32 v9, v9, v13
	v_add_f32_e32 v13, v105, v15
	s_delay_alu instid0(VALU_DEP_2) | instskip(NEXT) | instid1(VALU_DEP_2)
	v_add_f32_e32 v9, v14, v9
	v_sub_f32_e32 v14, v13, v105
	s_delay_alu instid0(VALU_DEP_1) | instskip(NEXT) | instid1(VALU_DEP_1)
	v_dual_add_f32 v9, v106, v9 :: v_dual_sub_f32 v14, v15, v14
	v_mul_f32_e32 v9, v12, v9
	s_delay_alu instid0(VALU_DEP_1) | instskip(NEXT) | instid1(VALU_DEP_1)
	v_add_f32_e32 v9, v14, v9
	v_add_f32_e32 v12, v13, v9
	s_delay_alu instid0(VALU_DEP_1) | instskip(NEXT) | instid1(VALU_DEP_1)
	v_mul_f32_e32 v14, v12, v12
	v_fmaak_f32 v15, s83, v14, 0x3ecc95a3
	s_delay_alu instid0(VALU_DEP_1) | instskip(SKIP_1) | instid1(VALU_DEP_2)
	v_dual_mul_f32 v17, v12, v14 :: v_dual_fmaak_f32 v14, v14, v15, 0x3f2aaada
	v_ldexp_f32 v15, v12, 1
	v_mul_f32_e32 v14, v17, v14
	v_dual_sub_f32 v12, v12, v13 :: v_dual_mul_f32 v17, 0x3f317218, v8
	s_delay_alu instid0(VALU_DEP_2) | instskip(NEXT) | instid1(VALU_DEP_2)
	v_add_f32_e32 v13, v15, v14
	v_sub_f32_e32 v9, v9, v12
	s_delay_alu instid0(VALU_DEP_2) | instskip(NEXT) | instid1(VALU_DEP_4)
	v_sub_f32_e32 v12, v13, v15
	v_fma_f32 v15, 0x3f317218, v8, -v17
	s_delay_alu instid0(VALU_DEP_3) | instskip(NEXT) | instid1(VALU_DEP_3)
	v_ldexp_f32 v9, v9, 1
	v_sub_f32_e32 v12, v14, v12
	s_delay_alu instid0(VALU_DEP_3) | instskip(NEXT) | instid1(VALU_DEP_2)
	v_fmac_f32_e32 v15, 0xb102e308, v8
	v_add_f32_e32 v8, v9, v12
	s_delay_alu instid0(VALU_DEP_1) | instskip(NEXT) | instid1(VALU_DEP_3)
	v_add_f32_e32 v12, v13, v8
	v_add_f32_e32 v9, v17, v15
	s_delay_alu instid0(VALU_DEP_1) | instskip(NEXT) | instid1(VALU_DEP_1)
	v_dual_sub_f32 v13, v12, v13 :: v_dual_add_f32 v14, v9, v12
	v_sub_f32_e32 v8, v8, v13
	s_delay_alu instid0(VALU_DEP_2) | instskip(NEXT) | instid1(VALU_DEP_1)
	v_sub_f32_e32 v104, v14, v9
	v_dual_sub_f32 v12, v12, v104 :: v_dual_sub_f32 v17, v9, v17
	s_delay_alu instid0(VALU_DEP_1) | instskip(NEXT) | instid1(VALU_DEP_1)
	v_sub_f32_e32 v15, v15, v17
	v_add_f32_e32 v13, v15, v8
	v_sub_f32_e32 v105, v14, v104
	s_delay_alu instid0(VALU_DEP_1) | instskip(NEXT) | instid1(VALU_DEP_1)
	v_sub_f32_e32 v9, v9, v105
	v_dual_add_f32 v9, v12, v9 :: v_dual_sub_f32 v12, v13, v15
	s_delay_alu instid0(VALU_DEP_1) | instskip(NEXT) | instid1(VALU_DEP_2)
	v_add_f32_e32 v9, v13, v9
	v_sub_f32_e32 v13, v13, v12
	s_delay_alu instid0(VALU_DEP_2) | instskip(NEXT) | instid1(VALU_DEP_1)
	v_dual_sub_f32 v8, v8, v12 :: v_dual_add_f32 v17, v14, v9
	v_dual_sub_f32 v12, v17, v14 :: v_dual_sub_f32 v13, v15, v13
	s_delay_alu instid0(VALU_DEP_1) | instskip(NEXT) | instid1(VALU_DEP_1)
	v_dual_sub_f32 v9, v9, v12 :: v_dual_add_f32 v8, v8, v13
	v_add_f32_e32 v8, v8, v9
	s_delay_alu instid0(VALU_DEP_1) | instskip(NEXT) | instid1(VALU_DEP_1)
	v_add_f32_e32 v8, v17, v8
	v_cndmask_b32_e32 v104, v8, v10, vcc_lo
.LBB86_104:                             ;   in Loop: Header=BB86_12 Depth=1
	s_or_b32 exec_lo, exec_lo, s29
	v_lshrrev_b32_e32 v8, 16, v11
	s_delay_alu instid0(VALU_DEP_1) | instskip(NEXT) | instid1(VALU_DEP_1)
	v_cvt_f32_f16_e32 v8, v8
	v_add_f32_e32 v111, s66, v8
	s_delay_alu instid0(VALU_DEP_1) | instskip(SKIP_1) | instid1(SALU_CYCLE_1)
	v_cmp_ge_f32_e32 vcc_lo, 0x41a00000, v111
	s_and_b32 s28, s79, vcc_lo
	s_and_saveexec_b32 s29, s28
	s_cbranch_execz .LBB86_106
; %bb.105:                              ;   in Loop: Header=BB86_12 Depth=1
	v_mul_f32_e32 v8, 0x3fb8aa3b, v111
	v_cmp_ngt_f32_e32 vcc_lo, 0xc2ce8ed0, v111
	s_delay_alu instid0(VALU_DEP_2) | instskip(SKIP_1) | instid1(VALU_DEP_2)
	v_rndne_f32_e32 v9, v8
	v_fma_f32 v10, 0x3fb8aa3b, v111, -v8
	v_sub_f32_e32 v8, v8, v9
	s_delay_alu instid0(VALU_DEP_2) | instskip(SKIP_1) | instid1(VALU_DEP_2)
	v_fmac_f32_e32 v10, 0x32a5705f, v111
	v_cvt_i32_f32_e32 v9, v9
	v_add_f32_e32 v8, v8, v10
	s_delay_alu instid0(VALU_DEP_1) | instskip(SKIP_2) | instid1(VALU_DEP_1)
	v_exp_f32_e32 v8, v8
	s_waitcnt_depctr 0xfff
	v_ldexp_f32 v8, v8, v9
	v_cndmask_b32_e32 v8, 0, v8, vcc_lo
	v_cmp_nlt_f32_e32 vcc_lo, 0x42b17218, v111
	s_delay_alu instid0(VALU_DEP_2) | instskip(NEXT) | instid1(VALU_DEP_1)
	v_cndmask_b32_e32 v10, 0x7f800000, v8, vcc_lo
	v_add_f32_e32 v11, 1.0, v10
	s_delay_alu instid0(VALU_DEP_1) | instskip(NEXT) | instid1(VALU_DEP_1)
	v_cvt_f64_f32_e32 v[8:9], v11
	v_frexp_exp_i32_f64_e32 v8, v[8:9]
	v_frexp_mant_f32_e32 v9, v11
	s_delay_alu instid0(VALU_DEP_1) | instskip(SKIP_1) | instid1(VALU_DEP_1)
	v_cmp_gt_f32_e32 vcc_lo, 0x3f2aaaab, v9
	v_add_f32_e32 v9, -1.0, v11
	v_sub_f32_e32 v13, v9, v11
	v_sub_f32_e32 v9, v10, v9
	s_delay_alu instid0(VALU_DEP_2) | instskip(NEXT) | instid1(VALU_DEP_1)
	v_add_f32_e32 v13, 1.0, v13
	v_add_f32_e32 v9, v9, v13
	v_cmp_gt_f32_e64 s28, 0x33800000, v10
	v_subrev_co_ci_u32_e32 v8, vcc_lo, 0, v8, vcc_lo
	v_cmp_eq_f32_e32 vcc_lo, 0x7f800000, v10
	s_delay_alu instid0(VALU_DEP_2) | instskip(SKIP_2) | instid1(VALU_DEP_2)
	v_sub_nc_u32_e32 v12, 0, v8
	v_cvt_f32_i32_e32 v8, v8
	s_or_b32 vcc_lo, s28, vcc_lo
	v_ldexp_f32 v11, v11, v12
	v_ldexp_f32 v9, v9, v12
	s_delay_alu instid0(VALU_DEP_2) | instskip(NEXT) | instid1(VALU_DEP_1)
	v_add_f32_e32 v14, 1.0, v11
	v_dual_add_f32 v12, -1.0, v11 :: v_dual_add_f32 v13, -1.0, v14
	s_delay_alu instid0(VALU_DEP_1) | instskip(NEXT) | instid1(VALU_DEP_2)
	v_add_f32_e32 v15, 1.0, v12
	v_sub_f32_e32 v13, v11, v13
	s_delay_alu instid0(VALU_DEP_2) | instskip(NEXT) | instid1(VALU_DEP_2)
	v_sub_f32_e32 v11, v11, v15
	v_add_f32_e32 v13, v9, v13
	s_delay_alu instid0(VALU_DEP_2) | instskip(NEXT) | instid1(VALU_DEP_1)
	v_add_f32_e32 v9, v9, v11
	v_add_f32_e32 v17, v12, v9
	s_delay_alu instid0(VALU_DEP_3) | instskip(NEXT) | instid1(VALU_DEP_2)
	v_add_f32_e32 v15, v14, v13
	v_sub_f32_e32 v12, v12, v17
	s_delay_alu instid0(VALU_DEP_2) | instskip(SKIP_1) | instid1(VALU_DEP_1)
	v_rcp_f32_e32 v11, v15
	v_sub_f32_e32 v14, v14, v15
	v_add_f32_e32 v13, v13, v14
	s_waitcnt_depctr 0xfff
	v_mul_f32_e32 v105, v17, v11
	s_delay_alu instid0(VALU_DEP_1) | instskip(NEXT) | instid1(VALU_DEP_1)
	v_dual_mul_f32 v106, v15, v105 :: v_dual_add_f32 v9, v9, v12
	v_fma_f32 v14, v105, v15, -v106
	s_delay_alu instid0(VALU_DEP_1) | instskip(NEXT) | instid1(VALU_DEP_1)
	v_fmac_f32_e32 v14, v105, v13
	v_add_f32_e32 v107, v106, v14
	s_delay_alu instid0(VALU_DEP_1) | instskip(SKIP_1) | instid1(VALU_DEP_1)
	v_sub_f32_e32 v12, v107, v106
	v_sub_f32_e32 v108, v17, v107
	v_dual_sub_f32 v12, v12, v14 :: v_dual_sub_f32 v17, v17, v108
	s_delay_alu instid0(VALU_DEP_1) | instskip(NEXT) | instid1(VALU_DEP_1)
	v_sub_f32_e32 v17, v17, v107
	v_add_f32_e32 v9, v9, v17
	s_delay_alu instid0(VALU_DEP_1) | instskip(NEXT) | instid1(VALU_DEP_1)
	v_add_f32_e32 v9, v12, v9
	v_add_f32_e32 v12, v108, v9
	s_delay_alu instid0(VALU_DEP_1) | instskip(SKIP_1) | instid1(VALU_DEP_2)
	v_mul_f32_e32 v14, v11, v12
	v_sub_f32_e32 v107, v108, v12
	v_mul_f32_e32 v17, v15, v14
	s_delay_alu instid0(VALU_DEP_2) | instskip(NEXT) | instid1(VALU_DEP_2)
	v_add_f32_e32 v9, v9, v107
	v_fma_f32 v15, v14, v15, -v17
	s_delay_alu instid0(VALU_DEP_1) | instskip(NEXT) | instid1(VALU_DEP_1)
	v_fmac_f32_e32 v15, v14, v13
	v_add_f32_e32 v13, v17, v15
	s_delay_alu instid0(VALU_DEP_1) | instskip(NEXT) | instid1(VALU_DEP_1)
	v_sub_f32_e32 v106, v12, v13
	v_dual_sub_f32 v17, v13, v17 :: v_dual_sub_f32 v12, v12, v106
	s_delay_alu instid0(VALU_DEP_1) | instskip(NEXT) | instid1(VALU_DEP_1)
	v_dual_sub_f32 v12, v12, v13 :: v_dual_sub_f32 v13, v17, v15
	v_add_f32_e32 v9, v9, v12
	v_add_f32_e32 v12, v105, v14
	s_delay_alu instid0(VALU_DEP_2) | instskip(NEXT) | instid1(VALU_DEP_2)
	v_add_f32_e32 v9, v13, v9
	v_sub_f32_e32 v13, v12, v105
	s_delay_alu instid0(VALU_DEP_2) | instskip(NEXT) | instid1(VALU_DEP_2)
	v_add_f32_e32 v9, v106, v9
	v_sub_f32_e32 v13, v14, v13
	s_delay_alu instid0(VALU_DEP_2) | instskip(NEXT) | instid1(VALU_DEP_1)
	v_mul_f32_e32 v9, v11, v9
	v_add_f32_e32 v9, v13, v9
	s_delay_alu instid0(VALU_DEP_1) | instskip(NEXT) | instid1(VALU_DEP_1)
	v_add_f32_e32 v11, v12, v9
	v_mul_f32_e32 v13, v11, v11
	s_delay_alu instid0(VALU_DEP_1) | instskip(SKIP_1) | instid1(VALU_DEP_2)
	v_fmaak_f32 v14, s83, v13, 0x3ecc95a3
	v_mul_f32_e32 v15, v11, v13
	v_fmaak_f32 v13, v13, v14, 0x3f2aaada
	v_ldexp_f32 v14, v11, 1
	v_sub_f32_e32 v11, v11, v12
	s_delay_alu instid0(VALU_DEP_3) | instskip(SKIP_1) | instid1(VALU_DEP_2)
	v_mul_f32_e32 v13, v15, v13
	v_mul_f32_e32 v15, 0x3f317218, v8
	v_dual_sub_f32 v9, v9, v11 :: v_dual_add_f32 v12, v14, v13
	s_delay_alu instid0(VALU_DEP_1) | instskip(NEXT) | instid1(VALU_DEP_2)
	v_ldexp_f32 v9, v9, 1
	v_sub_f32_e32 v11, v12, v14
	s_delay_alu instid0(VALU_DEP_4) | instskip(NEXT) | instid1(VALU_DEP_1)
	v_fma_f32 v14, 0x3f317218, v8, -v15
	v_dual_sub_f32 v11, v13, v11 :: v_dual_fmac_f32 v14, 0xb102e308, v8
	s_delay_alu instid0(VALU_DEP_1) | instskip(NEXT) | instid1(VALU_DEP_1)
	v_dual_add_f32 v8, v9, v11 :: v_dual_add_f32 v9, v15, v14
	v_add_f32_e32 v11, v12, v8
	s_delay_alu instid0(VALU_DEP_2) | instskip(NEXT) | instid1(VALU_DEP_2)
	v_sub_f32_e32 v15, v9, v15
	v_dual_add_f32 v13, v9, v11 :: v_dual_sub_f32 v12, v11, v12
	s_delay_alu instid0(VALU_DEP_1) | instskip(NEXT) | instid1(VALU_DEP_1)
	v_dual_sub_f32 v14, v14, v15 :: v_dual_sub_f32 v17, v13, v9
	v_dual_sub_f32 v8, v8, v12 :: v_dual_sub_f32 v105, v13, v17
	s_delay_alu instid0(VALU_DEP_1) | instskip(NEXT) | instid1(VALU_DEP_2)
	v_dual_sub_f32 v11, v11, v17 :: v_dual_add_f32 v12, v14, v8
	v_sub_f32_e32 v9, v9, v105
	s_delay_alu instid0(VALU_DEP_1) | instskip(NEXT) | instid1(VALU_DEP_3)
	v_add_f32_e32 v9, v11, v9
	v_sub_f32_e32 v11, v12, v14
	s_delay_alu instid0(VALU_DEP_2) | instskip(NEXT) | instid1(VALU_DEP_2)
	v_add_f32_e32 v9, v12, v9
	v_sub_f32_e32 v12, v12, v11
	s_delay_alu instid0(VALU_DEP_2) | instskip(NEXT) | instid1(VALU_DEP_1)
	v_dual_sub_f32 v8, v8, v11 :: v_dual_add_f32 v15, v13, v9
	v_dual_sub_f32 v12, v14, v12 :: v_dual_sub_f32 v11, v15, v13
	s_delay_alu instid0(VALU_DEP_1) | instskip(NEXT) | instid1(VALU_DEP_1)
	v_dual_add_f32 v8, v8, v12 :: v_dual_sub_f32 v9, v9, v11
	v_add_f32_e32 v8, v8, v9
	s_delay_alu instid0(VALU_DEP_1) | instskip(NEXT) | instid1(VALU_DEP_1)
	v_add_f32_e32 v8, v15, v8
	v_cndmask_b32_e32 v111, v8, v10, vcc_lo
.LBB86_106:                             ;   in Loop: Header=BB86_12 Depth=1
	s_or_b32 exec_lo, exec_lo, s29
	v_lshrrev_b32_e32 v9, 16, v6
	v_lshrrev_b32_e32 v10, 16, v7
	;; [unrolled: 1-line block ×6, first 2 shown]
	v_cvt_f32_f16_e32 v8, v7
	v_cvt_f32_f16_e32 v7, v9
	;; [unrolled: 1-line block ×7, first 2 shown]
	v_lshrrev_b32_e32 v14, 16, v1
	v_lshrrev_b32_e32 v15, 16, v0
	v_cvt_f32_f16_e32 v6, v6
	v_cvt_f32_f16_e32 v5, v5
	;; [unrolled: 1-line block ×9, first 2 shown]
	v_dual_mul_f32 v105, s67, v8 :: v_dual_mul_f32 v106, s67, v7
	v_dual_mul_f32 v107, s67, v6 :: v_dual_mul_f32 v108, s67, v9
	;; [unrolled: 1-line block ×8, first 2 shown]
	s_and_b32 vcc_lo, exec_lo, s80
	s_barrier
	buffer_gl0_inv
	s_cbranch_vccz .LBB86_202
; %bb.107:                              ;   in Loop: Header=BB86_12 Depth=1
	v_dual_mul_f32 v122, v111, v11 :: v_dual_mul_f32 v127, v104, v8
	v_add_co_u32 v11, s28, s53, v16
	s_delay_alu instid0(VALU_DEP_1) | instskip(SKIP_1) | instid1(VALU_DEP_1)
	v_add_co_ci_u32_e64 v17, null, s73, 0, s28
	v_add_co_u32 v16, s28, s57, v16
	v_add_co_ci_u32_e64 v126, null, s74, 0, s28
	s_delay_alu instid0(VALU_DEP_4) | instskip(NEXT) | instid1(VALU_DEP_4)
	v_add_co_u32 v123, vcc_lo, v11, v89
	v_add_co_ci_u32_e32 v124, vcc_lo, 0, v17, vcc_lo
	s_delay_alu instid0(VALU_DEP_4) | instskip(NEXT) | instid1(VALU_DEP_4)
	v_add_co_u32 v125, vcc_lo, v16, v89
	v_add_co_ci_u32_e32 v126, vcc_lo, 0, v126, vcc_lo
	v_cmp_gt_u32_e32 vcc_lo, s40, v18
	s_cmp_lg_u32 s85, 0
	v_cmp_gt_u32_e64 s30, s40, v75
	s_cselect_b32 s51, -1, 0
	s_cmp_eq_u32 s85, s82
	v_cmp_gt_u32_e64 s31, s40, v76
	s_cselect_b32 s86, -1, 0
	s_or_b32 s28, s81, vcc_lo
	v_cmp_gt_u32_e32 vcc_lo, s40, v74
	v_cmp_gt_u32_e64 s33, s40, v77
	v_cmp_gt_u32_e64 s34, s40, v78
	;; [unrolled: 1-line block ×4, first 2 shown]
	s_or_b32 s29, s81, vcc_lo
	v_cmp_gt_u32_e32 vcc_lo, s40, v79
	v_cmp_gt_u32_e64 s38, s40, v82
	v_cmp_gt_u32_e64 s39, s40, v83
	;; [unrolled: 1-line block ×4, first 2 shown]
	s_or_b32 s35, s81, vcc_lo
	v_cmp_gt_u32_e32 vcc_lo, s40, v84
	v_cmp_gt_u32_e64 s43, s40, v87
	v_cmp_gt_u32_e64 s44, s40, v88
	v_dual_mul_f32 v128, v103, v7 :: v_dual_mul_f32 v129, v102, v6
	v_dual_mul_f32 v130, v101, v9 :: v_dual_mul_f32 v133, v98, v4
	v_dual_mul_f32 v131, v100, v5 :: v_dual_mul_f32 v132, v99, v10
	v_dual_mul_f32 v134, v97, v12 :: v_dual_mul_f32 v135, v96, v3
	v_dual_mul_f32 v136, v95, v13 :: v_dual_mul_f32 v137, v94, v2
	v_dual_mul_f32 v138, v93, v14 :: v_dual_mul_f32 v139, v92, v1
	v_dual_mul_f32 v140, v91, v15 :: v_dual_mul_f32 v141, v90, v0
	s_mov_b32 s64, 0
	s_or_b32 s30, s81, s30
	s_or_b32 s31, s81, s31
	;; [unrolled: 1-line block ×8, first 2 shown]
	s_or_b32 s40, s81, vcc_lo
	s_or_b32 s41, s81, s41
	s_or_b32 s42, s81, s42
	;; [unrolled: 1-line block ×4, first 2 shown]
	s_mov_b32 s54, s64
	s_mov_b32 s58, s64
	;; [unrolled: 1-line block ×5, first 2 shown]
	s_branch .LBB86_109
.LBB86_108:                             ;   in Loop: Header=BB86_109 Depth=2
	s_or_b32 exec_lo, exec_lo, s45
	v_cndmask_b32_e64 v9, v171, v11, s11
	v_cndmask_b32_e64 v10, v170, v10, s11
	s_add_i32 s87, s87, -1
	s_add_i32 s88, s88, 8
	s_add_i32 s60, s60, s62
	v_fma_f32 v9, v9, v142, v15
	v_mul_f32_e32 v10, v10, v142
	s_add_i32 s58, s58, s56
	s_add_i32 s54, s54, s52
	;; [unrolled: 1-line block ×3, first 2 shown]
	v_cndmask_b32_e64 v9, v9, v15, s10
	v_cndmask_b32_e64 v10, v10, v142, s10
	s_cmp_eq_u32 s87, 0
	s_waitcnt lgkmcnt(0)
	s_delay_alu instid0(VALU_DEP_1) | instskip(NEXT) | instid1(VALU_DEP_1)
	v_fmac_f32_e32 v9, v8, v10
	v_fmac_f32_e32 v12, v9, v144
	s_delay_alu instid0(VALU_DEP_1) | instskip(NEXT) | instid1(VALU_DEP_1)
	v_fmac_f32_e32 v13, v12, v146
	v_fmac_f32_e32 v14, v13, v148
	v_fma_mix_f32 v121, v9, v4, v121 op_sel_hi:[0,1,0]
	s_delay_alu instid0(VALU_DEP_2) | instskip(SKIP_2) | instid1(VALU_DEP_3)
	v_fmac_f32_e32 v143, v14, v150
	v_fma_mix_f32 v120, v12, v4, v120 op_sel:[0,1,0] op_sel_hi:[0,1,0]
	v_fma_mix_f32 v118, v14, v5, v118 op_sel:[0,1,0] op_sel_hi:[0,1,0]
	v_fmac_f32_e32 v145, v143, v151
	v_fma_mix_f32 v117, v143, v6, v117 op_sel_hi:[0,1,0]
	s_delay_alu instid0(VALU_DEP_2) | instskip(SKIP_1) | instid1(VALU_DEP_2)
	v_fmac_f32_e32 v147, v145, v153
	v_fma_mix_f32 v115, v145, v6, v115 op_sel:[0,1,0] op_sel_hi:[0,1,0]
	v_fmac_f32_e32 v149, v147, v156
	s_delay_alu instid0(VALU_DEP_1) | instskip(SKIP_1) | instid1(VALU_DEP_2)
	v_fmac_f32_e32 v152, v149, v157
	v_fma_mix_f32 v119, v13, v5, v119 op_sel_hi:[0,1,0]
	v_fmac_f32_e32 v154, v152, v158
	v_fma_mix_f32 v114, v147, v7, v114 op_sel_hi:[0,1,0]
	v_fma_mix_f32 v112, v152, v0, v112 op_sel_hi:[0,1,0]
	s_delay_alu instid0(VALU_DEP_3) | instskip(SKIP_1) | instid1(VALU_DEP_2)
	v_fmac_f32_e32 v155, v154, v159
	v_fma_mix_f32 v110, v154, v0, v110 op_sel:[0,1,0] op_sel_hi:[0,1,0]
	v_fmac_f32_e32 v160, v155, v166
	v_fma_mix_f32 v109, v155, v1, v109 op_sel_hi:[0,1,0]
	s_delay_alu instid0(VALU_DEP_2) | instskip(NEXT) | instid1(VALU_DEP_1)
	v_fmac_f32_e32 v161, v160, v163
	v_fmac_f32_e32 v162, v161, v165
	v_fma_mix_f32 v113, v149, v7, v113 op_sel:[0,1,0] op_sel_hi:[0,1,0]
	s_delay_alu instid0(VALU_DEP_2) | instskip(SKIP_2) | instid1(VALU_DEP_3)
	v_fmac_f32_e32 v164, v162, v168
	v_fma_mix_f32 v107, v161, v2, v107 op_sel_hi:[0,1,0]
	v_fma_mix_f32 v106, v162, v2, v106 op_sel:[0,1,0] op_sel_hi:[0,1,0]
	v_fmac_f32_e32 v167, v164, v169
	v_fma_mix_f32 v108, v160, v1, v108 op_sel:[0,1,0] op_sel_hi:[0,1,0]
	v_fma_mix_f32 v105, v164, v3, v105 op_sel_hi:[0,1,0]
	s_delay_alu instid0(VALU_DEP_3)
	v_fma_mix_f32 v116, v167, v3, v116 op_sel:[0,1,0] op_sel_hi:[0,1,0]
	s_cbranch_scc1 .LBB86_202
.LBB86_109:                             ;   Parent Loop BB86_12 Depth=1
                                        ; =>  This Inner Loop Header: Depth=2
	s_lshl_b64 s[90:91], s[64:65], 2
	s_mov_b32 s55, s65
	s_add_u32 s90, s72, s90
	s_addc_u32 s91, s63, s91
	v_dual_mov_b32 v2, 0 :: v_dual_mov_b32 v3, 0
	global_load_b32 v142, v21, s[90:91]
	s_lshl_b64 s[90:91], s[54:55], 1
	s_delay_alu instid0(SALU_CYCLE_1)
	v_add_co_u32 v0, vcc_lo, v123, s90
	v_add_co_ci_u32_e32 v1, vcc_lo, s91, v124, vcc_lo
	s_and_saveexec_b32 s45, s12
	s_cbranch_execnz .LBB86_145
; %bb.110:                              ;   in Loop: Header=BB86_109 Depth=2
	s_or_b32 exec_lo, exec_lo, s45
	s_and_saveexec_b32 s45, s13
	s_cbranch_execnz .LBB86_146
.LBB86_111:                             ;   in Loop: Header=BB86_109 Depth=2
	s_or_b32 exec_lo, exec_lo, s45
	v_mov_b32_e32 v4, 0
	s_and_saveexec_b32 s45, s14
	s_cbranch_execnz .LBB86_147
.LBB86_112:                             ;   in Loop: Header=BB86_109 Depth=2
	s_or_b32 exec_lo, exec_lo, s45
	s_and_saveexec_b32 s45, s15
	s_cbranch_execnz .LBB86_148
.LBB86_113:                             ;   in Loop: Header=BB86_109 Depth=2
	s_or_b32 exec_lo, exec_lo, s45
	v_mov_b32_e32 v5, 0
	s_and_saveexec_b32 s45, s16
	s_cbranch_execnz .LBB86_149
.LBB86_114:                             ;   in Loop: Header=BB86_109 Depth=2
	s_or_b32 exec_lo, exec_lo, s45
	s_and_saveexec_b32 s45, s17
	s_cbranch_execnz .LBB86_150
.LBB86_115:                             ;   in Loop: Header=BB86_109 Depth=2
	s_or_b32 exec_lo, exec_lo, s45
	v_mov_b32_e32 v6, 0
	s_and_saveexec_b32 s45, s18
	s_cbranch_execnz .LBB86_151
.LBB86_116:                             ;   in Loop: Header=BB86_109 Depth=2
	s_or_b32 exec_lo, exec_lo, s45
	s_and_saveexec_b32 s45, s19
	s_cbranch_execnz .LBB86_152
.LBB86_117:                             ;   in Loop: Header=BB86_109 Depth=2
	s_or_b32 exec_lo, exec_lo, s45
	v_mov_b32_e32 v7, 0
	s_and_saveexec_b32 s45, s20
	s_cbranch_execnz .LBB86_153
.LBB86_118:                             ;   in Loop: Header=BB86_109 Depth=2
	s_or_b32 exec_lo, exec_lo, s45
	s_and_saveexec_b32 s45, s21
	s_cbranch_execnz .LBB86_154
.LBB86_119:                             ;   in Loop: Header=BB86_109 Depth=2
	s_or_b32 exec_lo, exec_lo, s45
	v_mov_b32_e32 v8, 0
	s_and_saveexec_b32 s45, s22
	s_cbranch_execnz .LBB86_155
.LBB86_120:                             ;   in Loop: Header=BB86_109 Depth=2
	s_or_b32 exec_lo, exec_lo, s45
	s_and_saveexec_b32 s45, s23
	s_cbranch_execnz .LBB86_156
.LBB86_121:                             ;   in Loop: Header=BB86_109 Depth=2
	s_or_b32 exec_lo, exec_lo, s45
	v_mov_b32_e32 v9, 0
	s_and_saveexec_b32 s45, s24
	s_cbranch_execnz .LBB86_157
.LBB86_122:                             ;   in Loop: Header=BB86_109 Depth=2
	s_or_b32 exec_lo, exec_lo, s45
	s_and_saveexec_b32 s45, s25
	s_cbranch_execnz .LBB86_158
.LBB86_123:                             ;   in Loop: Header=BB86_109 Depth=2
	s_or_b32 exec_lo, exec_lo, s45
	v_mov_b32_e32 v10, 0
	s_and_saveexec_b32 s45, s26
	s_cbranch_execnz .LBB86_159
.LBB86_124:                             ;   in Loop: Header=BB86_109 Depth=2
	s_or_b32 exec_lo, exec_lo, s45
	s_and_saveexec_b32 s45, s27
	s_cbranch_execz .LBB86_126
.LBB86_125:                             ;   in Loop: Header=BB86_109 Depth=2
	global_load_u16 v0, v[0:1], off offset:960
	s_waitcnt vmcnt(0)
	v_lshl_or_b32 v10, v0, 16, v10
.LBB86_126:                             ;   in Loop: Header=BB86_109 Depth=2
	s_or_b32 exec_lo, exec_lo, s45
	s_waitcnt vmcnt(0)
	ds_store_b16 v37, v3
	ds_store_b16 v37, v2 offset:64
	ds_store_b16 v38, v4 offset:128
	ds_store_b16_d16_hi v39, v4 offset:192
	ds_store_b16 v40, v5 offset:256
	ds_store_b16_d16_hi v41, v5 offset:320
	;; [unrolled: 2-line block ×7, first 2 shown]
	; wave barrier
	ds_load_b128 v[12:15], v52
	ds_load_b128 v[8:11], v52 offset:16
	s_mov_b32 s59, s65
	v_dual_mov_b32 v2, 0 :: v_dual_mov_b32 v3, 0
	s_lshl_b64 s[90:91], s[58:59], 1
	s_delay_alu instid0(SALU_CYCLE_1)
	v_add_co_u32 v0, vcc_lo, v125, s90
	v_add_co_ci_u32_e32 v1, vcc_lo, s91, v126, vcc_lo
	s_and_saveexec_b32 s45, s12
	s_cbranch_execnz .LBB86_160
; %bb.127:                              ;   in Loop: Header=BB86_109 Depth=2
	s_or_b32 exec_lo, exec_lo, s45
	s_and_saveexec_b32 s45, s13
	s_cbranch_execnz .LBB86_161
.LBB86_128:                             ;   in Loop: Header=BB86_109 Depth=2
	s_or_b32 exec_lo, exec_lo, s45
	v_mov_b32_e32 v4, 0
	s_and_saveexec_b32 s45, s14
	s_cbranch_execnz .LBB86_162
.LBB86_129:                             ;   in Loop: Header=BB86_109 Depth=2
	s_or_b32 exec_lo, exec_lo, s45
	s_and_saveexec_b32 s45, s15
	s_cbranch_execnz .LBB86_163
.LBB86_130:                             ;   in Loop: Header=BB86_109 Depth=2
	s_or_b32 exec_lo, exec_lo, s45
	v_mov_b32_e32 v5, 0
	s_and_saveexec_b32 s45, s16
	s_cbranch_execnz .LBB86_164
.LBB86_131:                             ;   in Loop: Header=BB86_109 Depth=2
	s_or_b32 exec_lo, exec_lo, s45
	s_and_saveexec_b32 s45, s17
	s_cbranch_execnz .LBB86_165
.LBB86_132:                             ;   in Loop: Header=BB86_109 Depth=2
	s_or_b32 exec_lo, exec_lo, s45
	v_mov_b32_e32 v6, 0
	s_and_saveexec_b32 s45, s18
	s_cbranch_execnz .LBB86_166
.LBB86_133:                             ;   in Loop: Header=BB86_109 Depth=2
	s_or_b32 exec_lo, exec_lo, s45
	s_and_saveexec_b32 s45, s19
	s_cbranch_execnz .LBB86_167
.LBB86_134:                             ;   in Loop: Header=BB86_109 Depth=2
	s_or_b32 exec_lo, exec_lo, s45
	v_mov_b32_e32 v7, 0
	s_and_saveexec_b32 s45, s20
	s_cbranch_execnz .LBB86_168
.LBB86_135:                             ;   in Loop: Header=BB86_109 Depth=2
	s_or_b32 exec_lo, exec_lo, s45
	s_and_saveexec_b32 s45, s21
	s_cbranch_execnz .LBB86_169
.LBB86_136:                             ;   in Loop: Header=BB86_109 Depth=2
	s_or_b32 exec_lo, exec_lo, s45
	v_mov_b32_e32 v16, 0
	s_and_saveexec_b32 s45, s22
	s_cbranch_execnz .LBB86_170
.LBB86_137:                             ;   in Loop: Header=BB86_109 Depth=2
	s_or_b32 exec_lo, exec_lo, s45
	s_and_saveexec_b32 s45, s23
	s_cbranch_execnz .LBB86_171
.LBB86_138:                             ;   in Loop: Header=BB86_109 Depth=2
	s_or_b32 exec_lo, exec_lo, s45
	v_mov_b32_e32 v17, 0
	s_and_saveexec_b32 s45, s24
	s_cbranch_execnz .LBB86_172
.LBB86_139:                             ;   in Loop: Header=BB86_109 Depth=2
	s_or_b32 exec_lo, exec_lo, s45
	s_and_saveexec_b32 s45, s25
	s_cbranch_execnz .LBB86_173
.LBB86_140:                             ;   in Loop: Header=BB86_109 Depth=2
	s_or_b32 exec_lo, exec_lo, s45
	v_mov_b32_e32 v143, 0
	s_and_saveexec_b32 s45, s26
	s_cbranch_execnz .LBB86_174
.LBB86_141:                             ;   in Loop: Header=BB86_109 Depth=2
	s_or_b32 exec_lo, exec_lo, s45
	s_and_saveexec_b32 s45, s27
	s_cbranch_execz .LBB86_143
.LBB86_142:                             ;   in Loop: Header=BB86_109 Depth=2
	global_load_u16 v0, v[0:1], off offset:960
	s_waitcnt vmcnt(0)
	v_lshl_or_b32 v143, v0, 16, v143
.LBB86_143:                             ;   in Loop: Header=BB86_109 Depth=2
	s_or_b32 exec_lo, exec_lo, s45
	s_waitcnt vmcnt(0)
	ds_store_b16 v37, v3 offset:2112
	ds_store_b16 v53, v2 offset:64
	;; [unrolled: 1-line block ×3, first 2 shown]
	ds_store_b16_d16_hi v55, v4 offset:192
	ds_store_b16 v56, v5 offset:256
	ds_store_b16_d16_hi v57, v5 offset:320
	ds_store_b16 v58, v6 offset:384
	;; [unrolled: 2-line block ×6, first 2 shown]
	ds_store_b16_d16_hi v67, v143 offset:960
	; wave barrier
	ds_load_b128 v[4:7], v52 offset:2112
	ds_load_b128 v[0:3], v68 offset:16
	s_and_not1_b32 vcc_lo, exec_lo, s51
	s_cbranch_vccnz .LBB86_175
; %bb.144:                              ;   in Loop: Header=BB86_109 Depth=2
	v_mov_b32_e32 v16, s88
	ds_load_b64 v[16:17], v16
	s_cbranch_execz .LBB86_176
	s_branch .LBB86_179
.LBB86_145:                             ;   in Loop: Header=BB86_109 Depth=2
	global_load_u16 v3, v[0:1], off
	s_or_b32 exec_lo, exec_lo, s45
	s_and_saveexec_b32 s45, s13
	s_cbranch_execz .LBB86_111
.LBB86_146:                             ;   in Loop: Header=BB86_109 Depth=2
	global_load_u16 v2, v[0:1], off offset:64
	s_or_b32 exec_lo, exec_lo, s45
	v_mov_b32_e32 v4, 0
	s_and_saveexec_b32 s45, s14
	s_cbranch_execz .LBB86_112
.LBB86_147:                             ;   in Loop: Header=BB86_109 Depth=2
	global_load_u16 v4, v[0:1], off offset:128
	s_or_b32 exec_lo, exec_lo, s45
	s_and_saveexec_b32 s45, s15
	s_cbranch_execz .LBB86_113
.LBB86_148:                             ;   in Loop: Header=BB86_109 Depth=2
	global_load_u16 v5, v[0:1], off offset:192
	s_waitcnt vmcnt(0)
	v_lshl_or_b32 v4, v5, 16, v4
	s_or_b32 exec_lo, exec_lo, s45
	v_mov_b32_e32 v5, 0
	s_and_saveexec_b32 s45, s16
	s_cbranch_execz .LBB86_114
.LBB86_149:                             ;   in Loop: Header=BB86_109 Depth=2
	global_load_u16 v5, v[0:1], off offset:256
	s_or_b32 exec_lo, exec_lo, s45
	s_and_saveexec_b32 s45, s17
	s_cbranch_execz .LBB86_115
.LBB86_150:                             ;   in Loop: Header=BB86_109 Depth=2
	global_load_u16 v6, v[0:1], off offset:320
	s_waitcnt vmcnt(0)
	v_lshl_or_b32 v5, v6, 16, v5
	s_or_b32 exec_lo, exec_lo, s45
	v_mov_b32_e32 v6, 0
	s_and_saveexec_b32 s45, s18
	s_cbranch_execz .LBB86_116
.LBB86_151:                             ;   in Loop: Header=BB86_109 Depth=2
	global_load_u16 v6, v[0:1], off offset:384
	s_or_b32 exec_lo, exec_lo, s45
	s_and_saveexec_b32 s45, s19
	s_cbranch_execz .LBB86_117
.LBB86_152:                             ;   in Loop: Header=BB86_109 Depth=2
	global_load_u16 v7, v[0:1], off offset:448
	s_waitcnt vmcnt(0)
	v_lshl_or_b32 v6, v7, 16, v6
	s_or_b32 exec_lo, exec_lo, s45
	v_mov_b32_e32 v7, 0
	s_and_saveexec_b32 s45, s20
	s_cbranch_execz .LBB86_118
.LBB86_153:                             ;   in Loop: Header=BB86_109 Depth=2
	global_load_u16 v7, v[0:1], off offset:512
	s_or_b32 exec_lo, exec_lo, s45
	s_and_saveexec_b32 s45, s21
	s_cbranch_execz .LBB86_119
.LBB86_154:                             ;   in Loop: Header=BB86_109 Depth=2
	global_load_u16 v8, v[0:1], off offset:576
	s_waitcnt vmcnt(0)
	v_lshl_or_b32 v7, v8, 16, v7
	s_or_b32 exec_lo, exec_lo, s45
	v_mov_b32_e32 v8, 0
	s_and_saveexec_b32 s45, s22
	s_cbranch_execz .LBB86_120
.LBB86_155:                             ;   in Loop: Header=BB86_109 Depth=2
	global_load_u16 v8, v[0:1], off offset:640
	s_or_b32 exec_lo, exec_lo, s45
	s_and_saveexec_b32 s45, s23
	s_cbranch_execz .LBB86_121
.LBB86_156:                             ;   in Loop: Header=BB86_109 Depth=2
	global_load_u16 v9, v[0:1], off offset:704
	s_waitcnt vmcnt(0)
	v_lshl_or_b32 v8, v9, 16, v8
	s_or_b32 exec_lo, exec_lo, s45
	v_mov_b32_e32 v9, 0
	s_and_saveexec_b32 s45, s24
	s_cbranch_execz .LBB86_122
.LBB86_157:                             ;   in Loop: Header=BB86_109 Depth=2
	global_load_u16 v9, v[0:1], off offset:768
	s_or_b32 exec_lo, exec_lo, s45
	s_and_saveexec_b32 s45, s25
	s_cbranch_execz .LBB86_123
.LBB86_158:                             ;   in Loop: Header=BB86_109 Depth=2
	global_load_u16 v10, v[0:1], off offset:832
	s_waitcnt vmcnt(0)
	v_lshl_or_b32 v9, v10, 16, v9
	s_or_b32 exec_lo, exec_lo, s45
	v_mov_b32_e32 v10, 0
	s_and_saveexec_b32 s45, s26
	s_cbranch_execz .LBB86_124
.LBB86_159:                             ;   in Loop: Header=BB86_109 Depth=2
	global_load_u16 v10, v[0:1], off offset:896
	s_or_b32 exec_lo, exec_lo, s45
	s_and_saveexec_b32 s45, s27
	s_cbranch_execnz .LBB86_125
	s_branch .LBB86_126
.LBB86_160:                             ;   in Loop: Header=BB86_109 Depth=2
	global_load_u16 v3, v[0:1], off
	s_or_b32 exec_lo, exec_lo, s45
	s_and_saveexec_b32 s45, s13
	s_cbranch_execz .LBB86_128
.LBB86_161:                             ;   in Loop: Header=BB86_109 Depth=2
	global_load_u16 v2, v[0:1], off offset:64
	s_or_b32 exec_lo, exec_lo, s45
	v_mov_b32_e32 v4, 0
	s_and_saveexec_b32 s45, s14
	s_cbranch_execz .LBB86_129
.LBB86_162:                             ;   in Loop: Header=BB86_109 Depth=2
	global_load_u16 v4, v[0:1], off offset:128
	s_or_b32 exec_lo, exec_lo, s45
	s_and_saveexec_b32 s45, s15
	s_cbranch_execz .LBB86_130
.LBB86_163:                             ;   in Loop: Header=BB86_109 Depth=2
	global_load_u16 v5, v[0:1], off offset:192
	s_waitcnt vmcnt(0)
	v_lshl_or_b32 v4, v5, 16, v4
	s_or_b32 exec_lo, exec_lo, s45
	v_mov_b32_e32 v5, 0
	s_and_saveexec_b32 s45, s16
	s_cbranch_execz .LBB86_131
.LBB86_164:                             ;   in Loop: Header=BB86_109 Depth=2
	global_load_u16 v5, v[0:1], off offset:256
	s_or_b32 exec_lo, exec_lo, s45
	s_and_saveexec_b32 s45, s17
	s_cbranch_execz .LBB86_132
.LBB86_165:                             ;   in Loop: Header=BB86_109 Depth=2
	global_load_u16 v6, v[0:1], off offset:320
	s_waitcnt vmcnt(0)
	v_lshl_or_b32 v5, v6, 16, v5
	s_or_b32 exec_lo, exec_lo, s45
	v_mov_b32_e32 v6, 0
	s_and_saveexec_b32 s45, s18
	s_cbranch_execz .LBB86_133
.LBB86_166:                             ;   in Loop: Header=BB86_109 Depth=2
	global_load_u16 v6, v[0:1], off offset:384
	s_or_b32 exec_lo, exec_lo, s45
	s_and_saveexec_b32 s45, s19
	s_cbranch_execz .LBB86_134
.LBB86_167:                             ;   in Loop: Header=BB86_109 Depth=2
	global_load_u16 v7, v[0:1], off offset:448
	s_waitcnt vmcnt(0)
	v_lshl_or_b32 v6, v7, 16, v6
	s_or_b32 exec_lo, exec_lo, s45
	v_mov_b32_e32 v7, 0
	s_and_saveexec_b32 s45, s20
	s_cbranch_execz .LBB86_135
.LBB86_168:                             ;   in Loop: Header=BB86_109 Depth=2
	global_load_u16 v7, v[0:1], off offset:512
	s_or_b32 exec_lo, exec_lo, s45
	s_and_saveexec_b32 s45, s21
	s_cbranch_execz .LBB86_136
.LBB86_169:                             ;   in Loop: Header=BB86_109 Depth=2
	global_load_u16 v16, v[0:1], off offset:576
	s_waitcnt vmcnt(0)
	v_lshl_or_b32 v7, v16, 16, v7
	s_or_b32 exec_lo, exec_lo, s45
	v_mov_b32_e32 v16, 0
	s_and_saveexec_b32 s45, s22
	s_cbranch_execz .LBB86_137
.LBB86_170:                             ;   in Loop: Header=BB86_109 Depth=2
	global_load_u16 v16, v[0:1], off offset:640
	s_or_b32 exec_lo, exec_lo, s45
	s_and_saveexec_b32 s45, s23
	s_cbranch_execz .LBB86_138
.LBB86_171:                             ;   in Loop: Header=BB86_109 Depth=2
	global_load_u16 v17, v[0:1], off offset:704
	s_waitcnt vmcnt(0)
	v_lshl_or_b32 v16, v17, 16, v16
	s_or_b32 exec_lo, exec_lo, s45
	v_mov_b32_e32 v17, 0
	s_and_saveexec_b32 s45, s24
	s_cbranch_execz .LBB86_139
.LBB86_172:                             ;   in Loop: Header=BB86_109 Depth=2
	global_load_u16 v17, v[0:1], off offset:768
	s_or_b32 exec_lo, exec_lo, s45
	s_and_saveexec_b32 s45, s25
	s_cbranch_execz .LBB86_140
.LBB86_173:                             ;   in Loop: Header=BB86_109 Depth=2
	global_load_u16 v143, v[0:1], off offset:832
	s_waitcnt vmcnt(0)
	v_lshl_or_b32 v17, v143, 16, v17
	s_or_b32 exec_lo, exec_lo, s45
	v_mov_b32_e32 v143, 0
	s_and_saveexec_b32 s45, s26
	s_cbranch_execz .LBB86_141
.LBB86_174:                             ;   in Loop: Header=BB86_109 Depth=2
	global_load_u16 v143, v[0:1], off offset:896
	s_or_b32 exec_lo, exec_lo, s45
	s_and_saveexec_b32 s45, s27
	s_cbranch_execnz .LBB86_142
	s_branch .LBB86_143
.LBB86_175:                             ;   in Loop: Header=BB86_109 Depth=2
                                        ; implicit-def: $vgpr16
.LBB86_176:                             ;   in Loop: Header=BB86_109 Depth=2
	s_waitcnt lgkmcnt(0)
	v_mov_b32_e32 v17, 0
	s_and_not1_b32 vcc_lo, exec_lo, s47
	s_cbranch_vccnz .LBB86_178
; %bb.177:                              ;   in Loop: Header=BB86_109 Depth=2
	s_mov_b32 s61, s65
	s_delay_alu instid0(SALU_CYCLE_1) | instskip(NEXT) | instid1(SALU_CYCLE_1)
	s_lshl_b64 s[90:91], s[60:61], 1
	s_add_u32 s90, s75, s90
	s_addc_u32 s91, s76, s91
	global_load_u16 v16, v21, s[90:91]
	s_waitcnt vmcnt(0)
	v_cvt_f32_f16_e32 v17, v16
.LBB86_178:                             ;   in Loop: Header=BB86_109 Depth=2
	v_mov_b32_e32 v16, 1.0
.LBB86_179:                             ;   in Loop: Header=BB86_109 Depth=2
	v_mul_f32_e32 v164, 0x3fb8aa3b, v142
	s_waitcnt lgkmcnt(19)
	v_lshrrev_b32_e32 v144, 16, v13
	v_lshrrev_b32_e32 v145, 16, v14
	v_cvt_f32_f16_e32 v13, v13
	v_cvt_f32_f16_e64 v152, v14
	v_mul_f32_e32 v14, v164, v90
	v_lshrrev_b32_e32 v143, 16, v12
	v_lshrrev_b32_e32 v146, 16, v15
	v_mul_f32_e32 v13, v139, v13
	v_cvt_f32_f16_e32 v12, v12
	v_cmp_gt_f32_e32 vcc_lo, 0xc2fc0000, v14
	v_cvt_f32_f16_e64 v153, v15
	v_mul_f32_e32 v15, v164, v91
	v_cvt_f32_f16_e64 v151, v144
	v_mul_f32_e32 v12, v141, v12
	v_cndmask_b32_e64 v14, 0, 0x42800000, vcc_lo
	v_mul_f32_e32 v142, v164, v92
	v_cmp_gt_f32_e64 s45, 0xc2fc0000, v15
	v_cndmask_b32_e64 v144, 1.0, 0x1f800000, vcc_lo
	s_waitcnt lgkmcnt(18)
	v_lshrrev_b32_e32 v147, 16, v8
	v_fmac_f32_e32 v14, v164, v90
	v_cvt_f32_f16_e64 v143, v143
	v_cndmask_b32_e64 v15, 0, 0x42800000, s45
	v_cvt_f32_f16_e64 v154, v146
	v_cmp_gt_f32_e32 vcc_lo, 0xc2fc0000, v142
	v_exp_f32_e32 v14, v14
	v_mul_f32_e32 v142, v164, v93
	v_fmac_f32_e32 v15, v164, v91
	v_cvt_f32_f16_e64 v155, v147
	v_cndmask_b32_e64 v147, 0, 0x42800000, vcc_lo
	v_lshrrev_b32_e32 v148, 16, v9
	v_lshrrev_b32_e32 v149, 16, v10
	;; [unrolled: 1-line block ×3, first 2 shown]
	v_cvt_f32_f16_e32 v9, v9
	v_cvt_f32_f16_e32 v8, v8
	v_mul_f32_e32 v14, v14, v144
	v_exp_f32_e32 v146, v15
	v_cndmask_b32_e64 v15, 0, v12, s28
	v_cndmask_b32_e64 v12, 1.0, 0x1f800000, s45
	v_cmp_gt_f32_e64 s45, 0xc2fc0000, v142
	v_cndmask_b32_e64 v142, 1.0, v14, s28
	v_mul_f32_e32 v14, v140, v143
	v_cvt_f32_f16_e64 v160, v148
	v_cvt_f32_f16_e64 v162, v149
	v_cndmask_b32_e64 v144, 0, 0x42800000, s45
	v_cvt_f32_f16_e64 v167, v150
	v_mul_f32_e32 v143, v146, v12
	v_cndmask_b32_e64 v12, 0, v14, s29
	v_cndmask_b32_e64 v14, 1.0, 0x1f800000, vcc_lo
	v_fmac_f32_e32 v147, v164, v92
	v_fmac_f32_e32 v144, v164, v93
	v_dual_mul_f32 v149, v164, v95 :: v_dual_mul_f32 v154, v134, v154
	v_dual_mul_f32 v150, v164, v96 :: v_dual_mul_f32 v9, v131, v9
	s_delay_alu instid0(VALU_DEP_4)
	v_exp_f32_e32 v146, v147
	v_mul_f32_e32 v147, v164, v94
	v_exp_f32_e32 v148, v144
	v_cndmask_b32_e64 v144, 1.0, v143, s29
	v_cndmask_b32_e64 v143, 1.0, 0x1f800000, s45
	v_cmp_gt_f32_e64 s45, 0xc2fc0000, v149
	v_cvt_f32_f16_e32 v10, v10
	v_cvt_f32_f16_e32 v11, v11
	v_mul_f32_e32 v165, v164, v102
	s_delay_alu instid0(TRANS32_DEP_2) | instskip(SKIP_1) | instid1(TRANS32_DEP_1)
	v_dual_mul_f32 v155, v132, v155 :: v_dual_mul_f32 v14, v146, v14
	v_cndmask_b32_e64 v149, 0, 0x42800000, s45
	v_dual_mul_f32 v143, v148, v143 :: v_dual_mul_f32 v10, v129, v10
	v_cndmask_b32_e64 v13, 0, v13, s30
	s_delay_alu instid0(VALU_DEP_4)
	v_cndmask_b32_e64 v146, 1.0, v14, s30
	v_mul_f32_e32 v14, v138, v151
	v_cmp_gt_f32_e32 vcc_lo, 0xc2fc0000, v147
	v_cndmask_b32_e64 v148, 1.0, v143, s31
	v_dual_fmac_f32 v149, v164, v95 :: v_dual_mul_f32 v8, v133, v8
	v_mul_f32_e32 v151, v164, v97
	v_cndmask_b32_e64 v147, 0, 0x42800000, vcc_lo
	v_cndmask_b32_e64 v143, 1.0, 0x1f800000, vcc_lo
	v_cmp_gt_f32_e32 vcc_lo, 0xc2fc0000, v150
	v_exp_f32_e32 v149, v149
	v_cmp_gt_f32_e64 s46, 0xc2fc0000, v151
	v_fmac_f32_e32 v147, v164, v94
	v_mul_f32_e32 v158, v164, v99
	v_cndmask_b32_e64 v150, 0, 0x42800000, vcc_lo
	v_cvt_f32_f16_e64 v145, v145
	v_cndmask_b32_e64 v151, 0, 0x42800000, s46
	v_exp_f32_e32 v147, v147
	v_cndmask_b32_e64 v14, 0, v14, s31
	v_dual_fmac_f32 v150, v164, v96 :: v_dual_mul_f32 v11, v127, v11
	s_delay_alu instid0(VALU_DEP_3) | instskip(SKIP_2) | instid1(VALU_DEP_4)
	v_fmac_f32_e32 v151, v164, v97
	v_mul_f32_e32 v166, v164, v103
	v_mul_f32_e32 v162, v128, v162
	v_exp_f32_e32 v156, v150
	s_delay_alu instid0(TRANS32_DEP_2)
	v_mul_f32_e32 v147, v147, v143
	v_mul_f32_e32 v143, v137, v152
	v_cndmask_b32_e64 v152, 1.0, 0x1f800000, s45
	v_cmp_gt_f32_e64 s45, 0xc2fc0000, v158
	v_mul_f32_e32 v158, v164, v101
	v_cndmask_b32_e64 v150, 1.0, v147, s33
	v_cndmask_b32_e64 v143, 0, v143, s33
	v_mul_f32_e32 v147, v149, v152
	v_cndmask_b32_e64 v149, 1.0, 0x1f800000, vcc_lo
	v_exp_f32_e32 v152, v151
	v_cndmask_b32_e64 v162, 0, v162, s42
	s_delay_alu instid0(VALU_DEP_3) | instskip(NEXT) | instid1(VALU_DEP_3)
	v_cndmask_b32_e64 v151, 1.0, v147, s34
	v_mul_f32_e32 v149, v156, v149
	v_mul_f32_e32 v147, v135, v153
	v_cndmask_b32_e64 v156, 1.0, 0x1f800000, s46
	s_delay_alu instid0(VALU_DEP_3)
	v_cndmask_b32_e64 v153, 1.0, v149, s35
	v_mul_f32_e32 v157, v164, v98
	v_cndmask_b32_e64 v149, 0, v154, s36
	v_mul_f32_e32 v154, v164, v100
	v_mul_f32_e32 v152, v152, v156
	v_cndmask_b32_e64 v147, 0, v147, s35
	v_cmp_gt_f32_e32 vcc_lo, 0xc2fc0000, v157
	s_delay_alu instid0(VALU_DEP_4) | instskip(NEXT) | instid1(VALU_DEP_4)
	v_cmp_gt_f32_e64 s46, 0xc2fc0000, v154
	v_cndmask_b32_e64 v156, 1.0, v152, s36
	v_cndmask_b32_e64 v157, 0, 0x42800000, vcc_lo
	v_cndmask_b32_e64 v159, 1.0, 0x1f800000, vcc_lo
	s_delay_alu instid0(VALU_DEP_4) | instskip(SKIP_1) | instid1(VALU_DEP_4)
	v_cndmask_b32_e64 v154, 0, 0x42800000, s46
	v_cmp_gt_f32_e32 vcc_lo, 0xc2fc0000, v158
	v_fmac_f32_e32 v157, v164, v98
	s_delay_alu instid0(VALU_DEP_3) | instskip(SKIP_1) | instid1(VALU_DEP_3)
	v_fmac_f32_e32 v154, v164, v100
	v_cndmask_b32_e64 v158, 0, 0x42800000, vcc_lo
	v_exp_f32_e32 v152, v157
	v_cndmask_b32_e64 v157, 0, 0x42800000, s45
	s_delay_alu instid0(VALU_DEP_2) | instskip(NEXT) | instid1(VALU_DEP_2)
	v_fmac_f32_e32 v158, v164, v101
	v_fmac_f32_e32 v157, v164, v99
	s_delay_alu instid0(VALU_DEP_2) | instskip(NEXT) | instid1(VALU_DEP_1)
	v_exp_f32_e32 v163, v158
	v_exp_f32_e32 v161, v157
	s_delay_alu instid0(TRANS32_DEP_3)
	v_mul_f32_e32 v157, v152, v159
	v_cndmask_b32_e64 v152, 0, v8, s37
	v_exp_f32_e32 v8, v154
	v_cndmask_b32_e64 v154, 1.0, 0x1f800000, s45
	v_cndmask_b32_e64 v159, 1.0, 0x1f800000, s46
	v_cmp_gt_f32_e64 s45, 0xc2fc0000, v166
	v_cndmask_b32_e64 v157, 1.0, v157, s37
	s_delay_alu instid0(TRANS32_DEP_2) | instid1(VALU_DEP_4)
	v_mul_f32_e32 v158, v161, v154
	v_cndmask_b32_e64 v161, 1.0, 0x1f800000, vcc_lo
	v_cmp_gt_f32_e32 vcc_lo, 0xc2fc0000, v165
	s_delay_alu instid0(TRANS32_DEP_1)
	v_mul_f32_e32 v8, v8, v159
	v_cndmask_b32_e64 v154, 0, v155, s38
	v_cndmask_b32_e64 v155, 0, v9, s39
	v_mul_f32_e32 v9, v130, v160
	v_fma_f32 v165, v144, v15, v12
	v_cndmask_b32_e64 v159, 1.0, v8, s39
	v_mul_f32_e32 v8, v163, v161
	v_cndmask_b32_e64 v161, 0, 0x42800000, vcc_lo
	v_mul_f32_e32 v163, v144, v142
	v_cndmask_b32_e64 v160, 0, v9, s40
	v_cndmask_b32_e64 v158, 1.0, v158, s38
	v_cndmask_b32_e64 v166, 1.0, v8, s40
	v_fmac_f32_e32 v161, v164, v102
	v_mul_f32_e32 v9, v163, v146
	v_fma_f32 v163, v165, v146, v13
	v_cndmask_b32_e64 v8, 1.0, 0x1f800000, vcc_lo
	v_cndmask_b32_e64 v165, 0, 0x42800000, s45
	v_exp_f32_e32 v161, v161
	v_mul_f32_e32 v145, v136, v145
	v_mul_f32_e32 v9, v9, v148
	v_fma_f32 v163, v163, v148, v14
	v_fmac_f32_e32 v165, v164, v103
	s_delay_alu instid0(VALU_DEP_3) | instskip(NEXT) | instid1(VALU_DEP_3)
	v_mul_f32_e32 v9, v9, v150
	v_fma_f32 v163, v163, v150, v143
	s_delay_alu instid0(VALU_DEP_3) | instskip(NEXT) | instid1(TRANS32_DEP_2)
	v_exp_f32_e32 v165, v165
	v_mul_f32_e32 v8, v161, v8
	v_cndmask_b32_e64 v145, 0, v145, s34
	v_mul_f32_e32 v9, v9, v151
	v_cndmask_b32_e64 v161, 0, v10, s41
	v_cndmask_b32_e64 v10, 1.0, 0x1f800000, s45
	s_delay_alu instid0(VALU_DEP_4)
	v_fma_f32 v168, v163, v151, v145
	v_cndmask_b32_e64 v163, 1.0, v8, s41
	v_mul_f32_e32 v8, v9, v153
	s_delay_alu instid0(TRANS32_DEP_1) | instid1(VALU_DEP_4)
	v_mul_f32_e32 v10, v165, v10
	s_delay_alu instid0(VALU_DEP_4) | instskip(SKIP_1) | instid1(VALU_DEP_4)
	v_fma_f32 v9, v168, v153, v147
	v_mul_f32_e32 v168, v164, v104
	v_mul_f32_e32 v8, v8, v156
	s_delay_alu instid0(VALU_DEP_3) | instskip(NEXT) | instid1(VALU_DEP_3)
	v_fma_f32 v9, v9, v156, v149
	v_cmp_gt_f32_e32 vcc_lo, 0xc2fc0000, v168
	v_mul_f32_e32 v168, v164, v111
	s_delay_alu instid0(VALU_DEP_4) | instskip(NEXT) | instid1(VALU_DEP_4)
	v_mul_f32_e32 v8, v8, v157
	v_fma_f32 v9, v9, v157, v152
	v_cndmask_b32_e64 v165, 0, 0x42800000, vcc_lo
	s_delay_alu instid0(VALU_DEP_4) | instskip(NEXT) | instid1(VALU_DEP_4)
	v_cmp_gt_f32_e64 s45, 0xc2fc0000, v168
	v_mul_f32_e32 v8, v8, v158
	s_delay_alu instid0(VALU_DEP_4) | instskip(NEXT) | instid1(VALU_DEP_4)
	v_fma_f32 v9, v9, v158, v154
	v_fmac_f32_e32 v165, v164, v104
	s_delay_alu instid0(VALU_DEP_4) | instskip(NEXT) | instid1(VALU_DEP_4)
	v_cndmask_b32_e64 v168, 0, 0x42800000, s45
	v_mul_f32_e32 v8, v8, v159
	s_delay_alu instid0(VALU_DEP_4) | instskip(NEXT) | instid1(VALU_DEP_4)
	v_fma_f32 v9, v9, v159, v155
	v_exp_f32_e32 v169, v165
	s_delay_alu instid0(VALU_DEP_3)
	v_fmac_f32_e32 v168, v164, v111
	v_cndmask_b32_e64 v165, 1.0, v10, s42
	v_cndmask_b32_e64 v10, 1.0, 0x1f800000, vcc_lo
	v_mul_f32_e32 v8, v8, v166
	v_fma_f32 v9, v9, v166, v160
	v_exp_f32_e32 v170, v168
	v_cndmask_b32_e64 v164, 0, v11, s43
	v_cndmask_b32_e64 v11, 1.0, 0x1f800000, s45
	v_mul_f32_e32 v8, v8, v163
	v_mul_f32_e32 v10, v169, v10
	v_fma_f32 v9, v9, v163, v161
	s_delay_alu instid0(VALU_DEP_3) | instskip(NEXT) | instid1(VALU_DEP_3)
	v_mul_f32_e32 v8, v8, v165
	v_cndmask_b32_e64 v168, 1.0, v10, s43
	v_mul_f32_e32 v10, v122, v167
	s_delay_alu instid0(TRANS32_DEP_1) | instskip(SKIP_1) | instid1(VALU_DEP_4)
	v_mul_f32_e32 v11, v170, v11
	v_fma_f32 v9, v9, v165, v162
	v_mul_f32_e32 v8, v8, v168
	s_delay_alu instid0(VALU_DEP_4) | instskip(NEXT) | instid1(VALU_DEP_4)
	v_cndmask_b32_e64 v167, 0, v10, s44
	v_cndmask_b32_e64 v169, 1.0, v11, s44
	s_delay_alu instid0(VALU_DEP_4) | instskip(NEXT) | instid1(VALU_DEP_2)
	v_fma_f32 v9, v9, v168, v164
	v_mul_f32_e32 v8, v8, v169
	s_delay_alu instid0(VALU_DEP_2) | instskip(NEXT) | instid1(VALU_DEP_2)
	v_fma_f32 v9, v9, v169, v167
	v_mov_b32_dpp v11, v8 row_shr:1 row_mask:0xf bank_mask:0xf
	s_delay_alu instid0(VALU_DEP_2)
	v_mov_b32_dpp v10, v9 row_shr:1 row_mask:0xf bank_mask:0xf
	s_and_saveexec_b32 s45, s0
; %bb.180:                              ;   in Loop: Header=BB86_109 Depth=2
	s_delay_alu instid0(VALU_DEP_2) | instskip(NEXT) | instid1(VALU_DEP_1)
	v_mul_f32_e32 v11, v8, v11
	v_dual_fmac_f32 v9, v8, v10 :: v_dual_mov_b32 v8, v11
; %bb.181:                              ;   in Loop: Header=BB86_109 Depth=2
	s_or_b32 exec_lo, exec_lo, s45
	s_delay_alu instid0(VALU_DEP_1) | instskip(NEXT) | instid1(VALU_DEP_2)
	v_mov_b32_dpp v10, v8 row_shr:2 row_mask:0xf bank_mask:0xf
	v_mov_b32_dpp v11, v9 row_shr:2 row_mask:0xf bank_mask:0xf
	s_and_saveexec_b32 s45, s1
; %bb.182:                              ;   in Loop: Header=BB86_109 Depth=2
	s_delay_alu instid0(VALU_DEP_1) | instskip(NEXT) | instid1(VALU_DEP_3)
	v_fmac_f32_e32 v9, v8, v11
	v_mul_f32_e32 v8, v8, v10
; %bb.183:                              ;   in Loop: Header=BB86_109 Depth=2
	s_or_b32 exec_lo, exec_lo, s45
	s_delay_alu instid0(VALU_DEP_1) | instskip(NEXT) | instid1(VALU_DEP_3)
	v_mov_b32_dpp v10, v8 row_shr:4 row_mask:0xf bank_mask:0xf
	v_mov_b32_dpp v11, v9 row_shr:4 row_mask:0xf bank_mask:0xf
	s_and_saveexec_b32 s45, s2
; %bb.184:                              ;   in Loop: Header=BB86_109 Depth=2
	s_delay_alu instid0(VALU_DEP_1) | instskip(NEXT) | instid1(VALU_DEP_3)
	v_fmac_f32_e32 v9, v8, v11
	v_mul_f32_e32 v8, v8, v10
; %bb.185:                              ;   in Loop: Header=BB86_109 Depth=2
	s_or_b32 exec_lo, exec_lo, s45
	s_delay_alu instid0(VALU_DEP_1) | instskip(NEXT) | instid1(VALU_DEP_3)
	v_mov_b32_dpp v10, v8 row_shr:8 row_mask:0xf bank_mask:0xf
	v_mov_b32_dpp v11, v9 row_shr:8 row_mask:0xf bank_mask:0xf
	s_and_saveexec_b32 s45, s3
; %bb.186:                              ;   in Loop: Header=BB86_109 Depth=2
	s_delay_alu instid0(VALU_DEP_1) | instskip(NEXT) | instid1(VALU_DEP_3)
	v_fmac_f32_e32 v9, v8, v11
	v_mul_f32_e32 v8, v8, v10
; %bb.187:                              ;   in Loop: Header=BB86_109 Depth=2
	s_or_b32 exec_lo, exec_lo, s45
	ds_swizzle_b32 v11, v8 offset:swizzle(BROADCAST,32,15)
	ds_swizzle_b32 v10, v9 offset:swizzle(BROADCAST,32,15)
	s_and_saveexec_b32 s45, s4
	s_cbranch_execz .LBB86_189
; %bb.188:                              ;   in Loop: Header=BB86_109 Depth=2
	s_waitcnt lgkmcnt(1)
	v_mul_f32_e32 v11, v8, v11
	s_waitcnt lgkmcnt(0)
	s_delay_alu instid0(VALU_DEP_1)
	v_dual_fmac_f32 v9, v8, v10 :: v_dual_mov_b32 v8, v11
.LBB86_189:                             ;   in Loop: Header=BB86_109 Depth=2
	s_or_b32 exec_lo, exec_lo, s45
	s_and_saveexec_b32 s45, s5
	s_cbranch_execz .LBB86_191
; %bb.190:                              ;   in Loop: Header=BB86_109 Depth=2
	ds_store_b64 v69, v[8:9] offset:4224
.LBB86_191:                             ;   in Loop: Header=BB86_109 Depth=2
	s_or_b32 exec_lo, exec_lo, s45
	s_waitcnt lgkmcnt(0)
	s_waitcnt_vscnt null, 0x0
	s_barrier
	buffer_gl0_inv
	s_and_saveexec_b32 s45, s6
	s_cbranch_execz .LBB86_193
; %bb.192:                              ;   in Loop: Header=BB86_109 Depth=2
	ds_load_b64 v[10:11], v70 offset:4224
	s_waitcnt lgkmcnt(0)
	v_mov_b32_dpp v170, v10 row_shr:1 row_mask:0xf bank_mask:0xf
	v_mov_b32_dpp v171, v11 row_shr:1 row_mask:0xf bank_mask:0xf
	s_delay_alu instid0(VALU_DEP_2) | instskip(NEXT) | instid1(VALU_DEP_2)
	v_mul_f32_e32 v170, v10, v170
	v_fma_f32 v171, v10, v171, v11
	s_delay_alu instid0(VALU_DEP_2) | instskip(NEXT) | instid1(VALU_DEP_2)
	v_cndmask_b32_e64 v10, v170, v10, s7
	v_cndmask_b32_e64 v11, v171, v11, s7
	ds_store_b64 v70, v[10:11] offset:4224
.LBB86_193:                             ;   in Loop: Header=BB86_109 Depth=2
	s_or_b32 exec_lo, exec_lo, s45
	s_waitcnt lgkmcnt(0)
	s_barrier
	buffer_gl0_inv
                                        ; implicit-def: $vgpr11
	s_and_saveexec_b32 s45, s9
	s_cbranch_execz .LBB86_195
; %bb.194:                              ;   in Loop: Header=BB86_109 Depth=2
	ds_load_b64 v[10:11], v69 offset:4216
	s_waitcnt lgkmcnt(0)
	v_mul_f32_e32 v170, v8, v10
	s_delay_alu instid0(VALU_DEP_1)
	v_dual_fmac_f32 v9, v8, v11 :: v_dual_mov_b32 v8, v170
.LBB86_195:                             ;   in Loop: Header=BB86_109 Depth=2
	s_or_b32 exec_lo, exec_lo, s45
	ds_bpermute_b32 v170, v71, v8
	ds_bpermute_b32 v171, v71, v9
	s_and_saveexec_b32 s45, s8
	s_cbranch_execz .LBB86_199
; %bb.196:                              ;   in Loop: Header=BB86_109 Depth=2
	ds_load_b64 v[8:9], v21 offset:4232
	s_and_saveexec_b32 s46, s10
	s_cbranch_execz .LBB86_198
; %bb.197:                              ;   in Loop: Header=BB86_109 Depth=2
	ds_store_b64 v21, v[16:17] offset:4232
.LBB86_198:                             ;   in Loop: Header=BB86_109 Depth=2
	s_or_b32 exec_lo, exec_lo, s46
	s_waitcnt lgkmcnt(0)
	v_fmac_f32_e32 v9, v17, v8
	s_delay_alu instid0(VALU_DEP_1)
	v_dual_mul_f32 v16, v16, v8 :: v_dual_mov_b32 v17, v9
.LBB86_199:                             ;   in Loop: Header=BB86_109 Depth=2
	s_or_b32 exec_lo, exec_lo, s45
	s_waitcnt lgkmcnt(0)
	s_barrier
	buffer_gl0_inv
	ds_load_b32 v8, v21 offset:4236
	s_and_saveexec_b32 s45, s10
	s_cbranch_execz .LBB86_108
; %bb.200:                              ;   in Loop: Header=BB86_109 Depth=2
	v_mov_b32_e32 v9, s88
	s_and_not1_b32 vcc_lo, exec_lo, s86
	ds_store_b64 v9, v[16:17]
	s_cbranch_vccnz .LBB86_108
; %bb.201:                              ;   in Loop: Header=BB86_109 Depth=2
	s_mov_b32 s61, s65
	v_cvt_f16_f32_e32 v9, v17
	s_lshl_b64 s[90:91], s[60:61], 1
	s_delay_alu instid0(SALU_CYCLE_1)
	s_add_u32 s90, s75, s90
	s_addc_u32 s91, s76, s91
	global_store_b16 v21, v9, s[90:91]
	s_branch .LBB86_108
.LBB86_202:                             ;   in Loop: Header=BB86_12 Depth=1
	v_cvt_f16_f32_e32 v0, v121
	v_cvt_f16_f32_e32 v4, v120
	;; [unrolled: 1-line block ×16, first 2 shown]
	v_pack_b32_f16 v3, v3, v7
	v_pack_b32_f16 v2, v2, v6
	;; [unrolled: 1-line block ×8, first 2 shown]
	s_waitcnt_vscnt null, 0x0
	s_barrier
	buffer_gl0_inv
	ds_store_b128 v52, v[0:3]
	ds_store_b128 v52, v[4:7] offset:16
	; wave barrier
	ds_load_u16 v16, v37 offset:64
	ds_load_u16 v15, v38 offset:128
	;; [unrolled: 1-line block ×15, first 2 shown]
	s_mov_b32 s51, s65
	s_delay_alu instid0(SALU_CYCLE_1) | instskip(NEXT) | instid1(SALU_CYCLE_1)
	s_lshl_b64 s[28:29], s[50:51], 1
	v_add_co_u32 v0, vcc_lo, v72, s28
	v_add_co_ci_u32_e32 v1, vcc_lo, s29, v73, vcc_lo
	s_and_saveexec_b32 s28, s12
	s_cbranch_execnz .LBB86_220
; %bb.203:                              ;   in Loop: Header=BB86_12 Depth=1
	s_or_b32 exec_lo, exec_lo, s28
	s_and_saveexec_b32 s12, s13
	s_cbranch_execnz .LBB86_221
.LBB86_204:                             ;   in Loop: Header=BB86_12 Depth=1
	s_or_b32 exec_lo, exec_lo, s12
	s_and_saveexec_b32 s12, s14
	s_cbranch_execnz .LBB86_222
.LBB86_205:                             ;   in Loop: Header=BB86_12 Depth=1
	s_or_b32 exec_lo, exec_lo, s12
	s_and_saveexec_b32 s12, s15
	s_cbranch_execnz .LBB86_223
.LBB86_206:                             ;   in Loop: Header=BB86_12 Depth=1
	s_or_b32 exec_lo, exec_lo, s12
	s_and_saveexec_b32 s12, s16
	s_cbranch_execnz .LBB86_224
.LBB86_207:                             ;   in Loop: Header=BB86_12 Depth=1
	s_or_b32 exec_lo, exec_lo, s12
	s_and_saveexec_b32 s12, s17
	s_cbranch_execnz .LBB86_225
.LBB86_208:                             ;   in Loop: Header=BB86_12 Depth=1
	s_or_b32 exec_lo, exec_lo, s12
	s_and_saveexec_b32 s12, s18
	s_cbranch_execnz .LBB86_226
.LBB86_209:                             ;   in Loop: Header=BB86_12 Depth=1
	s_or_b32 exec_lo, exec_lo, s12
	s_and_saveexec_b32 s12, s19
	s_cbranch_execnz .LBB86_227
.LBB86_210:                             ;   in Loop: Header=BB86_12 Depth=1
	s_or_b32 exec_lo, exec_lo, s12
	s_and_saveexec_b32 s12, s20
	s_cbranch_execnz .LBB86_228
.LBB86_211:                             ;   in Loop: Header=BB86_12 Depth=1
	s_or_b32 exec_lo, exec_lo, s12
	s_and_saveexec_b32 s12, s21
	s_cbranch_execnz .LBB86_229
.LBB86_212:                             ;   in Loop: Header=BB86_12 Depth=1
	s_or_b32 exec_lo, exec_lo, s12
	s_and_saveexec_b32 s12, s22
	s_cbranch_execnz .LBB86_230
.LBB86_213:                             ;   in Loop: Header=BB86_12 Depth=1
	s_or_b32 exec_lo, exec_lo, s12
	s_and_saveexec_b32 s12, s23
	s_cbranch_execnz .LBB86_231
.LBB86_214:                             ;   in Loop: Header=BB86_12 Depth=1
	s_or_b32 exec_lo, exec_lo, s12
	s_and_saveexec_b32 s12, s24
	s_cbranch_execnz .LBB86_232
.LBB86_215:                             ;   in Loop: Header=BB86_12 Depth=1
	s_or_b32 exec_lo, exec_lo, s12
	s_and_saveexec_b32 s12, s25
	s_cbranch_execnz .LBB86_233
.LBB86_216:                             ;   in Loop: Header=BB86_12 Depth=1
	s_or_b32 exec_lo, exec_lo, s12
	s_and_saveexec_b32 s12, s26
	s_cbranch_execnz .LBB86_234
.LBB86_217:                             ;   in Loop: Header=BB86_12 Depth=1
	s_or_b32 exec_lo, exec_lo, s12
	s_and_saveexec_b32 s12, s27
	s_cbranch_execz .LBB86_11
	s_branch .LBB86_235
.LBB86_218:                             ;   in Loop: Header=BB86_12 Depth=1
	global_load_u16 v97, v[8:9], off offset:832
	s_or_b32 exec_lo, exec_lo, s28
	s_and_saveexec_b32 s28, s26
	s_cbranch_execz .LBB86_72
.LBB86_219:                             ;   in Loop: Header=BB86_12 Depth=1
	global_load_u16 v96, v[8:9], off offset:896
	s_or_b32 exec_lo, exec_lo, s28
	v_mov_b32_e32 v98, 0
	s_and_saveexec_b32 s28, s27
	s_cbranch_execnz .LBB86_73
	s_branch .LBB86_74
.LBB86_220:                             ;   in Loop: Header=BB86_12 Depth=1
	ds_load_u16 v17, v37
	s_waitcnt lgkmcnt(0)
	global_store_b16 v[0:1], v17, off
	s_or_b32 exec_lo, exec_lo, s28
	s_and_saveexec_b32 s12, s13
	s_cbranch_execz .LBB86_204
.LBB86_221:                             ;   in Loop: Header=BB86_12 Depth=1
	s_waitcnt lgkmcnt(14)
	global_store_b16 v[0:1], v16, off offset:64
	s_or_b32 exec_lo, exec_lo, s12
	s_and_saveexec_b32 s12, s14
	s_cbranch_execz .LBB86_205
.LBB86_222:                             ;   in Loop: Header=BB86_12 Depth=1
	s_waitcnt lgkmcnt(13)
	global_store_b16 v[0:1], v15, off offset:128
	s_or_b32 exec_lo, exec_lo, s12
	s_and_saveexec_b32 s12, s15
	s_cbranch_execz .LBB86_206
.LBB86_223:                             ;   in Loop: Header=BB86_12 Depth=1
	s_waitcnt lgkmcnt(12)
	global_store_b16 v[0:1], v14, off offset:192
	s_or_b32 exec_lo, exec_lo, s12
	s_and_saveexec_b32 s12, s16
	s_cbranch_execz .LBB86_207
.LBB86_224:                             ;   in Loop: Header=BB86_12 Depth=1
	s_waitcnt lgkmcnt(11)
	global_store_b16 v[0:1], v13, off offset:256
	s_or_b32 exec_lo, exec_lo, s12
	s_and_saveexec_b32 s12, s17
	s_cbranch_execz .LBB86_208
.LBB86_225:                             ;   in Loop: Header=BB86_12 Depth=1
	s_waitcnt lgkmcnt(10)
	global_store_b16 v[0:1], v12, off offset:320
	s_or_b32 exec_lo, exec_lo, s12
	s_and_saveexec_b32 s12, s18
	s_cbranch_execz .LBB86_209
.LBB86_226:                             ;   in Loop: Header=BB86_12 Depth=1
	s_waitcnt lgkmcnt(9)
	global_store_b16 v[0:1], v11, off offset:384
	s_or_b32 exec_lo, exec_lo, s12
	s_and_saveexec_b32 s12, s19
	s_cbranch_execz .LBB86_210
.LBB86_227:                             ;   in Loop: Header=BB86_12 Depth=1
	s_waitcnt lgkmcnt(8)
	global_store_b16 v[0:1], v10, off offset:448
	s_or_b32 exec_lo, exec_lo, s12
	s_and_saveexec_b32 s12, s20
	s_cbranch_execz .LBB86_211
.LBB86_228:                             ;   in Loop: Header=BB86_12 Depth=1
	s_waitcnt lgkmcnt(7)
	global_store_b16 v[0:1], v9, off offset:512
	s_or_b32 exec_lo, exec_lo, s12
	s_and_saveexec_b32 s12, s21
	s_cbranch_execz .LBB86_212
.LBB86_229:                             ;   in Loop: Header=BB86_12 Depth=1
	s_waitcnt lgkmcnt(6)
	global_store_b16 v[0:1], v8, off offset:576
	s_or_b32 exec_lo, exec_lo, s12
	s_and_saveexec_b32 s12, s22
	s_cbranch_execz .LBB86_213
.LBB86_230:                             ;   in Loop: Header=BB86_12 Depth=1
	s_waitcnt lgkmcnt(5)
	global_store_b16 v[0:1], v7, off offset:640
	s_or_b32 exec_lo, exec_lo, s12
	s_and_saveexec_b32 s12, s23
	s_cbranch_execz .LBB86_214
.LBB86_231:                             ;   in Loop: Header=BB86_12 Depth=1
	s_waitcnt lgkmcnt(4)
	global_store_b16 v[0:1], v6, off offset:704
	s_or_b32 exec_lo, exec_lo, s12
	s_and_saveexec_b32 s12, s24
	s_cbranch_execz .LBB86_215
.LBB86_232:                             ;   in Loop: Header=BB86_12 Depth=1
	s_waitcnt lgkmcnt(3)
	global_store_b16 v[0:1], v5, off offset:768
	s_or_b32 exec_lo, exec_lo, s12
	s_and_saveexec_b32 s12, s25
	s_cbranch_execz .LBB86_216
.LBB86_233:                             ;   in Loop: Header=BB86_12 Depth=1
	s_waitcnt lgkmcnt(2)
	global_store_b16 v[0:1], v4, off offset:832
	s_or_b32 exec_lo, exec_lo, s12
	s_and_saveexec_b32 s12, s26
	s_cbranch_execz .LBB86_217
.LBB86_234:                             ;   in Loop: Header=BB86_12 Depth=1
	s_waitcnt lgkmcnt(1)
	global_store_b16 v[0:1], v3, off offset:896
	s_or_b32 exec_lo, exec_lo, s12
	s_and_saveexec_b32 s12, s27
	s_cbranch_execz .LBB86_11
.LBB86_235:                             ;   in Loop: Header=BB86_12 Depth=1
	s_waitcnt lgkmcnt(0)
	global_store_b16 v[0:1], v2, off offset:960
	s_branch .LBB86_11
.LBB86_236:
	s_nop 0
	s_sendmsg sendmsg(MSG_DEALLOC_VGPRS)
	s_endpgm
	.section	.rodata,"a",@progbits
	.p2align	6, 0x0
	.amdhsa_kernel _Z25selective_scan_fwd_kernelI32Selective_Scan_fwd_kernel_traitsILi64ELi16ELi1ELb0ELb1ELb1ELb0ELb1EN3c104HalfEfS2_EEv13SSMParamsBase
		.amdhsa_group_segment_fixed_size 0
		.amdhsa_private_segment_fixed_size 0
		.amdhsa_kernarg_size 248
		.amdhsa_user_sgpr_count 14
		.amdhsa_user_sgpr_dispatch_ptr 0
		.amdhsa_user_sgpr_queue_ptr 0
		.amdhsa_user_sgpr_kernarg_segment_ptr 1
		.amdhsa_user_sgpr_dispatch_id 0
		.amdhsa_user_sgpr_private_segment_size 0
		.amdhsa_wavefront_size32 1
		.amdhsa_uses_dynamic_stack 0
		.amdhsa_enable_private_segment 0
		.amdhsa_system_sgpr_workgroup_id_x 1
		.amdhsa_system_sgpr_workgroup_id_y 1
		.amdhsa_system_sgpr_workgroup_id_z 0
		.amdhsa_system_sgpr_workgroup_info 0
		.amdhsa_system_vgpr_workitem_id 0
		.amdhsa_next_free_vgpr 172
		.amdhsa_next_free_sgpr 92
		.amdhsa_reserve_vcc 1
		.amdhsa_float_round_mode_32 0
		.amdhsa_float_round_mode_16_64 0
		.amdhsa_float_denorm_mode_32 3
		.amdhsa_float_denorm_mode_16_64 3
		.amdhsa_dx10_clamp 1
		.amdhsa_ieee_mode 1
		.amdhsa_fp16_overflow 0
		.amdhsa_workgroup_processor_mode 1
		.amdhsa_memory_ordered 1
		.amdhsa_forward_progress 0
		.amdhsa_shared_vgpr_count 0
		.amdhsa_exception_fp_ieee_invalid_op 0
		.amdhsa_exception_fp_denorm_src 0
		.amdhsa_exception_fp_ieee_div_zero 0
		.amdhsa_exception_fp_ieee_overflow 0
		.amdhsa_exception_fp_ieee_underflow 0
		.amdhsa_exception_fp_ieee_inexact 0
		.amdhsa_exception_int_div_zero 0
	.end_amdhsa_kernel
	.section	.text._Z25selective_scan_fwd_kernelI32Selective_Scan_fwd_kernel_traitsILi64ELi16ELi1ELb0ELb1ELb1ELb0ELb1EN3c104HalfEfS2_EEv13SSMParamsBase,"axG",@progbits,_Z25selective_scan_fwd_kernelI32Selective_Scan_fwd_kernel_traitsILi64ELi16ELi1ELb0ELb1ELb1ELb0ELb1EN3c104HalfEfS2_EEv13SSMParamsBase,comdat
.Lfunc_end86:
	.size	_Z25selective_scan_fwd_kernelI32Selective_Scan_fwd_kernel_traitsILi64ELi16ELi1ELb0ELb1ELb1ELb0ELb1EN3c104HalfEfS2_EEv13SSMParamsBase, .Lfunc_end86-_Z25selective_scan_fwd_kernelI32Selective_Scan_fwd_kernel_traitsILi64ELi16ELi1ELb0ELb1ELb1ELb0ELb1EN3c104HalfEfS2_EEv13SSMParamsBase
                                        ; -- End function
	.section	.AMDGPU.csdata,"",@progbits
; Kernel info:
; codeLenInByte = 21420
; NumSgprs: 94
; NumVgprs: 172
; ScratchSize: 0
; MemoryBound: 0
; FloatMode: 240
; IeeeMode: 1
; LDSByteSize: 0 bytes/workgroup (compile time only)
; SGPRBlocks: 11
; VGPRBlocks: 21
; NumSGPRsForWavesPerEU: 94
; NumVGPRsForWavesPerEU: 172
; Occupancy: 8
; WaveLimiterHint : 1
; COMPUTE_PGM_RSRC2:SCRATCH_EN: 0
; COMPUTE_PGM_RSRC2:USER_SGPR: 14
; COMPUTE_PGM_RSRC2:TRAP_HANDLER: 0
; COMPUTE_PGM_RSRC2:TGID_X_EN: 1
; COMPUTE_PGM_RSRC2:TGID_Y_EN: 1
; COMPUTE_PGM_RSRC2:TGID_Z_EN: 0
; COMPUTE_PGM_RSRC2:TIDIG_COMP_CNT: 0
	.section	.text._Z25selective_scan_fwd_kernelI32Selective_Scan_fwd_kernel_traitsILi64ELi16ELi1ELb0ELb1ELb1ELb0ELb0EN3c104HalfEfS2_EEv13SSMParamsBase,"axG",@progbits,_Z25selective_scan_fwd_kernelI32Selective_Scan_fwd_kernel_traitsILi64ELi16ELi1ELb0ELb1ELb1ELb0ELb0EN3c104HalfEfS2_EEv13SSMParamsBase,comdat
	.protected	_Z25selective_scan_fwd_kernelI32Selective_Scan_fwd_kernel_traitsILi64ELi16ELi1ELb0ELb1ELb1ELb0ELb0EN3c104HalfEfS2_EEv13SSMParamsBase ; -- Begin function _Z25selective_scan_fwd_kernelI32Selective_Scan_fwd_kernel_traitsILi64ELi16ELi1ELb0ELb1ELb1ELb0ELb0EN3c104HalfEfS2_EEv13SSMParamsBase
	.globl	_Z25selective_scan_fwd_kernelI32Selective_Scan_fwd_kernel_traitsILi64ELi16ELi1ELb0ELb1ELb1ELb0ELb0EN3c104HalfEfS2_EEv13SSMParamsBase
	.p2align	8
	.type	_Z25selective_scan_fwd_kernelI32Selective_Scan_fwd_kernel_traitsILi64ELi16ELi1ELb0ELb1ELb1ELb0ELb0EN3c104HalfEfS2_EEv13SSMParamsBase,@function
_Z25selective_scan_fwd_kernelI32Selective_Scan_fwd_kernel_traitsILi64ELi16ELi1ELb0ELb1ELb1ELb0ELb0EN3c104HalfEfS2_EEv13SSMParamsBase: ; @_Z25selective_scan_fwd_kernelI32Selective_Scan_fwd_kernel_traitsILi64ELi16ELi1ELb0ELb1ELb1ELb0ELb0EN3c104HalfEfS2_EEv13SSMParamsBase
; %bb.0:
	s_clause 0x1
	s_load_b32 s9, s[0:1], 0x18
	s_load_b128 s[4:7], s[0:1], 0xe8
	s_mov_b32 s12, s15
	s_mov_b32 s47, 0
	s_waitcnt lgkmcnt(0)
	s_abs_i32 s8, s9
	s_cmp_eq_u64 s[6:7], 0
	v_cvt_f32_u32_e32 v1, s8
	s_delay_alu instid0(VALU_DEP_1) | instskip(SKIP_2) | instid1(VALU_DEP_1)
	v_rcp_iflag_f32_e32 v1, v1
	s_waitcnt_depctr 0xfff
	v_mul_f32_e32 v1, 0x4f7ffffe, v1
	v_cvt_u32_f32_e32 v1, v1
	s_delay_alu instid0(VALU_DEP_1)
	v_readfirstlane_b32 s10, v1
	s_cbranch_scc1 .LBB87_2
; %bb.1:
	v_mov_b32_e32 v1, 0
	s_ashr_i32 s3, s14, 31
	s_add_u32 s2, s6, s14
	s_addc_u32 s3, s7, s3
	global_load_u8 v1, v1, s[2:3]
	s_waitcnt vmcnt(0)
	v_and_b32_e32 v1, 1, v1
	s_delay_alu instid0(VALU_DEP_1)
	v_cmp_eq_u32_e64 s47, 1, v1
.LBB87_2:
	s_load_b64 s[6:7], s[0:1], 0x20
	s_cmp_eq_u64 s[4:5], 0
	s_cbranch_scc1 .LBB87_4
; %bb.3:
	s_ashr_i32 s15, s14, 31
	s_delay_alu instid0(SALU_CYCLE_1) | instskip(NEXT) | instid1(SALU_CYCLE_1)
	s_lshl_b64 s[2:3], s[14:15], 2
	s_add_u32 s2, s4, s2
	s_addc_u32 s3, s5, s3
	s_load_b32 s2, s[2:3], 0x0
	s_waitcnt lgkmcnt(0)
	s_ashr_i32 s3, s2, 31
	s_delay_alu instid0(SALU_CYCLE_1)
	s_cmp_eq_u64 s[6:7], s[2:3]
	s_cbranch_scc0 .LBB87_5
	s_branch .LBB87_236
.LBB87_4:
	s_mov_b32 s2, s14
	s_delay_alu instid0(SALU_CYCLE_1)
	s_ashr_i32 s3, s2, 31
	s_waitcnt lgkmcnt(0)
	s_cmp_eq_u64 s[6:7], s[2:3]
	s_cbranch_scc1 .LBB87_236
.LBB87_5:
	s_clause 0x1
	s_load_b512 s[16:31], s[0:1], 0x88
	s_load_b64 s[64:65], s[0:1], 0x8
	s_mov_b32 s68, 0
	s_mov_b32 s69, 0
	s_waitcnt lgkmcnt(0)
	s_cmp_eq_u64 s[22:23], 0
	s_cbranch_scc1 .LBB87_7
; %bb.6:
	s_ashr_i32 s13, s12, 31
	s_delay_alu instid0(SALU_CYCLE_1) | instskip(NEXT) | instid1(SALU_CYCLE_1)
	s_lshl_b64 s[4:5], s[12:13], 2
	s_add_u32 s4, s22, s4
	s_addc_u32 s5, s23, s5
	s_load_b32 s69, s[4:5], 0x0
.LBB87_7:
	s_cmp_eq_u64 s[28:29], 0
	s_cbranch_scc1 .LBB87_9
; %bb.8:
	s_ashr_i32 s13, s12, 31
	s_delay_alu instid0(SALU_CYCLE_1) | instskip(NEXT) | instid1(SALU_CYCLE_1)
	s_lshl_b64 s[4:5], s[12:13], 2
	s_add_u32 s4, s28, s4
	s_addc_u32 s5, s29, s5
	s_load_b32 s68, s[4:5], 0x0
.LBB87_9:
	s_cmp_lt_i32 s64, 1
	s_cbranch_scc1 .LBB87_236
; %bb.10:
	s_sub_i32 s3, 0, s8
	s_clause 0x1
	s_load_b64 s[4:5], s[0:1], 0x5c
	s_load_b128 s[56:59], s[0:1], 0x4c
	s_mul_i32 s3, s3, s10
	s_abs_i32 s6, s12
	s_mul_hi_u32 s3, s10, s3
	s_ashr_i32 s9, s9, 31
	s_add_i32 s10, s10, s3
	s_ashr_i32 s3, s12, 31
	s_mul_hi_u32 s7, s6, s10
	s_xor_b32 s3, s3, s9
	s_mul_i32 s10, s7, s8
	s_add_i32 s9, s7, 1
	s_sub_i32 s6, s6, s10
	s_load_b256 s[48:55], s[0:1], 0x2c
	s_sub_i32 s10, s6, s8
	s_cmp_ge_u32 s6, s8
	s_mov_b32 s67, 0
	s_cselect_b32 s7, s9, s7
	s_cselect_b32 s6, s10, s6
	s_add_i32 s9, s7, 1
	s_cmp_ge_u32 s6, s8
	s_waitcnt lgkmcnt(0)
	s_mul_i32 s66, s58, s14
	s_cselect_b32 s6, s9, s7
	s_clause 0x1
	s_load_b128 s[60:63], s[0:1], 0x7c
	s_load_b64 s[10:11], s[0:1], 0x6c
	s_xor_b32 s8, s6, s3
	s_lshl_b64 s[6:7], s[66:67], 1
	s_sub_i32 s3, s8, s3
	s_mul_i32 s66, s59, s12
	s_add_u32 s8, s24, s6
	s_addc_u32 s9, s25, s7
	s_lshl_b64 s[6:7], s[66:67], 1
	s_mul_i32 s66, s4, s14
	s_add_u32 s70, s8, s6
	s_addc_u32 s71, s9, s7
	s_lshl_b64 s[6:7], s[66:67], 1
	;; [unrolled: 4-line block ×3, first 2 shown]
	v_dual_mov_b32 v21, 0 :: v_dual_lshlrev_b32 v18, 4, v0
	s_add_u32 s72, s6, s4
	s_mul_i32 s66, s48, s12
	s_addc_u32 s48, s7, s5
	s_load_b64 s[6:7], s[0:1], 0xc8
	s_lshl_b64 s[4:5], s[66:67], 2
	v_mbcnt_lo_u32_b32 v19, -1, 0
	v_and_b32_e32 v1, 0x200, v18
	s_mul_i32 s66, s50, s14
	s_add_u32 s73, s16, s4
	s_waitcnt lgkmcnt(0)
	s_addc_u32 s63, s17, s5
	s_lshl_b64 s[4:5], s[66:67], 1
	s_mul_i32 s66, s3, s53
	s_load_b32 s0, s[0:1], 0x28
	s_add_u32 s8, s18, s4
	v_or_b32_e32 v20, v19, v1
	s_addc_u32 s9, s19, s5
	s_lshl_b64 s[4:5], s[66:67], 1
	s_mul_i32 s66, s54, s14
	s_add_u32 s53, s8, s4
	s_addc_u32 s74, s9, s5
	s_lshl_b64 s[4:5], s[66:67], 1
	s_mul_i32 s66, s3, s57
	v_or_b32_e32 v24, 0x60, v20
	v_and_b32_e32 v14, 32, v0
	s_add_u32 s8, s20, s4
	s_addc_u32 s3, s21, s5
	s_lshl_b64 s[4:5], s[66:67], 1
	s_mul_i32 s66, s2, s60
	s_add_u32 s57, s8, s4
	s_addc_u32 s75, s3, s5
	s_lshl_b64 s[2:3], s[66:67], 1
	v_or_b32_e32 v26, 0xa0, v20
	v_or_b32_e32 v28, 0xe0, v20
	;; [unrolled: 1-line block ×5, first 2 shown]
	v_lshrrev_b32_e32 v2, 5, v24
	v_or_b32_e32 v36, 0x1e0, v20
	v_or_b32_e32 v16, v19, v14
	s_mul_i32 s66, s61, s12
	s_add_u32 s4, s6, s2
	s_addc_u32 s5, s7, s3
	s_lshl_b64 s[2:3], s[66:67], 1
	v_or_b32_e32 v23, 64, v20
	s_add_u32 s76, s4, s2
	v_or_b32_e32 v25, 0x80, v20
	v_or_b32_e32 v27, 0xc0, v20
	;; [unrolled: 1-line block ×6, first 2 shown]
	v_and_b32_e32 v2, 18, v2
	v_lshrrev_b32_e32 v5, 5, v26
	v_lshrrev_b32_e32 v8, 5, v28
	;; [unrolled: 1-line block ×6, first 2 shown]
	v_lshrrev_b16 v50, 1, v16
	s_addc_u32 s77, s5, s3
	s_add_i32 s2, s64, 0x7ff
	v_lshrrev_b32_e32 v3, 5, v1
	s_lshr_b32 s78, s2, 11
	s_waitcnt lgkmcnt(0)
	s_bitcmp1_b32 s0, 0
	v_lshrrev_b32_e32 v4, 5, v23
	v_lshrrev_b32_e32 v6, 5, v25
	v_add_lshl_u32 v2, v2, v20, 1
	v_and_b32_e32 v5, 20, v5
	v_lshrrev_b32_e32 v7, 5, v27
	v_and_b32_e32 v8, 22, v8
	v_lshrrev_b32_e32 v10, 5, v29
	;; [unrolled: 2-line block ×5, first 2 shown]
	v_and_b32_e32 v51, 30, v49
	v_lshlrev_b32_e32 v16, 4, v16
	v_and_b32_e32 v52, 30, v50
	s_cselect_b32 s79, -1, 0
	s_cmp_gt_i32 s65, 0
	v_add_lshl_u32 v3, v3, v20, 1
	s_cselect_b32 s80, -1, 0
	s_add_i32 s0, 0, 0x840
	v_add_lshl_u32 v4, v4, v20, 1
	v_add_lshl_u32 v6, v6, v20, 1
	v_add_nc_u32_e32 v39, 0, v2
	v_add_lshl_u32 v5, v5, v20, 1
	v_add_lshl_u32 v7, v7, v20, 1
	v_add_lshl_u32 v8, v8, v20, 1
	v_add_lshl_u32 v10, v10, v20, 1
	v_add_lshl_u32 v9, v9, v20, 1
	v_add_lshl_u32 v12, v12, v20, 1
	v_add_lshl_u32 v11, v11, v20, 1
	v_add_lshl_u32 v13, v13, v20, 1
	v_add_lshl_u32 v15, v15, v20, 1
	v_add_lshl_u32 v17, v17, v20, 1
	v_add_lshl_u32 v67, v51, v20, 1
	v_add_lshl_u32 v16, v52, v16, 1
	v_add_nc_u32_e32 v55, s0, v2
	v_and_b32_e32 v2, 15, v19
	s_and_b32 s1, s64, 0x3ff
	v_add_nc_u32_e32 v51, 0, v67
	v_add_nc_u32_e32 v53, s0, v3
	;; [unrolled: 1-line block ×15, first 2 shown]
	s_cmp_eq_u32 s1, 0
	v_add_nc_u32_e32 v68, s0, v16
	v_cmp_ne_u32_e64 s0, 0, v2
	v_cmp_lt_u32_e64 s1, 1, v2
	v_cmp_lt_u32_e64 s2, 3, v2
	;; [unrolled: 1-line block ×3, first 2 shown]
	v_add_nc_u32_e32 v2, -1, v19
	v_add_nc_u32_e32 v37, 0, v3
	v_lshrrev_b32_e32 v3, 2, v0
	v_add_nc_u32_e32 v41, 0, v5
	v_or_b32_e32 v5, 31, v14
	v_cmp_gt_i32_e32 vcc_lo, 0, v2
	s_mul_i32 s66, s10, s14
	v_and_b32_e32 v3, 8, v3
	s_cselect_b32 s81, -1, 0
	s_lshl_b64 s[14:15], s[66:67], 1
	v_cndmask_b32_e32 v2, v2, v19, vcc_lo
	s_add_i32 s82, s78, -1
	s_mul_i32 s66, s11, s12
	v_cmp_eq_u32_e64 s5, v5, v0
	v_cmp_gt_u32_e64 s6, 2, v0
	v_lshl_add_u32 v70, v0, 3, 0
	v_cmp_gt_u32_e64 s8, 32, v0
	v_cmp_lt_u32_e64 s9, 31, v0
	v_cmp_eq_u32_e64 s10, 0, v0
	s_add_u32 s14, s30, s14
	v_lshlrev_b32_e32 v0, 1, v19
	s_addc_u32 s11, s31, s15
	s_lshl_b64 s[12:13], s[66:67], 1
	v_add_nc_u32_e32 v69, 0, v3
	v_and_b32_e32 v3, 1, v19
	s_add_u32 s12, s14, s12
	v_lshlrev_b32_e32 v71, 2, v2
	s_addc_u32 s11, s11, s13
	v_lshlrev_b32_e32 v2, 1, v1
	v_add_co_u32 v0, s12, s12, v0
	v_add_nc_u32_e32 v38, 0, v4
	v_and_b32_e32 v4, 16, v19
	v_cmp_eq_u32_e64 s7, 0, v3
	v_add_co_ci_u32_e64 v3, null, s11, 0, s12
	v_add_co_u32 v72, vcc_lo, v0, v2
	v_or_b32_e32 v22, 32, v20
	v_add_nc_u32_e32 v40, 0, v6
	v_add_nc_u32_e32 v42, 0, v7
	;; [unrolled: 1-line block ×11, first 2 shown]
	v_cmp_ne_u32_e64 s4, 0, v4
	v_cmp_eq_u32_e64 s11, 0, v19
	v_add_co_ci_u32_e32 v73, vcc_lo, 0, v3, vcc_lo
	v_or_b32_e32 v74, 1, v18
	v_or_b32_e32 v75, 2, v18
	;; [unrolled: 1-line block ×15, first 2 shown]
	v_lshlrev_b32_e32 v89, 1, v1
	s_mov_b32 s83, 0x3e9b6dac
	s_add_i32 s84, 0, 0x1090
	s_mov_b32 s85, 0
	s_branch .LBB87_12
.LBB87_11:                              ;   in Loop: Header=BB87_12 Depth=1
	s_or_b32 exec_lo, exec_lo, s12
	s_add_u32 s72, s72, 0x800
	s_addc_u32 s48, s48, 0
	s_add_u32 s70, s70, 0x800
	s_addc_u32 s71, s71, 0
	;; [unrolled: 2-line block ×4, first 2 shown]
	s_add_i32 s85, s85, 1
	s_delay_alu instid0(SALU_CYCLE_1)
	s_cmp_eq_u32 s85, s78
	s_cbranch_scc1 .LBB87_236
.LBB87_12:                              ; =>This Loop Header: Depth=1
                                        ;     Child Loop BB87_109 Depth 2
	s_waitcnt lgkmcnt(14)
	v_lshlrev_b32_e32 v16, 1, v19
	s_lshl_b32 s50, s85, 10
	s_waitcnt lgkmcnt(0)
	v_mov_b32_e32 v2, 0
	s_sub_i32 s40, s64, s50
	v_add_co_u32 v0, s12, s70, v16
	s_delay_alu instid0(VALU_DEP_1) | instskip(SKIP_1) | instid1(VALU_DEP_3)
	v_add_co_ci_u32_e64 v1, null, s71, 0, s12
	v_cmp_gt_u32_e64 s12, s40, v20
	v_add_co_u32 v0, vcc_lo, v0, v89
	s_delay_alu instid0(VALU_DEP_3)
	v_add_co_ci_u32_e32 v1, vcc_lo, 0, v1, vcc_lo
	s_waitcnt_vscnt null, 0x0
	s_barrier
	buffer_gl0_inv
	s_and_saveexec_b32 s13, s12
	s_cbranch_execz .LBB87_14
; %bb.13:                               ;   in Loop: Header=BB87_12 Depth=1
	global_load_u16 v2, v[0:1], off
.LBB87_14:                              ;   in Loop: Header=BB87_12 Depth=1
	s_or_b32 exec_lo, exec_lo, s13
	v_cmp_gt_u32_e64 s13, s40, v22
	v_dual_mov_b32 v3, 0 :: v_dual_mov_b32 v4, 0
	s_delay_alu instid0(VALU_DEP_2)
	s_and_saveexec_b32 s14, s13
	s_cbranch_execz .LBB87_16
; %bb.15:                               ;   in Loop: Header=BB87_12 Depth=1
	global_load_u16 v4, v[0:1], off offset:64
.LBB87_16:                              ;   in Loop: Header=BB87_12 Depth=1
	s_or_b32 exec_lo, exec_lo, s14
	v_cmp_gt_u32_e64 s14, s40, v23
	s_delay_alu instid0(VALU_DEP_1)
	s_and_saveexec_b32 s15, s14
	s_cbranch_execz .LBB87_18
; %bb.17:                               ;   in Loop: Header=BB87_12 Depth=1
	global_load_u16 v3, v[0:1], off offset:128
.LBB87_18:                              ;   in Loop: Header=BB87_12 Depth=1
	s_or_b32 exec_lo, exec_lo, s15
	v_cmp_gt_u32_e64 s15, s40, v24
	v_dual_mov_b32 v5, 0 :: v_dual_mov_b32 v6, 0
	s_delay_alu instid0(VALU_DEP_2)
	s_and_saveexec_b32 s16, s15
	s_cbranch_execz .LBB87_20
; %bb.19:                               ;   in Loop: Header=BB87_12 Depth=1
	global_load_u16 v6, v[0:1], off offset:192
.LBB87_20:                              ;   in Loop: Header=BB87_12 Depth=1
	s_or_b32 exec_lo, exec_lo, s16
	v_cmp_gt_u32_e64 s16, s40, v25
	s_delay_alu instid0(VALU_DEP_1)
	s_and_saveexec_b32 s17, s16
	s_cbranch_execz .LBB87_22
; %bb.21:                               ;   in Loop: Header=BB87_12 Depth=1
	global_load_u16 v5, v[0:1], off offset:256
.LBB87_22:                              ;   in Loop: Header=BB87_12 Depth=1
	;; [unrolled: 17-line block ×3, first 2 shown]
	s_or_b32 exec_lo, exec_lo, s19
	v_cmp_gt_u32_e64 s19, s40, v28
	v_mov_b32_e32 v9, 0
	v_mov_b32_e32 v11, 0
	s_delay_alu instid0(VALU_DEP_3)
	s_and_saveexec_b32 s20, s19
	s_cbranch_execz .LBB87_28
; %bb.27:                               ;   in Loop: Header=BB87_12 Depth=1
	global_load_u16 v11, v[0:1], off offset:448
.LBB87_28:                              ;   in Loop: Header=BB87_12 Depth=1
	s_or_b32 exec_lo, exec_lo, s20
	v_cmp_gt_u32_e64 s20, s40, v29
	s_delay_alu instid0(VALU_DEP_1)
	s_and_saveexec_b32 s21, s20
	s_cbranch_execz .LBB87_30
; %bb.29:                               ;   in Loop: Header=BB87_12 Depth=1
	global_load_u16 v9, v[0:1], off offset:512
.LBB87_30:                              ;   in Loop: Header=BB87_12 Depth=1
	s_or_b32 exec_lo, exec_lo, s21
	v_cmp_gt_u32_e64 s21, s40, v30
	v_dual_mov_b32 v12, 0 :: v_dual_mov_b32 v13, 0
	s_delay_alu instid0(VALU_DEP_2)
	s_and_saveexec_b32 s22, s21
	s_cbranch_execz .LBB87_32
; %bb.31:                               ;   in Loop: Header=BB87_12 Depth=1
	global_load_u16 v13, v[0:1], off offset:576
.LBB87_32:                              ;   in Loop: Header=BB87_12 Depth=1
	s_or_b32 exec_lo, exec_lo, s22
	v_cmp_gt_u32_e64 s22, s40, v31
	s_delay_alu instid0(VALU_DEP_1)
	s_and_saveexec_b32 s23, s22
	s_cbranch_execz .LBB87_34
; %bb.33:                               ;   in Loop: Header=BB87_12 Depth=1
	global_load_u16 v12, v[0:1], off offset:640
.LBB87_34:                              ;   in Loop: Header=BB87_12 Depth=1
	s_or_b32 exec_lo, exec_lo, s23
	v_cmp_gt_u32_e64 s23, s40, v32
	v_dual_mov_b32 v14, 0 :: v_dual_mov_b32 v15, 0
	s_delay_alu instid0(VALU_DEP_2)
	s_and_saveexec_b32 s24, s23
	s_cbranch_execz .LBB87_36
; %bb.35:                               ;   in Loop: Header=BB87_12 Depth=1
	global_load_u16 v15, v[0:1], off offset:704
.LBB87_36:                              ;   in Loop: Header=BB87_12 Depth=1
	s_or_b32 exec_lo, exec_lo, s24
	v_cmp_gt_u32_e64 s24, s40, v33
	s_delay_alu instid0(VALU_DEP_1)
	s_and_saveexec_b32 s25, s24
	s_cbranch_execz .LBB87_38
; %bb.37:                               ;   in Loop: Header=BB87_12 Depth=1
	global_load_u16 v14, v[0:1], off offset:768
.LBB87_38:                              ;   in Loop: Header=BB87_12 Depth=1
	s_or_b32 exec_lo, exec_lo, s25
	v_cmp_gt_u32_e64 s25, s40, v34
	v_dual_mov_b32 v17, 0 :: v_dual_mov_b32 v90, 0
	s_delay_alu instid0(VALU_DEP_2)
	s_and_saveexec_b32 s26, s25
	s_cbranch_execz .LBB87_40
; %bb.39:                               ;   in Loop: Header=BB87_12 Depth=1
	global_load_u16 v90, v[0:1], off offset:832
.LBB87_40:                              ;   in Loop: Header=BB87_12 Depth=1
	s_or_b32 exec_lo, exec_lo, s26
	v_cmp_gt_u32_e64 s26, s40, v35
	s_delay_alu instid0(VALU_DEP_1)
	s_and_saveexec_b32 s27, s26
	s_cbranch_execz .LBB87_42
; %bb.41:                               ;   in Loop: Header=BB87_12 Depth=1
	global_load_u16 v17, v[0:1], off offset:896
.LBB87_42:                              ;   in Loop: Header=BB87_12 Depth=1
	s_or_b32 exec_lo, exec_lo, s27
	v_cmp_gt_u32_e64 s27, s40, v36
	v_dual_mov_b32 v10, 0 :: v_dual_mov_b32 v91, 0
	s_delay_alu instid0(VALU_DEP_2)
	s_and_saveexec_b32 s28, s27
	s_cbranch_execz .LBB87_44
; %bb.43:                               ;   in Loop: Header=BB87_12 Depth=1
	global_load_u16 v91, v[0:1], off offset:960
.LBB87_44:                              ;   in Loop: Header=BB87_12 Depth=1
	s_or_b32 exec_lo, exec_lo, s28
	s_waitcnt vmcnt(0)
	ds_store_b16 v37, v2
	ds_store_b16 v37, v4 offset:64
	ds_store_b16 v38, v3 offset:128
	;; [unrolled: 1-line block ×15, first 2 shown]
	; wave barrier
	ds_load_b128 v[0:3], v52
	ds_load_b128 v[4:7], v52 offset:16
	v_add_co_u32 v8, s28, s72, v16
	s_delay_alu instid0(VALU_DEP_1) | instskip(SKIP_1) | instid1(VALU_DEP_2)
	v_add_co_ci_u32_e64 v9, null, s48, 0, s28
	s_waitcnt lgkmcnt(0)
	v_add_co_u32 v8, vcc_lo, v8, v89
	s_delay_alu instid0(VALU_DEP_2)
	v_add_co_ci_u32_e32 v9, vcc_lo, 0, v9, vcc_lo
	s_barrier
	buffer_gl0_inv
	s_and_saveexec_b32 s28, s12
	s_cbranch_execz .LBB87_46
; %bb.45:                               ;   in Loop: Header=BB87_12 Depth=1
	global_load_u16 v10, v[8:9], off
.LBB87_46:                              ;   in Loop: Header=BB87_12 Depth=1
	s_or_b32 exec_lo, exec_lo, s28
	v_dual_mov_b32 v11, 0 :: v_dual_mov_b32 v12, 0
	s_and_saveexec_b32 s28, s13
	s_cbranch_execz .LBB87_48
; %bb.47:                               ;   in Loop: Header=BB87_12 Depth=1
	global_load_u16 v12, v[8:9], off offset:64
.LBB87_48:                              ;   in Loop: Header=BB87_12 Depth=1
	s_or_b32 exec_lo, exec_lo, s28
	s_and_saveexec_b32 s28, s14
	s_cbranch_execz .LBB87_50
; %bb.49:                               ;   in Loop: Header=BB87_12 Depth=1
	global_load_u16 v11, v[8:9], off offset:128
.LBB87_50:                              ;   in Loop: Header=BB87_12 Depth=1
	s_or_b32 exec_lo, exec_lo, s28
	v_dual_mov_b32 v13, 0 :: v_dual_mov_b32 v14, 0
	s_and_saveexec_b32 s28, s15
	s_cbranch_execz .LBB87_52
; %bb.51:                               ;   in Loop: Header=BB87_12 Depth=1
	global_load_u16 v14, v[8:9], off offset:192
.LBB87_52:                              ;   in Loop: Header=BB87_12 Depth=1
	s_or_b32 exec_lo, exec_lo, s28
	s_and_saveexec_b32 s28, s16
	s_cbranch_execz .LBB87_54
; %bb.53:                               ;   in Loop: Header=BB87_12 Depth=1
	global_load_u16 v13, v[8:9], off offset:256
.LBB87_54:                              ;   in Loop: Header=BB87_12 Depth=1
	s_or_b32 exec_lo, exec_lo, s28
	v_mov_b32_e32 v15, 0
	v_mov_b32_e32 v17, 0
	s_and_saveexec_b32 s28, s17
	s_cbranch_execz .LBB87_56
; %bb.55:                               ;   in Loop: Header=BB87_12 Depth=1
	global_load_u16 v17, v[8:9], off offset:320
.LBB87_56:                              ;   in Loop: Header=BB87_12 Depth=1
	s_or_b32 exec_lo, exec_lo, s28
	s_and_saveexec_b32 s28, s18
	s_cbranch_execz .LBB87_58
; %bb.57:                               ;   in Loop: Header=BB87_12 Depth=1
	global_load_u16 v15, v[8:9], off offset:384
.LBB87_58:                              ;   in Loop: Header=BB87_12 Depth=1
	s_or_b32 exec_lo, exec_lo, s28
	v_dual_mov_b32 v90, 0 :: v_dual_mov_b32 v91, 0
	s_and_saveexec_b32 s28, s19
	s_cbranch_execz .LBB87_60
; %bb.59:                               ;   in Loop: Header=BB87_12 Depth=1
	global_load_u16 v91, v[8:9], off offset:448
.LBB87_60:                              ;   in Loop: Header=BB87_12 Depth=1
	s_or_b32 exec_lo, exec_lo, s28
	s_and_saveexec_b32 s28, s20
	s_cbranch_execz .LBB87_62
; %bb.61:                               ;   in Loop: Header=BB87_12 Depth=1
	global_load_u16 v90, v[8:9], off offset:512
.LBB87_62:                              ;   in Loop: Header=BB87_12 Depth=1
	s_or_b32 exec_lo, exec_lo, s28
	v_dual_mov_b32 v92, 0 :: v_dual_mov_b32 v93, 0
	;; [unrolled: 13-line block ×4, first 2 shown]
	s_and_saveexec_b32 s28, s25
	s_cbranch_execnz .LBB87_218
; %bb.71:                               ;   in Loop: Header=BB87_12 Depth=1
	s_or_b32 exec_lo, exec_lo, s28
	s_and_saveexec_b32 s28, s26
	s_cbranch_execnz .LBB87_219
.LBB87_72:                              ;   in Loop: Header=BB87_12 Depth=1
	s_or_b32 exec_lo, exec_lo, s28
	v_mov_b32_e32 v98, 0
	s_and_saveexec_b32 s28, s27
	s_cbranch_execz .LBB87_74
.LBB87_73:                              ;   in Loop: Header=BB87_12 Depth=1
	global_load_u16 v98, v[8:9], off offset:960
.LBB87_74:                              ;   in Loop: Header=BB87_12 Depth=1
	s_or_b32 exec_lo, exec_lo, s28
	s_waitcnt vmcnt(0)
	ds_store_b16 v37, v10
	ds_store_b16 v37, v12 offset:64
	ds_store_b16 v38, v11 offset:128
	;; [unrolled: 1-line block ×15, first 2 shown]
	; wave barrier
	ds_load_b128 v[12:15], v52
	ds_load_b128 v[8:11], v52 offset:16
	s_waitcnt lgkmcnt(1)
	v_cvt_f32_f16_e32 v17, v12
	s_delay_alu instid0(VALU_DEP_1) | instskip(NEXT) | instid1(VALU_DEP_1)
	v_add_f32_e32 v90, s68, v17
	v_cmp_ge_f32_e32 vcc_lo, 0x41a00000, v90
	s_and_b32 s28, s79, vcc_lo
	s_delay_alu instid0(SALU_CYCLE_1)
	s_and_saveexec_b32 s29, s28
	s_cbranch_execz .LBB87_76
; %bb.75:                               ;   in Loop: Header=BB87_12 Depth=1
	v_mul_f32_e32 v17, 0x3fb8aa3b, v90
	v_cmp_ngt_f32_e32 vcc_lo, 0xc2ce8ed0, v90
	s_delay_alu instid0(VALU_DEP_2) | instskip(SKIP_1) | instid1(VALU_DEP_1)
	v_rndne_f32_e32 v91, v17
	v_fma_f32 v92, 0x3fb8aa3b, v90, -v17
	v_dual_sub_f32 v17, v17, v91 :: v_dual_fmac_f32 v92, 0x32a5705f, v90
	v_cvt_i32_f32_e32 v91, v91
	s_delay_alu instid0(VALU_DEP_2) | instskip(NEXT) | instid1(VALU_DEP_1)
	v_add_f32_e32 v17, v17, v92
	v_exp_f32_e32 v17, v17
	s_waitcnt_depctr 0xfff
	v_ldexp_f32 v17, v17, v91
	s_delay_alu instid0(VALU_DEP_1) | instskip(SKIP_1) | instid1(VALU_DEP_2)
	v_cndmask_b32_e32 v17, 0, v17, vcc_lo
	v_cmp_nlt_f32_e32 vcc_lo, 0x42b17218, v90
	v_cndmask_b32_e32 v17, 0x7f800000, v17, vcc_lo
	s_delay_alu instid0(VALU_DEP_1) | instskip(NEXT) | instid1(VALU_DEP_1)
	v_add_f32_e32 v92, 1.0, v17
	v_cvt_f64_f32_e32 v[90:91], v92
	s_delay_alu instid0(VALU_DEP_1) | instskip(SKIP_1) | instid1(VALU_DEP_1)
	v_frexp_exp_i32_f64_e32 v90, v[90:91]
	v_frexp_mant_f32_e32 v91, v92
	v_cmp_gt_f32_e32 vcc_lo, 0x3f2aaaab, v91
	v_add_f32_e32 v91, -1.0, v92
	s_delay_alu instid0(VALU_DEP_1) | instskip(NEXT) | instid1(VALU_DEP_1)
	v_dual_sub_f32 v94, v91, v92 :: v_dual_sub_f32 v91, v17, v91
	v_add_f32_e32 v94, 1.0, v94
	v_subrev_co_ci_u32_e32 v90, vcc_lo, 0, v90, vcc_lo
	s_delay_alu instid0(VALU_DEP_1) | instskip(SKIP_1) | instid1(VALU_DEP_2)
	v_sub_nc_u32_e32 v93, 0, v90
	v_cvt_f32_i32_e32 v90, v90
	v_ldexp_f32 v92, v92, v93
	v_add_f32_e32 v91, v91, v94
	s_delay_alu instid0(VALU_DEP_1) | instskip(NEXT) | instid1(VALU_DEP_3)
	v_ldexp_f32 v91, v91, v93
	v_add_f32_e32 v95, 1.0, v92
	s_delay_alu instid0(VALU_DEP_1) | instskip(NEXT) | instid1(VALU_DEP_1)
	v_add_f32_e32 v94, -1.0, v95
	v_sub_f32_e32 v94, v92, v94
	v_cmp_eq_f32_e32 vcc_lo, 0x7f800000, v17
	v_cmp_gt_f32_e64 s28, 0x33800000, v17
	s_delay_alu instid0(VALU_DEP_3) | instskip(NEXT) | instid1(VALU_DEP_2)
	v_dual_add_f32 v94, v91, v94 :: v_dual_add_f32 v93, -1.0, v92
	s_or_b32 vcc_lo, s28, vcc_lo
	s_delay_alu instid0(VALU_DEP_1) | instskip(NEXT) | instid1(VALU_DEP_1)
	v_add_f32_e32 v96, 1.0, v93
	v_sub_f32_e32 v92, v92, v96
	s_delay_alu instid0(VALU_DEP_3) | instskip(NEXT) | instid1(VALU_DEP_1)
	v_add_f32_e32 v96, v95, v94
	v_sub_f32_e32 v95, v95, v96
	s_delay_alu instid0(VALU_DEP_3) | instskip(SKIP_1) | instid1(VALU_DEP_2)
	v_add_f32_e32 v91, v91, v92
	v_rcp_f32_e32 v92, v96
	v_add_f32_e32 v94, v94, v95
	s_delay_alu instid0(VALU_DEP_2) | instskip(NEXT) | instid1(VALU_DEP_1)
	v_add_f32_e32 v97, v93, v91
	v_sub_f32_e32 v93, v93, v97
	s_waitcnt_depctr 0xfff
	v_dual_mul_f32 v98, v97, v92 :: v_dual_add_f32 v91, v91, v93
	s_delay_alu instid0(VALU_DEP_1) | instskip(NEXT) | instid1(VALU_DEP_1)
	v_mul_f32_e32 v99, v96, v98
	v_fma_f32 v95, v98, v96, -v99
	s_delay_alu instid0(VALU_DEP_1) | instskip(NEXT) | instid1(VALU_DEP_1)
	v_fmac_f32_e32 v95, v98, v94
	v_add_f32_e32 v100, v99, v95
	s_delay_alu instid0(VALU_DEP_1) | instskip(NEXT) | instid1(VALU_DEP_1)
	v_sub_f32_e32 v101, v97, v100
	v_sub_f32_e32 v97, v97, v101
	;; [unrolled: 1-line block ×3, first 2 shown]
	s_delay_alu instid0(VALU_DEP_2) | instskip(NEXT) | instid1(VALU_DEP_2)
	v_sub_f32_e32 v97, v97, v100
	v_sub_f32_e32 v93, v93, v95
	s_delay_alu instid0(VALU_DEP_2) | instskip(NEXT) | instid1(VALU_DEP_1)
	v_add_f32_e32 v91, v91, v97
	v_add_f32_e32 v91, v93, v91
	s_delay_alu instid0(VALU_DEP_1) | instskip(NEXT) | instid1(VALU_DEP_1)
	v_add_f32_e32 v93, v101, v91
	v_mul_f32_e32 v95, v92, v93
	s_delay_alu instid0(VALU_DEP_1) | instskip(NEXT) | instid1(VALU_DEP_1)
	v_dual_sub_f32 v100, v101, v93 :: v_dual_mul_f32 v97, v96, v95
	v_add_f32_e32 v91, v91, v100
	s_delay_alu instid0(VALU_DEP_2) | instskip(NEXT) | instid1(VALU_DEP_1)
	v_fma_f32 v96, v95, v96, -v97
	v_fmac_f32_e32 v96, v95, v94
	s_delay_alu instid0(VALU_DEP_1) | instskip(NEXT) | instid1(VALU_DEP_1)
	v_add_f32_e32 v94, v97, v96
	v_sub_f32_e32 v99, v93, v94
	v_sub_f32_e32 v97, v94, v97
	s_delay_alu instid0(VALU_DEP_2) | instskip(NEXT) | instid1(VALU_DEP_1)
	v_sub_f32_e32 v93, v93, v99
	v_sub_f32_e32 v93, v93, v94
	s_delay_alu instid0(VALU_DEP_1) | instskip(SKIP_1) | instid1(VALU_DEP_1)
	v_dual_sub_f32 v94, v97, v96 :: v_dual_add_f32 v91, v91, v93
	v_add_f32_e32 v93, v98, v95
	v_dual_add_f32 v91, v94, v91 :: v_dual_sub_f32 v94, v93, v98
	s_delay_alu instid0(VALU_DEP_1) | instskip(NEXT) | instid1(VALU_DEP_1)
	v_add_f32_e32 v91, v99, v91
	v_dual_sub_f32 v94, v95, v94 :: v_dual_mul_f32 v91, v92, v91
	s_delay_alu instid0(VALU_DEP_1) | instskip(NEXT) | instid1(VALU_DEP_1)
	v_add_f32_e32 v91, v94, v91
	v_add_f32_e32 v92, v93, v91
	s_delay_alu instid0(VALU_DEP_1) | instskip(NEXT) | instid1(VALU_DEP_1)
	v_mul_f32_e32 v94, v92, v92
	v_fmaak_f32 v95, s83, v94, 0x3ecc95a3
	v_mul_f32_e32 v96, v92, v94
	s_delay_alu instid0(VALU_DEP_2) | instskip(SKIP_2) | instid1(VALU_DEP_3)
	v_fmaak_f32 v94, v94, v95, 0x3f2aaada
	v_ldexp_f32 v95, v92, 1
	v_sub_f32_e32 v92, v92, v93
	v_mul_f32_e32 v94, v96, v94
	s_delay_alu instid0(VALU_DEP_2) | instskip(NEXT) | instid1(VALU_DEP_2)
	v_dual_mul_f32 v96, 0x3f317218, v90 :: v_dual_sub_f32 v91, v91, v92
	v_add_f32_e32 v93, v95, v94
	s_delay_alu instid0(VALU_DEP_2) | instskip(NEXT) | instid1(VALU_DEP_2)
	v_ldexp_f32 v91, v91, 1
	v_sub_f32_e32 v92, v93, v95
	s_delay_alu instid0(VALU_DEP_4) | instskip(NEXT) | instid1(VALU_DEP_1)
	v_fma_f32 v95, 0x3f317218, v90, -v96
	v_dual_sub_f32 v92, v94, v92 :: v_dual_fmac_f32 v95, 0xb102e308, v90
	s_delay_alu instid0(VALU_DEP_1) | instskip(NEXT) | instid1(VALU_DEP_1)
	v_dual_add_f32 v90, v91, v92 :: v_dual_add_f32 v91, v96, v95
	v_add_f32_e32 v92, v93, v90
	s_delay_alu instid0(VALU_DEP_2) | instskip(NEXT) | instid1(VALU_DEP_2)
	v_sub_f32_e32 v96, v91, v96
	v_dual_add_f32 v94, v91, v92 :: v_dual_sub_f32 v93, v92, v93
	s_delay_alu instid0(VALU_DEP_2) | instskip(NEXT) | instid1(VALU_DEP_2)
	v_sub_f32_e32 v95, v95, v96
	v_sub_f32_e32 v97, v94, v91
	s_delay_alu instid0(VALU_DEP_3) | instskip(NEXT) | instid1(VALU_DEP_2)
	v_sub_f32_e32 v90, v90, v93
	v_sub_f32_e32 v98, v94, v97
	s_delay_alu instid0(VALU_DEP_2) | instskip(NEXT) | instid1(VALU_DEP_2)
	v_dual_sub_f32 v92, v92, v97 :: v_dual_add_f32 v93, v95, v90
	v_sub_f32_e32 v91, v91, v98
	s_delay_alu instid0(VALU_DEP_1) | instskip(NEXT) | instid1(VALU_DEP_3)
	v_add_f32_e32 v91, v92, v91
	v_sub_f32_e32 v92, v93, v95
	s_delay_alu instid0(VALU_DEP_2) | instskip(NEXT) | instid1(VALU_DEP_2)
	v_add_f32_e32 v91, v93, v91
	v_sub_f32_e32 v93, v93, v92
	v_sub_f32_e32 v90, v90, v92
	s_delay_alu instid0(VALU_DEP_2) | instskip(NEXT) | instid1(VALU_DEP_1)
	v_dual_add_f32 v96, v94, v91 :: v_dual_sub_f32 v93, v95, v93
	v_sub_f32_e32 v92, v96, v94
	s_delay_alu instid0(VALU_DEP_1) | instskip(NEXT) | instid1(VALU_DEP_1)
	v_dual_add_f32 v90, v90, v93 :: v_dual_sub_f32 v91, v91, v92
	v_add_f32_e32 v90, v90, v91
	s_delay_alu instid0(VALU_DEP_1) | instskip(NEXT) | instid1(VALU_DEP_1)
	v_add_f32_e32 v90, v96, v90
	v_cndmask_b32_e32 v90, v90, v17, vcc_lo
.LBB87_76:                              ;   in Loop: Header=BB87_12 Depth=1
	s_or_b32 exec_lo, exec_lo, s29
	v_lshrrev_b32_e32 v12, 16, v12
	s_delay_alu instid0(VALU_DEP_1) | instskip(NEXT) | instid1(VALU_DEP_1)
	v_cvt_f32_f16_e32 v12, v12
	v_add_f32_e32 v91, s68, v12
	s_delay_alu instid0(VALU_DEP_1) | instskip(SKIP_1) | instid1(SALU_CYCLE_1)
	v_cmp_ge_f32_e32 vcc_lo, 0x41a00000, v91
	s_and_b32 s28, s79, vcc_lo
	s_and_saveexec_b32 s29, s28
	s_cbranch_execz .LBB87_78
; %bb.77:                               ;   in Loop: Header=BB87_12 Depth=1
	v_mul_f32_e32 v12, 0x3fb8aa3b, v91
	v_cmp_ngt_f32_e32 vcc_lo, 0xc2ce8ed0, v91
	s_delay_alu instid0(VALU_DEP_2) | instskip(SKIP_1) | instid1(VALU_DEP_2)
	v_rndne_f32_e32 v17, v12
	v_fma_f32 v92, 0x3fb8aa3b, v91, -v12
	v_sub_f32_e32 v12, v12, v17
	s_delay_alu instid0(VALU_DEP_2) | instskip(SKIP_1) | instid1(VALU_DEP_2)
	v_fmac_f32_e32 v92, 0x32a5705f, v91
	v_cvt_i32_f32_e32 v17, v17
	v_add_f32_e32 v12, v12, v92
	s_delay_alu instid0(VALU_DEP_1) | instskip(SKIP_2) | instid1(VALU_DEP_1)
	v_exp_f32_e32 v12, v12
	s_waitcnt_depctr 0xfff
	v_ldexp_f32 v12, v12, v17
	v_cndmask_b32_e32 v12, 0, v12, vcc_lo
	v_cmp_nlt_f32_e32 vcc_lo, 0x42b17218, v91
	s_delay_alu instid0(VALU_DEP_2) | instskip(NEXT) | instid1(VALU_DEP_1)
	v_cndmask_b32_e32 v12, 0x7f800000, v12, vcc_lo
	v_add_f32_e32 v17, 1.0, v12
	s_delay_alu instid0(VALU_DEP_1) | instskip(NEXT) | instid1(VALU_DEP_1)
	v_cvt_f64_f32_e32 v[91:92], v17
	v_frexp_exp_i32_f64_e32 v91, v[91:92]
	v_frexp_mant_f32_e32 v92, v17
	s_delay_alu instid0(VALU_DEP_1) | instskip(SKIP_1) | instid1(VALU_DEP_1)
	v_cmp_gt_f32_e32 vcc_lo, 0x3f2aaaab, v92
	v_add_f32_e32 v92, -1.0, v17
	v_sub_f32_e32 v94, v92, v17
	v_sub_f32_e32 v92, v12, v92
	s_delay_alu instid0(VALU_DEP_2) | instskip(NEXT) | instid1(VALU_DEP_1)
	v_add_f32_e32 v94, 1.0, v94
	v_add_f32_e32 v92, v92, v94
	v_subrev_co_ci_u32_e32 v91, vcc_lo, 0, v91, vcc_lo
	s_delay_alu instid0(VALU_DEP_1) | instskip(SKIP_1) | instid1(VALU_DEP_2)
	v_sub_nc_u32_e32 v93, 0, v91
	v_cvt_f32_i32_e32 v91, v91
	v_ldexp_f32 v17, v17, v93
	v_ldexp_f32 v92, v92, v93
	s_delay_alu instid0(VALU_DEP_2) | instskip(NEXT) | instid1(VALU_DEP_1)
	v_add_f32_e32 v95, 1.0, v17
	v_dual_add_f32 v93, -1.0, v17 :: v_dual_add_f32 v94, -1.0, v95
	s_delay_alu instid0(VALU_DEP_1) | instskip(NEXT) | instid1(VALU_DEP_2)
	v_add_f32_e32 v96, 1.0, v93
	v_sub_f32_e32 v94, v17, v94
	s_delay_alu instid0(VALU_DEP_2) | instskip(NEXT) | instid1(VALU_DEP_1)
	v_sub_f32_e32 v17, v17, v96
	v_add_f32_e32 v17, v92, v17
	s_delay_alu instid0(VALU_DEP_1) | instskip(SKIP_2) | instid1(VALU_DEP_3)
	v_add_f32_e32 v97, v93, v17
	v_cmp_eq_f32_e32 vcc_lo, 0x7f800000, v12
	v_cmp_gt_f32_e64 s28, 0x33800000, v12
	v_dual_sub_f32 v93, v93, v97 :: v_dual_add_f32 v94, v92, v94
	s_delay_alu instid0(VALU_DEP_2) | instskip(NEXT) | instid1(VALU_DEP_1)
	s_or_b32 vcc_lo, s28, vcc_lo
	v_dual_add_f32 v17, v17, v93 :: v_dual_add_f32 v96, v95, v94
	s_delay_alu instid0(VALU_DEP_1) | instskip(SKIP_1) | instid1(VALU_DEP_1)
	v_rcp_f32_e32 v92, v96
	v_sub_f32_e32 v95, v95, v96
	v_add_f32_e32 v94, v94, v95
	s_waitcnt_depctr 0xfff
	v_mul_f32_e32 v98, v97, v92
	s_delay_alu instid0(VALU_DEP_1) | instskip(NEXT) | instid1(VALU_DEP_1)
	v_mul_f32_e32 v99, v96, v98
	v_fma_f32 v95, v98, v96, -v99
	s_delay_alu instid0(VALU_DEP_1) | instskip(NEXT) | instid1(VALU_DEP_1)
	v_fmac_f32_e32 v95, v98, v94
	v_add_f32_e32 v100, v99, v95
	s_delay_alu instid0(VALU_DEP_1) | instskip(SKIP_1) | instid1(VALU_DEP_2)
	v_sub_f32_e32 v101, v97, v100
	v_sub_f32_e32 v93, v100, v99
	;; [unrolled: 1-line block ×3, first 2 shown]
	s_delay_alu instid0(VALU_DEP_2) | instskip(NEXT) | instid1(VALU_DEP_2)
	v_sub_f32_e32 v93, v93, v95
	v_sub_f32_e32 v97, v97, v100
	s_delay_alu instid0(VALU_DEP_1) | instskip(NEXT) | instid1(VALU_DEP_1)
	v_add_f32_e32 v17, v17, v97
	v_add_f32_e32 v17, v93, v17
	s_delay_alu instid0(VALU_DEP_1) | instskip(NEXT) | instid1(VALU_DEP_1)
	v_add_f32_e32 v93, v101, v17
	v_mul_f32_e32 v95, v92, v93
	s_delay_alu instid0(VALU_DEP_1) | instskip(NEXT) | instid1(VALU_DEP_1)
	v_mul_f32_e32 v97, v96, v95
	v_fma_f32 v96, v95, v96, -v97
	s_delay_alu instid0(VALU_DEP_1) | instskip(SKIP_1) | instid1(VALU_DEP_2)
	v_fmac_f32_e32 v96, v95, v94
	v_sub_f32_e32 v100, v101, v93
	v_add_f32_e32 v94, v97, v96
	s_delay_alu instid0(VALU_DEP_2) | instskip(NEXT) | instid1(VALU_DEP_2)
	v_add_f32_e32 v17, v17, v100
	v_sub_f32_e32 v99, v93, v94
	s_delay_alu instid0(VALU_DEP_1) | instskip(NEXT) | instid1(VALU_DEP_1)
	v_sub_f32_e32 v93, v93, v99
	v_sub_f32_e32 v93, v93, v94
	s_delay_alu instid0(VALU_DEP_1) | instskip(SKIP_2) | instid1(VALU_DEP_1)
	v_add_f32_e32 v17, v17, v93
	v_add_f32_e32 v93, v98, v95
	v_sub_f32_e32 v97, v94, v97
	v_sub_f32_e32 v94, v97, v96
	s_delay_alu instid0(VALU_DEP_1) | instskip(NEXT) | instid1(VALU_DEP_1)
	v_dual_add_f32 v17, v94, v17 :: v_dual_sub_f32 v94, v93, v98
	v_add_f32_e32 v17, v99, v17
	s_delay_alu instid0(VALU_DEP_1) | instskip(NEXT) | instid1(VALU_DEP_1)
	v_dual_sub_f32 v94, v95, v94 :: v_dual_mul_f32 v17, v92, v17
	v_add_f32_e32 v17, v94, v17
	s_delay_alu instid0(VALU_DEP_1) | instskip(NEXT) | instid1(VALU_DEP_1)
	v_add_f32_e32 v92, v93, v17
	v_mul_f32_e32 v94, v92, v92
	s_delay_alu instid0(VALU_DEP_1) | instskip(SKIP_1) | instid1(VALU_DEP_2)
	v_fmaak_f32 v95, s83, v94, 0x3ecc95a3
	v_mul_f32_e32 v96, v92, v94
	v_fmaak_f32 v94, v94, v95, 0x3f2aaada
	v_ldexp_f32 v95, v92, 1
	s_delay_alu instid0(VALU_DEP_2) | instskip(SKIP_1) | instid1(VALU_DEP_2)
	v_mul_f32_e32 v94, v96, v94
	v_sub_f32_e32 v92, v92, v93
	v_dual_mul_f32 v96, 0x3f317218, v91 :: v_dual_add_f32 v93, v95, v94
	s_delay_alu instid0(VALU_DEP_2) | instskip(NEXT) | instid1(VALU_DEP_2)
	v_sub_f32_e32 v17, v17, v92
	v_sub_f32_e32 v92, v93, v95
	s_delay_alu instid0(VALU_DEP_3) | instskip(NEXT) | instid1(VALU_DEP_3)
	v_fma_f32 v95, 0x3f317218, v91, -v96
	v_ldexp_f32 v17, v17, 1
	s_delay_alu instid0(VALU_DEP_2) | instskip(NEXT) | instid1(VALU_DEP_1)
	v_dual_sub_f32 v92, v94, v92 :: v_dual_fmac_f32 v95, 0xb102e308, v91
	v_add_f32_e32 v17, v17, v92
	s_delay_alu instid0(VALU_DEP_1) | instskip(NEXT) | instid1(VALU_DEP_1)
	v_dual_add_f32 v91, v96, v95 :: v_dual_add_f32 v92, v93, v17
	v_sub_f32_e32 v96, v91, v96
	s_delay_alu instid0(VALU_DEP_2) | instskip(NEXT) | instid1(VALU_DEP_2)
	v_dual_add_f32 v94, v91, v92 :: v_dual_sub_f32 v93, v92, v93
	v_sub_f32_e32 v95, v95, v96
	s_delay_alu instid0(VALU_DEP_2) | instskip(NEXT) | instid1(VALU_DEP_1)
	v_sub_f32_e32 v97, v94, v91
	v_sub_f32_e32 v98, v94, v97
	;; [unrolled: 1-line block ×4, first 2 shown]
	s_delay_alu instid0(VALU_DEP_1) | instskip(NEXT) | instid1(VALU_DEP_4)
	v_add_f32_e32 v93, v95, v17
	v_sub_f32_e32 v91, v91, v98
	s_delay_alu instid0(VALU_DEP_1) | instskip(NEXT) | instid1(VALU_DEP_3)
	v_add_f32_e32 v91, v92, v91
	v_sub_f32_e32 v92, v93, v95
	s_delay_alu instid0(VALU_DEP_2) | instskip(NEXT) | instid1(VALU_DEP_2)
	v_add_f32_e32 v91, v93, v91
	v_sub_f32_e32 v93, v93, v92
	s_delay_alu instid0(VALU_DEP_2) | instskip(NEXT) | instid1(VALU_DEP_1)
	v_dual_sub_f32 v17, v17, v92 :: v_dual_add_f32 v96, v94, v91
	v_dual_sub_f32 v92, v96, v94 :: v_dual_sub_f32 v93, v95, v93
	s_delay_alu instid0(VALU_DEP_1) | instskip(NEXT) | instid1(VALU_DEP_2)
	v_sub_f32_e32 v91, v91, v92
	v_add_f32_e32 v17, v17, v93
	s_delay_alu instid0(VALU_DEP_1) | instskip(NEXT) | instid1(VALU_DEP_1)
	v_add_f32_e32 v17, v17, v91
	v_add_f32_e32 v17, v96, v17
	s_delay_alu instid0(VALU_DEP_1)
	v_cndmask_b32_e32 v91, v17, v12, vcc_lo
.LBB87_78:                              ;   in Loop: Header=BB87_12 Depth=1
	s_or_b32 exec_lo, exec_lo, s29
	v_cvt_f32_f16_e32 v12, v13
	s_delay_alu instid0(VALU_DEP_1) | instskip(NEXT) | instid1(VALU_DEP_1)
	v_add_f32_e32 v92, s68, v12
	v_cmp_ge_f32_e32 vcc_lo, 0x41a00000, v92
	s_and_b32 s28, s79, vcc_lo
	s_delay_alu instid0(SALU_CYCLE_1)
	s_and_saveexec_b32 s29, s28
	s_cbranch_execz .LBB87_80
; %bb.79:                               ;   in Loop: Header=BB87_12 Depth=1
	v_mul_f32_e32 v12, 0x3fb8aa3b, v92
	v_cmp_ngt_f32_e32 vcc_lo, 0xc2ce8ed0, v92
	s_delay_alu instid0(VALU_DEP_2) | instskip(SKIP_1) | instid1(VALU_DEP_1)
	v_rndne_f32_e32 v17, v12
	v_fma_f32 v93, 0x3fb8aa3b, v92, -v12
	v_dual_sub_f32 v12, v12, v17 :: v_dual_fmac_f32 v93, 0x32a5705f, v92
	v_cvt_i32_f32_e32 v17, v17
	s_delay_alu instid0(VALU_DEP_2) | instskip(NEXT) | instid1(VALU_DEP_1)
	v_add_f32_e32 v12, v12, v93
	v_exp_f32_e32 v12, v12
	s_waitcnt_depctr 0xfff
	v_ldexp_f32 v12, v12, v17
	s_delay_alu instid0(VALU_DEP_1) | instskip(SKIP_1) | instid1(VALU_DEP_2)
	v_cndmask_b32_e32 v12, 0, v12, vcc_lo
	v_cmp_nlt_f32_e32 vcc_lo, 0x42b17218, v92
	v_cndmask_b32_e32 v12, 0x7f800000, v12, vcc_lo
	s_delay_alu instid0(VALU_DEP_1) | instskip(NEXT) | instid1(VALU_DEP_1)
	v_add_f32_e32 v17, 1.0, v12
	v_cvt_f64_f32_e32 v[92:93], v17
	s_delay_alu instid0(VALU_DEP_1) | instskip(SKIP_1) | instid1(VALU_DEP_1)
	v_frexp_exp_i32_f64_e32 v92, v[92:93]
	v_frexp_mant_f32_e32 v93, v17
	v_cmp_gt_f32_e32 vcc_lo, 0x3f2aaaab, v93
	v_add_f32_e32 v93, -1.0, v17
	s_delay_alu instid0(VALU_DEP_1) | instskip(SKIP_1) | instid1(VALU_DEP_2)
	v_sub_f32_e32 v95, v93, v17
	v_sub_f32_e32 v93, v12, v93
	v_add_f32_e32 v95, 1.0, v95
	s_delay_alu instid0(VALU_DEP_1) | instskip(SKIP_3) | instid1(VALU_DEP_2)
	v_add_f32_e32 v93, v93, v95
	v_cmp_gt_f32_e64 s28, 0x33800000, v12
	v_subrev_co_ci_u32_e32 v92, vcc_lo, 0, v92, vcc_lo
	v_cmp_eq_f32_e32 vcc_lo, 0x7f800000, v12
	v_sub_nc_u32_e32 v94, 0, v92
	v_cvt_f32_i32_e32 v92, v92
	s_or_b32 vcc_lo, s28, vcc_lo
	s_delay_alu instid0(VALU_DEP_2) | instskip(SKIP_1) | instid1(VALU_DEP_2)
	v_ldexp_f32 v17, v17, v94
	v_ldexp_f32 v93, v93, v94
	v_add_f32_e32 v96, 1.0, v17
	s_delay_alu instid0(VALU_DEP_1) | instskip(NEXT) | instid1(VALU_DEP_1)
	v_dual_add_f32 v94, -1.0, v17 :: v_dual_add_f32 v95, -1.0, v96
	v_add_f32_e32 v97, 1.0, v94
	s_delay_alu instid0(VALU_DEP_2) | instskip(NEXT) | instid1(VALU_DEP_2)
	v_sub_f32_e32 v95, v17, v95
	v_sub_f32_e32 v17, v17, v97
	s_delay_alu instid0(VALU_DEP_1) | instskip(NEXT) | instid1(VALU_DEP_1)
	v_add_f32_e32 v17, v93, v17
	v_dual_add_f32 v98, v94, v17 :: v_dual_add_f32 v95, v93, v95
	s_delay_alu instid0(VALU_DEP_1) | instskip(NEXT) | instid1(VALU_DEP_1)
	v_dual_sub_f32 v94, v94, v98 :: v_dual_add_f32 v97, v96, v95
	v_rcp_f32_e32 v93, v97
	v_sub_f32_e32 v96, v96, v97
	s_delay_alu instid0(VALU_DEP_1) | instskip(SKIP_2) | instid1(VALU_DEP_1)
	v_add_f32_e32 v95, v95, v96
	s_waitcnt_depctr 0xfff
	v_mul_f32_e32 v99, v98, v93
	v_mul_f32_e32 v100, v97, v99
	s_delay_alu instid0(VALU_DEP_1) | instskip(NEXT) | instid1(VALU_DEP_1)
	v_fma_f32 v96, v99, v97, -v100
	v_fmac_f32_e32 v96, v99, v95
	s_delay_alu instid0(VALU_DEP_1) | instskip(NEXT) | instid1(VALU_DEP_1)
	v_add_f32_e32 v101, v100, v96
	v_sub_f32_e32 v102, v98, v101
	s_delay_alu instid0(VALU_DEP_1) | instskip(SKIP_2) | instid1(VALU_DEP_3)
	v_sub_f32_e32 v98, v98, v102
	v_add_f32_e32 v17, v17, v94
	v_sub_f32_e32 v94, v101, v100
	v_sub_f32_e32 v98, v98, v101
	s_delay_alu instid0(VALU_DEP_1) | instskip(NEXT) | instid1(VALU_DEP_1)
	v_dual_sub_f32 v94, v94, v96 :: v_dual_add_f32 v17, v17, v98
	v_add_f32_e32 v17, v94, v17
	s_delay_alu instid0(VALU_DEP_1) | instskip(NEXT) | instid1(VALU_DEP_1)
	v_add_f32_e32 v94, v102, v17
	v_mul_f32_e32 v96, v93, v94
	s_delay_alu instid0(VALU_DEP_1) | instskip(NEXT) | instid1(VALU_DEP_1)
	v_dual_sub_f32 v101, v102, v94 :: v_dual_mul_f32 v98, v97, v96
	v_add_f32_e32 v17, v17, v101
	s_delay_alu instid0(VALU_DEP_2) | instskip(NEXT) | instid1(VALU_DEP_1)
	v_fma_f32 v97, v96, v97, -v98
	v_fmac_f32_e32 v97, v96, v95
	s_delay_alu instid0(VALU_DEP_1) | instskip(NEXT) | instid1(VALU_DEP_1)
	v_add_f32_e32 v95, v98, v97
	v_sub_f32_e32 v100, v94, v95
	s_delay_alu instid0(VALU_DEP_1) | instskip(NEXT) | instid1(VALU_DEP_1)
	v_sub_f32_e32 v94, v94, v100
	v_sub_f32_e32 v94, v94, v95
	s_delay_alu instid0(VALU_DEP_1) | instskip(SKIP_1) | instid1(VALU_DEP_1)
	v_dual_add_f32 v17, v17, v94 :: v_dual_add_f32 v94, v99, v96
	v_sub_f32_e32 v98, v95, v98
	v_sub_f32_e32 v95, v98, v97
	s_delay_alu instid0(VALU_DEP_1) | instskip(NEXT) | instid1(VALU_DEP_4)
	v_add_f32_e32 v17, v95, v17
	v_sub_f32_e32 v95, v94, v99
	s_delay_alu instid0(VALU_DEP_2) | instskip(NEXT) | instid1(VALU_DEP_2)
	v_add_f32_e32 v17, v100, v17
	v_sub_f32_e32 v95, v96, v95
	s_delay_alu instid0(VALU_DEP_2) | instskip(NEXT) | instid1(VALU_DEP_1)
	v_mul_f32_e32 v17, v93, v17
	v_add_f32_e32 v17, v95, v17
	s_delay_alu instid0(VALU_DEP_1) | instskip(NEXT) | instid1(VALU_DEP_1)
	v_add_f32_e32 v93, v94, v17
	v_mul_f32_e32 v95, v93, v93
	s_delay_alu instid0(VALU_DEP_1) | instskip(SKIP_1) | instid1(VALU_DEP_2)
	v_fmaak_f32 v96, s83, v95, 0x3ecc95a3
	v_mul_f32_e32 v97, v93, v95
	v_fmaak_f32 v95, v95, v96, 0x3f2aaada
	v_ldexp_f32 v96, v93, 1
	v_sub_f32_e32 v93, v93, v94
	s_delay_alu instid0(VALU_DEP_3) | instskip(SKIP_1) | instid1(VALU_DEP_2)
	v_mul_f32_e32 v95, v97, v95
	v_mul_f32_e32 v97, 0x3f317218, v92
	v_dual_sub_f32 v17, v17, v93 :: v_dual_add_f32 v94, v96, v95
	s_delay_alu instid0(VALU_DEP_1) | instskip(NEXT) | instid1(VALU_DEP_2)
	v_ldexp_f32 v17, v17, 1
	v_sub_f32_e32 v93, v94, v96
	s_delay_alu instid0(VALU_DEP_4) | instskip(NEXT) | instid1(VALU_DEP_1)
	v_fma_f32 v96, 0x3f317218, v92, -v97
	v_dual_sub_f32 v93, v95, v93 :: v_dual_fmac_f32 v96, 0xb102e308, v92
	s_delay_alu instid0(VALU_DEP_1) | instskip(NEXT) | instid1(VALU_DEP_1)
	v_add_f32_e32 v17, v17, v93
	v_dual_add_f32 v92, v97, v96 :: v_dual_add_f32 v93, v94, v17
	s_delay_alu instid0(VALU_DEP_1) | instskip(NEXT) | instid1(VALU_DEP_2)
	v_sub_f32_e32 v97, v92, v97
	v_dual_add_f32 v95, v92, v93 :: v_dual_sub_f32 v94, v93, v94
	s_delay_alu instid0(VALU_DEP_2) | instskip(NEXT) | instid1(VALU_DEP_2)
	v_sub_f32_e32 v96, v96, v97
	v_dual_sub_f32 v98, v95, v92 :: v_dual_sub_f32 v17, v17, v94
	s_delay_alu instid0(VALU_DEP_1) | instskip(NEXT) | instid1(VALU_DEP_2)
	v_sub_f32_e32 v99, v95, v98
	v_dual_sub_f32 v93, v93, v98 :: v_dual_add_f32 v94, v96, v17
	s_delay_alu instid0(VALU_DEP_2) | instskip(NEXT) | instid1(VALU_DEP_1)
	v_sub_f32_e32 v92, v92, v99
	v_add_f32_e32 v92, v93, v92
	s_delay_alu instid0(VALU_DEP_3) | instskip(NEXT) | instid1(VALU_DEP_2)
	v_sub_f32_e32 v93, v94, v96
	v_add_f32_e32 v92, v94, v92
	s_delay_alu instid0(VALU_DEP_2) | instskip(SKIP_1) | instid1(VALU_DEP_2)
	v_sub_f32_e32 v94, v94, v93
	v_sub_f32_e32 v17, v17, v93
	v_dual_add_f32 v97, v95, v92 :: v_dual_sub_f32 v94, v96, v94
	s_delay_alu instid0(VALU_DEP_1) | instskip(NEXT) | instid1(VALU_DEP_1)
	v_sub_f32_e32 v93, v97, v95
	v_dual_add_f32 v17, v17, v94 :: v_dual_sub_f32 v92, v92, v93
	s_delay_alu instid0(VALU_DEP_1) | instskip(NEXT) | instid1(VALU_DEP_1)
	v_add_f32_e32 v17, v17, v92
	v_add_f32_e32 v17, v97, v17
	s_delay_alu instid0(VALU_DEP_1)
	v_cndmask_b32_e32 v92, v17, v12, vcc_lo
.LBB87_80:                              ;   in Loop: Header=BB87_12 Depth=1
	s_or_b32 exec_lo, exec_lo, s29
	v_lshrrev_b32_e32 v12, 16, v13
	s_delay_alu instid0(VALU_DEP_1) | instskip(NEXT) | instid1(VALU_DEP_1)
	v_cvt_f32_f16_e32 v12, v12
	v_add_f32_e32 v93, s68, v12
	s_delay_alu instid0(VALU_DEP_1) | instskip(SKIP_1) | instid1(SALU_CYCLE_1)
	v_cmp_ge_f32_e32 vcc_lo, 0x41a00000, v93
	s_and_b32 s28, s79, vcc_lo
	s_and_saveexec_b32 s29, s28
	s_cbranch_execz .LBB87_82
; %bb.81:                               ;   in Loop: Header=BB87_12 Depth=1
	v_mul_f32_e32 v12, 0x3fb8aa3b, v93
	v_cmp_ngt_f32_e32 vcc_lo, 0xc2ce8ed0, v93
	s_delay_alu instid0(VALU_DEP_2) | instskip(SKIP_1) | instid1(VALU_DEP_2)
	v_rndne_f32_e32 v13, v12
	v_fma_f32 v17, 0x3fb8aa3b, v93, -v12
	v_sub_f32_e32 v12, v12, v13
	s_delay_alu instid0(VALU_DEP_2) | instskip(SKIP_1) | instid1(VALU_DEP_2)
	v_fmac_f32_e32 v17, 0x32a5705f, v93
	v_cvt_i32_f32_e32 v13, v13
	v_add_f32_e32 v12, v12, v17
	s_delay_alu instid0(VALU_DEP_1) | instskip(SKIP_2) | instid1(VALU_DEP_1)
	v_exp_f32_e32 v12, v12
	s_waitcnt_depctr 0xfff
	v_ldexp_f32 v12, v12, v13
	v_cndmask_b32_e32 v12, 0, v12, vcc_lo
	v_cmp_nlt_f32_e32 vcc_lo, 0x42b17218, v93
	s_delay_alu instid0(VALU_DEP_2) | instskip(NEXT) | instid1(VALU_DEP_1)
	v_cndmask_b32_e32 v17, 0x7f800000, v12, vcc_lo
	v_add_f32_e32 v93, 1.0, v17
	s_delay_alu instid0(VALU_DEP_1) | instskip(NEXT) | instid1(VALU_DEP_1)
	v_cvt_f64_f32_e32 v[12:13], v93
	v_frexp_exp_i32_f64_e32 v12, v[12:13]
	v_frexp_mant_f32_e32 v13, v93
	s_delay_alu instid0(VALU_DEP_1) | instskip(SKIP_1) | instid1(VALU_DEP_1)
	v_cmp_gt_f32_e32 vcc_lo, 0x3f2aaaab, v13
	v_add_f32_e32 v13, -1.0, v93
	v_sub_f32_e32 v95, v13, v93
	s_delay_alu instid0(VALU_DEP_1) | instskip(SKIP_1) | instid1(VALU_DEP_1)
	v_add_f32_e32 v95, 1.0, v95
	v_subrev_co_ci_u32_e32 v12, vcc_lo, 0, v12, vcc_lo
	v_sub_nc_u32_e32 v94, 0, v12
	v_cvt_f32_i32_e32 v12, v12
	s_delay_alu instid0(VALU_DEP_2) | instskip(NEXT) | instid1(VALU_DEP_1)
	v_ldexp_f32 v93, v93, v94
	v_add_f32_e32 v96, 1.0, v93
	v_sub_f32_e32 v13, v17, v13
	v_cmp_eq_f32_e32 vcc_lo, 0x7f800000, v17
	v_cmp_gt_f32_e64 s28, 0x33800000, v17
	s_delay_alu instid0(VALU_DEP_3) | instskip(SKIP_1) | instid1(VALU_DEP_3)
	v_add_f32_e32 v13, v13, v95
	v_add_f32_e32 v95, -1.0, v96
	s_or_b32 vcc_lo, s28, vcc_lo
	s_delay_alu instid0(VALU_DEP_2) | instskip(NEXT) | instid1(VALU_DEP_2)
	v_ldexp_f32 v13, v13, v94
	v_dual_add_f32 v94, -1.0, v93 :: v_dual_sub_f32 v95, v93, v95
	s_delay_alu instid0(VALU_DEP_1) | instskip(NEXT) | instid1(VALU_DEP_2)
	v_add_f32_e32 v97, 1.0, v94
	v_add_f32_e32 v95, v13, v95
	s_delay_alu instid0(VALU_DEP_2) | instskip(NEXT) | instid1(VALU_DEP_1)
	v_sub_f32_e32 v93, v93, v97
	v_add_f32_e32 v13, v13, v93
	s_delay_alu instid0(VALU_DEP_1) | instskip(NEXT) | instid1(VALU_DEP_1)
	v_dual_add_f32 v98, v94, v13 :: v_dual_add_f32 v97, v96, v95
	v_sub_f32_e32 v94, v94, v98
	s_delay_alu instid0(VALU_DEP_2) | instskip(NEXT) | instid1(VALU_DEP_1)
	v_rcp_f32_e32 v93, v97
	v_dual_sub_f32 v96, v96, v97 :: v_dual_add_f32 v13, v13, v94
	s_delay_alu instid0(VALU_DEP_1) | instskip(SKIP_2) | instid1(VALU_DEP_1)
	v_add_f32_e32 v95, v95, v96
	s_waitcnt_depctr 0xfff
	v_mul_f32_e32 v99, v98, v93
	v_mul_f32_e32 v100, v97, v99
	s_delay_alu instid0(VALU_DEP_1) | instskip(NEXT) | instid1(VALU_DEP_1)
	v_fma_f32 v96, v99, v97, -v100
	v_fmac_f32_e32 v96, v99, v95
	s_delay_alu instid0(VALU_DEP_1) | instskip(NEXT) | instid1(VALU_DEP_1)
	v_add_f32_e32 v101, v100, v96
	v_sub_f32_e32 v102, v98, v101
	v_sub_f32_e32 v94, v101, v100
	s_delay_alu instid0(VALU_DEP_2) | instskip(NEXT) | instid1(VALU_DEP_2)
	v_sub_f32_e32 v98, v98, v102
	v_sub_f32_e32 v94, v94, v96
	s_delay_alu instid0(VALU_DEP_2) | instskip(NEXT) | instid1(VALU_DEP_1)
	v_sub_f32_e32 v98, v98, v101
	v_add_f32_e32 v13, v13, v98
	s_delay_alu instid0(VALU_DEP_1) | instskip(NEXT) | instid1(VALU_DEP_1)
	v_add_f32_e32 v13, v94, v13
	v_add_f32_e32 v94, v102, v13
	s_delay_alu instid0(VALU_DEP_1) | instskip(NEXT) | instid1(VALU_DEP_1)
	v_mul_f32_e32 v96, v93, v94
	v_dual_sub_f32 v101, v102, v94 :: v_dual_mul_f32 v98, v97, v96
	s_delay_alu instid0(VALU_DEP_1) | instskip(NEXT) | instid1(VALU_DEP_1)
	v_fma_f32 v97, v96, v97, -v98
	v_fmac_f32_e32 v97, v96, v95
	s_delay_alu instid0(VALU_DEP_1) | instskip(NEXT) | instid1(VALU_DEP_1)
	v_add_f32_e32 v95, v98, v97
	v_dual_add_f32 v13, v13, v101 :: v_dual_sub_f32 v100, v94, v95
	s_delay_alu instid0(VALU_DEP_1) | instskip(NEXT) | instid1(VALU_DEP_1)
	v_sub_f32_e32 v94, v94, v100
	v_sub_f32_e32 v94, v94, v95
	s_delay_alu instid0(VALU_DEP_1) | instskip(SKIP_1) | instid1(VALU_DEP_1)
	v_dual_add_f32 v13, v13, v94 :: v_dual_add_f32 v94, v99, v96
	v_sub_f32_e32 v98, v95, v98
	v_sub_f32_e32 v95, v98, v97
	s_delay_alu instid0(VALU_DEP_1) | instskip(NEXT) | instid1(VALU_DEP_4)
	v_add_f32_e32 v13, v95, v13
	v_sub_f32_e32 v95, v94, v99
	s_delay_alu instid0(VALU_DEP_2) | instskip(NEXT) | instid1(VALU_DEP_2)
	v_add_f32_e32 v13, v100, v13
	v_sub_f32_e32 v95, v96, v95
	s_delay_alu instid0(VALU_DEP_2) | instskip(NEXT) | instid1(VALU_DEP_1)
	v_mul_f32_e32 v13, v93, v13
	v_add_f32_e32 v13, v95, v13
	s_delay_alu instid0(VALU_DEP_1) | instskip(NEXT) | instid1(VALU_DEP_1)
	v_add_f32_e32 v93, v94, v13
	v_mul_f32_e32 v95, v93, v93
	s_delay_alu instid0(VALU_DEP_1) | instskip(SKIP_1) | instid1(VALU_DEP_2)
	v_fmaak_f32 v96, s83, v95, 0x3ecc95a3
	v_mul_f32_e32 v97, v93, v95
	v_fmaak_f32 v95, v95, v96, 0x3f2aaada
	v_ldexp_f32 v96, v93, 1
	v_sub_f32_e32 v93, v93, v94
	s_delay_alu instid0(VALU_DEP_3) | instskip(SKIP_1) | instid1(VALU_DEP_2)
	v_mul_f32_e32 v95, v97, v95
	v_mul_f32_e32 v97, 0x3f317218, v12
	v_dual_sub_f32 v13, v13, v93 :: v_dual_add_f32 v94, v96, v95
	s_delay_alu instid0(VALU_DEP_1) | instskip(NEXT) | instid1(VALU_DEP_2)
	v_ldexp_f32 v13, v13, 1
	v_sub_f32_e32 v93, v94, v96
	s_delay_alu instid0(VALU_DEP_4) | instskip(NEXT) | instid1(VALU_DEP_1)
	v_fma_f32 v96, 0x3f317218, v12, -v97
	v_dual_sub_f32 v93, v95, v93 :: v_dual_fmac_f32 v96, 0xb102e308, v12
	s_delay_alu instid0(VALU_DEP_1) | instskip(NEXT) | instid1(VALU_DEP_2)
	v_add_f32_e32 v12, v13, v93
	v_add_f32_e32 v13, v97, v96
	s_delay_alu instid0(VALU_DEP_2) | instskip(NEXT) | instid1(VALU_DEP_2)
	v_add_f32_e32 v93, v94, v12
	v_sub_f32_e32 v97, v13, v97
	s_delay_alu instid0(VALU_DEP_2) | instskip(SKIP_1) | instid1(VALU_DEP_3)
	v_add_f32_e32 v95, v13, v93
	v_sub_f32_e32 v94, v93, v94
	v_sub_f32_e32 v96, v96, v97
	s_delay_alu instid0(VALU_DEP_3) | instskip(NEXT) | instid1(VALU_DEP_3)
	v_sub_f32_e32 v98, v95, v13
	v_sub_f32_e32 v12, v12, v94
	s_delay_alu instid0(VALU_DEP_2) | instskip(NEXT) | instid1(VALU_DEP_2)
	v_sub_f32_e32 v99, v95, v98
	v_dual_sub_f32 v93, v93, v98 :: v_dual_add_f32 v94, v96, v12
	s_delay_alu instid0(VALU_DEP_2) | instskip(NEXT) | instid1(VALU_DEP_1)
	v_sub_f32_e32 v13, v13, v99
	v_add_f32_e32 v13, v93, v13
	s_delay_alu instid0(VALU_DEP_3) | instskip(NEXT) | instid1(VALU_DEP_2)
	v_sub_f32_e32 v93, v94, v96
	v_add_f32_e32 v13, v94, v13
	s_delay_alu instid0(VALU_DEP_2) | instskip(SKIP_1) | instid1(VALU_DEP_1)
	v_sub_f32_e32 v12, v12, v93
	v_sub_f32_e32 v94, v94, v93
	v_dual_add_f32 v97, v95, v13 :: v_dual_sub_f32 v94, v96, v94
	s_delay_alu instid0(VALU_DEP_1) | instskip(NEXT) | instid1(VALU_DEP_1)
	v_dual_sub_f32 v93, v97, v95 :: v_dual_add_f32 v12, v12, v94
	v_sub_f32_e32 v13, v13, v93
	s_delay_alu instid0(VALU_DEP_1) | instskip(NEXT) | instid1(VALU_DEP_1)
	v_add_f32_e32 v12, v12, v13
	v_add_f32_e32 v12, v97, v12
	s_delay_alu instid0(VALU_DEP_1)
	v_cndmask_b32_e32 v93, v12, v17, vcc_lo
.LBB87_82:                              ;   in Loop: Header=BB87_12 Depth=1
	s_or_b32 exec_lo, exec_lo, s29
	v_cvt_f32_f16_e32 v12, v14
	s_delay_alu instid0(VALU_DEP_1) | instskip(NEXT) | instid1(VALU_DEP_1)
	v_add_f32_e32 v94, s68, v12
	v_cmp_ge_f32_e32 vcc_lo, 0x41a00000, v94
	s_and_b32 s28, s79, vcc_lo
	s_delay_alu instid0(SALU_CYCLE_1)
	s_and_saveexec_b32 s29, s28
	s_cbranch_execz .LBB87_84
; %bb.83:                               ;   in Loop: Header=BB87_12 Depth=1
	v_mul_f32_e32 v12, 0x3fb8aa3b, v94
	v_cmp_ngt_f32_e32 vcc_lo, 0xc2ce8ed0, v94
	s_delay_alu instid0(VALU_DEP_2) | instskip(SKIP_1) | instid1(VALU_DEP_1)
	v_rndne_f32_e32 v13, v12
	v_fma_f32 v17, 0x3fb8aa3b, v94, -v12
	v_dual_sub_f32 v12, v12, v13 :: v_dual_fmac_f32 v17, 0x32a5705f, v94
	v_cvt_i32_f32_e32 v13, v13
	s_delay_alu instid0(VALU_DEP_2) | instskip(NEXT) | instid1(VALU_DEP_1)
	v_add_f32_e32 v12, v12, v17
	v_exp_f32_e32 v12, v12
	s_waitcnt_depctr 0xfff
	v_ldexp_f32 v12, v12, v13
	s_delay_alu instid0(VALU_DEP_1) | instskip(SKIP_1) | instid1(VALU_DEP_2)
	v_cndmask_b32_e32 v12, 0, v12, vcc_lo
	v_cmp_nlt_f32_e32 vcc_lo, 0x42b17218, v94
	v_cndmask_b32_e32 v17, 0x7f800000, v12, vcc_lo
	s_delay_alu instid0(VALU_DEP_1) | instskip(NEXT) | instid1(VALU_DEP_1)
	v_add_f32_e32 v94, 1.0, v17
	v_cvt_f64_f32_e32 v[12:13], v94
	s_delay_alu instid0(VALU_DEP_1) | instskip(SKIP_1) | instid1(VALU_DEP_1)
	v_frexp_exp_i32_f64_e32 v12, v[12:13]
	v_frexp_mant_f32_e32 v13, v94
	v_cmp_gt_f32_e32 vcc_lo, 0x3f2aaaab, v13
	v_add_f32_e32 v13, -1.0, v94
	s_delay_alu instid0(VALU_DEP_1) | instskip(SKIP_2) | instid1(VALU_DEP_3)
	v_sub_f32_e32 v96, v13, v94
	v_sub_f32_e32 v13, v17, v13
	v_cmp_gt_f32_e64 s28, 0x33800000, v17
	v_add_f32_e32 v96, 1.0, v96
	s_delay_alu instid0(VALU_DEP_1) | instskip(SKIP_2) | instid1(VALU_DEP_2)
	v_add_f32_e32 v13, v13, v96
	v_subrev_co_ci_u32_e32 v12, vcc_lo, 0, v12, vcc_lo
	v_cmp_eq_f32_e32 vcc_lo, 0x7f800000, v17
	v_sub_nc_u32_e32 v95, 0, v12
	v_cvt_f32_i32_e32 v12, v12
	s_or_b32 vcc_lo, s28, vcc_lo
	s_delay_alu instid0(VALU_DEP_2) | instskip(SKIP_1) | instid1(VALU_DEP_2)
	v_ldexp_f32 v94, v94, v95
	v_ldexp_f32 v13, v13, v95
	v_add_f32_e32 v95, -1.0, v94
	s_delay_alu instid0(VALU_DEP_1) | instskip(NEXT) | instid1(VALU_DEP_1)
	v_dual_add_f32 v97, 1.0, v94 :: v_dual_add_f32 v98, 1.0, v95
	v_add_f32_e32 v96, -1.0, v97
	s_delay_alu instid0(VALU_DEP_1) | instskip(NEXT) | instid1(VALU_DEP_3)
	v_sub_f32_e32 v96, v94, v96
	v_sub_f32_e32 v94, v94, v98
	s_delay_alu instid0(VALU_DEP_2) | instskip(NEXT) | instid1(VALU_DEP_2)
	v_add_f32_e32 v96, v13, v96
	v_add_f32_e32 v13, v13, v94
	s_delay_alu instid0(VALU_DEP_1) | instskip(NEXT) | instid1(VALU_DEP_1)
	v_dual_add_f32 v99, v95, v13 :: v_dual_add_f32 v98, v97, v96
	v_sub_f32_e32 v95, v95, v99
	s_delay_alu instid0(VALU_DEP_2) | instskip(SKIP_1) | instid1(VALU_DEP_1)
	v_rcp_f32_e32 v94, v98
	v_sub_f32_e32 v97, v97, v98
	v_dual_add_f32 v13, v13, v95 :: v_dual_add_f32 v96, v96, v97
	s_waitcnt_depctr 0xfff
	v_mul_f32_e32 v100, v99, v94
	s_delay_alu instid0(VALU_DEP_1) | instskip(NEXT) | instid1(VALU_DEP_1)
	v_mul_f32_e32 v101, v98, v100
	v_fma_f32 v97, v100, v98, -v101
	s_delay_alu instid0(VALU_DEP_1) | instskip(NEXT) | instid1(VALU_DEP_1)
	v_fmac_f32_e32 v97, v100, v96
	v_add_f32_e32 v102, v101, v97
	s_delay_alu instid0(VALU_DEP_1) | instskip(SKIP_1) | instid1(VALU_DEP_2)
	v_sub_f32_e32 v103, v99, v102
	v_sub_f32_e32 v95, v102, v101
	v_sub_f32_e32 v99, v99, v103
	s_delay_alu instid0(VALU_DEP_2) | instskip(NEXT) | instid1(VALU_DEP_2)
	v_sub_f32_e32 v95, v95, v97
	v_sub_f32_e32 v99, v99, v102
	s_delay_alu instid0(VALU_DEP_1) | instskip(NEXT) | instid1(VALU_DEP_1)
	v_add_f32_e32 v13, v13, v99
	v_add_f32_e32 v13, v95, v13
	s_delay_alu instid0(VALU_DEP_1) | instskip(NEXT) | instid1(VALU_DEP_1)
	v_add_f32_e32 v95, v103, v13
	v_mul_f32_e32 v97, v94, v95
	s_delay_alu instid0(VALU_DEP_1) | instskip(NEXT) | instid1(VALU_DEP_1)
	v_dual_sub_f32 v102, v103, v95 :: v_dual_mul_f32 v99, v98, v97
	v_add_f32_e32 v13, v13, v102
	s_delay_alu instid0(VALU_DEP_2) | instskip(NEXT) | instid1(VALU_DEP_1)
	v_fma_f32 v98, v97, v98, -v99
	v_fmac_f32_e32 v98, v97, v96
	s_delay_alu instid0(VALU_DEP_1) | instskip(NEXT) | instid1(VALU_DEP_1)
	v_add_f32_e32 v96, v99, v98
	v_sub_f32_e32 v101, v95, v96
	s_delay_alu instid0(VALU_DEP_1) | instskip(NEXT) | instid1(VALU_DEP_1)
	v_sub_f32_e32 v95, v95, v101
	v_sub_f32_e32 v95, v95, v96
	s_delay_alu instid0(VALU_DEP_1) | instskip(SKIP_2) | instid1(VALU_DEP_1)
	v_add_f32_e32 v13, v13, v95
	v_add_f32_e32 v95, v100, v97
	v_sub_f32_e32 v99, v96, v99
	v_sub_f32_e32 v96, v99, v98
	s_delay_alu instid0(VALU_DEP_1) | instskip(NEXT) | instid1(VALU_DEP_1)
	v_dual_add_f32 v13, v96, v13 :: v_dual_sub_f32 v96, v95, v100
	v_add_f32_e32 v13, v101, v13
	s_delay_alu instid0(VALU_DEP_1) | instskip(NEXT) | instid1(VALU_DEP_1)
	v_dual_sub_f32 v96, v97, v96 :: v_dual_mul_f32 v13, v94, v13
	v_add_f32_e32 v13, v96, v13
	s_delay_alu instid0(VALU_DEP_1) | instskip(NEXT) | instid1(VALU_DEP_1)
	v_add_f32_e32 v94, v95, v13
	v_mul_f32_e32 v96, v94, v94
	s_delay_alu instid0(VALU_DEP_1) | instskip(SKIP_1) | instid1(VALU_DEP_2)
	v_fmaak_f32 v97, s83, v96, 0x3ecc95a3
	v_mul_f32_e32 v98, v94, v96
	v_fmaak_f32 v96, v96, v97, 0x3f2aaada
	v_ldexp_f32 v97, v94, 1
	v_sub_f32_e32 v94, v94, v95
	s_delay_alu instid0(VALU_DEP_3) | instskip(NEXT) | instid1(VALU_DEP_2)
	v_mul_f32_e32 v96, v98, v96
	v_dual_mul_f32 v98, 0x3f317218, v12 :: v_dual_sub_f32 v13, v13, v94
	s_delay_alu instid0(VALU_DEP_2) | instskip(NEXT) | instid1(VALU_DEP_2)
	v_add_f32_e32 v95, v97, v96
	v_ldexp_f32 v13, v13, 1
	s_delay_alu instid0(VALU_DEP_2) | instskip(NEXT) | instid1(VALU_DEP_4)
	v_sub_f32_e32 v94, v95, v97
	v_fma_f32 v97, 0x3f317218, v12, -v98
	s_delay_alu instid0(VALU_DEP_1) | instskip(NEXT) | instid1(VALU_DEP_1)
	v_dual_sub_f32 v94, v96, v94 :: v_dual_fmac_f32 v97, 0xb102e308, v12
	v_add_f32_e32 v12, v13, v94
	s_delay_alu instid0(VALU_DEP_1) | instskip(NEXT) | instid1(VALU_DEP_1)
	v_add_f32_e32 v94, v95, v12
	v_sub_f32_e32 v95, v94, v95
	s_delay_alu instid0(VALU_DEP_1) | instskip(NEXT) | instid1(VALU_DEP_1)
	v_dual_sub_f32 v12, v12, v95 :: v_dual_add_f32 v13, v98, v97
	v_add_f32_e32 v96, v13, v94
	s_delay_alu instid0(VALU_DEP_1) | instskip(NEXT) | instid1(VALU_DEP_1)
	v_dual_sub_f32 v98, v13, v98 :: v_dual_sub_f32 v99, v96, v13
	v_dual_sub_f32 v97, v97, v98 :: v_dual_sub_f32 v100, v96, v99
	s_delay_alu instid0(VALU_DEP_1) | instskip(NEXT) | instid1(VALU_DEP_2)
	v_dual_sub_f32 v94, v94, v99 :: v_dual_add_f32 v95, v97, v12
	v_sub_f32_e32 v13, v13, v100
	s_delay_alu instid0(VALU_DEP_1) | instskip(NEXT) | instid1(VALU_DEP_3)
	v_add_f32_e32 v13, v94, v13
	v_sub_f32_e32 v94, v95, v97
	s_delay_alu instid0(VALU_DEP_2) | instskip(NEXT) | instid1(VALU_DEP_2)
	v_add_f32_e32 v13, v95, v13
	v_sub_f32_e32 v95, v95, v94
	v_sub_f32_e32 v12, v12, v94
	s_delay_alu instid0(VALU_DEP_2) | instskip(NEXT) | instid1(VALU_DEP_1)
	v_dual_add_f32 v98, v96, v13 :: v_dual_sub_f32 v95, v97, v95
	v_sub_f32_e32 v94, v98, v96
	s_delay_alu instid0(VALU_DEP_1) | instskip(NEXT) | instid1(VALU_DEP_1)
	v_dual_add_f32 v12, v12, v95 :: v_dual_sub_f32 v13, v13, v94
	v_add_f32_e32 v12, v12, v13
	s_delay_alu instid0(VALU_DEP_1) | instskip(NEXT) | instid1(VALU_DEP_1)
	v_add_f32_e32 v12, v98, v12
	v_cndmask_b32_e32 v94, v12, v17, vcc_lo
.LBB87_84:                              ;   in Loop: Header=BB87_12 Depth=1
	s_or_b32 exec_lo, exec_lo, s29
	v_lshrrev_b32_e32 v12, 16, v14
	s_delay_alu instid0(VALU_DEP_1) | instskip(NEXT) | instid1(VALU_DEP_1)
	v_cvt_f32_f16_e32 v12, v12
	v_add_f32_e32 v95, s68, v12
	s_delay_alu instid0(VALU_DEP_1) | instskip(SKIP_1) | instid1(SALU_CYCLE_1)
	v_cmp_ge_f32_e32 vcc_lo, 0x41a00000, v95
	s_and_b32 s28, s79, vcc_lo
	s_and_saveexec_b32 s29, s28
	s_cbranch_execz .LBB87_86
; %bb.85:                               ;   in Loop: Header=BB87_12 Depth=1
	v_mul_f32_e32 v12, 0x3fb8aa3b, v95
	v_cmp_ngt_f32_e32 vcc_lo, 0xc2ce8ed0, v95
	s_delay_alu instid0(VALU_DEP_2) | instskip(SKIP_1) | instid1(VALU_DEP_2)
	v_rndne_f32_e32 v13, v12
	v_fma_f32 v14, 0x3fb8aa3b, v95, -v12
	v_sub_f32_e32 v12, v12, v13
	s_delay_alu instid0(VALU_DEP_2) | instskip(SKIP_1) | instid1(VALU_DEP_2)
	v_fmac_f32_e32 v14, 0x32a5705f, v95
	v_cvt_i32_f32_e32 v13, v13
	v_add_f32_e32 v12, v12, v14
	s_delay_alu instid0(VALU_DEP_1) | instskip(SKIP_2) | instid1(VALU_DEP_1)
	v_exp_f32_e32 v12, v12
	s_waitcnt_depctr 0xfff
	v_ldexp_f32 v12, v12, v13
	v_cndmask_b32_e32 v12, 0, v12, vcc_lo
	v_cmp_nlt_f32_e32 vcc_lo, 0x42b17218, v95
	s_delay_alu instid0(VALU_DEP_2) | instskip(NEXT) | instid1(VALU_DEP_1)
	v_cndmask_b32_e32 v14, 0x7f800000, v12, vcc_lo
	v_add_f32_e32 v17, 1.0, v14
	s_delay_alu instid0(VALU_DEP_1) | instskip(NEXT) | instid1(VALU_DEP_1)
	v_cvt_f64_f32_e32 v[12:13], v17
	v_frexp_exp_i32_f64_e32 v12, v[12:13]
	v_frexp_mant_f32_e32 v13, v17
	s_delay_alu instid0(VALU_DEP_1) | instskip(SKIP_1) | instid1(VALU_DEP_1)
	v_cmp_gt_f32_e32 vcc_lo, 0x3f2aaaab, v13
	v_add_f32_e32 v13, -1.0, v17
	v_sub_f32_e32 v96, v13, v17
	v_sub_f32_e32 v13, v14, v13
	v_subrev_co_ci_u32_e32 v12, vcc_lo, 0, v12, vcc_lo
	s_delay_alu instid0(VALU_DEP_1) | instskip(SKIP_1) | instid1(VALU_DEP_2)
	v_sub_nc_u32_e32 v95, 0, v12
	v_cvt_f32_i32_e32 v12, v12
	v_ldexp_f32 v17, v17, v95
	s_delay_alu instid0(VALU_DEP_1) | instskip(NEXT) | instid1(VALU_DEP_1)
	v_dual_add_f32 v96, 1.0, v96 :: v_dual_add_f32 v97, 1.0, v17
	v_dual_add_f32 v13, v13, v96 :: v_dual_add_f32 v96, -1.0, v97
	s_delay_alu instid0(VALU_DEP_1) | instskip(SKIP_4) | instid1(VALU_DEP_4)
	v_ldexp_f32 v13, v13, v95
	v_add_f32_e32 v95, -1.0, v17
	v_cmp_eq_f32_e32 vcc_lo, 0x7f800000, v14
	v_cmp_gt_f32_e64 s28, 0x33800000, v14
	v_sub_f32_e32 v96, v17, v96
	v_add_f32_e32 v98, 1.0, v95
	s_delay_alu instid0(VALU_DEP_3) | instskip(NEXT) | instid1(VALU_DEP_2)
	s_or_b32 vcc_lo, s28, vcc_lo
	v_add_f32_e32 v96, v13, v96
	s_delay_alu instid0(VALU_DEP_2) | instskip(NEXT) | instid1(VALU_DEP_1)
	v_sub_f32_e32 v17, v17, v98
	v_add_f32_e32 v13, v13, v17
	s_delay_alu instid0(VALU_DEP_1) | instskip(NEXT) | instid1(VALU_DEP_1)
	v_dual_add_f32 v99, v95, v13 :: v_dual_add_f32 v98, v97, v96
	v_sub_f32_e32 v95, v95, v99
	s_delay_alu instid0(VALU_DEP_2) | instskip(SKIP_1) | instid1(VALU_DEP_1)
	v_rcp_f32_e32 v17, v98
	v_sub_f32_e32 v97, v97, v98
	v_dual_add_f32 v13, v13, v95 :: v_dual_add_f32 v96, v96, v97
	s_waitcnt_depctr 0xfff
	v_mul_f32_e32 v100, v99, v17
	s_delay_alu instid0(VALU_DEP_1) | instskip(NEXT) | instid1(VALU_DEP_1)
	v_mul_f32_e32 v101, v98, v100
	v_fma_f32 v97, v100, v98, -v101
	s_delay_alu instid0(VALU_DEP_1) | instskip(NEXT) | instid1(VALU_DEP_1)
	v_fmac_f32_e32 v97, v100, v96
	v_add_f32_e32 v102, v101, v97
	s_delay_alu instid0(VALU_DEP_1) | instskip(NEXT) | instid1(VALU_DEP_1)
	v_sub_f32_e32 v103, v99, v102
	v_sub_f32_e32 v99, v99, v103
	;; [unrolled: 1-line block ×3, first 2 shown]
	s_delay_alu instid0(VALU_DEP_2) | instskip(NEXT) | instid1(VALU_DEP_2)
	v_sub_f32_e32 v99, v99, v102
	v_sub_f32_e32 v95, v95, v97
	s_delay_alu instid0(VALU_DEP_2) | instskip(NEXT) | instid1(VALU_DEP_1)
	v_add_f32_e32 v13, v13, v99
	v_add_f32_e32 v13, v95, v13
	s_delay_alu instid0(VALU_DEP_1) | instskip(NEXT) | instid1(VALU_DEP_1)
	v_add_f32_e32 v95, v103, v13
	v_mul_f32_e32 v97, v17, v95
	s_delay_alu instid0(VALU_DEP_1) | instskip(NEXT) | instid1(VALU_DEP_1)
	v_dual_sub_f32 v102, v103, v95 :: v_dual_mul_f32 v99, v98, v97
	v_add_f32_e32 v13, v13, v102
	s_delay_alu instid0(VALU_DEP_2) | instskip(NEXT) | instid1(VALU_DEP_1)
	v_fma_f32 v98, v97, v98, -v99
	v_fmac_f32_e32 v98, v97, v96
	s_delay_alu instid0(VALU_DEP_1) | instskip(NEXT) | instid1(VALU_DEP_1)
	v_add_f32_e32 v96, v99, v98
	v_sub_f32_e32 v101, v95, v96
	v_sub_f32_e32 v99, v96, v99
	s_delay_alu instid0(VALU_DEP_2) | instskip(NEXT) | instid1(VALU_DEP_1)
	v_sub_f32_e32 v95, v95, v101
	v_sub_f32_e32 v95, v95, v96
	s_delay_alu instid0(VALU_DEP_1) | instskip(SKIP_1) | instid1(VALU_DEP_1)
	v_dual_sub_f32 v96, v99, v98 :: v_dual_add_f32 v13, v13, v95
	v_add_f32_e32 v95, v100, v97
	v_dual_add_f32 v13, v96, v13 :: v_dual_sub_f32 v96, v95, v100
	s_delay_alu instid0(VALU_DEP_1) | instskip(NEXT) | instid1(VALU_DEP_2)
	v_add_f32_e32 v13, v101, v13
	v_sub_f32_e32 v96, v97, v96
	s_delay_alu instid0(VALU_DEP_2) | instskip(NEXT) | instid1(VALU_DEP_1)
	v_mul_f32_e32 v13, v17, v13
	v_add_f32_e32 v13, v96, v13
	s_delay_alu instid0(VALU_DEP_1) | instskip(NEXT) | instid1(VALU_DEP_1)
	v_add_f32_e32 v17, v95, v13
	v_mul_f32_e32 v96, v17, v17
	s_delay_alu instid0(VALU_DEP_1) | instskip(SKIP_1) | instid1(VALU_DEP_2)
	v_fmaak_f32 v97, s83, v96, 0x3ecc95a3
	v_mul_f32_e32 v98, v17, v96
	v_fmaak_f32 v96, v96, v97, 0x3f2aaada
	v_ldexp_f32 v97, v17, 1
	s_delay_alu instid0(VALU_DEP_2) | instskip(NEXT) | instid1(VALU_DEP_1)
	v_dual_sub_f32 v17, v17, v95 :: v_dual_mul_f32 v96, v98, v96
	v_dual_mul_f32 v98, 0x3f317218, v12 :: v_dual_sub_f32 v13, v13, v17
	s_delay_alu instid0(VALU_DEP_2) | instskip(NEXT) | instid1(VALU_DEP_2)
	v_add_f32_e32 v95, v97, v96
	v_ldexp_f32 v13, v13, 1
	s_delay_alu instid0(VALU_DEP_2) | instskip(NEXT) | instid1(VALU_DEP_4)
	v_sub_f32_e32 v17, v95, v97
	v_fma_f32 v97, 0x3f317218, v12, -v98
	s_delay_alu instid0(VALU_DEP_2) | instskip(NEXT) | instid1(VALU_DEP_1)
	v_sub_f32_e32 v17, v96, v17
	v_dual_fmac_f32 v97, 0xb102e308, v12 :: v_dual_add_f32 v12, v13, v17
	s_delay_alu instid0(VALU_DEP_1) | instskip(NEXT) | instid1(VALU_DEP_1)
	v_add_f32_e32 v13, v98, v97
	v_dual_add_f32 v17, v95, v12 :: v_dual_sub_f32 v98, v13, v98
	s_delay_alu instid0(VALU_DEP_1) | instskip(SKIP_1) | instid1(VALU_DEP_3)
	v_add_f32_e32 v96, v13, v17
	v_sub_f32_e32 v95, v17, v95
	v_sub_f32_e32 v97, v97, v98
	s_delay_alu instid0(VALU_DEP_3) | instskip(NEXT) | instid1(VALU_DEP_3)
	v_sub_f32_e32 v99, v96, v13
	v_sub_f32_e32 v12, v12, v95
	s_delay_alu instid0(VALU_DEP_2) | instskip(SKIP_1) | instid1(VALU_DEP_3)
	v_sub_f32_e32 v100, v96, v99
	v_sub_f32_e32 v17, v17, v99
	v_add_f32_e32 v95, v97, v12
	s_delay_alu instid0(VALU_DEP_3) | instskip(NEXT) | instid1(VALU_DEP_1)
	v_sub_f32_e32 v13, v13, v100
	v_add_f32_e32 v13, v17, v13
	s_delay_alu instid0(VALU_DEP_3) | instskip(NEXT) | instid1(VALU_DEP_2)
	v_sub_f32_e32 v17, v95, v97
	v_add_f32_e32 v13, v95, v13
	s_delay_alu instid0(VALU_DEP_2) | instskip(SKIP_1) | instid1(VALU_DEP_2)
	v_sub_f32_e32 v95, v95, v17
	v_sub_f32_e32 v12, v12, v17
	v_dual_add_f32 v98, v96, v13 :: v_dual_sub_f32 v95, v97, v95
	s_delay_alu instid0(VALU_DEP_1) | instskip(NEXT) | instid1(VALU_DEP_1)
	v_dual_sub_f32 v17, v98, v96 :: v_dual_add_f32 v12, v12, v95
	v_sub_f32_e32 v13, v13, v17
	s_delay_alu instid0(VALU_DEP_1) | instskip(NEXT) | instid1(VALU_DEP_1)
	v_add_f32_e32 v12, v12, v13
	v_add_f32_e32 v12, v98, v12
	s_delay_alu instid0(VALU_DEP_1)
	v_cndmask_b32_e32 v95, v12, v14, vcc_lo
.LBB87_86:                              ;   in Loop: Header=BB87_12 Depth=1
	s_or_b32 exec_lo, exec_lo, s29
	v_cvt_f32_f16_e32 v12, v15
	s_delay_alu instid0(VALU_DEP_1) | instskip(NEXT) | instid1(VALU_DEP_1)
	v_add_f32_e32 v96, s68, v12
	v_cmp_ge_f32_e32 vcc_lo, 0x41a00000, v96
	s_and_b32 s28, s79, vcc_lo
	s_delay_alu instid0(SALU_CYCLE_1)
	s_and_saveexec_b32 s29, s28
	s_cbranch_execz .LBB87_88
; %bb.87:                               ;   in Loop: Header=BB87_12 Depth=1
	v_mul_f32_e32 v12, 0x3fb8aa3b, v96
	v_cmp_ngt_f32_e32 vcc_lo, 0xc2ce8ed0, v96
	s_delay_alu instid0(VALU_DEP_2) | instskip(SKIP_1) | instid1(VALU_DEP_2)
	v_rndne_f32_e32 v13, v12
	v_fma_f32 v14, 0x3fb8aa3b, v96, -v12
	v_sub_f32_e32 v12, v12, v13
	s_delay_alu instid0(VALU_DEP_2) | instskip(SKIP_1) | instid1(VALU_DEP_2)
	v_fmac_f32_e32 v14, 0x32a5705f, v96
	v_cvt_i32_f32_e32 v13, v13
	v_add_f32_e32 v12, v12, v14
	s_delay_alu instid0(VALU_DEP_1) | instskip(SKIP_2) | instid1(VALU_DEP_1)
	v_exp_f32_e32 v12, v12
	s_waitcnt_depctr 0xfff
	v_ldexp_f32 v12, v12, v13
	v_cndmask_b32_e32 v12, 0, v12, vcc_lo
	v_cmp_nlt_f32_e32 vcc_lo, 0x42b17218, v96
	s_delay_alu instid0(VALU_DEP_2) | instskip(NEXT) | instid1(VALU_DEP_1)
	v_cndmask_b32_e32 v14, 0x7f800000, v12, vcc_lo
	v_add_f32_e32 v17, 1.0, v14
	s_delay_alu instid0(VALU_DEP_1) | instskip(NEXT) | instid1(VALU_DEP_1)
	v_cvt_f64_f32_e32 v[12:13], v17
	v_frexp_exp_i32_f64_e32 v12, v[12:13]
	v_frexp_mant_f32_e32 v13, v17
	s_delay_alu instid0(VALU_DEP_1) | instskip(SKIP_1) | instid1(VALU_DEP_1)
	v_cmp_gt_f32_e32 vcc_lo, 0x3f2aaaab, v13
	v_add_f32_e32 v13, -1.0, v17
	v_sub_f32_e32 v97, v13, v17
	s_delay_alu instid0(VALU_DEP_1) | instskip(SKIP_2) | instid1(VALU_DEP_2)
	v_add_f32_e32 v97, 1.0, v97
	v_sub_f32_e32 v13, v14, v13
	v_cmp_gt_f32_e64 s28, 0x33800000, v14
	v_add_f32_e32 v13, v13, v97
	v_subrev_co_ci_u32_e32 v12, vcc_lo, 0, v12, vcc_lo
	v_cmp_eq_f32_e32 vcc_lo, 0x7f800000, v14
	s_delay_alu instid0(VALU_DEP_2) | instskip(SKIP_2) | instid1(VALU_DEP_2)
	v_sub_nc_u32_e32 v96, 0, v12
	v_cvt_f32_i32_e32 v12, v12
	s_or_b32 vcc_lo, s28, vcc_lo
	v_ldexp_f32 v17, v17, v96
	v_ldexp_f32 v13, v13, v96
	s_delay_alu instid0(VALU_DEP_2) | instskip(NEXT) | instid1(VALU_DEP_1)
	v_add_f32_e32 v96, -1.0, v17
	v_dual_add_f32 v98, 1.0, v17 :: v_dual_add_f32 v99, 1.0, v96
	s_delay_alu instid0(VALU_DEP_1) | instskip(NEXT) | instid1(VALU_DEP_1)
	v_add_f32_e32 v97, -1.0, v98
	v_sub_f32_e32 v97, v17, v97
	s_delay_alu instid0(VALU_DEP_3) | instskip(NEXT) | instid1(VALU_DEP_2)
	v_sub_f32_e32 v17, v17, v99
	v_add_f32_e32 v97, v13, v97
	s_delay_alu instid0(VALU_DEP_2) | instskip(NEXT) | instid1(VALU_DEP_1)
	v_add_f32_e32 v13, v13, v17
	v_add_f32_e32 v100, v96, v13
	s_delay_alu instid0(VALU_DEP_1) | instskip(NEXT) | instid1(VALU_DEP_1)
	v_dual_sub_f32 v96, v96, v100 :: v_dual_add_f32 v99, v98, v97
	v_add_f32_e32 v13, v13, v96
	s_delay_alu instid0(VALU_DEP_2) | instskip(SKIP_1) | instid1(VALU_DEP_1)
	v_rcp_f32_e32 v17, v99
	v_sub_f32_e32 v98, v98, v99
	v_add_f32_e32 v97, v97, v98
	s_waitcnt_depctr 0xfff
	v_mul_f32_e32 v101, v100, v17
	s_delay_alu instid0(VALU_DEP_1) | instskip(NEXT) | instid1(VALU_DEP_1)
	v_mul_f32_e32 v102, v99, v101
	v_fma_f32 v98, v101, v99, -v102
	s_delay_alu instid0(VALU_DEP_1) | instskip(NEXT) | instid1(VALU_DEP_1)
	v_fmac_f32_e32 v98, v101, v97
	v_add_f32_e32 v103, v102, v98
	s_delay_alu instid0(VALU_DEP_1) | instskip(SKIP_1) | instid1(VALU_DEP_2)
	v_sub_f32_e32 v104, v100, v103
	v_sub_f32_e32 v96, v103, v102
	;; [unrolled: 1-line block ×3, first 2 shown]
	s_delay_alu instid0(VALU_DEP_1) | instskip(NEXT) | instid1(VALU_DEP_1)
	v_sub_f32_e32 v100, v100, v103
	v_dual_sub_f32 v96, v96, v98 :: v_dual_add_f32 v13, v13, v100
	s_delay_alu instid0(VALU_DEP_1) | instskip(NEXT) | instid1(VALU_DEP_1)
	v_add_f32_e32 v13, v96, v13
	v_add_f32_e32 v96, v104, v13
	s_delay_alu instid0(VALU_DEP_1) | instskip(NEXT) | instid1(VALU_DEP_1)
	v_mul_f32_e32 v98, v17, v96
	v_dual_sub_f32 v103, v104, v96 :: v_dual_mul_f32 v100, v99, v98
	s_delay_alu instid0(VALU_DEP_1) | instskip(NEXT) | instid1(VALU_DEP_2)
	v_add_f32_e32 v13, v13, v103
	v_fma_f32 v99, v98, v99, -v100
	s_delay_alu instid0(VALU_DEP_1) | instskip(NEXT) | instid1(VALU_DEP_1)
	v_fmac_f32_e32 v99, v98, v97
	v_add_f32_e32 v97, v100, v99
	s_delay_alu instid0(VALU_DEP_1) | instskip(NEXT) | instid1(VALU_DEP_1)
	v_sub_f32_e32 v102, v96, v97
	v_sub_f32_e32 v96, v96, v102
	s_delay_alu instid0(VALU_DEP_1) | instskip(NEXT) | instid1(VALU_DEP_1)
	v_sub_f32_e32 v96, v96, v97
	v_add_f32_e32 v13, v13, v96
	v_add_f32_e32 v96, v101, v98
	v_sub_f32_e32 v100, v97, v100
	s_delay_alu instid0(VALU_DEP_1) | instskip(NEXT) | instid1(VALU_DEP_1)
	v_sub_f32_e32 v97, v100, v99
	v_add_f32_e32 v13, v97, v13
	s_delay_alu instid0(VALU_DEP_4) | instskip(NEXT) | instid1(VALU_DEP_2)
	v_sub_f32_e32 v97, v96, v101
	v_add_f32_e32 v13, v102, v13
	s_delay_alu instid0(VALU_DEP_2) | instskip(NEXT) | instid1(VALU_DEP_2)
	v_sub_f32_e32 v97, v98, v97
	v_mul_f32_e32 v13, v17, v13
	s_delay_alu instid0(VALU_DEP_1) | instskip(NEXT) | instid1(VALU_DEP_1)
	v_add_f32_e32 v13, v97, v13
	v_add_f32_e32 v17, v96, v13
	s_delay_alu instid0(VALU_DEP_1) | instskip(NEXT) | instid1(VALU_DEP_1)
	v_mul_f32_e32 v97, v17, v17
	v_fmaak_f32 v98, s83, v97, 0x3ecc95a3
	v_mul_f32_e32 v99, v17, v97
	s_delay_alu instid0(VALU_DEP_2) | instskip(SKIP_1) | instid1(VALU_DEP_2)
	v_fmaak_f32 v97, v97, v98, 0x3f2aaada
	v_ldexp_f32 v98, v17, 1
	v_mul_f32_e32 v97, v99, v97
	s_delay_alu instid0(VALU_DEP_1) | instskip(NEXT) | instid1(VALU_DEP_1)
	v_dual_sub_f32 v17, v17, v96 :: v_dual_add_f32 v96, v98, v97
	v_sub_f32_e32 v13, v13, v17
	s_delay_alu instid0(VALU_DEP_2) | instskip(NEXT) | instid1(VALU_DEP_2)
	v_sub_f32_e32 v17, v96, v98
	v_ldexp_f32 v13, v13, 1
	s_delay_alu instid0(VALU_DEP_2) | instskip(SKIP_1) | instid1(VALU_DEP_1)
	v_sub_f32_e32 v17, v97, v17
	v_mul_f32_e32 v99, 0x3f317218, v12
	v_fma_f32 v98, 0x3f317218, v12, -v99
	s_delay_alu instid0(VALU_DEP_1) | instskip(NEXT) | instid1(VALU_DEP_1)
	v_fmac_f32_e32 v98, 0xb102e308, v12
	v_dual_add_f32 v12, v13, v17 :: v_dual_add_f32 v13, v99, v98
	s_delay_alu instid0(VALU_DEP_1) | instskip(NEXT) | instid1(VALU_DEP_1)
	v_add_f32_e32 v17, v96, v12
	v_add_f32_e32 v97, v13, v17
	v_sub_f32_e32 v96, v17, v96
	s_delay_alu instid0(VALU_DEP_2) | instskip(NEXT) | instid1(VALU_DEP_2)
	v_sub_f32_e32 v100, v97, v13
	v_dual_sub_f32 v12, v12, v96 :: v_dual_sub_f32 v99, v13, v99
	s_delay_alu instid0(VALU_DEP_2) | instskip(NEXT) | instid1(VALU_DEP_2)
	v_sub_f32_e32 v101, v97, v100
	v_dual_sub_f32 v17, v17, v100 :: v_dual_sub_f32 v98, v98, v99
	s_delay_alu instid0(VALU_DEP_1) | instskip(NEXT) | instid1(VALU_DEP_1)
	v_dual_sub_f32 v13, v13, v101 :: v_dual_add_f32 v96, v98, v12
	v_add_f32_e32 v13, v17, v13
	s_delay_alu instid0(VALU_DEP_2) | instskip(NEXT) | instid1(VALU_DEP_2)
	v_sub_f32_e32 v17, v96, v98
	v_add_f32_e32 v13, v96, v13
	s_delay_alu instid0(VALU_DEP_2) | instskip(SKIP_1) | instid1(VALU_DEP_2)
	v_sub_f32_e32 v96, v96, v17
	v_sub_f32_e32 v12, v12, v17
	v_dual_add_f32 v99, v97, v13 :: v_dual_sub_f32 v96, v98, v96
	s_delay_alu instid0(VALU_DEP_1) | instskip(NEXT) | instid1(VALU_DEP_1)
	v_dual_sub_f32 v17, v99, v97 :: v_dual_add_f32 v12, v12, v96
	v_sub_f32_e32 v13, v13, v17
	s_delay_alu instid0(VALU_DEP_1) | instskip(NEXT) | instid1(VALU_DEP_1)
	v_add_f32_e32 v12, v12, v13
	v_add_f32_e32 v12, v99, v12
	s_delay_alu instid0(VALU_DEP_1)
	v_cndmask_b32_e32 v96, v12, v14, vcc_lo
.LBB87_88:                              ;   in Loop: Header=BB87_12 Depth=1
	s_or_b32 exec_lo, exec_lo, s29
	v_lshrrev_b32_e32 v12, 16, v15
	s_delay_alu instid0(VALU_DEP_1) | instskip(NEXT) | instid1(VALU_DEP_1)
	v_cvt_f32_f16_e32 v12, v12
	v_add_f32_e32 v97, s68, v12
	s_delay_alu instid0(VALU_DEP_1) | instskip(SKIP_1) | instid1(SALU_CYCLE_1)
	v_cmp_ge_f32_e32 vcc_lo, 0x41a00000, v97
	s_and_b32 s28, s79, vcc_lo
	s_and_saveexec_b32 s29, s28
	s_cbranch_execz .LBB87_90
; %bb.89:                               ;   in Loop: Header=BB87_12 Depth=1
	v_mul_f32_e32 v12, 0x3fb8aa3b, v97
	v_cmp_ngt_f32_e32 vcc_lo, 0xc2ce8ed0, v97
	s_delay_alu instid0(VALU_DEP_2) | instskip(SKIP_1) | instid1(VALU_DEP_2)
	v_rndne_f32_e32 v13, v12
	v_fma_f32 v14, 0x3fb8aa3b, v97, -v12
	v_sub_f32_e32 v12, v12, v13
	s_delay_alu instid0(VALU_DEP_2) | instskip(SKIP_1) | instid1(VALU_DEP_2)
	v_fmac_f32_e32 v14, 0x32a5705f, v97
	v_cvt_i32_f32_e32 v13, v13
	v_add_f32_e32 v12, v12, v14
	s_delay_alu instid0(VALU_DEP_1) | instskip(SKIP_2) | instid1(VALU_DEP_1)
	v_exp_f32_e32 v12, v12
	s_waitcnt_depctr 0xfff
	v_ldexp_f32 v12, v12, v13
	v_cndmask_b32_e32 v12, 0, v12, vcc_lo
	v_cmp_nlt_f32_e32 vcc_lo, 0x42b17218, v97
	s_delay_alu instid0(VALU_DEP_2) | instskip(NEXT) | instid1(VALU_DEP_1)
	v_cndmask_b32_e32 v14, 0x7f800000, v12, vcc_lo
	v_add_f32_e32 v15, 1.0, v14
	s_delay_alu instid0(VALU_DEP_1) | instskip(NEXT) | instid1(VALU_DEP_1)
	v_cvt_f64_f32_e32 v[12:13], v15
	v_frexp_exp_i32_f64_e32 v12, v[12:13]
	v_frexp_mant_f32_e32 v13, v15
	s_delay_alu instid0(VALU_DEP_1) | instskip(SKIP_1) | instid1(VALU_DEP_1)
	v_cmp_gt_f32_e32 vcc_lo, 0x3f2aaaab, v13
	v_add_f32_e32 v13, -1.0, v15
	v_sub_f32_e32 v97, v13, v15
	v_sub_f32_e32 v13, v14, v13
	s_delay_alu instid0(VALU_DEP_2) | instskip(NEXT) | instid1(VALU_DEP_1)
	v_add_f32_e32 v97, 1.0, v97
	v_add_f32_e32 v13, v13, v97
	v_cmp_gt_f32_e64 s28, 0x33800000, v14
	v_subrev_co_ci_u32_e32 v12, vcc_lo, 0, v12, vcc_lo
	v_cmp_eq_f32_e32 vcc_lo, 0x7f800000, v14
	s_delay_alu instid0(VALU_DEP_2) | instskip(SKIP_2) | instid1(VALU_DEP_2)
	v_sub_nc_u32_e32 v17, 0, v12
	v_cvt_f32_i32_e32 v12, v12
	s_or_b32 vcc_lo, s28, vcc_lo
	v_ldexp_f32 v15, v15, v17
	v_ldexp_f32 v13, v13, v17
	s_delay_alu instid0(VALU_DEP_2) | instskip(SKIP_1) | instid1(VALU_DEP_2)
	v_add_f32_e32 v98, 1.0, v15
	v_add_f32_e32 v17, -1.0, v15
	v_add_f32_e32 v97, -1.0, v98
	s_delay_alu instid0(VALU_DEP_2) | instskip(NEXT) | instid1(VALU_DEP_2)
	v_add_f32_e32 v99, 1.0, v17
	v_sub_f32_e32 v97, v15, v97
	s_delay_alu instid0(VALU_DEP_2) | instskip(NEXT) | instid1(VALU_DEP_2)
	v_sub_f32_e32 v15, v15, v99
	v_add_f32_e32 v97, v13, v97
	s_delay_alu instid0(VALU_DEP_2) | instskip(NEXT) | instid1(VALU_DEP_1)
	v_add_f32_e32 v13, v13, v15
	v_add_f32_e32 v100, v17, v13
	s_delay_alu instid0(VALU_DEP_3) | instskip(NEXT) | instid1(VALU_DEP_1)
	v_add_f32_e32 v99, v98, v97
	v_rcp_f32_e32 v15, v99
	v_sub_f32_e32 v98, v98, v99
	s_delay_alu instid0(VALU_DEP_1) | instskip(SKIP_2) | instid1(VALU_DEP_1)
	v_add_f32_e32 v97, v97, v98
	s_waitcnt_depctr 0xfff
	v_mul_f32_e32 v101, v100, v15
	v_dual_mul_f32 v102, v99, v101 :: v_dual_sub_f32 v17, v17, v100
	s_delay_alu instid0(VALU_DEP_1) | instskip(NEXT) | instid1(VALU_DEP_2)
	v_fma_f32 v98, v101, v99, -v102
	v_add_f32_e32 v13, v13, v17
	s_delay_alu instid0(VALU_DEP_2) | instskip(NEXT) | instid1(VALU_DEP_1)
	v_fmac_f32_e32 v98, v101, v97
	v_add_f32_e32 v103, v102, v98
	s_delay_alu instid0(VALU_DEP_1) | instskip(NEXT) | instid1(VALU_DEP_1)
	v_dual_sub_f32 v104, v100, v103 :: v_dual_sub_f32 v17, v103, v102
	v_dual_sub_f32 v100, v100, v104 :: v_dual_sub_f32 v17, v17, v98
	s_delay_alu instid0(VALU_DEP_1) | instskip(NEXT) | instid1(VALU_DEP_1)
	v_sub_f32_e32 v100, v100, v103
	v_add_f32_e32 v13, v13, v100
	s_delay_alu instid0(VALU_DEP_1) | instskip(NEXT) | instid1(VALU_DEP_1)
	v_add_f32_e32 v13, v17, v13
	v_add_f32_e32 v17, v104, v13
	s_delay_alu instid0(VALU_DEP_1) | instskip(NEXT) | instid1(VALU_DEP_1)
	v_mul_f32_e32 v98, v15, v17
	v_dual_sub_f32 v103, v104, v17 :: v_dual_mul_f32 v100, v99, v98
	s_delay_alu instid0(VALU_DEP_1) | instskip(NEXT) | instid1(VALU_DEP_2)
	v_add_f32_e32 v13, v13, v103
	v_fma_f32 v99, v98, v99, -v100
	s_delay_alu instid0(VALU_DEP_1) | instskip(NEXT) | instid1(VALU_DEP_1)
	v_fmac_f32_e32 v99, v98, v97
	v_add_f32_e32 v97, v100, v99
	s_delay_alu instid0(VALU_DEP_1) | instskip(SKIP_1) | instid1(VALU_DEP_2)
	v_sub_f32_e32 v102, v17, v97
	v_sub_f32_e32 v100, v97, v100
	;; [unrolled: 1-line block ×3, first 2 shown]
	s_delay_alu instid0(VALU_DEP_1) | instskip(NEXT) | instid1(VALU_DEP_3)
	v_sub_f32_e32 v17, v17, v97
	v_sub_f32_e32 v97, v100, v99
	s_delay_alu instid0(VALU_DEP_2) | instskip(SKIP_1) | instid1(VALU_DEP_2)
	v_add_f32_e32 v13, v13, v17
	v_add_f32_e32 v17, v101, v98
	;; [unrolled: 1-line block ×3, first 2 shown]
	s_delay_alu instid0(VALU_DEP_2) | instskip(NEXT) | instid1(VALU_DEP_2)
	v_sub_f32_e32 v97, v17, v101
	v_add_f32_e32 v13, v102, v13
	s_delay_alu instid0(VALU_DEP_2) | instskip(NEXT) | instid1(VALU_DEP_2)
	v_sub_f32_e32 v97, v98, v97
	v_mul_f32_e32 v13, v15, v13
	s_delay_alu instid0(VALU_DEP_1) | instskip(NEXT) | instid1(VALU_DEP_1)
	v_add_f32_e32 v13, v97, v13
	v_add_f32_e32 v15, v17, v13
	s_delay_alu instid0(VALU_DEP_1) | instskip(NEXT) | instid1(VALU_DEP_1)
	v_mul_f32_e32 v97, v15, v15
	v_fmaak_f32 v98, s83, v97, 0x3ecc95a3
	v_mul_f32_e32 v99, v15, v97
	s_delay_alu instid0(VALU_DEP_2) | instskip(SKIP_2) | instid1(VALU_DEP_3)
	v_fmaak_f32 v97, v97, v98, 0x3f2aaada
	v_ldexp_f32 v98, v15, 1
	v_sub_f32_e32 v15, v15, v17
	v_mul_f32_e32 v97, v99, v97
	v_mul_f32_e32 v99, 0x3f317218, v12
	s_delay_alu instid0(VALU_DEP_3) | instskip(NEXT) | instid1(VALU_DEP_3)
	v_sub_f32_e32 v13, v13, v15
	v_add_f32_e32 v17, v98, v97
	s_delay_alu instid0(VALU_DEP_2) | instskip(NEXT) | instid1(VALU_DEP_2)
	v_ldexp_f32 v13, v13, 1
	v_sub_f32_e32 v15, v17, v98
	v_fma_f32 v98, 0x3f317218, v12, -v99
	s_delay_alu instid0(VALU_DEP_1) | instskip(NEXT) | instid1(VALU_DEP_1)
	v_dual_sub_f32 v15, v97, v15 :: v_dual_fmac_f32 v98, 0xb102e308, v12
	v_dual_add_f32 v12, v13, v15 :: v_dual_add_f32 v13, v99, v98
	s_delay_alu instid0(VALU_DEP_1) | instskip(NEXT) | instid1(VALU_DEP_1)
	v_add_f32_e32 v15, v17, v12
	v_add_f32_e32 v97, v13, v15
	v_sub_f32_e32 v17, v15, v17
	s_delay_alu instid0(VALU_DEP_2) | instskip(NEXT) | instid1(VALU_DEP_2)
	v_sub_f32_e32 v100, v97, v13
	v_dual_sub_f32 v99, v13, v99 :: v_dual_sub_f32 v12, v12, v17
	s_delay_alu instid0(VALU_DEP_1) | instskip(SKIP_1) | instid1(VALU_DEP_2)
	v_dual_sub_f32 v101, v97, v100 :: v_dual_sub_f32 v98, v98, v99
	v_sub_f32_e32 v15, v15, v100
	v_sub_f32_e32 v13, v13, v101
	s_delay_alu instid0(VALU_DEP_3) | instskip(NEXT) | instid1(VALU_DEP_2)
	v_add_f32_e32 v17, v98, v12
	v_add_f32_e32 v13, v15, v13
	s_delay_alu instid0(VALU_DEP_2) | instskip(NEXT) | instid1(VALU_DEP_2)
	v_sub_f32_e32 v15, v17, v98
	v_add_f32_e32 v13, v17, v13
	s_delay_alu instid0(VALU_DEP_2) | instskip(NEXT) | instid1(VALU_DEP_2)
	v_sub_f32_e32 v17, v17, v15
	v_dual_sub_f32 v12, v12, v15 :: v_dual_add_f32 v99, v97, v13
	s_delay_alu instid0(VALU_DEP_2) | instskip(NEXT) | instid1(VALU_DEP_2)
	v_sub_f32_e32 v17, v98, v17
	v_sub_f32_e32 v15, v99, v97
	s_delay_alu instid0(VALU_DEP_1) | instskip(NEXT) | instid1(VALU_DEP_1)
	v_dual_add_f32 v12, v12, v17 :: v_dual_sub_f32 v13, v13, v15
	v_add_f32_e32 v12, v12, v13
	s_delay_alu instid0(VALU_DEP_1) | instskip(NEXT) | instid1(VALU_DEP_1)
	v_add_f32_e32 v12, v99, v12
	v_cndmask_b32_e32 v97, v12, v14, vcc_lo
.LBB87_90:                              ;   in Loop: Header=BB87_12 Depth=1
	s_or_b32 exec_lo, exec_lo, s29
	s_waitcnt lgkmcnt(0)
	v_cvt_f32_f16_e32 v12, v8
	s_delay_alu instid0(VALU_DEP_1) | instskip(NEXT) | instid1(VALU_DEP_1)
	v_add_f32_e32 v98, s68, v12
	v_cmp_ge_f32_e32 vcc_lo, 0x41a00000, v98
	s_and_b32 s28, s79, vcc_lo
	s_delay_alu instid0(SALU_CYCLE_1)
	s_and_saveexec_b32 s29, s28
	s_cbranch_execz .LBB87_92
; %bb.91:                               ;   in Loop: Header=BB87_12 Depth=1
	v_mul_f32_e32 v12, 0x3fb8aa3b, v98
	v_cmp_ngt_f32_e32 vcc_lo, 0xc2ce8ed0, v98
	s_delay_alu instid0(VALU_DEP_2) | instskip(SKIP_1) | instid1(VALU_DEP_2)
	v_rndne_f32_e32 v13, v12
	v_fma_f32 v14, 0x3fb8aa3b, v98, -v12
	v_sub_f32_e32 v12, v12, v13
	s_delay_alu instid0(VALU_DEP_2) | instskip(SKIP_1) | instid1(VALU_DEP_2)
	v_fmac_f32_e32 v14, 0x32a5705f, v98
	v_cvt_i32_f32_e32 v13, v13
	v_add_f32_e32 v12, v12, v14
	s_delay_alu instid0(VALU_DEP_1) | instskip(SKIP_2) | instid1(VALU_DEP_1)
	v_exp_f32_e32 v12, v12
	s_waitcnt_depctr 0xfff
	v_ldexp_f32 v12, v12, v13
	v_cndmask_b32_e32 v12, 0, v12, vcc_lo
	v_cmp_nlt_f32_e32 vcc_lo, 0x42b17218, v98
	s_delay_alu instid0(VALU_DEP_2) | instskip(NEXT) | instid1(VALU_DEP_1)
	v_cndmask_b32_e32 v14, 0x7f800000, v12, vcc_lo
	v_add_f32_e32 v15, 1.0, v14
	s_delay_alu instid0(VALU_DEP_1) | instskip(NEXT) | instid1(VALU_DEP_1)
	v_cvt_f64_f32_e32 v[12:13], v15
	v_frexp_exp_i32_f64_e32 v12, v[12:13]
	v_frexp_mant_f32_e32 v13, v15
	s_delay_alu instid0(VALU_DEP_1) | instskip(SKIP_1) | instid1(VALU_DEP_1)
	v_cmp_gt_f32_e32 vcc_lo, 0x3f2aaaab, v13
	v_add_f32_e32 v13, -1.0, v15
	v_dual_sub_f32 v98, v13, v15 :: v_dual_sub_f32 v13, v14, v13
	s_delay_alu instid0(VALU_DEP_1) | instskip(NEXT) | instid1(VALU_DEP_1)
	v_add_f32_e32 v98, 1.0, v98
	v_add_f32_e32 v13, v13, v98
	v_subrev_co_ci_u32_e32 v12, vcc_lo, 0, v12, vcc_lo
	s_delay_alu instid0(VALU_DEP_1) | instskip(SKIP_1) | instid1(VALU_DEP_2)
	v_sub_nc_u32_e32 v17, 0, v12
	v_cvt_f32_i32_e32 v12, v12
	v_ldexp_f32 v15, v15, v17
	v_ldexp_f32 v13, v13, v17
	s_delay_alu instid0(VALU_DEP_2) | instskip(SKIP_3) | instid1(VALU_DEP_4)
	v_add_f32_e32 v99, 1.0, v15
	v_add_f32_e32 v17, -1.0, v15
	v_cmp_eq_f32_e32 vcc_lo, 0x7f800000, v14
	v_cmp_gt_f32_e64 s28, 0x33800000, v14
	v_add_f32_e32 v98, -1.0, v99
	s_delay_alu instid0(VALU_DEP_4) | instskip(NEXT) | instid1(VALU_DEP_3)
	v_add_f32_e32 v100, 1.0, v17
	s_or_b32 vcc_lo, s28, vcc_lo
	s_delay_alu instid0(VALU_DEP_2) | instskip(NEXT) | instid1(VALU_DEP_1)
	v_sub_f32_e32 v98, v15, v98
	v_dual_sub_f32 v15, v15, v100 :: v_dual_add_f32 v98, v13, v98
	s_delay_alu instid0(VALU_DEP_1) | instskip(NEXT) | instid1(VALU_DEP_1)
	v_add_f32_e32 v13, v13, v15
	v_dual_add_f32 v101, v17, v13 :: v_dual_add_f32 v100, v99, v98
	s_delay_alu instid0(VALU_DEP_1) | instskip(NEXT) | instid1(VALU_DEP_2)
	v_sub_f32_e32 v17, v17, v101
	v_rcp_f32_e32 v15, v100
	v_sub_f32_e32 v99, v99, v100
	s_delay_alu instid0(VALU_DEP_1) | instskip(SKIP_2) | instid1(VALU_DEP_1)
	v_dual_add_f32 v98, v98, v99 :: v_dual_add_f32 v13, v13, v17
	s_waitcnt_depctr 0xfff
	v_mul_f32_e32 v102, v101, v15
	v_mul_f32_e32 v103, v100, v102
	s_delay_alu instid0(VALU_DEP_1) | instskip(NEXT) | instid1(VALU_DEP_1)
	v_fma_f32 v99, v102, v100, -v103
	v_fmac_f32_e32 v99, v102, v98
	s_delay_alu instid0(VALU_DEP_1) | instskip(NEXT) | instid1(VALU_DEP_1)
	v_add_f32_e32 v104, v103, v99
	v_sub_f32_e32 v105, v101, v104
	s_delay_alu instid0(VALU_DEP_1) | instskip(SKIP_1) | instid1(VALU_DEP_2)
	v_sub_f32_e32 v101, v101, v105
	v_sub_f32_e32 v17, v104, v103
	;; [unrolled: 1-line block ×3, first 2 shown]
	s_delay_alu instid0(VALU_DEP_2) | instskip(NEXT) | instid1(VALU_DEP_2)
	v_sub_f32_e32 v17, v17, v99
	v_add_f32_e32 v13, v13, v101
	s_delay_alu instid0(VALU_DEP_1) | instskip(NEXT) | instid1(VALU_DEP_1)
	v_add_f32_e32 v13, v17, v13
	v_add_f32_e32 v17, v105, v13
	s_delay_alu instid0(VALU_DEP_1) | instskip(NEXT) | instid1(VALU_DEP_1)
	v_mul_f32_e32 v99, v15, v17
	v_dual_sub_f32 v104, v105, v17 :: v_dual_mul_f32 v101, v100, v99
	s_delay_alu instid0(VALU_DEP_1) | instskip(NEXT) | instid1(VALU_DEP_2)
	v_add_f32_e32 v13, v13, v104
	v_fma_f32 v100, v99, v100, -v101
	s_delay_alu instid0(VALU_DEP_1) | instskip(NEXT) | instid1(VALU_DEP_1)
	v_fmac_f32_e32 v100, v99, v98
	v_add_f32_e32 v98, v101, v100
	s_delay_alu instid0(VALU_DEP_1) | instskip(NEXT) | instid1(VALU_DEP_1)
	v_sub_f32_e32 v103, v17, v98
	v_sub_f32_e32 v17, v17, v103
	s_delay_alu instid0(VALU_DEP_1) | instskip(NEXT) | instid1(VALU_DEP_1)
	v_sub_f32_e32 v17, v17, v98
	v_add_f32_e32 v13, v13, v17
	v_add_f32_e32 v17, v102, v99
	v_sub_f32_e32 v101, v98, v101
	s_delay_alu instid0(VALU_DEP_1) | instskip(NEXT) | instid1(VALU_DEP_1)
	v_sub_f32_e32 v98, v101, v100
	v_dual_add_f32 v13, v98, v13 :: v_dual_sub_f32 v98, v17, v102
	s_delay_alu instid0(VALU_DEP_1) | instskip(NEXT) | instid1(VALU_DEP_2)
	v_add_f32_e32 v13, v103, v13
	v_sub_f32_e32 v98, v99, v98
	s_delay_alu instid0(VALU_DEP_2) | instskip(NEXT) | instid1(VALU_DEP_1)
	v_mul_f32_e32 v13, v15, v13
	v_add_f32_e32 v13, v98, v13
	s_delay_alu instid0(VALU_DEP_1) | instskip(NEXT) | instid1(VALU_DEP_1)
	v_add_f32_e32 v15, v17, v13
	v_mul_f32_e32 v98, v15, v15
	s_delay_alu instid0(VALU_DEP_1) | instskip(SKIP_1) | instid1(VALU_DEP_2)
	v_fmaak_f32 v99, s83, v98, 0x3ecc95a3
	v_mul_f32_e32 v100, v15, v98
	v_fmaak_f32 v98, v98, v99, 0x3f2aaada
	v_ldexp_f32 v99, v15, 1
	s_delay_alu instid0(VALU_DEP_2) | instskip(NEXT) | instid1(VALU_DEP_1)
	v_dual_sub_f32 v15, v15, v17 :: v_dual_mul_f32 v98, v100, v98
	v_dual_mul_f32 v100, 0x3f317218, v12 :: v_dual_sub_f32 v13, v13, v15
	s_delay_alu instid0(VALU_DEP_2) | instskip(NEXT) | instid1(VALU_DEP_2)
	v_add_f32_e32 v17, v99, v98
	v_ldexp_f32 v13, v13, 1
	s_delay_alu instid0(VALU_DEP_2) | instskip(NEXT) | instid1(VALU_DEP_4)
	v_sub_f32_e32 v15, v17, v99
	v_fma_f32 v99, 0x3f317218, v12, -v100
	s_delay_alu instid0(VALU_DEP_2) | instskip(NEXT) | instid1(VALU_DEP_1)
	v_sub_f32_e32 v15, v98, v15
	v_dual_fmac_f32 v99, 0xb102e308, v12 :: v_dual_add_f32 v12, v13, v15
	s_delay_alu instid0(VALU_DEP_1) | instskip(NEXT) | instid1(VALU_DEP_2)
	v_add_f32_e32 v13, v100, v99
	v_add_f32_e32 v15, v17, v12
	s_delay_alu instid0(VALU_DEP_2) | instskip(NEXT) | instid1(VALU_DEP_2)
	v_sub_f32_e32 v100, v13, v100
	v_dual_add_f32 v98, v13, v15 :: v_dual_sub_f32 v17, v15, v17
	s_delay_alu instid0(VALU_DEP_2) | instskip(NEXT) | instid1(VALU_DEP_2)
	v_sub_f32_e32 v99, v99, v100
	v_sub_f32_e32 v101, v98, v13
	s_delay_alu instid0(VALU_DEP_3) | instskip(NEXT) | instid1(VALU_DEP_2)
	v_sub_f32_e32 v12, v12, v17
	v_sub_f32_e32 v102, v98, v101
	v_sub_f32_e32 v15, v15, v101
	s_delay_alu instid0(VALU_DEP_3) | instskip(NEXT) | instid1(VALU_DEP_3)
	v_add_f32_e32 v17, v99, v12
	v_sub_f32_e32 v13, v13, v102
	s_delay_alu instid0(VALU_DEP_1) | instskip(NEXT) | instid1(VALU_DEP_3)
	v_add_f32_e32 v13, v15, v13
	v_sub_f32_e32 v15, v17, v99
	s_delay_alu instid0(VALU_DEP_2) | instskip(NEXT) | instid1(VALU_DEP_2)
	v_add_f32_e32 v13, v17, v13
	v_sub_f32_e32 v17, v17, v15
	v_sub_f32_e32 v12, v12, v15
	s_delay_alu instid0(VALU_DEP_3) | instskip(NEXT) | instid1(VALU_DEP_3)
	v_add_f32_e32 v100, v98, v13
	v_sub_f32_e32 v17, v99, v17
	s_delay_alu instid0(VALU_DEP_2) | instskip(NEXT) | instid1(VALU_DEP_1)
	v_sub_f32_e32 v15, v100, v98
	v_dual_add_f32 v12, v12, v17 :: v_dual_sub_f32 v13, v13, v15
	s_delay_alu instid0(VALU_DEP_1) | instskip(NEXT) | instid1(VALU_DEP_1)
	v_add_f32_e32 v12, v12, v13
	v_add_f32_e32 v12, v100, v12
	s_delay_alu instid0(VALU_DEP_1)
	v_cndmask_b32_e32 v98, v12, v14, vcc_lo
.LBB87_92:                              ;   in Loop: Header=BB87_12 Depth=1
	s_or_b32 exec_lo, exec_lo, s29
	v_lshrrev_b32_e32 v8, 16, v8
	s_delay_alu instid0(VALU_DEP_1) | instskip(NEXT) | instid1(VALU_DEP_1)
	v_cvt_f32_f16_e32 v8, v8
	v_add_f32_e32 v99, s68, v8
	s_delay_alu instid0(VALU_DEP_1) | instskip(SKIP_1) | instid1(SALU_CYCLE_1)
	v_cmp_ge_f32_e32 vcc_lo, 0x41a00000, v99
	s_and_b32 s28, s79, vcc_lo
	s_and_saveexec_b32 s29, s28
	s_cbranch_execz .LBB87_94
; %bb.93:                               ;   in Loop: Header=BB87_12 Depth=1
	v_mul_f32_e32 v8, 0x3fb8aa3b, v99
	v_cmp_ngt_f32_e32 vcc_lo, 0xc2ce8ed0, v99
	s_delay_alu instid0(VALU_DEP_2) | instskip(SKIP_1) | instid1(VALU_DEP_1)
	v_rndne_f32_e32 v12, v8
	v_fma_f32 v13, 0x3fb8aa3b, v99, -v8
	v_dual_sub_f32 v8, v8, v12 :: v_dual_fmac_f32 v13, 0x32a5705f, v99
	v_cvt_i32_f32_e32 v12, v12
	s_delay_alu instid0(VALU_DEP_2) | instskip(NEXT) | instid1(VALU_DEP_1)
	v_add_f32_e32 v8, v8, v13
	v_exp_f32_e32 v8, v8
	s_waitcnt_depctr 0xfff
	v_ldexp_f32 v8, v8, v12
	s_delay_alu instid0(VALU_DEP_1) | instskip(SKIP_1) | instid1(VALU_DEP_2)
	v_cndmask_b32_e32 v8, 0, v8, vcc_lo
	v_cmp_nlt_f32_e32 vcc_lo, 0x42b17218, v99
	v_cndmask_b32_e32 v8, 0x7f800000, v8, vcc_lo
	s_delay_alu instid0(VALU_DEP_1) | instskip(NEXT) | instid1(VALU_DEP_1)
	v_add_f32_e32 v14, 1.0, v8
	v_cvt_f64_f32_e32 v[12:13], v14
	s_delay_alu instid0(VALU_DEP_1) | instskip(SKIP_1) | instid1(VALU_DEP_1)
	v_frexp_exp_i32_f64_e32 v12, v[12:13]
	v_frexp_mant_f32_e32 v13, v14
	v_cmp_gt_f32_e32 vcc_lo, 0x3f2aaaab, v13
	v_add_f32_e32 v13, -1.0, v14
	s_delay_alu instid0(VALU_DEP_1) | instskip(NEXT) | instid1(VALU_DEP_1)
	v_sub_f32_e32 v17, v13, v14
	v_add_f32_e32 v17, 1.0, v17
	v_subrev_co_ci_u32_e32 v12, vcc_lo, 0, v12, vcc_lo
	s_delay_alu instid0(VALU_DEP_1) | instskip(SKIP_1) | instid1(VALU_DEP_2)
	v_sub_nc_u32_e32 v15, 0, v12
	v_cvt_f32_i32_e32 v12, v12
	v_ldexp_f32 v14, v14, v15
	s_delay_alu instid0(VALU_DEP_1) | instskip(SKIP_3) | instid1(VALU_DEP_3)
	v_add_f32_e32 v99, 1.0, v14
	v_sub_f32_e32 v13, v8, v13
	v_cmp_eq_f32_e32 vcc_lo, 0x7f800000, v8
	v_cmp_gt_f32_e64 s28, 0x33800000, v8
	v_add_f32_e32 v13, v13, v17
	s_delay_alu instid0(VALU_DEP_2) | instskip(NEXT) | instid1(VALU_DEP_1)
	s_or_b32 vcc_lo, s28, vcc_lo
	v_ldexp_f32 v13, v13, v15
	v_add_f32_e32 v15, -1.0, v14
	s_delay_alu instid0(VALU_DEP_1) | instskip(SKIP_1) | instid1(VALU_DEP_1)
	v_add_f32_e32 v100, 1.0, v15
	v_add_f32_e32 v17, -1.0, v99
	v_sub_f32_e32 v17, v14, v17
	s_delay_alu instid0(VALU_DEP_1) | instskip(NEXT) | instid1(VALU_DEP_1)
	v_dual_sub_f32 v14, v14, v100 :: v_dual_add_f32 v17, v13, v17
	v_add_f32_e32 v100, v99, v17
	s_delay_alu instid0(VALU_DEP_1) | instskip(NEXT) | instid1(VALU_DEP_1)
	v_sub_f32_e32 v99, v99, v100
	v_add_f32_e32 v17, v17, v99
	s_delay_alu instid0(VALU_DEP_4) | instskip(SKIP_1) | instid1(VALU_DEP_1)
	v_add_f32_e32 v13, v13, v14
	v_rcp_f32_e32 v14, v100
	v_add_f32_e32 v101, v15, v13
	s_waitcnt_depctr 0xfff
	v_dual_sub_f32 v15, v15, v101 :: v_dual_mul_f32 v102, v101, v14
	s_delay_alu instid0(VALU_DEP_1) | instskip(NEXT) | instid1(VALU_DEP_2)
	v_add_f32_e32 v13, v13, v15
	v_mul_f32_e32 v103, v100, v102
	s_delay_alu instid0(VALU_DEP_1) | instskip(NEXT) | instid1(VALU_DEP_1)
	v_fma_f32 v99, v102, v100, -v103
	v_fmac_f32_e32 v99, v102, v17
	s_delay_alu instid0(VALU_DEP_1) | instskip(NEXT) | instid1(VALU_DEP_1)
	v_add_f32_e32 v104, v103, v99
	v_sub_f32_e32 v105, v101, v104
	v_sub_f32_e32 v15, v104, v103
	s_delay_alu instid0(VALU_DEP_2) | instskip(NEXT) | instid1(VALU_DEP_2)
	v_sub_f32_e32 v101, v101, v105
	v_sub_f32_e32 v15, v15, v99
	s_delay_alu instid0(VALU_DEP_2) | instskip(NEXT) | instid1(VALU_DEP_1)
	v_sub_f32_e32 v101, v101, v104
	v_add_f32_e32 v13, v13, v101
	s_delay_alu instid0(VALU_DEP_1) | instskip(NEXT) | instid1(VALU_DEP_1)
	v_add_f32_e32 v13, v15, v13
	v_add_f32_e32 v15, v105, v13
	s_delay_alu instid0(VALU_DEP_1) | instskip(SKIP_1) | instid1(VALU_DEP_2)
	v_mul_f32_e32 v99, v14, v15
	v_sub_f32_e32 v104, v105, v15
	v_mul_f32_e32 v101, v100, v99
	s_delay_alu instid0(VALU_DEP_2) | instskip(NEXT) | instid1(VALU_DEP_2)
	v_add_f32_e32 v13, v13, v104
	v_fma_f32 v100, v99, v100, -v101
	s_delay_alu instid0(VALU_DEP_1) | instskip(NEXT) | instid1(VALU_DEP_1)
	v_fmac_f32_e32 v100, v99, v17
	v_add_f32_e32 v17, v101, v100
	s_delay_alu instid0(VALU_DEP_1) | instskip(SKIP_1) | instid1(VALU_DEP_2)
	v_sub_f32_e32 v103, v15, v17
	v_sub_f32_e32 v101, v17, v101
	;; [unrolled: 1-line block ×3, first 2 shown]
	s_delay_alu instid0(VALU_DEP_1) | instskip(NEXT) | instid1(VALU_DEP_3)
	v_sub_f32_e32 v15, v15, v17
	v_sub_f32_e32 v17, v101, v100
	s_delay_alu instid0(VALU_DEP_2) | instskip(SKIP_1) | instid1(VALU_DEP_2)
	v_add_f32_e32 v13, v13, v15
	v_add_f32_e32 v15, v102, v99
	v_add_f32_e32 v13, v17, v13
	s_delay_alu instid0(VALU_DEP_2) | instskip(NEXT) | instid1(VALU_DEP_2)
	v_sub_f32_e32 v17, v15, v102
	v_add_f32_e32 v13, v103, v13
	s_delay_alu instid0(VALU_DEP_2) | instskip(NEXT) | instid1(VALU_DEP_2)
	v_sub_f32_e32 v17, v99, v17
	v_mul_f32_e32 v13, v14, v13
	s_delay_alu instid0(VALU_DEP_1) | instskip(NEXT) | instid1(VALU_DEP_1)
	v_add_f32_e32 v13, v17, v13
	v_add_f32_e32 v14, v15, v13
	s_delay_alu instid0(VALU_DEP_1) | instskip(NEXT) | instid1(VALU_DEP_1)
	v_mul_f32_e32 v17, v14, v14
	v_fmaak_f32 v99, s83, v17, 0x3ecc95a3
	s_delay_alu instid0(VALU_DEP_1) | instskip(SKIP_1) | instid1(VALU_DEP_2)
	v_dual_mul_f32 v100, v14, v17 :: v_dual_fmaak_f32 v17, v17, v99, 0x3f2aaada
	v_ldexp_f32 v99, v14, 1
	v_dual_sub_f32 v14, v14, v15 :: v_dual_mul_f32 v17, v100, v17
	s_delay_alu instid0(VALU_DEP_1) | instskip(NEXT) | instid1(VALU_DEP_2)
	v_dual_mul_f32 v100, 0x3f317218, v12 :: v_dual_sub_f32 v13, v13, v14
	v_add_f32_e32 v15, v99, v17
	s_delay_alu instid0(VALU_DEP_2) | instskip(NEXT) | instid1(VALU_DEP_2)
	v_ldexp_f32 v13, v13, 1
	v_sub_f32_e32 v14, v15, v99
	s_delay_alu instid0(VALU_DEP_4) | instskip(NEXT) | instid1(VALU_DEP_1)
	v_fma_f32 v99, 0x3f317218, v12, -v100
	v_dual_sub_f32 v14, v17, v14 :: v_dual_fmac_f32 v99, 0xb102e308, v12
	s_delay_alu instid0(VALU_DEP_1) | instskip(NEXT) | instid1(VALU_DEP_1)
	v_dual_add_f32 v12, v13, v14 :: v_dual_add_f32 v13, v100, v99
	v_add_f32_e32 v14, v15, v12
	s_delay_alu instid0(VALU_DEP_2) | instskip(NEXT) | instid1(VALU_DEP_2)
	v_sub_f32_e32 v100, v13, v100
	v_add_f32_e32 v17, v13, v14
	v_sub_f32_e32 v15, v14, v15
	s_delay_alu instid0(VALU_DEP_3) | instskip(NEXT) | instid1(VALU_DEP_2)
	v_sub_f32_e32 v99, v99, v100
	v_dual_sub_f32 v101, v17, v13 :: v_dual_sub_f32 v12, v12, v15
	s_delay_alu instid0(VALU_DEP_1) | instskip(NEXT) | instid1(VALU_DEP_2)
	v_sub_f32_e32 v102, v17, v101
	v_dual_sub_f32 v14, v14, v101 :: v_dual_add_f32 v15, v99, v12
	s_delay_alu instid0(VALU_DEP_2) | instskip(NEXT) | instid1(VALU_DEP_1)
	v_sub_f32_e32 v13, v13, v102
	v_dual_add_f32 v13, v14, v13 :: v_dual_sub_f32 v14, v15, v99
	s_delay_alu instid0(VALU_DEP_1) | instskip(NEXT) | instid1(VALU_DEP_2)
	v_add_f32_e32 v13, v15, v13
	v_sub_f32_e32 v15, v15, v14
	v_sub_f32_e32 v12, v12, v14
	s_delay_alu instid0(VALU_DEP_2) | instskip(NEXT) | instid1(VALU_DEP_1)
	v_dual_add_f32 v100, v17, v13 :: v_dual_sub_f32 v15, v99, v15
	v_sub_f32_e32 v14, v100, v17
	s_delay_alu instid0(VALU_DEP_1) | instskip(NEXT) | instid1(VALU_DEP_1)
	v_dual_add_f32 v12, v12, v15 :: v_dual_sub_f32 v13, v13, v14
	v_add_f32_e32 v12, v12, v13
	s_delay_alu instid0(VALU_DEP_1) | instskip(NEXT) | instid1(VALU_DEP_1)
	v_add_f32_e32 v12, v100, v12
	v_cndmask_b32_e32 v99, v12, v8, vcc_lo
.LBB87_94:                              ;   in Loop: Header=BB87_12 Depth=1
	s_or_b32 exec_lo, exec_lo, s29
	v_cvt_f32_f16_e32 v8, v9
	s_delay_alu instid0(VALU_DEP_1) | instskip(NEXT) | instid1(VALU_DEP_1)
	v_add_f32_e32 v100, s68, v8
	v_cmp_ge_f32_e32 vcc_lo, 0x41a00000, v100
	s_and_b32 s28, s79, vcc_lo
	s_delay_alu instid0(SALU_CYCLE_1)
	s_and_saveexec_b32 s29, s28
	s_cbranch_execz .LBB87_96
; %bb.95:                               ;   in Loop: Header=BB87_12 Depth=1
	v_mul_f32_e32 v8, 0x3fb8aa3b, v100
	v_cmp_ngt_f32_e32 vcc_lo, 0xc2ce8ed0, v100
	s_delay_alu instid0(VALU_DEP_2) | instskip(SKIP_1) | instid1(VALU_DEP_2)
	v_rndne_f32_e32 v12, v8
	v_fma_f32 v13, 0x3fb8aa3b, v100, -v8
	v_sub_f32_e32 v8, v8, v12
	s_delay_alu instid0(VALU_DEP_2) | instskip(SKIP_1) | instid1(VALU_DEP_2)
	v_fmac_f32_e32 v13, 0x32a5705f, v100
	v_cvt_i32_f32_e32 v12, v12
	v_add_f32_e32 v8, v8, v13
	s_delay_alu instid0(VALU_DEP_1) | instskip(SKIP_2) | instid1(VALU_DEP_1)
	v_exp_f32_e32 v8, v8
	s_waitcnt_depctr 0xfff
	v_ldexp_f32 v8, v8, v12
	v_cndmask_b32_e32 v8, 0, v8, vcc_lo
	v_cmp_nlt_f32_e32 vcc_lo, 0x42b17218, v100
	s_delay_alu instid0(VALU_DEP_2) | instskip(NEXT) | instid1(VALU_DEP_1)
	v_cndmask_b32_e32 v8, 0x7f800000, v8, vcc_lo
	v_add_f32_e32 v14, 1.0, v8
	s_delay_alu instid0(VALU_DEP_1) | instskip(NEXT) | instid1(VALU_DEP_1)
	v_cvt_f64_f32_e32 v[12:13], v14
	v_frexp_exp_i32_f64_e32 v12, v[12:13]
	v_frexp_mant_f32_e32 v13, v14
	s_delay_alu instid0(VALU_DEP_1) | instskip(SKIP_1) | instid1(VALU_DEP_1)
	v_cmp_gt_f32_e32 vcc_lo, 0x3f2aaaab, v13
	v_add_f32_e32 v13, -1.0, v14
	v_sub_f32_e32 v17, v13, v14
	v_sub_f32_e32 v13, v8, v13
	s_delay_alu instid0(VALU_DEP_2) | instskip(NEXT) | instid1(VALU_DEP_1)
	v_add_f32_e32 v17, 1.0, v17
	v_add_f32_e32 v13, v13, v17
	v_cmp_gt_f32_e64 s28, 0x33800000, v8
	v_subrev_co_ci_u32_e32 v12, vcc_lo, 0, v12, vcc_lo
	v_cmp_eq_f32_e32 vcc_lo, 0x7f800000, v8
	s_delay_alu instid0(VALU_DEP_2) | instskip(SKIP_2) | instid1(VALU_DEP_2)
	v_sub_nc_u32_e32 v15, 0, v12
	v_cvt_f32_i32_e32 v12, v12
	s_or_b32 vcc_lo, s28, vcc_lo
	v_ldexp_f32 v14, v14, v15
	v_ldexp_f32 v13, v13, v15
	s_delay_alu instid0(VALU_DEP_2) | instskip(SKIP_1) | instid1(VALU_DEP_2)
	v_add_f32_e32 v100, 1.0, v14
	v_add_f32_e32 v15, -1.0, v14
	v_add_f32_e32 v17, -1.0, v100
	s_delay_alu instid0(VALU_DEP_2) | instskip(NEXT) | instid1(VALU_DEP_2)
	v_add_f32_e32 v101, 1.0, v15
	v_sub_f32_e32 v17, v14, v17
	s_delay_alu instid0(VALU_DEP_2) | instskip(NEXT) | instid1(VALU_DEP_2)
	v_sub_f32_e32 v14, v14, v101
	v_add_f32_e32 v17, v13, v17
	s_delay_alu instid0(VALU_DEP_1) | instskip(NEXT) | instid1(VALU_DEP_1)
	v_add_f32_e32 v101, v100, v17
	v_dual_add_f32 v13, v13, v14 :: v_dual_sub_f32 v100, v100, v101
	v_rcp_f32_e32 v14, v101
	s_delay_alu instid0(VALU_DEP_1) | instskip(NEXT) | instid1(VALU_DEP_1)
	v_dual_add_f32 v102, v15, v13 :: v_dual_add_f32 v17, v17, v100
	v_sub_f32_e32 v15, v15, v102
	s_waitcnt_depctr 0xfff
	v_mul_f32_e32 v103, v102, v14
	v_add_f32_e32 v13, v13, v15
	s_delay_alu instid0(VALU_DEP_2) | instskip(NEXT) | instid1(VALU_DEP_1)
	v_mul_f32_e32 v104, v101, v103
	v_fma_f32 v100, v103, v101, -v104
	s_delay_alu instid0(VALU_DEP_1) | instskip(NEXT) | instid1(VALU_DEP_1)
	v_fmac_f32_e32 v100, v103, v17
	v_add_f32_e32 v105, v104, v100
	s_delay_alu instid0(VALU_DEP_1) | instskip(NEXT) | instid1(VALU_DEP_1)
	v_dual_sub_f32 v106, v102, v105 :: v_dual_sub_f32 v15, v105, v104
	v_dual_sub_f32 v102, v102, v106 :: v_dual_sub_f32 v15, v15, v100
	s_delay_alu instid0(VALU_DEP_1) | instskip(NEXT) | instid1(VALU_DEP_1)
	v_sub_f32_e32 v102, v102, v105
	v_add_f32_e32 v13, v13, v102
	s_delay_alu instid0(VALU_DEP_1) | instskip(NEXT) | instid1(VALU_DEP_1)
	v_add_f32_e32 v13, v15, v13
	v_add_f32_e32 v15, v106, v13
	s_delay_alu instid0(VALU_DEP_1) | instskip(NEXT) | instid1(VALU_DEP_1)
	v_mul_f32_e32 v100, v14, v15
	v_dual_sub_f32 v105, v106, v15 :: v_dual_mul_f32 v102, v101, v100
	s_delay_alu instid0(VALU_DEP_1) | instskip(NEXT) | instid1(VALU_DEP_2)
	v_add_f32_e32 v13, v13, v105
	v_fma_f32 v101, v100, v101, -v102
	s_delay_alu instid0(VALU_DEP_1) | instskip(NEXT) | instid1(VALU_DEP_1)
	v_fmac_f32_e32 v101, v100, v17
	v_add_f32_e32 v17, v102, v101
	s_delay_alu instid0(VALU_DEP_1) | instskip(NEXT) | instid1(VALU_DEP_1)
	v_sub_f32_e32 v104, v15, v17
	v_dual_sub_f32 v102, v17, v102 :: v_dual_sub_f32 v15, v15, v104
	s_delay_alu instid0(VALU_DEP_1) | instskip(NEXT) | instid1(VALU_DEP_2)
	v_sub_f32_e32 v15, v15, v17
	v_sub_f32_e32 v17, v102, v101
	s_delay_alu instid0(VALU_DEP_2) | instskip(SKIP_1) | instid1(VALU_DEP_2)
	v_add_f32_e32 v13, v13, v15
	v_add_f32_e32 v15, v103, v100
	;; [unrolled: 1-line block ×3, first 2 shown]
	s_delay_alu instid0(VALU_DEP_2) | instskip(NEXT) | instid1(VALU_DEP_2)
	v_sub_f32_e32 v17, v15, v103
	v_add_f32_e32 v13, v104, v13
	s_delay_alu instid0(VALU_DEP_2) | instskip(NEXT) | instid1(VALU_DEP_2)
	v_sub_f32_e32 v17, v100, v17
	v_mul_f32_e32 v13, v14, v13
	s_delay_alu instid0(VALU_DEP_1) | instskip(NEXT) | instid1(VALU_DEP_1)
	v_add_f32_e32 v13, v17, v13
	v_add_f32_e32 v14, v15, v13
	s_delay_alu instid0(VALU_DEP_1) | instskip(NEXT) | instid1(VALU_DEP_1)
	v_mul_f32_e32 v17, v14, v14
	v_fmaak_f32 v100, s83, v17, 0x3ecc95a3
	v_mul_f32_e32 v101, v14, v17
	s_delay_alu instid0(VALU_DEP_2) | instskip(SKIP_1) | instid1(VALU_DEP_2)
	v_fmaak_f32 v17, v17, v100, 0x3f2aaada
	v_ldexp_f32 v100, v14, 1
	v_dual_sub_f32 v14, v14, v15 :: v_dual_mul_f32 v17, v101, v17
	v_mul_f32_e32 v101, 0x3f317218, v12
	s_delay_alu instid0(VALU_DEP_2) | instskip(NEXT) | instid1(VALU_DEP_3)
	v_sub_f32_e32 v13, v13, v14
	v_add_f32_e32 v15, v100, v17
	s_delay_alu instid0(VALU_DEP_2) | instskip(NEXT) | instid1(VALU_DEP_2)
	v_ldexp_f32 v13, v13, 1
	v_sub_f32_e32 v14, v15, v100
	v_fma_f32 v100, 0x3f317218, v12, -v101
	s_delay_alu instid0(VALU_DEP_2) | instskip(NEXT) | instid1(VALU_DEP_2)
	v_sub_f32_e32 v14, v17, v14
	v_fmac_f32_e32 v100, 0xb102e308, v12
	s_delay_alu instid0(VALU_DEP_2) | instskip(NEXT) | instid1(VALU_DEP_2)
	v_add_f32_e32 v12, v13, v14
	v_add_f32_e32 v13, v101, v100
	s_delay_alu instid0(VALU_DEP_1) | instskip(NEXT) | instid1(VALU_DEP_1)
	v_dual_add_f32 v14, v15, v12 :: v_dual_sub_f32 v101, v13, v101
	v_add_f32_e32 v17, v13, v14
	s_delay_alu instid0(VALU_DEP_2) | instskip(NEXT) | instid1(VALU_DEP_2)
	v_dual_sub_f32 v15, v14, v15 :: v_dual_sub_f32 v100, v100, v101
	v_sub_f32_e32 v102, v17, v13
	s_delay_alu instid0(VALU_DEP_1) | instskip(NEXT) | instid1(VALU_DEP_1)
	v_dual_sub_f32 v12, v12, v15 :: v_dual_sub_f32 v103, v17, v102
	v_dual_sub_f32 v14, v14, v102 :: v_dual_add_f32 v15, v100, v12
	s_delay_alu instid0(VALU_DEP_2) | instskip(NEXT) | instid1(VALU_DEP_1)
	v_sub_f32_e32 v13, v13, v103
	v_dual_add_f32 v13, v14, v13 :: v_dual_sub_f32 v14, v15, v100
	s_delay_alu instid0(VALU_DEP_1) | instskip(NEXT) | instid1(VALU_DEP_2)
	v_add_f32_e32 v13, v15, v13
	v_sub_f32_e32 v15, v15, v14
	s_delay_alu instid0(VALU_DEP_2) | instskip(NEXT) | instid1(VALU_DEP_1)
	v_dual_sub_f32 v12, v12, v14 :: v_dual_add_f32 v101, v17, v13
	v_dual_sub_f32 v15, v100, v15 :: v_dual_sub_f32 v14, v101, v17
	s_delay_alu instid0(VALU_DEP_1) | instskip(NEXT) | instid1(VALU_DEP_1)
	v_dual_add_f32 v12, v12, v15 :: v_dual_sub_f32 v13, v13, v14
	v_add_f32_e32 v12, v12, v13
	s_delay_alu instid0(VALU_DEP_1) | instskip(NEXT) | instid1(VALU_DEP_1)
	v_add_f32_e32 v12, v101, v12
	v_cndmask_b32_e32 v100, v12, v8, vcc_lo
.LBB87_96:                              ;   in Loop: Header=BB87_12 Depth=1
	s_or_b32 exec_lo, exec_lo, s29
	v_lshrrev_b32_e32 v8, 16, v9
	s_delay_alu instid0(VALU_DEP_1) | instskip(NEXT) | instid1(VALU_DEP_1)
	v_cvt_f32_f16_e32 v8, v8
	v_add_f32_e32 v101, s68, v8
	s_delay_alu instid0(VALU_DEP_1) | instskip(SKIP_1) | instid1(SALU_CYCLE_1)
	v_cmp_ge_f32_e32 vcc_lo, 0x41a00000, v101
	s_and_b32 s28, s79, vcc_lo
	s_and_saveexec_b32 s29, s28
	s_cbranch_execz .LBB87_98
; %bb.97:                               ;   in Loop: Header=BB87_12 Depth=1
	v_mul_f32_e32 v8, 0x3fb8aa3b, v101
	v_cmp_ngt_f32_e32 vcc_lo, 0xc2ce8ed0, v101
	s_delay_alu instid0(VALU_DEP_2) | instskip(SKIP_1) | instid1(VALU_DEP_2)
	v_rndne_f32_e32 v9, v8
	v_fma_f32 v12, 0x3fb8aa3b, v101, -v8
	v_sub_f32_e32 v8, v8, v9
	s_delay_alu instid0(VALU_DEP_2) | instskip(SKIP_1) | instid1(VALU_DEP_2)
	v_fmac_f32_e32 v12, 0x32a5705f, v101
	v_cvt_i32_f32_e32 v9, v9
	v_add_f32_e32 v8, v8, v12
	s_delay_alu instid0(VALU_DEP_1) | instskip(SKIP_2) | instid1(VALU_DEP_1)
	v_exp_f32_e32 v8, v8
	s_waitcnt_depctr 0xfff
	v_ldexp_f32 v8, v8, v9
	v_cndmask_b32_e32 v8, 0, v8, vcc_lo
	v_cmp_nlt_f32_e32 vcc_lo, 0x42b17218, v101
	s_delay_alu instid0(VALU_DEP_2) | instskip(NEXT) | instid1(VALU_DEP_1)
	v_cndmask_b32_e32 v12, 0x7f800000, v8, vcc_lo
	v_add_f32_e32 v13, 1.0, v12
	s_delay_alu instid0(VALU_DEP_1) | instskip(NEXT) | instid1(VALU_DEP_1)
	v_cvt_f64_f32_e32 v[8:9], v13
	v_frexp_exp_i32_f64_e32 v8, v[8:9]
	v_frexp_mant_f32_e32 v9, v13
	s_delay_alu instid0(VALU_DEP_1) | instskip(SKIP_1) | instid1(VALU_DEP_1)
	v_cmp_gt_f32_e32 vcc_lo, 0x3f2aaaab, v9
	v_add_f32_e32 v9, -1.0, v13
	v_sub_f32_e32 v15, v9, v13
	s_delay_alu instid0(VALU_DEP_1) | instskip(SKIP_1) | instid1(VALU_DEP_1)
	v_add_f32_e32 v15, 1.0, v15
	v_subrev_co_ci_u32_e32 v8, vcc_lo, 0, v8, vcc_lo
	v_sub_nc_u32_e32 v14, 0, v8
	v_cvt_f32_i32_e32 v8, v8
	s_delay_alu instid0(VALU_DEP_2) | instskip(NEXT) | instid1(VALU_DEP_1)
	v_ldexp_f32 v13, v13, v14
	v_add_f32_e32 v17, 1.0, v13
	v_sub_f32_e32 v9, v12, v9
	v_cmp_eq_f32_e32 vcc_lo, 0x7f800000, v12
	v_cmp_gt_f32_e64 s28, 0x33800000, v12
	s_delay_alu instid0(VALU_DEP_3) | instskip(NEXT) | instid1(VALU_DEP_2)
	v_add_f32_e32 v9, v9, v15
	s_or_b32 vcc_lo, s28, vcc_lo
	s_delay_alu instid0(VALU_DEP_1) | instskip(SKIP_2) | instid1(VALU_DEP_1)
	v_ldexp_f32 v9, v9, v14
	v_add_f32_e32 v14, -1.0, v13
	v_add_f32_e32 v15, -1.0, v17
	v_sub_f32_e32 v15, v13, v15
	s_delay_alu instid0(VALU_DEP_3) | instskip(NEXT) | instid1(VALU_DEP_2)
	v_add_f32_e32 v101, 1.0, v14
	v_add_f32_e32 v15, v9, v15
	s_delay_alu instid0(VALU_DEP_2) | instskip(NEXT) | instid1(VALU_DEP_2)
	v_sub_f32_e32 v13, v13, v101
	v_add_f32_e32 v101, v17, v15
	s_delay_alu instid0(VALU_DEP_2) | instskip(NEXT) | instid1(VALU_DEP_2)
	v_add_f32_e32 v9, v9, v13
	v_rcp_f32_e32 v13, v101
	s_delay_alu instid0(VALU_DEP_1) | instskip(NEXT) | instid1(VALU_DEP_1)
	v_add_f32_e32 v102, v14, v9
	v_dual_sub_f32 v17, v17, v101 :: v_dual_sub_f32 v14, v14, v102
	s_delay_alu instid0(VALU_DEP_1) | instskip(SKIP_2) | instid1(VALU_DEP_1)
	v_add_f32_e32 v15, v15, v17
	s_waitcnt_depctr 0xfff
	v_mul_f32_e32 v103, v102, v13
	v_mul_f32_e32 v104, v101, v103
	s_delay_alu instid0(VALU_DEP_1) | instskip(NEXT) | instid1(VALU_DEP_1)
	v_fma_f32 v17, v103, v101, -v104
	v_fmac_f32_e32 v17, v103, v15
	v_add_f32_e32 v9, v9, v14
	s_delay_alu instid0(VALU_DEP_2) | instskip(NEXT) | instid1(VALU_DEP_1)
	v_add_f32_e32 v105, v104, v17
	v_sub_f32_e32 v106, v102, v105
	v_sub_f32_e32 v14, v105, v104
	s_delay_alu instid0(VALU_DEP_2) | instskip(NEXT) | instid1(VALU_DEP_2)
	v_sub_f32_e32 v102, v102, v106
	v_sub_f32_e32 v14, v14, v17
	s_delay_alu instid0(VALU_DEP_2) | instskip(NEXT) | instid1(VALU_DEP_1)
	v_sub_f32_e32 v102, v102, v105
	v_add_f32_e32 v9, v9, v102
	s_delay_alu instid0(VALU_DEP_1) | instskip(NEXT) | instid1(VALU_DEP_1)
	v_add_f32_e32 v9, v14, v9
	v_add_f32_e32 v14, v106, v9
	s_delay_alu instid0(VALU_DEP_1) | instskip(NEXT) | instid1(VALU_DEP_1)
	v_mul_f32_e32 v17, v13, v14
	v_dual_sub_f32 v105, v106, v14 :: v_dual_mul_f32 v102, v101, v17
	s_delay_alu instid0(VALU_DEP_1) | instskip(NEXT) | instid1(VALU_DEP_2)
	v_add_f32_e32 v9, v9, v105
	v_fma_f32 v101, v17, v101, -v102
	s_delay_alu instid0(VALU_DEP_1) | instskip(NEXT) | instid1(VALU_DEP_1)
	v_fmac_f32_e32 v101, v17, v15
	v_add_f32_e32 v15, v102, v101
	s_delay_alu instid0(VALU_DEP_1) | instskip(SKIP_1) | instid1(VALU_DEP_2)
	v_sub_f32_e32 v104, v14, v15
	v_sub_f32_e32 v102, v15, v102
	;; [unrolled: 1-line block ×3, first 2 shown]
	s_delay_alu instid0(VALU_DEP_1) | instskip(NEXT) | instid1(VALU_DEP_1)
	v_sub_f32_e32 v14, v14, v15
	v_dual_add_f32 v9, v9, v14 :: v_dual_add_f32 v14, v103, v17
	s_delay_alu instid0(VALU_DEP_4) | instskip(NEXT) | instid1(VALU_DEP_1)
	v_sub_f32_e32 v15, v102, v101
	v_add_f32_e32 v9, v15, v9
	s_delay_alu instid0(VALU_DEP_3) | instskip(NEXT) | instid1(VALU_DEP_2)
	v_sub_f32_e32 v15, v14, v103
	v_add_f32_e32 v9, v104, v9
	s_delay_alu instid0(VALU_DEP_2) | instskip(NEXT) | instid1(VALU_DEP_2)
	v_sub_f32_e32 v15, v17, v15
	v_mul_f32_e32 v9, v13, v9
	s_delay_alu instid0(VALU_DEP_1) | instskip(NEXT) | instid1(VALU_DEP_1)
	v_add_f32_e32 v9, v15, v9
	v_add_f32_e32 v13, v14, v9
	s_delay_alu instid0(VALU_DEP_1) | instskip(NEXT) | instid1(VALU_DEP_1)
	v_mul_f32_e32 v15, v13, v13
	v_fmaak_f32 v17, s83, v15, 0x3ecc95a3
	v_mul_f32_e32 v101, v13, v15
	s_delay_alu instid0(VALU_DEP_2) | instskip(SKIP_2) | instid1(VALU_DEP_3)
	v_fmaak_f32 v15, v15, v17, 0x3f2aaada
	v_ldexp_f32 v17, v13, 1
	v_sub_f32_e32 v13, v13, v14
	v_mul_f32_e32 v15, v101, v15
	v_mul_f32_e32 v101, 0x3f317218, v8
	s_delay_alu instid0(VALU_DEP_3) | instskip(NEXT) | instid1(VALU_DEP_3)
	v_sub_f32_e32 v9, v9, v13
	v_add_f32_e32 v14, v17, v15
	s_delay_alu instid0(VALU_DEP_2) | instskip(NEXT) | instid1(VALU_DEP_2)
	v_ldexp_f32 v9, v9, 1
	v_sub_f32_e32 v13, v14, v17
	v_fma_f32 v17, 0x3f317218, v8, -v101
	s_delay_alu instid0(VALU_DEP_2) | instskip(NEXT) | instid1(VALU_DEP_1)
	v_sub_f32_e32 v13, v15, v13
	v_dual_fmac_f32 v17, 0xb102e308, v8 :: v_dual_add_f32 v8, v9, v13
	s_delay_alu instid0(VALU_DEP_1) | instskip(NEXT) | instid1(VALU_DEP_2)
	v_add_f32_e32 v9, v101, v17
	v_add_f32_e32 v13, v14, v8
	s_delay_alu instid0(VALU_DEP_2) | instskip(NEXT) | instid1(VALU_DEP_2)
	v_sub_f32_e32 v101, v9, v101
	v_add_f32_e32 v15, v9, v13
	v_sub_f32_e32 v14, v13, v14
	s_delay_alu instid0(VALU_DEP_3) | instskip(NEXT) | instid1(VALU_DEP_3)
	v_sub_f32_e32 v17, v17, v101
	v_sub_f32_e32 v102, v15, v9
	s_delay_alu instid0(VALU_DEP_3) | instskip(NEXT) | instid1(VALU_DEP_2)
	v_sub_f32_e32 v8, v8, v14
	v_sub_f32_e32 v103, v15, v102
	;; [unrolled: 1-line block ×3, first 2 shown]
	s_delay_alu instid0(VALU_DEP_3) | instskip(NEXT) | instid1(VALU_DEP_3)
	v_add_f32_e32 v14, v17, v8
	v_sub_f32_e32 v9, v9, v103
	s_delay_alu instid0(VALU_DEP_1) | instskip(NEXT) | instid1(VALU_DEP_3)
	v_add_f32_e32 v9, v13, v9
	v_sub_f32_e32 v13, v14, v17
	s_delay_alu instid0(VALU_DEP_2) | instskip(NEXT) | instid1(VALU_DEP_2)
	v_add_f32_e32 v9, v14, v9
	v_sub_f32_e32 v14, v14, v13
	v_sub_f32_e32 v8, v8, v13
	s_delay_alu instid0(VALU_DEP_2) | instskip(NEXT) | instid1(VALU_DEP_1)
	v_dual_add_f32 v101, v15, v9 :: v_dual_sub_f32 v14, v17, v14
	v_dual_sub_f32 v13, v101, v15 :: v_dual_add_f32 v8, v8, v14
	s_delay_alu instid0(VALU_DEP_1) | instskip(NEXT) | instid1(VALU_DEP_1)
	v_sub_f32_e32 v9, v9, v13
	v_add_f32_e32 v8, v8, v9
	s_delay_alu instid0(VALU_DEP_1) | instskip(NEXT) | instid1(VALU_DEP_1)
	v_add_f32_e32 v8, v101, v8
	v_cndmask_b32_e32 v101, v8, v12, vcc_lo
.LBB87_98:                              ;   in Loop: Header=BB87_12 Depth=1
	s_or_b32 exec_lo, exec_lo, s29
	v_cvt_f32_f16_e32 v8, v10
	s_delay_alu instid0(VALU_DEP_1) | instskip(NEXT) | instid1(VALU_DEP_1)
	v_add_f32_e32 v102, s68, v8
	v_cmp_ge_f32_e32 vcc_lo, 0x41a00000, v102
	s_and_b32 s28, s79, vcc_lo
	s_delay_alu instid0(SALU_CYCLE_1)
	s_and_saveexec_b32 s29, s28
	s_cbranch_execz .LBB87_100
; %bb.99:                               ;   in Loop: Header=BB87_12 Depth=1
	v_mul_f32_e32 v8, 0x3fb8aa3b, v102
	v_cmp_ngt_f32_e32 vcc_lo, 0xc2ce8ed0, v102
	s_delay_alu instid0(VALU_DEP_2) | instskip(SKIP_1) | instid1(VALU_DEP_2)
	v_rndne_f32_e32 v9, v8
	v_fma_f32 v12, 0x3fb8aa3b, v102, -v8
	v_sub_f32_e32 v8, v8, v9
	s_delay_alu instid0(VALU_DEP_2) | instskip(SKIP_1) | instid1(VALU_DEP_2)
	v_fmac_f32_e32 v12, 0x32a5705f, v102
	v_cvt_i32_f32_e32 v9, v9
	v_add_f32_e32 v8, v8, v12
	s_delay_alu instid0(VALU_DEP_1) | instskip(SKIP_2) | instid1(VALU_DEP_1)
	v_exp_f32_e32 v8, v8
	s_waitcnt_depctr 0xfff
	v_ldexp_f32 v8, v8, v9
	v_cndmask_b32_e32 v8, 0, v8, vcc_lo
	v_cmp_nlt_f32_e32 vcc_lo, 0x42b17218, v102
	s_delay_alu instid0(VALU_DEP_2) | instskip(NEXT) | instid1(VALU_DEP_1)
	v_cndmask_b32_e32 v12, 0x7f800000, v8, vcc_lo
	v_add_f32_e32 v13, 1.0, v12
	s_delay_alu instid0(VALU_DEP_1) | instskip(NEXT) | instid1(VALU_DEP_1)
	v_cvt_f64_f32_e32 v[8:9], v13
	v_frexp_exp_i32_f64_e32 v8, v[8:9]
	v_frexp_mant_f32_e32 v9, v13
	s_delay_alu instid0(VALU_DEP_1) | instskip(SKIP_1) | instid1(VALU_DEP_1)
	v_cmp_gt_f32_e32 vcc_lo, 0x3f2aaaab, v9
	v_add_f32_e32 v9, -1.0, v13
	v_sub_f32_e32 v15, v9, v13
	s_delay_alu instid0(VALU_DEP_1) | instskip(SKIP_1) | instid1(VALU_DEP_1)
	v_add_f32_e32 v15, 1.0, v15
	v_subrev_co_ci_u32_e32 v8, vcc_lo, 0, v8, vcc_lo
	v_sub_nc_u32_e32 v14, 0, v8
	v_cvt_f32_i32_e32 v8, v8
	s_delay_alu instid0(VALU_DEP_2) | instskip(NEXT) | instid1(VALU_DEP_1)
	v_ldexp_f32 v13, v13, v14
	v_add_f32_e32 v17, 1.0, v13
	v_sub_f32_e32 v9, v12, v9
	v_cmp_eq_f32_e32 vcc_lo, 0x7f800000, v12
	v_cmp_gt_f32_e64 s28, 0x33800000, v12
	s_delay_alu instid0(VALU_DEP_3) | instskip(NEXT) | instid1(VALU_DEP_2)
	v_add_f32_e32 v9, v9, v15
	s_or_b32 vcc_lo, s28, vcc_lo
	s_delay_alu instid0(VALU_DEP_1) | instskip(SKIP_1) | instid1(VALU_DEP_1)
	v_ldexp_f32 v9, v9, v14
	v_add_f32_e32 v14, -1.0, v13
	v_dual_add_f32 v15, -1.0, v17 :: v_dual_add_f32 v102, 1.0, v14
	s_delay_alu instid0(VALU_DEP_1) | instskip(NEXT) | instid1(VALU_DEP_2)
	v_sub_f32_e32 v15, v13, v15
	v_sub_f32_e32 v13, v13, v102
	s_delay_alu instid0(VALU_DEP_2) | instskip(NEXT) | instid1(VALU_DEP_2)
	v_add_f32_e32 v15, v9, v15
	v_add_f32_e32 v9, v9, v13
	s_delay_alu instid0(VALU_DEP_1) | instskip(NEXT) | instid1(VALU_DEP_1)
	v_dual_add_f32 v102, v17, v15 :: v_dual_add_f32 v103, v14, v9
	v_rcp_f32_e32 v13, v102
	s_delay_alu instid0(VALU_DEP_1) | instskip(NEXT) | instid1(VALU_DEP_1)
	v_dual_sub_f32 v17, v17, v102 :: v_dual_sub_f32 v14, v14, v103
	v_add_f32_e32 v15, v15, v17
	s_waitcnt_depctr 0xfff
	v_dual_add_f32 v9, v9, v14 :: v_dual_mul_f32 v104, v103, v13
	s_delay_alu instid0(VALU_DEP_1) | instskip(NEXT) | instid1(VALU_DEP_1)
	v_mul_f32_e32 v105, v102, v104
	v_fma_f32 v17, v104, v102, -v105
	s_delay_alu instid0(VALU_DEP_1) | instskip(NEXT) | instid1(VALU_DEP_1)
	v_fmac_f32_e32 v17, v104, v15
	v_add_f32_e32 v106, v105, v17
	s_delay_alu instid0(VALU_DEP_1) | instskip(NEXT) | instid1(VALU_DEP_1)
	v_sub_f32_e32 v107, v103, v106
	v_dual_sub_f32 v103, v103, v107 :: v_dual_sub_f32 v14, v106, v105
	s_delay_alu instid0(VALU_DEP_1) | instskip(NEXT) | instid1(VALU_DEP_1)
	v_dual_sub_f32 v103, v103, v106 :: v_dual_sub_f32 v14, v14, v17
	v_add_f32_e32 v9, v9, v103
	s_delay_alu instid0(VALU_DEP_1) | instskip(NEXT) | instid1(VALU_DEP_1)
	v_add_f32_e32 v9, v14, v9
	v_add_f32_e32 v14, v107, v9
	s_delay_alu instid0(VALU_DEP_1) | instskip(NEXT) | instid1(VALU_DEP_1)
	v_mul_f32_e32 v17, v13, v14
	v_dual_sub_f32 v106, v107, v14 :: v_dual_mul_f32 v103, v102, v17
	s_delay_alu instid0(VALU_DEP_1) | instskip(NEXT) | instid1(VALU_DEP_2)
	v_add_f32_e32 v9, v9, v106
	v_fma_f32 v102, v17, v102, -v103
	s_delay_alu instid0(VALU_DEP_1) | instskip(NEXT) | instid1(VALU_DEP_1)
	v_fmac_f32_e32 v102, v17, v15
	v_add_f32_e32 v15, v103, v102
	s_delay_alu instid0(VALU_DEP_1) | instskip(NEXT) | instid1(VALU_DEP_1)
	v_sub_f32_e32 v105, v14, v15
	v_dual_sub_f32 v103, v15, v103 :: v_dual_sub_f32 v14, v14, v105
	s_delay_alu instid0(VALU_DEP_1) | instskip(NEXT) | instid1(VALU_DEP_1)
	v_dual_sub_f32 v14, v14, v15 :: v_dual_sub_f32 v15, v103, v102
	v_dual_add_f32 v9, v9, v14 :: v_dual_add_f32 v14, v104, v17
	s_delay_alu instid0(VALU_DEP_1) | instskip(NEXT) | instid1(VALU_DEP_2)
	v_add_f32_e32 v9, v15, v9
	v_sub_f32_e32 v15, v14, v104
	s_delay_alu instid0(VALU_DEP_2) | instskip(NEXT) | instid1(VALU_DEP_2)
	v_add_f32_e32 v9, v105, v9
	v_sub_f32_e32 v15, v17, v15
	s_delay_alu instid0(VALU_DEP_2) | instskip(NEXT) | instid1(VALU_DEP_1)
	v_mul_f32_e32 v9, v13, v9
	v_add_f32_e32 v9, v15, v9
	s_delay_alu instid0(VALU_DEP_1) | instskip(NEXT) | instid1(VALU_DEP_1)
	v_add_f32_e32 v13, v14, v9
	v_mul_f32_e32 v15, v13, v13
	s_delay_alu instid0(VALU_DEP_1) | instskip(NEXT) | instid1(VALU_DEP_1)
	v_fmaak_f32 v17, s83, v15, 0x3ecc95a3
	v_dual_mul_f32 v102, v13, v15 :: v_dual_fmaak_f32 v15, v15, v17, 0x3f2aaada
	v_ldexp_f32 v17, v13, 1
	v_sub_f32_e32 v13, v13, v14
	s_delay_alu instid0(VALU_DEP_3) | instskip(NEXT) | instid1(VALU_DEP_2)
	v_dual_mul_f32 v15, v102, v15 :: v_dual_mul_f32 v102, 0x3f317218, v8
	v_sub_f32_e32 v9, v9, v13
	s_delay_alu instid0(VALU_DEP_2) | instskip(NEXT) | instid1(VALU_DEP_2)
	v_add_f32_e32 v14, v17, v15
	v_ldexp_f32 v9, v9, 1
	s_delay_alu instid0(VALU_DEP_2) | instskip(SKIP_1) | instid1(VALU_DEP_2)
	v_sub_f32_e32 v13, v14, v17
	v_fma_f32 v17, 0x3f317218, v8, -v102
	v_sub_f32_e32 v13, v15, v13
	s_delay_alu instid0(VALU_DEP_1) | instskip(NEXT) | instid1(VALU_DEP_1)
	v_dual_fmac_f32 v17, 0xb102e308, v8 :: v_dual_add_f32 v8, v9, v13
	v_add_f32_e32 v9, v102, v17
	s_delay_alu instid0(VALU_DEP_1) | instskip(NEXT) | instid1(VALU_DEP_1)
	v_dual_add_f32 v13, v14, v8 :: v_dual_sub_f32 v102, v9, v102
	v_add_f32_e32 v15, v9, v13
	v_sub_f32_e32 v14, v13, v14
	s_delay_alu instid0(VALU_DEP_3) | instskip(NEXT) | instid1(VALU_DEP_2)
	v_sub_f32_e32 v17, v17, v102
	v_dual_sub_f32 v103, v15, v9 :: v_dual_sub_f32 v8, v8, v14
	s_delay_alu instid0(VALU_DEP_1) | instskip(SKIP_1) | instid1(VALU_DEP_3)
	v_sub_f32_e32 v104, v15, v103
	v_sub_f32_e32 v13, v13, v103
	v_add_f32_e32 v14, v17, v8
	s_delay_alu instid0(VALU_DEP_3) | instskip(NEXT) | instid1(VALU_DEP_1)
	v_sub_f32_e32 v9, v9, v104
	v_add_f32_e32 v9, v13, v9
	s_delay_alu instid0(VALU_DEP_3) | instskip(NEXT) | instid1(VALU_DEP_2)
	v_sub_f32_e32 v13, v14, v17
	v_add_f32_e32 v9, v14, v9
	s_delay_alu instid0(VALU_DEP_2) | instskip(SKIP_1) | instid1(VALU_DEP_3)
	v_sub_f32_e32 v14, v14, v13
	v_sub_f32_e32 v8, v8, v13
	v_add_f32_e32 v102, v15, v9
	s_delay_alu instid0(VALU_DEP_1) | instskip(NEXT) | instid1(VALU_DEP_1)
	v_dual_sub_f32 v14, v17, v14 :: v_dual_sub_f32 v13, v102, v15
	v_dual_add_f32 v8, v8, v14 :: v_dual_sub_f32 v9, v9, v13
	s_delay_alu instid0(VALU_DEP_1) | instskip(NEXT) | instid1(VALU_DEP_1)
	v_add_f32_e32 v8, v8, v9
	v_add_f32_e32 v8, v102, v8
	s_delay_alu instid0(VALU_DEP_1)
	v_cndmask_b32_e32 v102, v8, v12, vcc_lo
.LBB87_100:                             ;   in Loop: Header=BB87_12 Depth=1
	s_or_b32 exec_lo, exec_lo, s29
	v_lshrrev_b32_e32 v8, 16, v10
	s_delay_alu instid0(VALU_DEP_1) | instskip(NEXT) | instid1(VALU_DEP_1)
	v_cvt_f32_f16_e32 v8, v8
	v_add_f32_e32 v103, s68, v8
	s_delay_alu instid0(VALU_DEP_1) | instskip(SKIP_1) | instid1(SALU_CYCLE_1)
	v_cmp_ge_f32_e32 vcc_lo, 0x41a00000, v103
	s_and_b32 s28, s79, vcc_lo
	s_and_saveexec_b32 s29, s28
	s_cbranch_execz .LBB87_102
; %bb.101:                              ;   in Loop: Header=BB87_12 Depth=1
	v_mul_f32_e32 v8, 0x3fb8aa3b, v103
	v_cmp_ngt_f32_e32 vcc_lo, 0xc2ce8ed0, v103
	s_delay_alu instid0(VALU_DEP_2) | instskip(SKIP_1) | instid1(VALU_DEP_2)
	v_rndne_f32_e32 v9, v8
	v_fma_f32 v10, 0x3fb8aa3b, v103, -v8
	v_sub_f32_e32 v8, v8, v9
	s_delay_alu instid0(VALU_DEP_2) | instskip(SKIP_1) | instid1(VALU_DEP_2)
	v_fmac_f32_e32 v10, 0x32a5705f, v103
	v_cvt_i32_f32_e32 v9, v9
	v_add_f32_e32 v8, v8, v10
	s_delay_alu instid0(VALU_DEP_1) | instskip(SKIP_2) | instid1(VALU_DEP_1)
	v_exp_f32_e32 v8, v8
	s_waitcnt_depctr 0xfff
	v_ldexp_f32 v8, v8, v9
	v_cndmask_b32_e32 v8, 0, v8, vcc_lo
	v_cmp_nlt_f32_e32 vcc_lo, 0x42b17218, v103
	s_delay_alu instid0(VALU_DEP_2) | instskip(NEXT) | instid1(VALU_DEP_1)
	v_cndmask_b32_e32 v10, 0x7f800000, v8, vcc_lo
	v_add_f32_e32 v12, 1.0, v10
	s_delay_alu instid0(VALU_DEP_1) | instskip(NEXT) | instid1(VALU_DEP_1)
	v_cvt_f64_f32_e32 v[8:9], v12
	v_frexp_exp_i32_f64_e32 v8, v[8:9]
	v_frexp_mant_f32_e32 v9, v12
	s_delay_alu instid0(VALU_DEP_1) | instskip(SKIP_1) | instid1(VALU_DEP_1)
	v_cmp_gt_f32_e32 vcc_lo, 0x3f2aaaab, v9
	v_add_f32_e32 v9, -1.0, v12
	v_dual_sub_f32 v14, v9, v12 :: v_dual_sub_f32 v9, v10, v9
	v_subrev_co_ci_u32_e32 v8, vcc_lo, 0, v8, vcc_lo
	s_delay_alu instid0(VALU_DEP_1) | instskip(SKIP_1) | instid1(VALU_DEP_2)
	v_sub_nc_u32_e32 v13, 0, v8
	v_cvt_f32_i32_e32 v8, v8
	v_ldexp_f32 v12, v12, v13
	s_delay_alu instid0(VALU_DEP_1) | instskip(NEXT) | instid1(VALU_DEP_1)
	v_dual_add_f32 v14, 1.0, v14 :: v_dual_add_f32 v15, 1.0, v12
	v_add_f32_e32 v9, v9, v14
	s_delay_alu instid0(VALU_DEP_1) | instskip(NEXT) | instid1(VALU_DEP_3)
	v_ldexp_f32 v9, v9, v13
	v_dual_add_f32 v13, -1.0, v12 :: v_dual_add_f32 v14, -1.0, v15
	s_delay_alu instid0(VALU_DEP_1) | instskip(NEXT) | instid1(VALU_DEP_1)
	v_dual_add_f32 v17, 1.0, v13 :: v_dual_sub_f32 v14, v12, v14
	v_sub_f32_e32 v12, v12, v17
	s_delay_alu instid0(VALU_DEP_2) | instskip(NEXT) | instid1(VALU_DEP_2)
	v_add_f32_e32 v14, v9, v14
	v_add_f32_e32 v9, v9, v12
	s_delay_alu instid0(VALU_DEP_2) | instskip(SKIP_2) | instid1(VALU_DEP_4)
	v_add_f32_e32 v17, v15, v14
	v_cmp_eq_f32_e32 vcc_lo, 0x7f800000, v10
	v_cmp_gt_f32_e64 s28, 0x33800000, v10
	v_add_f32_e32 v103, v13, v9
	s_delay_alu instid0(VALU_DEP_4) | instskip(SKIP_1) | instid1(VALU_DEP_3)
	v_rcp_f32_e32 v12, v17
	v_sub_f32_e32 v15, v15, v17
	s_or_b32 vcc_lo, s28, vcc_lo
	s_delay_alu instid0(VALU_DEP_2) | instskip(NEXT) | instid1(VALU_DEP_1)
	v_sub_f32_e32 v13, v13, v103
	v_dual_add_f32 v14, v14, v15 :: v_dual_add_f32 v9, v9, v13
	s_waitcnt_depctr 0xfff
	v_mul_f32_e32 v104, v103, v12
	s_delay_alu instid0(VALU_DEP_1) | instskip(NEXT) | instid1(VALU_DEP_1)
	v_mul_f32_e32 v105, v17, v104
	v_fma_f32 v15, v104, v17, -v105
	s_delay_alu instid0(VALU_DEP_1) | instskip(NEXT) | instid1(VALU_DEP_1)
	v_fmac_f32_e32 v15, v104, v14
	v_add_f32_e32 v106, v105, v15
	s_delay_alu instid0(VALU_DEP_1) | instskip(SKIP_1) | instid1(VALU_DEP_2)
	v_sub_f32_e32 v107, v103, v106
	v_sub_f32_e32 v13, v106, v105
	;; [unrolled: 1-line block ×3, first 2 shown]
	s_delay_alu instid0(VALU_DEP_2) | instskip(NEXT) | instid1(VALU_DEP_2)
	v_sub_f32_e32 v13, v13, v15
	v_sub_f32_e32 v103, v103, v106
	s_delay_alu instid0(VALU_DEP_1) | instskip(NEXT) | instid1(VALU_DEP_1)
	v_add_f32_e32 v9, v9, v103
	v_add_f32_e32 v9, v13, v9
	s_delay_alu instid0(VALU_DEP_1) | instskip(NEXT) | instid1(VALU_DEP_1)
	v_add_f32_e32 v13, v107, v9
	v_mul_f32_e32 v15, v12, v13
	s_delay_alu instid0(VALU_DEP_1) | instskip(NEXT) | instid1(VALU_DEP_1)
	v_dual_sub_f32 v106, v107, v13 :: v_dual_mul_f32 v103, v17, v15
	v_add_f32_e32 v9, v9, v106
	s_delay_alu instid0(VALU_DEP_2) | instskip(NEXT) | instid1(VALU_DEP_1)
	v_fma_f32 v17, v15, v17, -v103
	v_fmac_f32_e32 v17, v15, v14
	s_delay_alu instid0(VALU_DEP_1) | instskip(NEXT) | instid1(VALU_DEP_1)
	v_add_f32_e32 v14, v103, v17
	v_sub_f32_e32 v105, v13, v14
	v_sub_f32_e32 v103, v14, v103
	s_delay_alu instid0(VALU_DEP_2) | instskip(NEXT) | instid1(VALU_DEP_1)
	v_sub_f32_e32 v13, v13, v105
	v_dual_sub_f32 v13, v13, v14 :: v_dual_sub_f32 v14, v103, v17
	s_delay_alu instid0(VALU_DEP_1) | instskip(SKIP_1) | instid1(VALU_DEP_1)
	v_add_f32_e32 v9, v9, v13
	v_add_f32_e32 v13, v104, v15
	v_dual_add_f32 v9, v14, v9 :: v_dual_sub_f32 v14, v13, v104
	s_delay_alu instid0(VALU_DEP_1) | instskip(NEXT) | instid1(VALU_DEP_1)
	v_dual_add_f32 v9, v105, v9 :: v_dual_sub_f32 v14, v15, v14
	v_mul_f32_e32 v9, v12, v9
	s_delay_alu instid0(VALU_DEP_1) | instskip(NEXT) | instid1(VALU_DEP_1)
	v_add_f32_e32 v9, v14, v9
	v_add_f32_e32 v12, v13, v9
	s_delay_alu instid0(VALU_DEP_1) | instskip(NEXT) | instid1(VALU_DEP_1)
	v_mul_f32_e32 v14, v12, v12
	v_fmaak_f32 v15, s83, v14, 0x3ecc95a3
	s_delay_alu instid0(VALU_DEP_1) | instskip(SKIP_2) | instid1(VALU_DEP_3)
	v_dual_mul_f32 v17, v12, v14 :: v_dual_fmaak_f32 v14, v14, v15, 0x3f2aaada
	v_ldexp_f32 v15, v12, 1
	v_sub_f32_e32 v12, v12, v13
	v_dual_mul_f32 v14, v17, v14 :: v_dual_mul_f32 v17, 0x3f317218, v8
	s_delay_alu instid0(VALU_DEP_2) | instskip(NEXT) | instid1(VALU_DEP_2)
	v_sub_f32_e32 v9, v9, v12
	v_add_f32_e32 v13, v15, v14
	s_delay_alu instid0(VALU_DEP_2) | instskip(NEXT) | instid1(VALU_DEP_2)
	v_ldexp_f32 v9, v9, 1
	v_sub_f32_e32 v12, v13, v15
	v_fma_f32 v15, 0x3f317218, v8, -v17
	s_delay_alu instid0(VALU_DEP_2) | instskip(NEXT) | instid1(VALU_DEP_2)
	v_sub_f32_e32 v12, v14, v12
	v_fmac_f32_e32 v15, 0xb102e308, v8
	s_delay_alu instid0(VALU_DEP_2) | instskip(NEXT) | instid1(VALU_DEP_2)
	v_add_f32_e32 v8, v9, v12
	v_add_f32_e32 v9, v17, v15
	s_delay_alu instid0(VALU_DEP_2) | instskip(NEXT) | instid1(VALU_DEP_2)
	v_add_f32_e32 v12, v13, v8
	v_sub_f32_e32 v17, v9, v17
	s_delay_alu instid0(VALU_DEP_2) | instskip(NEXT) | instid1(VALU_DEP_2)
	v_dual_add_f32 v14, v9, v12 :: v_dual_sub_f32 v13, v12, v13
	v_sub_f32_e32 v15, v15, v17
	s_delay_alu instid0(VALU_DEP_2) | instskip(NEXT) | instid1(VALU_DEP_3)
	v_sub_f32_e32 v103, v14, v9
	v_sub_f32_e32 v8, v8, v13
	s_delay_alu instid0(VALU_DEP_2) | instskip(NEXT) | instid1(VALU_DEP_2)
	v_sub_f32_e32 v104, v14, v103
	v_dual_sub_f32 v12, v12, v103 :: v_dual_add_f32 v13, v15, v8
	s_delay_alu instid0(VALU_DEP_2) | instskip(NEXT) | instid1(VALU_DEP_1)
	v_sub_f32_e32 v9, v9, v104
	v_dual_add_f32 v9, v12, v9 :: v_dual_sub_f32 v12, v13, v15
	s_delay_alu instid0(VALU_DEP_1) | instskip(NEXT) | instid1(VALU_DEP_2)
	v_add_f32_e32 v9, v13, v9
	v_sub_f32_e32 v13, v13, v12
	s_delay_alu instid0(VALU_DEP_2) | instskip(NEXT) | instid1(VALU_DEP_1)
	v_dual_sub_f32 v8, v8, v12 :: v_dual_add_f32 v17, v14, v9
	v_dual_sub_f32 v13, v15, v13 :: v_dual_sub_f32 v12, v17, v14
	s_delay_alu instid0(VALU_DEP_1) | instskip(NEXT) | instid1(VALU_DEP_1)
	v_dual_add_f32 v8, v8, v13 :: v_dual_sub_f32 v9, v9, v12
	v_add_f32_e32 v8, v8, v9
	s_delay_alu instid0(VALU_DEP_1) | instskip(NEXT) | instid1(VALU_DEP_1)
	v_add_f32_e32 v8, v17, v8
	v_cndmask_b32_e32 v103, v8, v10, vcc_lo
.LBB87_102:                             ;   in Loop: Header=BB87_12 Depth=1
	s_or_b32 exec_lo, exec_lo, s29
	v_cvt_f32_f16_e32 v8, v11
	s_delay_alu instid0(VALU_DEP_1) | instskip(NEXT) | instid1(VALU_DEP_1)
	v_add_f32_e32 v104, s68, v8
	v_cmp_ge_f32_e32 vcc_lo, 0x41a00000, v104
	s_and_b32 s28, s79, vcc_lo
	s_delay_alu instid0(SALU_CYCLE_1)
	s_and_saveexec_b32 s29, s28
	s_cbranch_execz .LBB87_104
; %bb.103:                              ;   in Loop: Header=BB87_12 Depth=1
	v_mul_f32_e32 v8, 0x3fb8aa3b, v104
	v_cmp_ngt_f32_e32 vcc_lo, 0xc2ce8ed0, v104
	s_delay_alu instid0(VALU_DEP_2) | instskip(SKIP_1) | instid1(VALU_DEP_2)
	v_rndne_f32_e32 v9, v8
	v_fma_f32 v10, 0x3fb8aa3b, v104, -v8
	v_sub_f32_e32 v8, v8, v9
	s_delay_alu instid0(VALU_DEP_2) | instskip(SKIP_1) | instid1(VALU_DEP_2)
	v_fmac_f32_e32 v10, 0x32a5705f, v104
	v_cvt_i32_f32_e32 v9, v9
	v_add_f32_e32 v8, v8, v10
	s_delay_alu instid0(VALU_DEP_1) | instskip(SKIP_2) | instid1(VALU_DEP_1)
	v_exp_f32_e32 v8, v8
	s_waitcnt_depctr 0xfff
	v_ldexp_f32 v8, v8, v9
	v_cndmask_b32_e32 v8, 0, v8, vcc_lo
	v_cmp_nlt_f32_e32 vcc_lo, 0x42b17218, v104
	s_delay_alu instid0(VALU_DEP_2) | instskip(NEXT) | instid1(VALU_DEP_1)
	v_cndmask_b32_e32 v10, 0x7f800000, v8, vcc_lo
	v_add_f32_e32 v12, 1.0, v10
	s_delay_alu instid0(VALU_DEP_1) | instskip(NEXT) | instid1(VALU_DEP_1)
	v_cvt_f64_f32_e32 v[8:9], v12
	v_frexp_exp_i32_f64_e32 v8, v[8:9]
	v_frexp_mant_f32_e32 v9, v12
	s_delay_alu instid0(VALU_DEP_1) | instskip(SKIP_1) | instid1(VALU_DEP_1)
	v_cmp_gt_f32_e32 vcc_lo, 0x3f2aaaab, v9
	v_add_f32_e32 v9, -1.0, v12
	v_dual_sub_f32 v14, v9, v12 :: v_dual_sub_f32 v9, v10, v9
	v_subrev_co_ci_u32_e32 v8, vcc_lo, 0, v8, vcc_lo
	s_delay_alu instid0(VALU_DEP_1) | instskip(SKIP_1) | instid1(VALU_DEP_2)
	v_sub_nc_u32_e32 v13, 0, v8
	v_cvt_f32_i32_e32 v8, v8
	v_ldexp_f32 v12, v12, v13
	s_delay_alu instid0(VALU_DEP_1) | instskip(NEXT) | instid1(VALU_DEP_1)
	v_dual_add_f32 v14, 1.0, v14 :: v_dual_add_f32 v15, 1.0, v12
	v_add_f32_e32 v9, v9, v14
	s_delay_alu instid0(VALU_DEP_1) | instskip(NEXT) | instid1(VALU_DEP_3)
	v_ldexp_f32 v9, v9, v13
	v_dual_add_f32 v13, -1.0, v12 :: v_dual_add_f32 v14, -1.0, v15
	s_delay_alu instid0(VALU_DEP_1) | instskip(NEXT) | instid1(VALU_DEP_1)
	v_dual_add_f32 v17, 1.0, v13 :: v_dual_sub_f32 v14, v12, v14
	v_sub_f32_e32 v12, v12, v17
	s_delay_alu instid0(VALU_DEP_2) | instskip(NEXT) | instid1(VALU_DEP_2)
	v_add_f32_e32 v14, v9, v14
	v_add_f32_e32 v9, v9, v12
	s_delay_alu instid0(VALU_DEP_2) | instskip(SKIP_2) | instid1(VALU_DEP_4)
	v_add_f32_e32 v17, v15, v14
	v_cmp_eq_f32_e32 vcc_lo, 0x7f800000, v10
	v_cmp_gt_f32_e64 s28, 0x33800000, v10
	v_add_f32_e32 v104, v13, v9
	s_delay_alu instid0(VALU_DEP_4) | instskip(SKIP_1) | instid1(VALU_DEP_3)
	v_rcp_f32_e32 v12, v17
	v_sub_f32_e32 v15, v15, v17
	s_or_b32 vcc_lo, s28, vcc_lo
	s_delay_alu instid0(VALU_DEP_2) | instskip(NEXT) | instid1(VALU_DEP_1)
	v_sub_f32_e32 v13, v13, v104
	v_add_f32_e32 v9, v9, v13
	s_waitcnt_depctr 0xfff
	v_dual_mul_f32 v105, v104, v12 :: v_dual_add_f32 v14, v14, v15
	s_delay_alu instid0(VALU_DEP_1) | instskip(NEXT) | instid1(VALU_DEP_1)
	v_mul_f32_e32 v106, v17, v105
	v_fma_f32 v15, v105, v17, -v106
	s_delay_alu instid0(VALU_DEP_1) | instskip(NEXT) | instid1(VALU_DEP_1)
	v_fmac_f32_e32 v15, v105, v14
	v_add_f32_e32 v107, v106, v15
	s_delay_alu instid0(VALU_DEP_1) | instskip(NEXT) | instid1(VALU_DEP_1)
	v_dual_sub_f32 v13, v107, v106 :: v_dual_sub_f32 v108, v104, v107
	v_dual_sub_f32 v13, v13, v15 :: v_dual_sub_f32 v104, v104, v108
	s_delay_alu instid0(VALU_DEP_1) | instskip(NEXT) | instid1(VALU_DEP_1)
	v_sub_f32_e32 v104, v104, v107
	v_add_f32_e32 v9, v9, v104
	s_delay_alu instid0(VALU_DEP_1) | instskip(NEXT) | instid1(VALU_DEP_1)
	v_add_f32_e32 v9, v13, v9
	v_add_f32_e32 v13, v108, v9
	s_delay_alu instid0(VALU_DEP_1) | instskip(NEXT) | instid1(VALU_DEP_1)
	v_mul_f32_e32 v15, v12, v13
	v_mul_f32_e32 v104, v17, v15
	s_delay_alu instid0(VALU_DEP_1) | instskip(NEXT) | instid1(VALU_DEP_1)
	v_fma_f32 v17, v15, v17, -v104
	v_fmac_f32_e32 v17, v15, v14
	s_delay_alu instid0(VALU_DEP_1) | instskip(NEXT) | instid1(VALU_DEP_1)
	v_add_f32_e32 v14, v104, v17
	v_dual_sub_f32 v107, v108, v13 :: v_dual_sub_f32 v106, v13, v14
	s_delay_alu instid0(VALU_DEP_1) | instskip(NEXT) | instid1(VALU_DEP_2)
	v_dual_sub_f32 v13, v13, v106 :: v_dual_sub_f32 v104, v14, v104
	v_add_f32_e32 v9, v9, v107
	s_delay_alu instid0(VALU_DEP_2) | instskip(NEXT) | instid1(VALU_DEP_1)
	v_dual_sub_f32 v13, v13, v14 :: v_dual_sub_f32 v14, v104, v17
	v_add_f32_e32 v9, v9, v13
	v_add_f32_e32 v13, v105, v15
	s_delay_alu instid0(VALU_DEP_2) | instskip(NEXT) | instid1(VALU_DEP_2)
	v_add_f32_e32 v9, v14, v9
	v_sub_f32_e32 v14, v13, v105
	s_delay_alu instid0(VALU_DEP_1) | instskip(NEXT) | instid1(VALU_DEP_1)
	v_dual_add_f32 v9, v106, v9 :: v_dual_sub_f32 v14, v15, v14
	v_mul_f32_e32 v9, v12, v9
	s_delay_alu instid0(VALU_DEP_1) | instskip(NEXT) | instid1(VALU_DEP_1)
	v_add_f32_e32 v9, v14, v9
	v_add_f32_e32 v12, v13, v9
	s_delay_alu instid0(VALU_DEP_1) | instskip(NEXT) | instid1(VALU_DEP_1)
	v_mul_f32_e32 v14, v12, v12
	v_fmaak_f32 v15, s83, v14, 0x3ecc95a3
	s_delay_alu instid0(VALU_DEP_1) | instskip(SKIP_1) | instid1(VALU_DEP_2)
	v_dual_mul_f32 v17, v12, v14 :: v_dual_fmaak_f32 v14, v14, v15, 0x3f2aaada
	v_ldexp_f32 v15, v12, 1
	v_mul_f32_e32 v14, v17, v14
	v_dual_sub_f32 v12, v12, v13 :: v_dual_mul_f32 v17, 0x3f317218, v8
	s_delay_alu instid0(VALU_DEP_2) | instskip(NEXT) | instid1(VALU_DEP_2)
	v_add_f32_e32 v13, v15, v14
	v_sub_f32_e32 v9, v9, v12
	s_delay_alu instid0(VALU_DEP_2) | instskip(NEXT) | instid1(VALU_DEP_4)
	v_sub_f32_e32 v12, v13, v15
	v_fma_f32 v15, 0x3f317218, v8, -v17
	s_delay_alu instid0(VALU_DEP_3) | instskip(NEXT) | instid1(VALU_DEP_3)
	v_ldexp_f32 v9, v9, 1
	v_sub_f32_e32 v12, v14, v12
	s_delay_alu instid0(VALU_DEP_3) | instskip(NEXT) | instid1(VALU_DEP_2)
	v_fmac_f32_e32 v15, 0xb102e308, v8
	v_add_f32_e32 v8, v9, v12
	s_delay_alu instid0(VALU_DEP_1) | instskip(NEXT) | instid1(VALU_DEP_3)
	v_add_f32_e32 v12, v13, v8
	v_add_f32_e32 v9, v17, v15
	s_delay_alu instid0(VALU_DEP_1) | instskip(NEXT) | instid1(VALU_DEP_1)
	v_dual_sub_f32 v13, v12, v13 :: v_dual_add_f32 v14, v9, v12
	v_sub_f32_e32 v8, v8, v13
	s_delay_alu instid0(VALU_DEP_2) | instskip(NEXT) | instid1(VALU_DEP_1)
	v_sub_f32_e32 v104, v14, v9
	v_dual_sub_f32 v12, v12, v104 :: v_dual_sub_f32 v17, v9, v17
	s_delay_alu instid0(VALU_DEP_1) | instskip(NEXT) | instid1(VALU_DEP_1)
	v_sub_f32_e32 v15, v15, v17
	v_add_f32_e32 v13, v15, v8
	v_sub_f32_e32 v105, v14, v104
	s_delay_alu instid0(VALU_DEP_1) | instskip(NEXT) | instid1(VALU_DEP_1)
	v_sub_f32_e32 v9, v9, v105
	v_dual_add_f32 v9, v12, v9 :: v_dual_sub_f32 v12, v13, v15
	s_delay_alu instid0(VALU_DEP_1) | instskip(NEXT) | instid1(VALU_DEP_2)
	v_add_f32_e32 v9, v13, v9
	v_sub_f32_e32 v13, v13, v12
	s_delay_alu instid0(VALU_DEP_2) | instskip(NEXT) | instid1(VALU_DEP_1)
	v_dual_sub_f32 v8, v8, v12 :: v_dual_add_f32 v17, v14, v9
	v_dual_sub_f32 v12, v17, v14 :: v_dual_sub_f32 v13, v15, v13
	s_delay_alu instid0(VALU_DEP_1) | instskip(NEXT) | instid1(VALU_DEP_1)
	v_dual_sub_f32 v9, v9, v12 :: v_dual_add_f32 v8, v8, v13
	v_add_f32_e32 v8, v8, v9
	s_delay_alu instid0(VALU_DEP_1) | instskip(NEXT) | instid1(VALU_DEP_1)
	v_add_f32_e32 v8, v17, v8
	v_cndmask_b32_e32 v104, v8, v10, vcc_lo
.LBB87_104:                             ;   in Loop: Header=BB87_12 Depth=1
	s_or_b32 exec_lo, exec_lo, s29
	v_lshrrev_b32_e32 v8, 16, v11
	s_delay_alu instid0(VALU_DEP_1) | instskip(NEXT) | instid1(VALU_DEP_1)
	v_cvt_f32_f16_e32 v8, v8
	v_add_f32_e32 v111, s68, v8
	s_delay_alu instid0(VALU_DEP_1) | instskip(SKIP_1) | instid1(SALU_CYCLE_1)
	v_cmp_ge_f32_e32 vcc_lo, 0x41a00000, v111
	s_and_b32 s28, s79, vcc_lo
	s_and_saveexec_b32 s29, s28
	s_cbranch_execz .LBB87_106
; %bb.105:                              ;   in Loop: Header=BB87_12 Depth=1
	v_mul_f32_e32 v8, 0x3fb8aa3b, v111
	v_cmp_ngt_f32_e32 vcc_lo, 0xc2ce8ed0, v111
	s_delay_alu instid0(VALU_DEP_2) | instskip(SKIP_1) | instid1(VALU_DEP_2)
	v_rndne_f32_e32 v9, v8
	v_fma_f32 v10, 0x3fb8aa3b, v111, -v8
	v_sub_f32_e32 v8, v8, v9
	s_delay_alu instid0(VALU_DEP_2) | instskip(SKIP_1) | instid1(VALU_DEP_2)
	v_fmac_f32_e32 v10, 0x32a5705f, v111
	v_cvt_i32_f32_e32 v9, v9
	v_add_f32_e32 v8, v8, v10
	s_delay_alu instid0(VALU_DEP_1) | instskip(SKIP_2) | instid1(VALU_DEP_1)
	v_exp_f32_e32 v8, v8
	s_waitcnt_depctr 0xfff
	v_ldexp_f32 v8, v8, v9
	v_cndmask_b32_e32 v8, 0, v8, vcc_lo
	v_cmp_nlt_f32_e32 vcc_lo, 0x42b17218, v111
	s_delay_alu instid0(VALU_DEP_2) | instskip(NEXT) | instid1(VALU_DEP_1)
	v_cndmask_b32_e32 v10, 0x7f800000, v8, vcc_lo
	v_add_f32_e32 v11, 1.0, v10
	s_delay_alu instid0(VALU_DEP_1) | instskip(NEXT) | instid1(VALU_DEP_1)
	v_cvt_f64_f32_e32 v[8:9], v11
	v_frexp_exp_i32_f64_e32 v8, v[8:9]
	v_frexp_mant_f32_e32 v9, v11
	s_delay_alu instid0(VALU_DEP_1) | instskip(SKIP_1) | instid1(VALU_DEP_1)
	v_cmp_gt_f32_e32 vcc_lo, 0x3f2aaaab, v9
	v_add_f32_e32 v9, -1.0, v11
	v_sub_f32_e32 v13, v9, v11
	v_sub_f32_e32 v9, v10, v9
	s_delay_alu instid0(VALU_DEP_2) | instskip(NEXT) | instid1(VALU_DEP_1)
	v_add_f32_e32 v13, 1.0, v13
	v_add_f32_e32 v9, v9, v13
	v_cmp_gt_f32_e64 s28, 0x33800000, v10
	v_subrev_co_ci_u32_e32 v8, vcc_lo, 0, v8, vcc_lo
	v_cmp_eq_f32_e32 vcc_lo, 0x7f800000, v10
	s_delay_alu instid0(VALU_DEP_2) | instskip(SKIP_2) | instid1(VALU_DEP_2)
	v_sub_nc_u32_e32 v12, 0, v8
	v_cvt_f32_i32_e32 v8, v8
	s_or_b32 vcc_lo, s28, vcc_lo
	v_ldexp_f32 v11, v11, v12
	v_ldexp_f32 v9, v9, v12
	s_delay_alu instid0(VALU_DEP_2) | instskip(NEXT) | instid1(VALU_DEP_1)
	v_add_f32_e32 v14, 1.0, v11
	v_dual_add_f32 v12, -1.0, v11 :: v_dual_add_f32 v13, -1.0, v14
	s_delay_alu instid0(VALU_DEP_1) | instskip(NEXT) | instid1(VALU_DEP_2)
	v_add_f32_e32 v15, 1.0, v12
	v_sub_f32_e32 v13, v11, v13
	s_delay_alu instid0(VALU_DEP_2) | instskip(NEXT) | instid1(VALU_DEP_2)
	v_sub_f32_e32 v11, v11, v15
	v_add_f32_e32 v13, v9, v13
	s_delay_alu instid0(VALU_DEP_2) | instskip(NEXT) | instid1(VALU_DEP_1)
	v_add_f32_e32 v9, v9, v11
	v_add_f32_e32 v17, v12, v9
	s_delay_alu instid0(VALU_DEP_3) | instskip(NEXT) | instid1(VALU_DEP_2)
	v_add_f32_e32 v15, v14, v13
	v_sub_f32_e32 v12, v12, v17
	s_delay_alu instid0(VALU_DEP_2) | instskip(SKIP_1) | instid1(VALU_DEP_1)
	v_rcp_f32_e32 v11, v15
	v_sub_f32_e32 v14, v14, v15
	v_add_f32_e32 v13, v13, v14
	s_waitcnt_depctr 0xfff
	v_mul_f32_e32 v105, v17, v11
	s_delay_alu instid0(VALU_DEP_1) | instskip(NEXT) | instid1(VALU_DEP_1)
	v_dual_mul_f32 v106, v15, v105 :: v_dual_add_f32 v9, v9, v12
	v_fma_f32 v14, v105, v15, -v106
	s_delay_alu instid0(VALU_DEP_1) | instskip(NEXT) | instid1(VALU_DEP_1)
	v_fmac_f32_e32 v14, v105, v13
	v_add_f32_e32 v107, v106, v14
	s_delay_alu instid0(VALU_DEP_1) | instskip(SKIP_1) | instid1(VALU_DEP_1)
	v_sub_f32_e32 v12, v107, v106
	v_sub_f32_e32 v108, v17, v107
	v_dual_sub_f32 v12, v12, v14 :: v_dual_sub_f32 v17, v17, v108
	s_delay_alu instid0(VALU_DEP_1) | instskip(NEXT) | instid1(VALU_DEP_1)
	v_sub_f32_e32 v17, v17, v107
	v_add_f32_e32 v9, v9, v17
	s_delay_alu instid0(VALU_DEP_1) | instskip(NEXT) | instid1(VALU_DEP_1)
	v_add_f32_e32 v9, v12, v9
	v_add_f32_e32 v12, v108, v9
	s_delay_alu instid0(VALU_DEP_1) | instskip(SKIP_1) | instid1(VALU_DEP_2)
	v_mul_f32_e32 v14, v11, v12
	v_sub_f32_e32 v107, v108, v12
	v_mul_f32_e32 v17, v15, v14
	s_delay_alu instid0(VALU_DEP_2) | instskip(NEXT) | instid1(VALU_DEP_2)
	v_add_f32_e32 v9, v9, v107
	v_fma_f32 v15, v14, v15, -v17
	s_delay_alu instid0(VALU_DEP_1) | instskip(NEXT) | instid1(VALU_DEP_1)
	v_fmac_f32_e32 v15, v14, v13
	v_add_f32_e32 v13, v17, v15
	s_delay_alu instid0(VALU_DEP_1) | instskip(NEXT) | instid1(VALU_DEP_1)
	v_sub_f32_e32 v106, v12, v13
	v_dual_sub_f32 v17, v13, v17 :: v_dual_sub_f32 v12, v12, v106
	s_delay_alu instid0(VALU_DEP_1) | instskip(NEXT) | instid1(VALU_DEP_1)
	v_dual_sub_f32 v12, v12, v13 :: v_dual_sub_f32 v13, v17, v15
	v_add_f32_e32 v9, v9, v12
	v_add_f32_e32 v12, v105, v14
	s_delay_alu instid0(VALU_DEP_2) | instskip(NEXT) | instid1(VALU_DEP_2)
	v_add_f32_e32 v9, v13, v9
	v_sub_f32_e32 v13, v12, v105
	s_delay_alu instid0(VALU_DEP_2) | instskip(NEXT) | instid1(VALU_DEP_2)
	v_add_f32_e32 v9, v106, v9
	v_sub_f32_e32 v13, v14, v13
	s_delay_alu instid0(VALU_DEP_2) | instskip(NEXT) | instid1(VALU_DEP_1)
	v_mul_f32_e32 v9, v11, v9
	v_add_f32_e32 v9, v13, v9
	s_delay_alu instid0(VALU_DEP_1) | instskip(NEXT) | instid1(VALU_DEP_1)
	v_add_f32_e32 v11, v12, v9
	v_mul_f32_e32 v13, v11, v11
	s_delay_alu instid0(VALU_DEP_1) | instskip(SKIP_1) | instid1(VALU_DEP_2)
	v_fmaak_f32 v14, s83, v13, 0x3ecc95a3
	v_mul_f32_e32 v15, v11, v13
	v_fmaak_f32 v13, v13, v14, 0x3f2aaada
	v_ldexp_f32 v14, v11, 1
	v_sub_f32_e32 v11, v11, v12
	s_delay_alu instid0(VALU_DEP_3) | instskip(SKIP_1) | instid1(VALU_DEP_2)
	v_mul_f32_e32 v13, v15, v13
	v_mul_f32_e32 v15, 0x3f317218, v8
	v_dual_sub_f32 v9, v9, v11 :: v_dual_add_f32 v12, v14, v13
	s_delay_alu instid0(VALU_DEP_1) | instskip(NEXT) | instid1(VALU_DEP_2)
	v_ldexp_f32 v9, v9, 1
	v_sub_f32_e32 v11, v12, v14
	s_delay_alu instid0(VALU_DEP_4) | instskip(NEXT) | instid1(VALU_DEP_1)
	v_fma_f32 v14, 0x3f317218, v8, -v15
	v_dual_sub_f32 v11, v13, v11 :: v_dual_fmac_f32 v14, 0xb102e308, v8
	s_delay_alu instid0(VALU_DEP_1) | instskip(NEXT) | instid1(VALU_DEP_1)
	v_dual_add_f32 v8, v9, v11 :: v_dual_add_f32 v9, v15, v14
	v_add_f32_e32 v11, v12, v8
	s_delay_alu instid0(VALU_DEP_2) | instskip(NEXT) | instid1(VALU_DEP_2)
	v_sub_f32_e32 v15, v9, v15
	v_dual_add_f32 v13, v9, v11 :: v_dual_sub_f32 v12, v11, v12
	s_delay_alu instid0(VALU_DEP_1) | instskip(NEXT) | instid1(VALU_DEP_1)
	v_dual_sub_f32 v14, v14, v15 :: v_dual_sub_f32 v17, v13, v9
	v_dual_sub_f32 v8, v8, v12 :: v_dual_sub_f32 v105, v13, v17
	s_delay_alu instid0(VALU_DEP_1) | instskip(NEXT) | instid1(VALU_DEP_2)
	v_dual_sub_f32 v11, v11, v17 :: v_dual_add_f32 v12, v14, v8
	v_sub_f32_e32 v9, v9, v105
	s_delay_alu instid0(VALU_DEP_1) | instskip(NEXT) | instid1(VALU_DEP_3)
	v_add_f32_e32 v9, v11, v9
	v_sub_f32_e32 v11, v12, v14
	s_delay_alu instid0(VALU_DEP_2) | instskip(NEXT) | instid1(VALU_DEP_2)
	v_add_f32_e32 v9, v12, v9
	v_sub_f32_e32 v12, v12, v11
	s_delay_alu instid0(VALU_DEP_2) | instskip(NEXT) | instid1(VALU_DEP_1)
	v_dual_sub_f32 v8, v8, v11 :: v_dual_add_f32 v15, v13, v9
	v_dual_sub_f32 v12, v14, v12 :: v_dual_sub_f32 v11, v15, v13
	s_delay_alu instid0(VALU_DEP_1) | instskip(NEXT) | instid1(VALU_DEP_1)
	v_dual_add_f32 v8, v8, v12 :: v_dual_sub_f32 v9, v9, v11
	v_add_f32_e32 v8, v8, v9
	s_delay_alu instid0(VALU_DEP_1) | instskip(NEXT) | instid1(VALU_DEP_1)
	v_add_f32_e32 v8, v15, v8
	v_cndmask_b32_e32 v111, v8, v10, vcc_lo
.LBB87_106:                             ;   in Loop: Header=BB87_12 Depth=1
	s_or_b32 exec_lo, exec_lo, s29
	v_lshrrev_b32_e32 v9, 16, v6
	v_lshrrev_b32_e32 v10, 16, v7
	;; [unrolled: 1-line block ×6, first 2 shown]
	v_cvt_f32_f16_e32 v8, v7
	v_cvt_f32_f16_e32 v7, v9
	;; [unrolled: 1-line block ×7, first 2 shown]
	v_lshrrev_b32_e32 v14, 16, v1
	v_lshrrev_b32_e32 v15, 16, v0
	v_cvt_f32_f16_e32 v6, v6
	v_cvt_f32_f16_e32 v5, v5
	;; [unrolled: 1-line block ×9, first 2 shown]
	v_dual_mul_f32 v105, s69, v8 :: v_dual_mul_f32 v106, s69, v7
	v_dual_mul_f32 v107, s69, v6 :: v_dual_mul_f32 v108, s69, v9
	v_dual_mul_f32 v109, s69, v5 :: v_dual_mul_f32 v110, s69, v10
	v_dual_mul_f32 v112, s69, v4 :: v_dual_mul_f32 v115, s69, v13
	v_dual_mul_f32 v113, s69, v12 :: v_dual_mul_f32 v114, s69, v3
	v_dual_mul_f32 v117, s69, v2 :: v_dual_mul_f32 v120, s69, v15
	v_dual_mul_f32 v118, s69, v14 :: v_dual_mul_f32 v119, s69, v1
	v_dual_mul_f32 v121, s69, v0 :: v_dual_mul_f32 v116, s69, v11
	s_and_b32 vcc_lo, exec_lo, s80
	s_barrier
	buffer_gl0_inv
	s_cbranch_vccz .LBB87_202
; %bb.107:                              ;   in Loop: Header=BB87_12 Depth=1
	v_dual_mul_f32 v122, v111, v11 :: v_dual_mul_f32 v127, v104, v8
	v_add_co_u32 v11, s28, s53, v16
	s_delay_alu instid0(VALU_DEP_1) | instskip(SKIP_1) | instid1(VALU_DEP_1)
	v_add_co_ci_u32_e64 v17, null, s74, 0, s28
	v_add_co_u32 v16, s28, s57, v16
	v_add_co_ci_u32_e64 v126, null, s75, 0, s28
	s_delay_alu instid0(VALU_DEP_4) | instskip(NEXT) | instid1(VALU_DEP_4)
	v_add_co_u32 v123, vcc_lo, v11, v89
	v_add_co_ci_u32_e32 v124, vcc_lo, 0, v17, vcc_lo
	s_delay_alu instid0(VALU_DEP_4) | instskip(NEXT) | instid1(VALU_DEP_4)
	v_add_co_u32 v125, vcc_lo, v16, v89
	v_add_co_ci_u32_e32 v126, vcc_lo, 0, v126, vcc_lo
	v_cmp_gt_u32_e32 vcc_lo, s40, v18
	s_cmp_lg_u32 s85, 0
	v_cmp_gt_u32_e64 s30, s40, v75
	s_cselect_b32 s51, -1, 0
	s_cmp_eq_u32 s85, s82
	v_cmp_gt_u32_e64 s31, s40, v76
	s_cselect_b32 s86, -1, 0
	s_or_b32 s28, s81, vcc_lo
	v_cmp_gt_u32_e32 vcc_lo, s40, v74
	v_cmp_gt_u32_e64 s33, s40, v77
	v_cmp_gt_u32_e64 s34, s40, v78
	;; [unrolled: 1-line block ×4, first 2 shown]
	s_or_b32 s29, s81, vcc_lo
	v_cmp_gt_u32_e32 vcc_lo, s40, v79
	v_cmp_gt_u32_e64 s38, s40, v82
	v_cmp_gt_u32_e64 s39, s40, v83
	;; [unrolled: 1-line block ×4, first 2 shown]
	s_or_b32 s35, s81, vcc_lo
	v_cmp_gt_u32_e32 vcc_lo, s40, v84
	v_cmp_gt_u32_e64 s43, s40, v87
	v_cmp_gt_u32_e64 s44, s40, v88
	v_dual_mul_f32 v128, v103, v7 :: v_dual_mul_f32 v129, v102, v6
	v_dual_mul_f32 v130, v101, v9 :: v_dual_mul_f32 v133, v98, v4
	;; [unrolled: 1-line block ×7, first 2 shown]
	s_mov_b32 s66, 0
	s_or_b32 s30, s81, s30
	s_or_b32 s31, s81, s31
	;; [unrolled: 1-line block ×8, first 2 shown]
	s_or_b32 s40, s81, vcc_lo
	s_or_b32 s41, s81, s41
	s_or_b32 s42, s81, s42
	;; [unrolled: 1-line block ×4, first 2 shown]
	s_mov_b32 s54, s66
	s_mov_b32 s58, s66
	;; [unrolled: 1-line block ×5, first 2 shown]
	s_branch .LBB87_109
.LBB87_108:                             ;   in Loop: Header=BB87_109 Depth=2
	s_or_b32 exec_lo, exec_lo, s45
	v_cndmask_b32_e64 v9, v171, v11, s11
	v_cndmask_b32_e64 v10, v170, v10, s11
	s_add_i32 s87, s87, -1
	s_add_i32 s88, s88, 8
	s_add_i32 s60, s60, s62
	v_fma_f32 v9, v9, v142, v15
	v_mul_f32_e32 v10, v10, v142
	s_add_i32 s58, s58, s56
	s_add_i32 s54, s54, s52
	;; [unrolled: 1-line block ×3, first 2 shown]
	v_cndmask_b32_e64 v9, v9, v15, s10
	v_cndmask_b32_e64 v10, v10, v142, s10
	s_cmp_eq_u32 s87, 0
	s_waitcnt lgkmcnt(0)
	s_delay_alu instid0(VALU_DEP_1) | instskip(NEXT) | instid1(VALU_DEP_1)
	v_fmac_f32_e32 v9, v8, v10
	v_fmac_f32_e32 v12, v9, v144
	s_delay_alu instid0(VALU_DEP_1) | instskip(NEXT) | instid1(VALU_DEP_1)
	v_fmac_f32_e32 v13, v12, v146
	v_fmac_f32_e32 v14, v13, v148
	v_fma_mix_f32 v121, v9, v4, v121 op_sel_hi:[0,1,0]
	s_delay_alu instid0(VALU_DEP_2) | instskip(SKIP_2) | instid1(VALU_DEP_3)
	v_fmac_f32_e32 v143, v14, v150
	v_fma_mix_f32 v120, v12, v4, v120 op_sel:[0,1,0] op_sel_hi:[0,1,0]
	v_fma_mix_f32 v118, v14, v5, v118 op_sel:[0,1,0] op_sel_hi:[0,1,0]
	v_fmac_f32_e32 v145, v143, v151
	v_fma_mix_f32 v117, v143, v6, v117 op_sel_hi:[0,1,0]
	s_delay_alu instid0(VALU_DEP_2) | instskip(SKIP_1) | instid1(VALU_DEP_2)
	v_fmac_f32_e32 v147, v145, v153
	v_fma_mix_f32 v115, v145, v6, v115 op_sel:[0,1,0] op_sel_hi:[0,1,0]
	v_fmac_f32_e32 v149, v147, v156
	s_delay_alu instid0(VALU_DEP_1) | instskip(SKIP_1) | instid1(VALU_DEP_2)
	v_fmac_f32_e32 v152, v149, v157
	v_fma_mix_f32 v119, v13, v5, v119 op_sel_hi:[0,1,0]
	v_fmac_f32_e32 v154, v152, v158
	v_fma_mix_f32 v114, v147, v7, v114 op_sel_hi:[0,1,0]
	v_fma_mix_f32 v112, v152, v0, v112 op_sel_hi:[0,1,0]
	s_delay_alu instid0(VALU_DEP_3) | instskip(SKIP_1) | instid1(VALU_DEP_2)
	v_fmac_f32_e32 v155, v154, v159
	v_fma_mix_f32 v110, v154, v0, v110 op_sel:[0,1,0] op_sel_hi:[0,1,0]
	v_fmac_f32_e32 v160, v155, v166
	v_fma_mix_f32 v109, v155, v1, v109 op_sel_hi:[0,1,0]
	s_delay_alu instid0(VALU_DEP_2) | instskip(NEXT) | instid1(VALU_DEP_1)
	v_fmac_f32_e32 v161, v160, v163
	v_fmac_f32_e32 v162, v161, v165
	v_fma_mix_f32 v113, v149, v7, v113 op_sel:[0,1,0] op_sel_hi:[0,1,0]
	s_delay_alu instid0(VALU_DEP_2) | instskip(SKIP_2) | instid1(VALU_DEP_3)
	v_fmac_f32_e32 v164, v162, v168
	v_fma_mix_f32 v107, v161, v2, v107 op_sel_hi:[0,1,0]
	v_fma_mix_f32 v106, v162, v2, v106 op_sel:[0,1,0] op_sel_hi:[0,1,0]
	v_fmac_f32_e32 v167, v164, v169
	v_fma_mix_f32 v108, v160, v1, v108 op_sel:[0,1,0] op_sel_hi:[0,1,0]
	v_fma_mix_f32 v105, v164, v3, v105 op_sel_hi:[0,1,0]
	s_delay_alu instid0(VALU_DEP_3)
	v_fma_mix_f32 v116, v167, v3, v116 op_sel:[0,1,0] op_sel_hi:[0,1,0]
	s_cbranch_scc1 .LBB87_202
.LBB87_109:                             ;   Parent Loop BB87_12 Depth=1
                                        ; =>  This Inner Loop Header: Depth=2
	s_lshl_b64 s[90:91], s[66:67], 2
	s_mov_b32 s55, s67
	s_add_u32 s90, s73, s90
	s_addc_u32 s91, s63, s91
	v_dual_mov_b32 v2, 0 :: v_dual_mov_b32 v3, 0
	global_load_b32 v142, v21, s[90:91]
	s_lshl_b64 s[90:91], s[54:55], 1
	s_delay_alu instid0(SALU_CYCLE_1)
	v_add_co_u32 v0, vcc_lo, v123, s90
	v_add_co_ci_u32_e32 v1, vcc_lo, s91, v124, vcc_lo
	s_and_saveexec_b32 s45, s12
	s_cbranch_execnz .LBB87_145
; %bb.110:                              ;   in Loop: Header=BB87_109 Depth=2
	s_or_b32 exec_lo, exec_lo, s45
	s_and_saveexec_b32 s45, s13
	s_cbranch_execnz .LBB87_146
.LBB87_111:                             ;   in Loop: Header=BB87_109 Depth=2
	s_or_b32 exec_lo, exec_lo, s45
	v_mov_b32_e32 v4, 0
	s_and_saveexec_b32 s45, s14
	s_cbranch_execnz .LBB87_147
.LBB87_112:                             ;   in Loop: Header=BB87_109 Depth=2
	s_or_b32 exec_lo, exec_lo, s45
	s_and_saveexec_b32 s45, s15
	s_cbranch_execnz .LBB87_148
.LBB87_113:                             ;   in Loop: Header=BB87_109 Depth=2
	s_or_b32 exec_lo, exec_lo, s45
	v_mov_b32_e32 v5, 0
	s_and_saveexec_b32 s45, s16
	s_cbranch_execnz .LBB87_149
.LBB87_114:                             ;   in Loop: Header=BB87_109 Depth=2
	s_or_b32 exec_lo, exec_lo, s45
	s_and_saveexec_b32 s45, s17
	s_cbranch_execnz .LBB87_150
.LBB87_115:                             ;   in Loop: Header=BB87_109 Depth=2
	s_or_b32 exec_lo, exec_lo, s45
	v_mov_b32_e32 v6, 0
	s_and_saveexec_b32 s45, s18
	s_cbranch_execnz .LBB87_151
.LBB87_116:                             ;   in Loop: Header=BB87_109 Depth=2
	s_or_b32 exec_lo, exec_lo, s45
	s_and_saveexec_b32 s45, s19
	s_cbranch_execnz .LBB87_152
.LBB87_117:                             ;   in Loop: Header=BB87_109 Depth=2
	s_or_b32 exec_lo, exec_lo, s45
	v_mov_b32_e32 v7, 0
	s_and_saveexec_b32 s45, s20
	s_cbranch_execnz .LBB87_153
.LBB87_118:                             ;   in Loop: Header=BB87_109 Depth=2
	s_or_b32 exec_lo, exec_lo, s45
	s_and_saveexec_b32 s45, s21
	s_cbranch_execnz .LBB87_154
.LBB87_119:                             ;   in Loop: Header=BB87_109 Depth=2
	s_or_b32 exec_lo, exec_lo, s45
	v_mov_b32_e32 v8, 0
	s_and_saveexec_b32 s45, s22
	s_cbranch_execnz .LBB87_155
.LBB87_120:                             ;   in Loop: Header=BB87_109 Depth=2
	s_or_b32 exec_lo, exec_lo, s45
	s_and_saveexec_b32 s45, s23
	s_cbranch_execnz .LBB87_156
.LBB87_121:                             ;   in Loop: Header=BB87_109 Depth=2
	s_or_b32 exec_lo, exec_lo, s45
	v_mov_b32_e32 v9, 0
	s_and_saveexec_b32 s45, s24
	s_cbranch_execnz .LBB87_157
.LBB87_122:                             ;   in Loop: Header=BB87_109 Depth=2
	s_or_b32 exec_lo, exec_lo, s45
	s_and_saveexec_b32 s45, s25
	s_cbranch_execnz .LBB87_158
.LBB87_123:                             ;   in Loop: Header=BB87_109 Depth=2
	s_or_b32 exec_lo, exec_lo, s45
	v_mov_b32_e32 v10, 0
	s_and_saveexec_b32 s45, s26
	s_cbranch_execnz .LBB87_159
.LBB87_124:                             ;   in Loop: Header=BB87_109 Depth=2
	s_or_b32 exec_lo, exec_lo, s45
	s_and_saveexec_b32 s45, s27
	s_cbranch_execz .LBB87_126
.LBB87_125:                             ;   in Loop: Header=BB87_109 Depth=2
	global_load_u16 v0, v[0:1], off offset:960
	s_waitcnt vmcnt(0)
	v_lshl_or_b32 v10, v0, 16, v10
.LBB87_126:                             ;   in Loop: Header=BB87_109 Depth=2
	s_or_b32 exec_lo, exec_lo, s45
	s_waitcnt vmcnt(0)
	ds_store_b16 v37, v3
	ds_store_b16 v37, v2 offset:64
	ds_store_b16 v38, v4 offset:128
	ds_store_b16_d16_hi v39, v4 offset:192
	ds_store_b16 v40, v5 offset:256
	ds_store_b16_d16_hi v41, v5 offset:320
	;; [unrolled: 2-line block ×7, first 2 shown]
	; wave barrier
	ds_load_b128 v[12:15], v52
	ds_load_b128 v[8:11], v52 offset:16
	s_mov_b32 s59, s67
	v_dual_mov_b32 v2, 0 :: v_dual_mov_b32 v3, 0
	s_lshl_b64 s[90:91], s[58:59], 1
	s_delay_alu instid0(SALU_CYCLE_1)
	v_add_co_u32 v0, vcc_lo, v125, s90
	v_add_co_ci_u32_e32 v1, vcc_lo, s91, v126, vcc_lo
	s_and_saveexec_b32 s45, s12
	s_cbranch_execnz .LBB87_160
; %bb.127:                              ;   in Loop: Header=BB87_109 Depth=2
	s_or_b32 exec_lo, exec_lo, s45
	s_and_saveexec_b32 s45, s13
	s_cbranch_execnz .LBB87_161
.LBB87_128:                             ;   in Loop: Header=BB87_109 Depth=2
	s_or_b32 exec_lo, exec_lo, s45
	v_mov_b32_e32 v4, 0
	s_and_saveexec_b32 s45, s14
	s_cbranch_execnz .LBB87_162
.LBB87_129:                             ;   in Loop: Header=BB87_109 Depth=2
	s_or_b32 exec_lo, exec_lo, s45
	s_and_saveexec_b32 s45, s15
	s_cbranch_execnz .LBB87_163
.LBB87_130:                             ;   in Loop: Header=BB87_109 Depth=2
	s_or_b32 exec_lo, exec_lo, s45
	v_mov_b32_e32 v5, 0
	s_and_saveexec_b32 s45, s16
	s_cbranch_execnz .LBB87_164
.LBB87_131:                             ;   in Loop: Header=BB87_109 Depth=2
	s_or_b32 exec_lo, exec_lo, s45
	s_and_saveexec_b32 s45, s17
	s_cbranch_execnz .LBB87_165
.LBB87_132:                             ;   in Loop: Header=BB87_109 Depth=2
	s_or_b32 exec_lo, exec_lo, s45
	v_mov_b32_e32 v6, 0
	s_and_saveexec_b32 s45, s18
	s_cbranch_execnz .LBB87_166
.LBB87_133:                             ;   in Loop: Header=BB87_109 Depth=2
	s_or_b32 exec_lo, exec_lo, s45
	s_and_saveexec_b32 s45, s19
	s_cbranch_execnz .LBB87_167
.LBB87_134:                             ;   in Loop: Header=BB87_109 Depth=2
	s_or_b32 exec_lo, exec_lo, s45
	v_mov_b32_e32 v7, 0
	s_and_saveexec_b32 s45, s20
	s_cbranch_execnz .LBB87_168
.LBB87_135:                             ;   in Loop: Header=BB87_109 Depth=2
	s_or_b32 exec_lo, exec_lo, s45
	s_and_saveexec_b32 s45, s21
	s_cbranch_execnz .LBB87_169
.LBB87_136:                             ;   in Loop: Header=BB87_109 Depth=2
	s_or_b32 exec_lo, exec_lo, s45
	v_mov_b32_e32 v16, 0
	s_and_saveexec_b32 s45, s22
	s_cbranch_execnz .LBB87_170
.LBB87_137:                             ;   in Loop: Header=BB87_109 Depth=2
	s_or_b32 exec_lo, exec_lo, s45
	s_and_saveexec_b32 s45, s23
	s_cbranch_execnz .LBB87_171
.LBB87_138:                             ;   in Loop: Header=BB87_109 Depth=2
	s_or_b32 exec_lo, exec_lo, s45
	v_mov_b32_e32 v17, 0
	s_and_saveexec_b32 s45, s24
	s_cbranch_execnz .LBB87_172
.LBB87_139:                             ;   in Loop: Header=BB87_109 Depth=2
	s_or_b32 exec_lo, exec_lo, s45
	s_and_saveexec_b32 s45, s25
	s_cbranch_execnz .LBB87_173
.LBB87_140:                             ;   in Loop: Header=BB87_109 Depth=2
	s_or_b32 exec_lo, exec_lo, s45
	v_mov_b32_e32 v143, 0
	s_and_saveexec_b32 s45, s26
	s_cbranch_execnz .LBB87_174
.LBB87_141:                             ;   in Loop: Header=BB87_109 Depth=2
	s_or_b32 exec_lo, exec_lo, s45
	s_and_saveexec_b32 s45, s27
	s_cbranch_execz .LBB87_143
.LBB87_142:                             ;   in Loop: Header=BB87_109 Depth=2
	global_load_u16 v0, v[0:1], off offset:960
	s_waitcnt vmcnt(0)
	v_lshl_or_b32 v143, v0, 16, v143
.LBB87_143:                             ;   in Loop: Header=BB87_109 Depth=2
	s_or_b32 exec_lo, exec_lo, s45
	s_waitcnt vmcnt(0)
	ds_store_b16 v37, v3 offset:2112
	ds_store_b16 v53, v2 offset:64
	ds_store_b16 v54, v4 offset:128
	ds_store_b16_d16_hi v55, v4 offset:192
	ds_store_b16 v56, v5 offset:256
	ds_store_b16_d16_hi v57, v5 offset:320
	ds_store_b16 v58, v6 offset:384
	ds_store_b16_d16_hi v59, v6 offset:448
	ds_store_b16 v60, v7 offset:512
	ds_store_b16_d16_hi v61, v7 offset:576
	ds_store_b16 v62, v16 offset:640
	ds_store_b16_d16_hi v63, v16 offset:704
	ds_store_b16 v64, v17 offset:768
	ds_store_b16_d16_hi v65, v17 offset:832
	ds_store_b16 v66, v143 offset:896
	ds_store_b16_d16_hi v67, v143 offset:960
	; wave barrier
	ds_load_b128 v[4:7], v52 offset:2112
	ds_load_b128 v[0:3], v68 offset:16
	s_and_not1_b32 vcc_lo, exec_lo, s51
	s_cbranch_vccnz .LBB87_175
; %bb.144:                              ;   in Loop: Header=BB87_109 Depth=2
	v_mov_b32_e32 v16, s88
	ds_load_b64 v[16:17], v16
	s_cbranch_execz .LBB87_176
	s_branch .LBB87_179
.LBB87_145:                             ;   in Loop: Header=BB87_109 Depth=2
	global_load_u16 v3, v[0:1], off
	s_or_b32 exec_lo, exec_lo, s45
	s_and_saveexec_b32 s45, s13
	s_cbranch_execz .LBB87_111
.LBB87_146:                             ;   in Loop: Header=BB87_109 Depth=2
	global_load_u16 v2, v[0:1], off offset:64
	s_or_b32 exec_lo, exec_lo, s45
	v_mov_b32_e32 v4, 0
	s_and_saveexec_b32 s45, s14
	s_cbranch_execz .LBB87_112
.LBB87_147:                             ;   in Loop: Header=BB87_109 Depth=2
	global_load_u16 v4, v[0:1], off offset:128
	s_or_b32 exec_lo, exec_lo, s45
	s_and_saveexec_b32 s45, s15
	s_cbranch_execz .LBB87_113
.LBB87_148:                             ;   in Loop: Header=BB87_109 Depth=2
	global_load_u16 v5, v[0:1], off offset:192
	s_waitcnt vmcnt(0)
	v_lshl_or_b32 v4, v5, 16, v4
	s_or_b32 exec_lo, exec_lo, s45
	v_mov_b32_e32 v5, 0
	s_and_saveexec_b32 s45, s16
	s_cbranch_execz .LBB87_114
.LBB87_149:                             ;   in Loop: Header=BB87_109 Depth=2
	global_load_u16 v5, v[0:1], off offset:256
	s_or_b32 exec_lo, exec_lo, s45
	s_and_saveexec_b32 s45, s17
	s_cbranch_execz .LBB87_115
.LBB87_150:                             ;   in Loop: Header=BB87_109 Depth=2
	global_load_u16 v6, v[0:1], off offset:320
	s_waitcnt vmcnt(0)
	v_lshl_or_b32 v5, v6, 16, v5
	s_or_b32 exec_lo, exec_lo, s45
	v_mov_b32_e32 v6, 0
	s_and_saveexec_b32 s45, s18
	s_cbranch_execz .LBB87_116
.LBB87_151:                             ;   in Loop: Header=BB87_109 Depth=2
	global_load_u16 v6, v[0:1], off offset:384
	s_or_b32 exec_lo, exec_lo, s45
	s_and_saveexec_b32 s45, s19
	s_cbranch_execz .LBB87_117
.LBB87_152:                             ;   in Loop: Header=BB87_109 Depth=2
	global_load_u16 v7, v[0:1], off offset:448
	s_waitcnt vmcnt(0)
	v_lshl_or_b32 v6, v7, 16, v6
	s_or_b32 exec_lo, exec_lo, s45
	v_mov_b32_e32 v7, 0
	s_and_saveexec_b32 s45, s20
	s_cbranch_execz .LBB87_118
.LBB87_153:                             ;   in Loop: Header=BB87_109 Depth=2
	global_load_u16 v7, v[0:1], off offset:512
	s_or_b32 exec_lo, exec_lo, s45
	s_and_saveexec_b32 s45, s21
	s_cbranch_execz .LBB87_119
.LBB87_154:                             ;   in Loop: Header=BB87_109 Depth=2
	global_load_u16 v8, v[0:1], off offset:576
	s_waitcnt vmcnt(0)
	v_lshl_or_b32 v7, v8, 16, v7
	s_or_b32 exec_lo, exec_lo, s45
	v_mov_b32_e32 v8, 0
	s_and_saveexec_b32 s45, s22
	s_cbranch_execz .LBB87_120
.LBB87_155:                             ;   in Loop: Header=BB87_109 Depth=2
	global_load_u16 v8, v[0:1], off offset:640
	s_or_b32 exec_lo, exec_lo, s45
	s_and_saveexec_b32 s45, s23
	s_cbranch_execz .LBB87_121
.LBB87_156:                             ;   in Loop: Header=BB87_109 Depth=2
	global_load_u16 v9, v[0:1], off offset:704
	s_waitcnt vmcnt(0)
	v_lshl_or_b32 v8, v9, 16, v8
	s_or_b32 exec_lo, exec_lo, s45
	v_mov_b32_e32 v9, 0
	s_and_saveexec_b32 s45, s24
	s_cbranch_execz .LBB87_122
.LBB87_157:                             ;   in Loop: Header=BB87_109 Depth=2
	global_load_u16 v9, v[0:1], off offset:768
	s_or_b32 exec_lo, exec_lo, s45
	s_and_saveexec_b32 s45, s25
	s_cbranch_execz .LBB87_123
.LBB87_158:                             ;   in Loop: Header=BB87_109 Depth=2
	global_load_u16 v10, v[0:1], off offset:832
	s_waitcnt vmcnt(0)
	v_lshl_or_b32 v9, v10, 16, v9
	s_or_b32 exec_lo, exec_lo, s45
	v_mov_b32_e32 v10, 0
	s_and_saveexec_b32 s45, s26
	s_cbranch_execz .LBB87_124
.LBB87_159:                             ;   in Loop: Header=BB87_109 Depth=2
	global_load_u16 v10, v[0:1], off offset:896
	s_or_b32 exec_lo, exec_lo, s45
	s_and_saveexec_b32 s45, s27
	s_cbranch_execnz .LBB87_125
	s_branch .LBB87_126
.LBB87_160:                             ;   in Loop: Header=BB87_109 Depth=2
	global_load_u16 v3, v[0:1], off
	s_or_b32 exec_lo, exec_lo, s45
	s_and_saveexec_b32 s45, s13
	s_cbranch_execz .LBB87_128
.LBB87_161:                             ;   in Loop: Header=BB87_109 Depth=2
	global_load_u16 v2, v[0:1], off offset:64
	s_or_b32 exec_lo, exec_lo, s45
	v_mov_b32_e32 v4, 0
	s_and_saveexec_b32 s45, s14
	s_cbranch_execz .LBB87_129
.LBB87_162:                             ;   in Loop: Header=BB87_109 Depth=2
	global_load_u16 v4, v[0:1], off offset:128
	s_or_b32 exec_lo, exec_lo, s45
	s_and_saveexec_b32 s45, s15
	s_cbranch_execz .LBB87_130
.LBB87_163:                             ;   in Loop: Header=BB87_109 Depth=2
	global_load_u16 v5, v[0:1], off offset:192
	s_waitcnt vmcnt(0)
	v_lshl_or_b32 v4, v5, 16, v4
	s_or_b32 exec_lo, exec_lo, s45
	v_mov_b32_e32 v5, 0
	s_and_saveexec_b32 s45, s16
	s_cbranch_execz .LBB87_131
.LBB87_164:                             ;   in Loop: Header=BB87_109 Depth=2
	global_load_u16 v5, v[0:1], off offset:256
	s_or_b32 exec_lo, exec_lo, s45
	s_and_saveexec_b32 s45, s17
	s_cbranch_execz .LBB87_132
.LBB87_165:                             ;   in Loop: Header=BB87_109 Depth=2
	global_load_u16 v6, v[0:1], off offset:320
	s_waitcnt vmcnt(0)
	v_lshl_or_b32 v5, v6, 16, v5
	s_or_b32 exec_lo, exec_lo, s45
	v_mov_b32_e32 v6, 0
	s_and_saveexec_b32 s45, s18
	s_cbranch_execz .LBB87_133
.LBB87_166:                             ;   in Loop: Header=BB87_109 Depth=2
	global_load_u16 v6, v[0:1], off offset:384
	s_or_b32 exec_lo, exec_lo, s45
	s_and_saveexec_b32 s45, s19
	s_cbranch_execz .LBB87_134
.LBB87_167:                             ;   in Loop: Header=BB87_109 Depth=2
	global_load_u16 v7, v[0:1], off offset:448
	s_waitcnt vmcnt(0)
	v_lshl_or_b32 v6, v7, 16, v6
	s_or_b32 exec_lo, exec_lo, s45
	v_mov_b32_e32 v7, 0
	s_and_saveexec_b32 s45, s20
	s_cbranch_execz .LBB87_135
.LBB87_168:                             ;   in Loop: Header=BB87_109 Depth=2
	global_load_u16 v7, v[0:1], off offset:512
	s_or_b32 exec_lo, exec_lo, s45
	s_and_saveexec_b32 s45, s21
	s_cbranch_execz .LBB87_136
.LBB87_169:                             ;   in Loop: Header=BB87_109 Depth=2
	global_load_u16 v16, v[0:1], off offset:576
	s_waitcnt vmcnt(0)
	v_lshl_or_b32 v7, v16, 16, v7
	s_or_b32 exec_lo, exec_lo, s45
	v_mov_b32_e32 v16, 0
	s_and_saveexec_b32 s45, s22
	s_cbranch_execz .LBB87_137
.LBB87_170:                             ;   in Loop: Header=BB87_109 Depth=2
	global_load_u16 v16, v[0:1], off offset:640
	s_or_b32 exec_lo, exec_lo, s45
	s_and_saveexec_b32 s45, s23
	s_cbranch_execz .LBB87_138
.LBB87_171:                             ;   in Loop: Header=BB87_109 Depth=2
	global_load_u16 v17, v[0:1], off offset:704
	s_waitcnt vmcnt(0)
	v_lshl_or_b32 v16, v17, 16, v16
	s_or_b32 exec_lo, exec_lo, s45
	v_mov_b32_e32 v17, 0
	s_and_saveexec_b32 s45, s24
	s_cbranch_execz .LBB87_139
.LBB87_172:                             ;   in Loop: Header=BB87_109 Depth=2
	global_load_u16 v17, v[0:1], off offset:768
	s_or_b32 exec_lo, exec_lo, s45
	s_and_saveexec_b32 s45, s25
	s_cbranch_execz .LBB87_140
.LBB87_173:                             ;   in Loop: Header=BB87_109 Depth=2
	global_load_u16 v143, v[0:1], off offset:832
	s_waitcnt vmcnt(0)
	v_lshl_or_b32 v17, v143, 16, v17
	s_or_b32 exec_lo, exec_lo, s45
	v_mov_b32_e32 v143, 0
	s_and_saveexec_b32 s45, s26
	s_cbranch_execz .LBB87_141
.LBB87_174:                             ;   in Loop: Header=BB87_109 Depth=2
	global_load_u16 v143, v[0:1], off offset:896
	s_or_b32 exec_lo, exec_lo, s45
	s_and_saveexec_b32 s45, s27
	s_cbranch_execnz .LBB87_142
	s_branch .LBB87_143
.LBB87_175:                             ;   in Loop: Header=BB87_109 Depth=2
                                        ; implicit-def: $vgpr16
.LBB87_176:                             ;   in Loop: Header=BB87_109 Depth=2
	s_waitcnt lgkmcnt(0)
	v_mov_b32_e32 v17, 0
	s_and_not1_b32 vcc_lo, exec_lo, s47
	s_cbranch_vccnz .LBB87_178
; %bb.177:                              ;   in Loop: Header=BB87_109 Depth=2
	s_mov_b32 s61, s67
	s_delay_alu instid0(SALU_CYCLE_1) | instskip(NEXT) | instid1(SALU_CYCLE_1)
	s_lshl_b64 s[90:91], s[60:61], 1
	s_add_u32 s90, s76, s90
	s_addc_u32 s91, s77, s91
	global_load_u16 v16, v21, s[90:91]
	s_waitcnt vmcnt(0)
	v_cvt_f32_f16_e32 v17, v16
.LBB87_178:                             ;   in Loop: Header=BB87_109 Depth=2
	v_mov_b32_e32 v16, 1.0
.LBB87_179:                             ;   in Loop: Header=BB87_109 Depth=2
	v_mul_f32_e32 v164, 0x3fb8aa3b, v142
	s_waitcnt lgkmcnt(19)
	v_lshrrev_b32_e32 v144, 16, v13
	v_lshrrev_b32_e32 v145, 16, v14
	v_cvt_f32_f16_e32 v13, v13
	v_cvt_f32_f16_e64 v152, v14
	v_mul_f32_e32 v14, v164, v90
	v_lshrrev_b32_e32 v143, 16, v12
	v_lshrrev_b32_e32 v146, 16, v15
	v_mul_f32_e32 v13, v139, v13
	v_cvt_f32_f16_e32 v12, v12
	v_cmp_gt_f32_e32 vcc_lo, 0xc2fc0000, v14
	v_cvt_f32_f16_e64 v153, v15
	v_mul_f32_e32 v15, v164, v91
	v_cvt_f32_f16_e64 v151, v144
	v_mul_f32_e32 v12, v141, v12
	v_cndmask_b32_e64 v14, 0, 0x42800000, vcc_lo
	v_mul_f32_e32 v142, v164, v92
	v_cmp_gt_f32_e64 s45, 0xc2fc0000, v15
	v_cndmask_b32_e64 v144, 1.0, 0x1f800000, vcc_lo
	s_waitcnt lgkmcnt(18)
	v_lshrrev_b32_e32 v147, 16, v8
	v_fmac_f32_e32 v14, v164, v90
	v_cvt_f32_f16_e64 v143, v143
	v_cndmask_b32_e64 v15, 0, 0x42800000, s45
	v_cvt_f32_f16_e64 v154, v146
	v_cmp_gt_f32_e32 vcc_lo, 0xc2fc0000, v142
	v_exp_f32_e32 v14, v14
	v_mul_f32_e32 v142, v164, v93
	v_fmac_f32_e32 v15, v164, v91
	v_cvt_f32_f16_e64 v155, v147
	v_cndmask_b32_e64 v147, 0, 0x42800000, vcc_lo
	v_lshrrev_b32_e32 v148, 16, v9
	v_lshrrev_b32_e32 v149, 16, v10
	;; [unrolled: 1-line block ×3, first 2 shown]
	v_cvt_f32_f16_e32 v9, v9
	v_cvt_f32_f16_e32 v8, v8
	v_mul_f32_e32 v14, v14, v144
	v_exp_f32_e32 v146, v15
	v_cndmask_b32_e64 v15, 0, v12, s28
	v_cndmask_b32_e64 v12, 1.0, 0x1f800000, s45
	v_cmp_gt_f32_e64 s45, 0xc2fc0000, v142
	v_cndmask_b32_e64 v142, 1.0, v14, s28
	v_mul_f32_e32 v14, v140, v143
	v_cvt_f32_f16_e64 v160, v148
	v_cvt_f32_f16_e64 v162, v149
	v_cndmask_b32_e64 v144, 0, 0x42800000, s45
	v_cvt_f32_f16_e64 v167, v150
	v_mul_f32_e32 v143, v146, v12
	v_cndmask_b32_e64 v12, 0, v14, s29
	v_cndmask_b32_e64 v14, 1.0, 0x1f800000, vcc_lo
	v_fmac_f32_e32 v147, v164, v92
	v_fmac_f32_e32 v144, v164, v93
	v_dual_mul_f32 v149, v164, v95 :: v_dual_mul_f32 v154, v134, v154
	v_dual_mul_f32 v150, v164, v96 :: v_dual_mul_f32 v9, v131, v9
	s_delay_alu instid0(VALU_DEP_4)
	v_exp_f32_e32 v146, v147
	v_mul_f32_e32 v147, v164, v94
	v_exp_f32_e32 v148, v144
	v_cndmask_b32_e64 v144, 1.0, v143, s29
	v_cndmask_b32_e64 v143, 1.0, 0x1f800000, s45
	v_cmp_gt_f32_e64 s45, 0xc2fc0000, v149
	v_cvt_f32_f16_e32 v10, v10
	v_cvt_f32_f16_e32 v11, v11
	v_mul_f32_e32 v165, v164, v102
	s_delay_alu instid0(TRANS32_DEP_2) | instskip(SKIP_1) | instid1(TRANS32_DEP_1)
	v_dual_mul_f32 v155, v132, v155 :: v_dual_mul_f32 v14, v146, v14
	v_cndmask_b32_e64 v149, 0, 0x42800000, s45
	v_dual_mul_f32 v143, v148, v143 :: v_dual_mul_f32 v10, v129, v10
	v_cndmask_b32_e64 v13, 0, v13, s30
	s_delay_alu instid0(VALU_DEP_4)
	v_cndmask_b32_e64 v146, 1.0, v14, s30
	v_mul_f32_e32 v14, v138, v151
	v_cmp_gt_f32_e32 vcc_lo, 0xc2fc0000, v147
	v_cndmask_b32_e64 v148, 1.0, v143, s31
	v_dual_fmac_f32 v149, v164, v95 :: v_dual_mul_f32 v8, v133, v8
	v_mul_f32_e32 v151, v164, v97
	v_cndmask_b32_e64 v147, 0, 0x42800000, vcc_lo
	v_cndmask_b32_e64 v143, 1.0, 0x1f800000, vcc_lo
	v_cmp_gt_f32_e32 vcc_lo, 0xc2fc0000, v150
	v_exp_f32_e32 v149, v149
	v_cmp_gt_f32_e64 s46, 0xc2fc0000, v151
	v_fmac_f32_e32 v147, v164, v94
	v_mul_f32_e32 v158, v164, v99
	v_cndmask_b32_e64 v150, 0, 0x42800000, vcc_lo
	v_cvt_f32_f16_e64 v145, v145
	v_cndmask_b32_e64 v151, 0, 0x42800000, s46
	v_exp_f32_e32 v147, v147
	v_cndmask_b32_e64 v14, 0, v14, s31
	v_dual_fmac_f32 v150, v164, v96 :: v_dual_mul_f32 v11, v127, v11
	s_delay_alu instid0(VALU_DEP_3) | instskip(SKIP_2) | instid1(VALU_DEP_4)
	v_fmac_f32_e32 v151, v164, v97
	v_mul_f32_e32 v166, v164, v103
	v_mul_f32_e32 v162, v128, v162
	v_exp_f32_e32 v156, v150
	s_delay_alu instid0(TRANS32_DEP_2)
	v_mul_f32_e32 v147, v147, v143
	v_mul_f32_e32 v143, v137, v152
	v_cndmask_b32_e64 v152, 1.0, 0x1f800000, s45
	v_cmp_gt_f32_e64 s45, 0xc2fc0000, v158
	v_mul_f32_e32 v158, v164, v101
	v_cndmask_b32_e64 v150, 1.0, v147, s33
	v_cndmask_b32_e64 v143, 0, v143, s33
	v_mul_f32_e32 v147, v149, v152
	v_cndmask_b32_e64 v149, 1.0, 0x1f800000, vcc_lo
	v_exp_f32_e32 v152, v151
	v_cndmask_b32_e64 v162, 0, v162, s42
	s_delay_alu instid0(VALU_DEP_3) | instskip(NEXT) | instid1(VALU_DEP_3)
	v_cndmask_b32_e64 v151, 1.0, v147, s34
	v_mul_f32_e32 v149, v156, v149
	v_mul_f32_e32 v147, v135, v153
	v_cndmask_b32_e64 v156, 1.0, 0x1f800000, s46
	s_delay_alu instid0(VALU_DEP_3)
	v_cndmask_b32_e64 v153, 1.0, v149, s35
	v_mul_f32_e32 v157, v164, v98
	v_cndmask_b32_e64 v149, 0, v154, s36
	v_mul_f32_e32 v154, v164, v100
	v_mul_f32_e32 v152, v152, v156
	v_cndmask_b32_e64 v147, 0, v147, s35
	v_cmp_gt_f32_e32 vcc_lo, 0xc2fc0000, v157
	s_delay_alu instid0(VALU_DEP_4) | instskip(NEXT) | instid1(VALU_DEP_4)
	v_cmp_gt_f32_e64 s46, 0xc2fc0000, v154
	v_cndmask_b32_e64 v156, 1.0, v152, s36
	v_cndmask_b32_e64 v157, 0, 0x42800000, vcc_lo
	v_cndmask_b32_e64 v159, 1.0, 0x1f800000, vcc_lo
	s_delay_alu instid0(VALU_DEP_4) | instskip(SKIP_1) | instid1(VALU_DEP_4)
	v_cndmask_b32_e64 v154, 0, 0x42800000, s46
	v_cmp_gt_f32_e32 vcc_lo, 0xc2fc0000, v158
	v_fmac_f32_e32 v157, v164, v98
	s_delay_alu instid0(VALU_DEP_3) | instskip(SKIP_1) | instid1(VALU_DEP_3)
	v_fmac_f32_e32 v154, v164, v100
	v_cndmask_b32_e64 v158, 0, 0x42800000, vcc_lo
	v_exp_f32_e32 v152, v157
	v_cndmask_b32_e64 v157, 0, 0x42800000, s45
	s_delay_alu instid0(VALU_DEP_2) | instskip(NEXT) | instid1(VALU_DEP_2)
	v_fmac_f32_e32 v158, v164, v101
	v_fmac_f32_e32 v157, v164, v99
	s_delay_alu instid0(VALU_DEP_2) | instskip(NEXT) | instid1(VALU_DEP_1)
	v_exp_f32_e32 v163, v158
	v_exp_f32_e32 v161, v157
	s_delay_alu instid0(TRANS32_DEP_3)
	v_mul_f32_e32 v157, v152, v159
	v_cndmask_b32_e64 v152, 0, v8, s37
	v_exp_f32_e32 v8, v154
	v_cndmask_b32_e64 v154, 1.0, 0x1f800000, s45
	v_cndmask_b32_e64 v159, 1.0, 0x1f800000, s46
	v_cmp_gt_f32_e64 s45, 0xc2fc0000, v166
	v_cndmask_b32_e64 v157, 1.0, v157, s37
	s_delay_alu instid0(TRANS32_DEP_2) | instid1(VALU_DEP_4)
	v_mul_f32_e32 v158, v161, v154
	v_cndmask_b32_e64 v161, 1.0, 0x1f800000, vcc_lo
	v_cmp_gt_f32_e32 vcc_lo, 0xc2fc0000, v165
	s_delay_alu instid0(TRANS32_DEP_1)
	v_mul_f32_e32 v8, v8, v159
	v_cndmask_b32_e64 v154, 0, v155, s38
	v_cndmask_b32_e64 v155, 0, v9, s39
	v_mul_f32_e32 v9, v130, v160
	v_fma_f32 v165, v144, v15, v12
	v_cndmask_b32_e64 v159, 1.0, v8, s39
	v_mul_f32_e32 v8, v163, v161
	v_cndmask_b32_e64 v161, 0, 0x42800000, vcc_lo
	v_mul_f32_e32 v163, v144, v142
	v_cndmask_b32_e64 v160, 0, v9, s40
	v_cndmask_b32_e64 v158, 1.0, v158, s38
	v_cndmask_b32_e64 v166, 1.0, v8, s40
	v_fmac_f32_e32 v161, v164, v102
	v_mul_f32_e32 v9, v163, v146
	v_fma_f32 v163, v165, v146, v13
	v_cndmask_b32_e64 v8, 1.0, 0x1f800000, vcc_lo
	v_cndmask_b32_e64 v165, 0, 0x42800000, s45
	v_exp_f32_e32 v161, v161
	v_mul_f32_e32 v145, v136, v145
	v_mul_f32_e32 v9, v9, v148
	v_fma_f32 v163, v163, v148, v14
	v_fmac_f32_e32 v165, v164, v103
	s_delay_alu instid0(VALU_DEP_3) | instskip(NEXT) | instid1(VALU_DEP_3)
	v_mul_f32_e32 v9, v9, v150
	v_fma_f32 v163, v163, v150, v143
	s_delay_alu instid0(VALU_DEP_3) | instskip(NEXT) | instid1(TRANS32_DEP_2)
	v_exp_f32_e32 v165, v165
	v_mul_f32_e32 v8, v161, v8
	v_cndmask_b32_e64 v145, 0, v145, s34
	v_mul_f32_e32 v9, v9, v151
	v_cndmask_b32_e64 v161, 0, v10, s41
	v_cndmask_b32_e64 v10, 1.0, 0x1f800000, s45
	s_delay_alu instid0(VALU_DEP_4)
	v_fma_f32 v168, v163, v151, v145
	v_cndmask_b32_e64 v163, 1.0, v8, s41
	v_mul_f32_e32 v8, v9, v153
	s_delay_alu instid0(TRANS32_DEP_1) | instid1(VALU_DEP_4)
	v_mul_f32_e32 v10, v165, v10
	s_delay_alu instid0(VALU_DEP_4) | instskip(SKIP_1) | instid1(VALU_DEP_4)
	v_fma_f32 v9, v168, v153, v147
	v_mul_f32_e32 v168, v164, v104
	v_mul_f32_e32 v8, v8, v156
	s_delay_alu instid0(VALU_DEP_3) | instskip(NEXT) | instid1(VALU_DEP_3)
	v_fma_f32 v9, v9, v156, v149
	v_cmp_gt_f32_e32 vcc_lo, 0xc2fc0000, v168
	v_mul_f32_e32 v168, v164, v111
	s_delay_alu instid0(VALU_DEP_4) | instskip(NEXT) | instid1(VALU_DEP_4)
	v_mul_f32_e32 v8, v8, v157
	v_fma_f32 v9, v9, v157, v152
	v_cndmask_b32_e64 v165, 0, 0x42800000, vcc_lo
	s_delay_alu instid0(VALU_DEP_4) | instskip(NEXT) | instid1(VALU_DEP_4)
	v_cmp_gt_f32_e64 s45, 0xc2fc0000, v168
	v_mul_f32_e32 v8, v8, v158
	s_delay_alu instid0(VALU_DEP_4) | instskip(NEXT) | instid1(VALU_DEP_4)
	v_fma_f32 v9, v9, v158, v154
	v_fmac_f32_e32 v165, v164, v104
	s_delay_alu instid0(VALU_DEP_4) | instskip(NEXT) | instid1(VALU_DEP_4)
	v_cndmask_b32_e64 v168, 0, 0x42800000, s45
	v_mul_f32_e32 v8, v8, v159
	s_delay_alu instid0(VALU_DEP_4) | instskip(NEXT) | instid1(VALU_DEP_4)
	v_fma_f32 v9, v9, v159, v155
	v_exp_f32_e32 v169, v165
	s_delay_alu instid0(VALU_DEP_3)
	v_fmac_f32_e32 v168, v164, v111
	v_cndmask_b32_e64 v165, 1.0, v10, s42
	v_cndmask_b32_e64 v10, 1.0, 0x1f800000, vcc_lo
	v_mul_f32_e32 v8, v8, v166
	v_fma_f32 v9, v9, v166, v160
	v_exp_f32_e32 v170, v168
	v_cndmask_b32_e64 v164, 0, v11, s43
	v_cndmask_b32_e64 v11, 1.0, 0x1f800000, s45
	v_mul_f32_e32 v8, v8, v163
	v_mul_f32_e32 v10, v169, v10
	v_fma_f32 v9, v9, v163, v161
	s_delay_alu instid0(VALU_DEP_3) | instskip(NEXT) | instid1(VALU_DEP_3)
	v_mul_f32_e32 v8, v8, v165
	v_cndmask_b32_e64 v168, 1.0, v10, s43
	v_mul_f32_e32 v10, v122, v167
	s_delay_alu instid0(TRANS32_DEP_1) | instskip(SKIP_1) | instid1(VALU_DEP_4)
	v_mul_f32_e32 v11, v170, v11
	v_fma_f32 v9, v9, v165, v162
	v_mul_f32_e32 v8, v8, v168
	s_delay_alu instid0(VALU_DEP_4) | instskip(NEXT) | instid1(VALU_DEP_4)
	v_cndmask_b32_e64 v167, 0, v10, s44
	v_cndmask_b32_e64 v169, 1.0, v11, s44
	s_delay_alu instid0(VALU_DEP_4) | instskip(NEXT) | instid1(VALU_DEP_2)
	v_fma_f32 v9, v9, v168, v164
	v_mul_f32_e32 v8, v8, v169
	s_delay_alu instid0(VALU_DEP_2) | instskip(NEXT) | instid1(VALU_DEP_2)
	v_fma_f32 v9, v9, v169, v167
	v_mov_b32_dpp v11, v8 row_shr:1 row_mask:0xf bank_mask:0xf
	s_delay_alu instid0(VALU_DEP_2)
	v_mov_b32_dpp v10, v9 row_shr:1 row_mask:0xf bank_mask:0xf
	s_and_saveexec_b32 s45, s0
; %bb.180:                              ;   in Loop: Header=BB87_109 Depth=2
	s_delay_alu instid0(VALU_DEP_2) | instskip(NEXT) | instid1(VALU_DEP_1)
	v_mul_f32_e32 v11, v8, v11
	v_dual_fmac_f32 v9, v8, v10 :: v_dual_mov_b32 v8, v11
; %bb.181:                              ;   in Loop: Header=BB87_109 Depth=2
	s_or_b32 exec_lo, exec_lo, s45
	s_delay_alu instid0(VALU_DEP_1) | instskip(NEXT) | instid1(VALU_DEP_2)
	v_mov_b32_dpp v10, v8 row_shr:2 row_mask:0xf bank_mask:0xf
	v_mov_b32_dpp v11, v9 row_shr:2 row_mask:0xf bank_mask:0xf
	s_and_saveexec_b32 s45, s1
; %bb.182:                              ;   in Loop: Header=BB87_109 Depth=2
	s_delay_alu instid0(VALU_DEP_1) | instskip(NEXT) | instid1(VALU_DEP_3)
	v_fmac_f32_e32 v9, v8, v11
	v_mul_f32_e32 v8, v8, v10
; %bb.183:                              ;   in Loop: Header=BB87_109 Depth=2
	s_or_b32 exec_lo, exec_lo, s45
	s_delay_alu instid0(VALU_DEP_1) | instskip(NEXT) | instid1(VALU_DEP_3)
	v_mov_b32_dpp v10, v8 row_shr:4 row_mask:0xf bank_mask:0xf
	v_mov_b32_dpp v11, v9 row_shr:4 row_mask:0xf bank_mask:0xf
	s_and_saveexec_b32 s45, s2
; %bb.184:                              ;   in Loop: Header=BB87_109 Depth=2
	s_delay_alu instid0(VALU_DEP_1) | instskip(NEXT) | instid1(VALU_DEP_3)
	v_fmac_f32_e32 v9, v8, v11
	v_mul_f32_e32 v8, v8, v10
; %bb.185:                              ;   in Loop: Header=BB87_109 Depth=2
	s_or_b32 exec_lo, exec_lo, s45
	s_delay_alu instid0(VALU_DEP_1) | instskip(NEXT) | instid1(VALU_DEP_3)
	v_mov_b32_dpp v10, v8 row_shr:8 row_mask:0xf bank_mask:0xf
	v_mov_b32_dpp v11, v9 row_shr:8 row_mask:0xf bank_mask:0xf
	s_and_saveexec_b32 s45, s3
; %bb.186:                              ;   in Loop: Header=BB87_109 Depth=2
	s_delay_alu instid0(VALU_DEP_1) | instskip(NEXT) | instid1(VALU_DEP_3)
	v_fmac_f32_e32 v9, v8, v11
	v_mul_f32_e32 v8, v8, v10
; %bb.187:                              ;   in Loop: Header=BB87_109 Depth=2
	s_or_b32 exec_lo, exec_lo, s45
	ds_swizzle_b32 v11, v8 offset:swizzle(BROADCAST,32,15)
	ds_swizzle_b32 v10, v9 offset:swizzle(BROADCAST,32,15)
	s_and_saveexec_b32 s45, s4
	s_cbranch_execz .LBB87_189
; %bb.188:                              ;   in Loop: Header=BB87_109 Depth=2
	s_waitcnt lgkmcnt(1)
	v_mul_f32_e32 v11, v8, v11
	s_waitcnt lgkmcnt(0)
	s_delay_alu instid0(VALU_DEP_1)
	v_dual_fmac_f32 v9, v8, v10 :: v_dual_mov_b32 v8, v11
.LBB87_189:                             ;   in Loop: Header=BB87_109 Depth=2
	s_or_b32 exec_lo, exec_lo, s45
	s_and_saveexec_b32 s45, s5
	s_cbranch_execz .LBB87_191
; %bb.190:                              ;   in Loop: Header=BB87_109 Depth=2
	ds_store_b64 v69, v[8:9] offset:4224
.LBB87_191:                             ;   in Loop: Header=BB87_109 Depth=2
	s_or_b32 exec_lo, exec_lo, s45
	s_waitcnt lgkmcnt(0)
	s_waitcnt_vscnt null, 0x0
	s_barrier
	buffer_gl0_inv
	s_and_saveexec_b32 s45, s6
	s_cbranch_execz .LBB87_193
; %bb.192:                              ;   in Loop: Header=BB87_109 Depth=2
	ds_load_b64 v[10:11], v70 offset:4224
	s_waitcnt lgkmcnt(0)
	v_mov_b32_dpp v170, v10 row_shr:1 row_mask:0xf bank_mask:0xf
	v_mov_b32_dpp v171, v11 row_shr:1 row_mask:0xf bank_mask:0xf
	s_delay_alu instid0(VALU_DEP_2) | instskip(NEXT) | instid1(VALU_DEP_2)
	v_mul_f32_e32 v170, v10, v170
	v_fma_f32 v171, v10, v171, v11
	s_delay_alu instid0(VALU_DEP_2) | instskip(NEXT) | instid1(VALU_DEP_2)
	v_cndmask_b32_e64 v10, v170, v10, s7
	v_cndmask_b32_e64 v11, v171, v11, s7
	ds_store_b64 v70, v[10:11] offset:4224
.LBB87_193:                             ;   in Loop: Header=BB87_109 Depth=2
	s_or_b32 exec_lo, exec_lo, s45
	s_waitcnt lgkmcnt(0)
	s_barrier
	buffer_gl0_inv
                                        ; implicit-def: $vgpr11
	s_and_saveexec_b32 s45, s9
	s_cbranch_execz .LBB87_195
; %bb.194:                              ;   in Loop: Header=BB87_109 Depth=2
	ds_load_b64 v[10:11], v69 offset:4216
	s_waitcnt lgkmcnt(0)
	v_mul_f32_e32 v170, v8, v10
	s_delay_alu instid0(VALU_DEP_1)
	v_dual_fmac_f32 v9, v8, v11 :: v_dual_mov_b32 v8, v170
.LBB87_195:                             ;   in Loop: Header=BB87_109 Depth=2
	s_or_b32 exec_lo, exec_lo, s45
	ds_bpermute_b32 v170, v71, v8
	ds_bpermute_b32 v171, v71, v9
	s_and_saveexec_b32 s45, s8
	s_cbranch_execz .LBB87_199
; %bb.196:                              ;   in Loop: Header=BB87_109 Depth=2
	ds_load_b64 v[8:9], v21 offset:4232
	s_and_saveexec_b32 s46, s10
	s_cbranch_execz .LBB87_198
; %bb.197:                              ;   in Loop: Header=BB87_109 Depth=2
	ds_store_b64 v21, v[16:17] offset:4232
.LBB87_198:                             ;   in Loop: Header=BB87_109 Depth=2
	s_or_b32 exec_lo, exec_lo, s46
	s_waitcnt lgkmcnt(0)
	v_fmac_f32_e32 v9, v17, v8
	s_delay_alu instid0(VALU_DEP_1)
	v_dual_mul_f32 v16, v16, v8 :: v_dual_mov_b32 v17, v9
.LBB87_199:                             ;   in Loop: Header=BB87_109 Depth=2
	s_or_b32 exec_lo, exec_lo, s45
	s_waitcnt lgkmcnt(0)
	s_barrier
	buffer_gl0_inv
	ds_load_b32 v8, v21 offset:4236
	s_and_saveexec_b32 s45, s10
	s_cbranch_execz .LBB87_108
; %bb.200:                              ;   in Loop: Header=BB87_109 Depth=2
	v_mov_b32_e32 v9, s88
	s_and_not1_b32 vcc_lo, exec_lo, s86
	ds_store_b64 v9, v[16:17]
	s_cbranch_vccnz .LBB87_108
; %bb.201:                              ;   in Loop: Header=BB87_109 Depth=2
	s_mov_b32 s61, s67
	v_cvt_f16_f32_e32 v9, v17
	s_lshl_b64 s[90:91], s[60:61], 1
	s_delay_alu instid0(SALU_CYCLE_1)
	s_add_u32 s90, s76, s90
	s_addc_u32 s91, s77, s91
	global_store_b16 v21, v9, s[90:91]
	s_branch .LBB87_108
.LBB87_202:                             ;   in Loop: Header=BB87_12 Depth=1
	v_cvt_f16_f32_e32 v0, v121
	v_cvt_f16_f32_e32 v4, v120
	;; [unrolled: 1-line block ×16, first 2 shown]
	v_pack_b32_f16 v3, v3, v7
	v_pack_b32_f16 v2, v2, v6
	;; [unrolled: 1-line block ×8, first 2 shown]
	s_waitcnt_vscnt null, 0x0
	s_barrier
	buffer_gl0_inv
	ds_store_b128 v52, v[0:3]
	ds_store_b128 v52, v[4:7] offset:16
	; wave barrier
	ds_load_u16 v16, v37 offset:64
	ds_load_u16 v15, v38 offset:128
	;; [unrolled: 1-line block ×15, first 2 shown]
	s_mov_b32 s51, s67
	s_delay_alu instid0(SALU_CYCLE_1) | instskip(NEXT) | instid1(SALU_CYCLE_1)
	s_lshl_b64 s[28:29], s[50:51], 1
	v_add_co_u32 v0, vcc_lo, v72, s28
	v_add_co_ci_u32_e32 v1, vcc_lo, s29, v73, vcc_lo
	s_and_saveexec_b32 s28, s12
	s_cbranch_execnz .LBB87_220
; %bb.203:                              ;   in Loop: Header=BB87_12 Depth=1
	s_or_b32 exec_lo, exec_lo, s28
	s_and_saveexec_b32 s12, s13
	s_cbranch_execnz .LBB87_221
.LBB87_204:                             ;   in Loop: Header=BB87_12 Depth=1
	s_or_b32 exec_lo, exec_lo, s12
	s_and_saveexec_b32 s12, s14
	s_cbranch_execnz .LBB87_222
.LBB87_205:                             ;   in Loop: Header=BB87_12 Depth=1
	s_or_b32 exec_lo, exec_lo, s12
	s_and_saveexec_b32 s12, s15
	s_cbranch_execnz .LBB87_223
.LBB87_206:                             ;   in Loop: Header=BB87_12 Depth=1
	s_or_b32 exec_lo, exec_lo, s12
	s_and_saveexec_b32 s12, s16
	s_cbranch_execnz .LBB87_224
.LBB87_207:                             ;   in Loop: Header=BB87_12 Depth=1
	s_or_b32 exec_lo, exec_lo, s12
	s_and_saveexec_b32 s12, s17
	s_cbranch_execnz .LBB87_225
.LBB87_208:                             ;   in Loop: Header=BB87_12 Depth=1
	s_or_b32 exec_lo, exec_lo, s12
	s_and_saveexec_b32 s12, s18
	s_cbranch_execnz .LBB87_226
.LBB87_209:                             ;   in Loop: Header=BB87_12 Depth=1
	s_or_b32 exec_lo, exec_lo, s12
	s_and_saveexec_b32 s12, s19
	s_cbranch_execnz .LBB87_227
.LBB87_210:                             ;   in Loop: Header=BB87_12 Depth=1
	s_or_b32 exec_lo, exec_lo, s12
	s_and_saveexec_b32 s12, s20
	s_cbranch_execnz .LBB87_228
.LBB87_211:                             ;   in Loop: Header=BB87_12 Depth=1
	s_or_b32 exec_lo, exec_lo, s12
	s_and_saveexec_b32 s12, s21
	s_cbranch_execnz .LBB87_229
.LBB87_212:                             ;   in Loop: Header=BB87_12 Depth=1
	s_or_b32 exec_lo, exec_lo, s12
	s_and_saveexec_b32 s12, s22
	s_cbranch_execnz .LBB87_230
.LBB87_213:                             ;   in Loop: Header=BB87_12 Depth=1
	s_or_b32 exec_lo, exec_lo, s12
	s_and_saveexec_b32 s12, s23
	s_cbranch_execnz .LBB87_231
.LBB87_214:                             ;   in Loop: Header=BB87_12 Depth=1
	s_or_b32 exec_lo, exec_lo, s12
	s_and_saveexec_b32 s12, s24
	s_cbranch_execnz .LBB87_232
.LBB87_215:                             ;   in Loop: Header=BB87_12 Depth=1
	s_or_b32 exec_lo, exec_lo, s12
	s_and_saveexec_b32 s12, s25
	s_cbranch_execnz .LBB87_233
.LBB87_216:                             ;   in Loop: Header=BB87_12 Depth=1
	s_or_b32 exec_lo, exec_lo, s12
	s_and_saveexec_b32 s12, s26
	s_cbranch_execnz .LBB87_234
.LBB87_217:                             ;   in Loop: Header=BB87_12 Depth=1
	s_or_b32 exec_lo, exec_lo, s12
	s_and_saveexec_b32 s12, s27
	s_cbranch_execz .LBB87_11
	s_branch .LBB87_235
.LBB87_218:                             ;   in Loop: Header=BB87_12 Depth=1
	global_load_u16 v97, v[8:9], off offset:832
	s_or_b32 exec_lo, exec_lo, s28
	s_and_saveexec_b32 s28, s26
	s_cbranch_execz .LBB87_72
.LBB87_219:                             ;   in Loop: Header=BB87_12 Depth=1
	global_load_u16 v96, v[8:9], off offset:896
	s_or_b32 exec_lo, exec_lo, s28
	v_mov_b32_e32 v98, 0
	s_and_saveexec_b32 s28, s27
	s_cbranch_execnz .LBB87_73
	s_branch .LBB87_74
.LBB87_220:                             ;   in Loop: Header=BB87_12 Depth=1
	ds_load_u16 v17, v37
	s_waitcnt lgkmcnt(0)
	global_store_b16 v[0:1], v17, off
	s_or_b32 exec_lo, exec_lo, s28
	s_and_saveexec_b32 s12, s13
	s_cbranch_execz .LBB87_204
.LBB87_221:                             ;   in Loop: Header=BB87_12 Depth=1
	s_waitcnt lgkmcnt(14)
	global_store_b16 v[0:1], v16, off offset:64
	s_or_b32 exec_lo, exec_lo, s12
	s_and_saveexec_b32 s12, s14
	s_cbranch_execz .LBB87_205
.LBB87_222:                             ;   in Loop: Header=BB87_12 Depth=1
	s_waitcnt lgkmcnt(13)
	global_store_b16 v[0:1], v15, off offset:128
	s_or_b32 exec_lo, exec_lo, s12
	s_and_saveexec_b32 s12, s15
	s_cbranch_execz .LBB87_206
.LBB87_223:                             ;   in Loop: Header=BB87_12 Depth=1
	s_waitcnt lgkmcnt(12)
	global_store_b16 v[0:1], v14, off offset:192
	s_or_b32 exec_lo, exec_lo, s12
	s_and_saveexec_b32 s12, s16
	s_cbranch_execz .LBB87_207
.LBB87_224:                             ;   in Loop: Header=BB87_12 Depth=1
	s_waitcnt lgkmcnt(11)
	global_store_b16 v[0:1], v13, off offset:256
	s_or_b32 exec_lo, exec_lo, s12
	s_and_saveexec_b32 s12, s17
	s_cbranch_execz .LBB87_208
.LBB87_225:                             ;   in Loop: Header=BB87_12 Depth=1
	s_waitcnt lgkmcnt(10)
	global_store_b16 v[0:1], v12, off offset:320
	s_or_b32 exec_lo, exec_lo, s12
	s_and_saveexec_b32 s12, s18
	s_cbranch_execz .LBB87_209
.LBB87_226:                             ;   in Loop: Header=BB87_12 Depth=1
	s_waitcnt lgkmcnt(9)
	global_store_b16 v[0:1], v11, off offset:384
	s_or_b32 exec_lo, exec_lo, s12
	s_and_saveexec_b32 s12, s19
	s_cbranch_execz .LBB87_210
.LBB87_227:                             ;   in Loop: Header=BB87_12 Depth=1
	s_waitcnt lgkmcnt(8)
	global_store_b16 v[0:1], v10, off offset:448
	s_or_b32 exec_lo, exec_lo, s12
	s_and_saveexec_b32 s12, s20
	s_cbranch_execz .LBB87_211
.LBB87_228:                             ;   in Loop: Header=BB87_12 Depth=1
	s_waitcnt lgkmcnt(7)
	global_store_b16 v[0:1], v9, off offset:512
	s_or_b32 exec_lo, exec_lo, s12
	s_and_saveexec_b32 s12, s21
	s_cbranch_execz .LBB87_212
.LBB87_229:                             ;   in Loop: Header=BB87_12 Depth=1
	s_waitcnt lgkmcnt(6)
	global_store_b16 v[0:1], v8, off offset:576
	s_or_b32 exec_lo, exec_lo, s12
	s_and_saveexec_b32 s12, s22
	s_cbranch_execz .LBB87_213
.LBB87_230:                             ;   in Loop: Header=BB87_12 Depth=1
	s_waitcnt lgkmcnt(5)
	global_store_b16 v[0:1], v7, off offset:640
	s_or_b32 exec_lo, exec_lo, s12
	s_and_saveexec_b32 s12, s23
	s_cbranch_execz .LBB87_214
.LBB87_231:                             ;   in Loop: Header=BB87_12 Depth=1
	s_waitcnt lgkmcnt(4)
	global_store_b16 v[0:1], v6, off offset:704
	s_or_b32 exec_lo, exec_lo, s12
	s_and_saveexec_b32 s12, s24
	s_cbranch_execz .LBB87_215
.LBB87_232:                             ;   in Loop: Header=BB87_12 Depth=1
	s_waitcnt lgkmcnt(3)
	global_store_b16 v[0:1], v5, off offset:768
	s_or_b32 exec_lo, exec_lo, s12
	s_and_saveexec_b32 s12, s25
	s_cbranch_execz .LBB87_216
.LBB87_233:                             ;   in Loop: Header=BB87_12 Depth=1
	s_waitcnt lgkmcnt(2)
	global_store_b16 v[0:1], v4, off offset:832
	s_or_b32 exec_lo, exec_lo, s12
	s_and_saveexec_b32 s12, s26
	s_cbranch_execz .LBB87_217
.LBB87_234:                             ;   in Loop: Header=BB87_12 Depth=1
	s_waitcnt lgkmcnt(1)
	global_store_b16 v[0:1], v3, off offset:896
	s_or_b32 exec_lo, exec_lo, s12
	s_and_saveexec_b32 s12, s27
	s_cbranch_execz .LBB87_11
.LBB87_235:                             ;   in Loop: Header=BB87_12 Depth=1
	s_waitcnt lgkmcnt(0)
	global_store_b16 v[0:1], v2, off offset:960
	s_branch .LBB87_11
.LBB87_236:
	s_nop 0
	s_sendmsg sendmsg(MSG_DEALLOC_VGPRS)
	s_endpgm
	.section	.rodata,"a",@progbits
	.p2align	6, 0x0
	.amdhsa_kernel _Z25selective_scan_fwd_kernelI32Selective_Scan_fwd_kernel_traitsILi64ELi16ELi1ELb0ELb1ELb1ELb0ELb0EN3c104HalfEfS2_EEv13SSMParamsBase
		.amdhsa_group_segment_fixed_size 0
		.amdhsa_private_segment_fixed_size 0
		.amdhsa_kernarg_size 248
		.amdhsa_user_sgpr_count 14
		.amdhsa_user_sgpr_dispatch_ptr 0
		.amdhsa_user_sgpr_queue_ptr 0
		.amdhsa_user_sgpr_kernarg_segment_ptr 1
		.amdhsa_user_sgpr_dispatch_id 0
		.amdhsa_user_sgpr_private_segment_size 0
		.amdhsa_wavefront_size32 1
		.amdhsa_uses_dynamic_stack 0
		.amdhsa_enable_private_segment 0
		.amdhsa_system_sgpr_workgroup_id_x 1
		.amdhsa_system_sgpr_workgroup_id_y 1
		.amdhsa_system_sgpr_workgroup_id_z 0
		.amdhsa_system_sgpr_workgroup_info 0
		.amdhsa_system_vgpr_workitem_id 0
		.amdhsa_next_free_vgpr 172
		.amdhsa_next_free_sgpr 92
		.amdhsa_reserve_vcc 1
		.amdhsa_float_round_mode_32 0
		.amdhsa_float_round_mode_16_64 0
		.amdhsa_float_denorm_mode_32 3
		.amdhsa_float_denorm_mode_16_64 3
		.amdhsa_dx10_clamp 1
		.amdhsa_ieee_mode 1
		.amdhsa_fp16_overflow 0
		.amdhsa_workgroup_processor_mode 1
		.amdhsa_memory_ordered 1
		.amdhsa_forward_progress 0
		.amdhsa_shared_vgpr_count 0
		.amdhsa_exception_fp_ieee_invalid_op 0
		.amdhsa_exception_fp_denorm_src 0
		.amdhsa_exception_fp_ieee_div_zero 0
		.amdhsa_exception_fp_ieee_overflow 0
		.amdhsa_exception_fp_ieee_underflow 0
		.amdhsa_exception_fp_ieee_inexact 0
		.amdhsa_exception_int_div_zero 0
	.end_amdhsa_kernel
	.section	.text._Z25selective_scan_fwd_kernelI32Selective_Scan_fwd_kernel_traitsILi64ELi16ELi1ELb0ELb1ELb1ELb0ELb0EN3c104HalfEfS2_EEv13SSMParamsBase,"axG",@progbits,_Z25selective_scan_fwd_kernelI32Selective_Scan_fwd_kernel_traitsILi64ELi16ELi1ELb0ELb1ELb1ELb0ELb0EN3c104HalfEfS2_EEv13SSMParamsBase,comdat
.Lfunc_end87:
	.size	_Z25selective_scan_fwd_kernelI32Selective_Scan_fwd_kernel_traitsILi64ELi16ELi1ELb0ELb1ELb1ELb0ELb0EN3c104HalfEfS2_EEv13SSMParamsBase, .Lfunc_end87-_Z25selective_scan_fwd_kernelI32Selective_Scan_fwd_kernel_traitsILi64ELi16ELi1ELb0ELb1ELb1ELb0ELb0EN3c104HalfEfS2_EEv13SSMParamsBase
                                        ; -- End function
	.section	.AMDGPU.csdata,"",@progbits
; Kernel info:
; codeLenInByte = 21432
; NumSgprs: 94
; NumVgprs: 172
; ScratchSize: 0
; MemoryBound: 0
; FloatMode: 240
; IeeeMode: 1
; LDSByteSize: 0 bytes/workgroup (compile time only)
; SGPRBlocks: 11
; VGPRBlocks: 21
; NumSGPRsForWavesPerEU: 94
; NumVGPRsForWavesPerEU: 172
; Occupancy: 8
; WaveLimiterHint : 0
; COMPUTE_PGM_RSRC2:SCRATCH_EN: 0
; COMPUTE_PGM_RSRC2:USER_SGPR: 14
; COMPUTE_PGM_RSRC2:TRAP_HANDLER: 0
; COMPUTE_PGM_RSRC2:TGID_X_EN: 1
; COMPUTE_PGM_RSRC2:TGID_Y_EN: 1
; COMPUTE_PGM_RSRC2:TGID_Z_EN: 0
; COMPUTE_PGM_RSRC2:TIDIG_COMP_CNT: 0
	.section	.text._Z25selective_scan_fwd_kernelI32Selective_Scan_fwd_kernel_traitsILi128ELi16ELi1ELb1ELb1ELb1ELb1ELb1EN3c104HalfEfS2_EEv13SSMParamsBase,"axG",@progbits,_Z25selective_scan_fwd_kernelI32Selective_Scan_fwd_kernel_traitsILi128ELi16ELi1ELb1ELb1ELb1ELb1ELb1EN3c104HalfEfS2_EEv13SSMParamsBase,comdat
	.protected	_Z25selective_scan_fwd_kernelI32Selective_Scan_fwd_kernel_traitsILi128ELi16ELi1ELb1ELb1ELb1ELb1ELb1EN3c104HalfEfS2_EEv13SSMParamsBase ; -- Begin function _Z25selective_scan_fwd_kernelI32Selective_Scan_fwd_kernel_traitsILi128ELi16ELi1ELb1ELb1ELb1ELb1ELb1EN3c104HalfEfS2_EEv13SSMParamsBase
	.globl	_Z25selective_scan_fwd_kernelI32Selective_Scan_fwd_kernel_traitsILi128ELi16ELi1ELb1ELb1ELb1ELb1ELb1EN3c104HalfEfS2_EEv13SSMParamsBase
	.p2align	8
	.type	_Z25selective_scan_fwd_kernelI32Selective_Scan_fwd_kernel_traitsILi128ELi16ELi1ELb1ELb1ELb1ELb1ELb1EN3c104HalfEfS2_EEv13SSMParamsBase,@function
_Z25selective_scan_fwd_kernelI32Selective_Scan_fwd_kernel_traitsILi128ELi16ELi1ELb1ELb1ELb1ELb1ELb1EN3c104HalfEfS2_EEv13SSMParamsBase: ; @_Z25selective_scan_fwd_kernelI32Selective_Scan_fwd_kernel_traitsILi128ELi16ELi1ELb1ELb1ELb1ELb1ELb1EN3c104HalfEfS2_EEv13SSMParamsBase
; %bb.0:
	s_clause 0x2
	s_load_b32 s11, s[0:1], 0x18
	s_load_b256 s[36:43], s[0:1], 0xc8
	s_load_b128 s[4:7], s[0:1], 0xe8
	s_mov_b32 s34, s15
	s_ashr_i32 s15, s14, 31
	s_mov_b32 s66, 0
	s_lshl_b64 s[8:9], s[14:15], 2
	s_waitcnt lgkmcnt(0)
	s_abs_i32 s10, s11
	s_add_u32 s2, s42, s8
	v_cvt_f32_u32_e32 v1, s10
	s_addc_u32 s3, s43, s9
	s_cmp_eq_u64 s[6:7], 0
	s_delay_alu instid0(VALU_DEP_1) | instskip(SKIP_2) | instid1(VALU_DEP_1)
	v_rcp_iflag_f32_e32 v1, v1
	s_waitcnt_depctr 0xfff
	v_mul_f32_e32 v1, 0x4f7ffffe, v1
	v_cvt_u32_f32_e32 v1, v1
	s_delay_alu instid0(VALU_DEP_1)
	v_readfirstlane_b32 s12, v1
	s_cbranch_scc1 .LBB88_2
; %bb.1:
	v_mov_b32_e32 v1, 0
	s_add_u32 s6, s6, s14
	s_addc_u32 s7, s7, s15
	global_load_u8 v1, v1, s[6:7]
	s_waitcnt vmcnt(0)
	v_and_b32_e32 v1, 1, v1
	s_delay_alu instid0(VALU_DEP_1)
	v_cmp_eq_u32_e64 s66, 1, v1
.LBB88_2:
	s_load_b64 s[6:7], s[0:1], 0x20
	s_cmp_eq_u64 s[4:5], 0
	s_cbranch_scc1 .LBB88_4
; %bb.3:
	s_add_u32 s4, s4, s8
	s_addc_u32 s5, s5, s9
	s_load_b32 s14, s[4:5], 0x0
	s_waitcnt lgkmcnt(0)
	s_ashr_i32 s15, s14, 31
.LBB88_4:
	s_waitcnt lgkmcnt(0)
	s_cmp_eq_u64 s[6:7], s[14:15]
	s_cbranch_scc1 .LBB88_302
; %bb.5:
	s_load_b512 s[16:31], s[0:1], 0x88
	s_load_b64 s[42:43], s[2:3], 0x0
	s_mov_b32 s67, 0
	s_mov_b32 s68, 0
	s_waitcnt lgkmcnt(0)
	s_cmp_eq_u64 s[22:23], 0
	s_cbranch_scc1 .LBB88_7
; %bb.6:
	s_ashr_i32 s35, s34, 31
	s_delay_alu instid0(SALU_CYCLE_1) | instskip(NEXT) | instid1(SALU_CYCLE_1)
	s_lshl_b64 s[2:3], s[34:35], 2
	s_add_u32 s2, s22, s2
	s_addc_u32 s3, s23, s3
	s_load_b32 s68, s[2:3], 0x0
.LBB88_7:
	s_cmp_eq_u64 s[28:29], 0
	s_cbranch_scc1 .LBB88_9
; %bb.8:
	s_ashr_i32 s35, s34, 31
	s_delay_alu instid0(SALU_CYCLE_1) | instskip(NEXT) | instid1(SALU_CYCLE_1)
	s_lshl_b64 s[2:3], s[34:35], 2
	s_add_u32 s2, s28, s2
	s_addc_u32 s3, s29, s3
	s_load_b32 s67, s[2:3], 0x0
.LBB88_9:
	s_sub_i32 s69, s43, s42
	s_delay_alu instid0(SALU_CYCLE_1)
	s_cmp_lt_i32 s69, 1
	s_cbranch_scc1 .LBB88_302
; %bb.10:
	s_sub_i32 s2, 0, s10
	s_load_b256 s[48:55], s[0:1], 0x4c
	s_mul_i32 s2, s2, s12
	s_abs_i32 s3, s34
	s_mul_hi_u32 s2, s12, s2
	s_ashr_i32 s5, s11, 31
	s_add_i32 s12, s12, s2
	s_ashr_i32 s2, s34, 31
	s_mul_hi_u32 s4, s3, s12
	s_xor_b32 s5, s2, s5
	s_mul_i32 s6, s4, s10
	s_load_b256 s[56:63], s[0:1], 0x2c
	s_sub_i32 s2, s3, s6
	s_add_i32 s3, s4, 1
	s_sub_i32 s6, s2, s10
	s_cmp_ge_u32 s2, s10
	s_mov_b32 s65, 0
	s_cselect_b32 s3, s3, s4
	s_cselect_b32 s2, s6, s2
	s_add_i32 s4, s3, 1
	s_cmp_ge_u32 s2, s10
	s_waitcnt lgkmcnt(0)
	s_mul_i32 s64, s42, s50
	s_cselect_b32 s4, s4, s3
	s_lshl_b64 s[2:3], s[64:65], 1
	s_xor_b32 s4, s4, s5
	s_mul_i32 s64, s51, s34
	s_sub_i32 s6, s4, s5
	s_add_u32 s4, s24, s2
	s_addc_u32 s5, s25, s3
	s_lshl_b64 s[2:3], s[64:65], 1
	s_mul_i32 s64, s42, s52
	s_add_u32 s63, s4, s2
	s_addc_u32 s70, s5, s3
	s_lshl_b64 s[2:3], s[64:65], 1
	s_mul_i32 s64, s53, s34
	;; [unrolled: 4-line block ×3, first 2 shown]
	s_add_u32 s71, s4, s2
	s_addc_u32 s56, s5, s3
	s_load_b64 s[4:5], s[0:1], 0x7c
	v_dual_mov_b32 v21, 0 :: v_dual_lshlrev_b32 v18, 4, v0
	s_lshl_b64 s[2:3], s[64:65], 2
	s_mul_i32 s64, s42, s58
	s_add_u32 s72, s16, s2
	v_mbcnt_lo_u32_b32 v19, -1, 0
	v_and_b32_e32 v1, 0x600, v18
	s_addc_u32 s73, s17, s3
	s_lshl_b64 s[2:3], s[64:65], 1
	s_mul_i32 s64, s6, s61
	s_add_u32 s7, s18, s2
	s_addc_u32 s8, s19, s3
	s_clause 0x3
	s_load_b128 s[16:19], s[0:1], 0x6c
	s_load_b32 s75, s[0:1], 0x84
	s_load_b32 s78, s[0:1], 0xc
	;; [unrolled: 1-line block ×3, first 2 shown]
	v_or_b32_e32 v20, v19, v1
	s_lshl_b64 s[2:3], s[64:65], 1
	s_mul_i32 s64, s42, s62
	s_add_u32 s61, s7, s2
	s_addc_u32 s62, s8, s3
	s_lshl_b64 s[2:3], s[64:65], 1
	s_mul_i32 s64, s6, s49
	v_or_b32_e32 v24, 0x60, v20
	v_and_b32_e32 v14, 0x60, v0
	s_add_u32 s7, s20, s2
	s_addc_u32 s6, s21, s3
	s_lshl_b64 s[2:3], s[64:65], 1
	s_waitcnt lgkmcnt(0)
	s_mul_i32 s64, s14, s4
	s_add_u32 s49, s7, s2
	s_addc_u32 s74, s6, s3
	s_lshl_b64 s[2:3], s[64:65], 1
	v_or_b32_e32 v26, 0xa0, v20
	v_or_b32_e32 v28, 0xe0, v20
	;; [unrolled: 1-line block ×5, first 2 shown]
	v_lshrrev_b32_e32 v2, 5, v24
	v_or_b32_e32 v36, 0x1e0, v20
	v_or_b32_e32 v16, v19, v14
	s_mul_i32 s64, s5, s34
	s_add_u32 s4, s36, s2
	s_addc_u32 s5, s37, s3
	s_lshl_b64 s[2:3], s[64:65], 1
	v_or_b32_e32 v23, 64, v20
	s_add_u32 s76, s4, s2
	v_or_b32_e32 v25, 0x80, v20
	v_or_b32_e32 v27, 0xc0, v20
	;; [unrolled: 1-line block ×6, first 2 shown]
	v_and_b32_e32 v2, 50, v2
	v_lshrrev_b32_e32 v5, 5, v26
	v_lshrrev_b32_e32 v8, 5, v28
	;; [unrolled: 1-line block ×6, first 2 shown]
	v_lshrrev_b16 v50, 1, v16
	s_addc_u32 s77, s5, s3
	s_add_i32 s2, s69, 0x7ff
	v_lshrrev_b32_e32 v3, 5, v1
	s_lshr_b32 s79, s2, 11
	s_bitcmp1_b32 s0, 0
	v_lshrrev_b32_e32 v4, 5, v23
	v_lshrrev_b32_e32 v6, 5, v25
	v_add_lshl_u32 v2, v2, v20, 1
	v_and_b32_e32 v5, 52, v5
	v_lshrrev_b32_e32 v7, 5, v27
	v_and_b32_e32 v8, 54, v8
	v_lshrrev_b32_e32 v10, 5, v29
	;; [unrolled: 2-line block ×5, first 2 shown]
	v_and_b32_e32 v51, 62, v49
	v_lshlrev_b32_e32 v16, 4, v16
	v_and_b32_e32 v52, 62, v50
	s_cselect_b32 s80, -1, 0
	s_cmp_gt_i32 s78, 0
	v_add_lshl_u32 v3, v3, v20, 1
	s_cselect_b32 s81, -1, 0
	s_add_i32 s0, 0, 0x1080
	v_add_lshl_u32 v4, v4, v20, 1
	v_add_lshl_u32 v6, v6, v20, 1
	v_add_nc_u32_e32 v39, 0, v2
	v_add_lshl_u32 v5, v5, v20, 1
	v_add_lshl_u32 v7, v7, v20, 1
	;; [unrolled: 1-line block ×12, first 2 shown]
	v_add_nc_u32_e32 v55, s0, v2
	v_and_b32_e32 v2, 15, v19
	s_and_b32 s1, s69, 0x7ff
	v_add_nc_u32_e32 v51, 0, v67
	v_add_nc_u32_e32 v53, s0, v3
	;; [unrolled: 1-line block ×15, first 2 shown]
	s_cmp_eq_u32 s1, 0
	v_add_nc_u32_e32 v68, s0, v16
	v_cmp_ne_u32_e64 s0, 0, v2
	v_cmp_lt_u32_e64 s1, 1, v2
	v_cmp_lt_u32_e64 s2, 3, v2
	;; [unrolled: 1-line block ×3, first 2 shown]
	v_add_nc_u32_e32 v2, -1, v19
	v_add_nc_u32_e32 v37, 0, v3
	v_lshrrev_b32_e32 v3, 2, v0
	s_mul_i32 s64, s42, s16
	v_add_nc_u32_e32 v41, 0, v5
	v_or_b32_e32 v5, 31, v14
	v_cmp_gt_i32_e32 vcc_lo, 0, v2
	s_cselect_b32 s82, -1, 0
	s_lshl_b64 s[12:13], s[64:65], 1
	v_and_b32_e32 v3, 24, v3
	s_add_i32 s83, s79, -1
	v_cndmask_b32_e32 v2, v2, v19, vcc_lo
	s_mul_i32 s64, s17, s34
	s_add_u32 s16, s30, s12
	s_addc_u32 s13, s31, s13
	s_lshl_b64 s[14:15], s[64:65], 1
	v_cmp_eq_u32_e64 s5, v5, v0
	v_cmp_gt_u32_e64 s6, 4, v0
	v_lshl_add_u32 v70, v0, 3, 0
	v_cmp_gt_u32_e64 s9, 32, v0
	v_cmp_lt_u32_e64 s10, 31, v0
	v_cmp_eq_u32_e64 s11, 0, v0
	s_mul_i32 s64, s42, s54
	v_lshlrev_b32_e32 v0, 1, v19
	s_add_u32 s16, s16, s14
	v_add_nc_u32_e32 v38, 0, v4
	v_and_b32_e32 v4, 16, v19
	v_add_nc_u32_e32 v69, 0, v3
	v_and_b32_e32 v3, 3, v19
	s_addc_u32 s13, s13, s15
	s_lshl_b64 s[14:15], s[64:65], 1
	s_mul_i32 s64, s55, s34
	s_add_u32 s17, s38, s14
	v_lshlrev_b32_e32 v71, 2, v2
	s_addc_u32 s20, s39, s15
	s_lshl_b64 s[14:15], s[64:65], 1
	v_add_co_u32 v2, s16, s16, v0
	s_mul_i32 s64, s42, s18
	v_cmp_ne_u32_e64 s4, 0, v4
	v_cmp_ne_u32_e64 s7, 0, v3
	v_cmp_lt_u32_e64 s8, 1, v3
	v_add_co_ci_u32_e64 v3, null, s13, 0, s16
	s_add_u32 s13, s17, s14
	v_lshlrev_b32_e32 v4, 1, v1
	s_addc_u32 s16, s20, s15
	s_lshl_b64 s[14:15], s[64:65], 1
	s_mul_i32 s64, s19, s34
	s_add_u32 s17, s40, s14
	s_addc_u32 s18, s41, s15
	s_lshl_b64 s[14:15], s[64:65], 1
	v_add_co_u32 v72, vcc_lo, v2, v4
	v_add_co_u32 v2, s13, s13, v0
	s_add_u32 s14, s17, s14
	v_add_co_ci_u32_e32 v73, vcc_lo, 0, v3, vcc_lo
	v_add_co_ci_u32_e64 v3, null, s16, 0, s13
	s_addc_u32 s15, s18, s15
	v_add_co_u32 v0, s13, s14, v0
	s_delay_alu instid0(VALU_DEP_1) | instskip(SKIP_2) | instid1(VALU_DEP_4)
	v_add_co_ci_u32_e64 v5, null, s15, 0, s13
	v_add_co_u32 v74, vcc_lo, v2, v4
	v_add_co_ci_u32_e32 v75, vcc_lo, 0, v3, vcc_lo
	v_add_co_u32 v76, vcc_lo, v0, v4
	v_or_b32_e32 v22, 32, v20
	v_add_nc_u32_e32 v40, 0, v6
	v_add_nc_u32_e32 v42, 0, v7
	;; [unrolled: 1-line block ×11, first 2 shown]
	v_cmp_eq_u32_e64 s12, 0, v19
	v_add_co_ci_u32_e32 v77, vcc_lo, 0, v5, vcc_lo
	v_or_b32_e32 v78, 1, v18
	v_or_b32_e32 v79, 2, v18
	;; [unrolled: 1-line block ×15, first 2 shown]
	v_lshlrev_b32_e32 v93, 1, v1
	s_mov_b32 s84, 0x3e9b6dac
	s_add_i32 s85, 0, 0x2120
	s_mov_b32 s86, 0xbfb8aa3b
	s_mov_b32 s87, 0xb2a5705f
	;; [unrolled: 1-line block ×3, first 2 shown]
	s_branch .LBB88_12
.LBB88_11:                              ;   in Loop: Header=BB88_12 Depth=1
	s_or_b32 exec_lo, exec_lo, s13
	s_add_u32 s71, s71, 0x1000
	s_addc_u32 s56, s56, 0
	s_add_u32 s63, s63, 0x1000
	s_addc_u32 s70, s70, 0
	s_add_u32 s61, s61, 0x1000
	s_addc_u32 s62, s62, 0
	s_add_u32 s49, s49, 0x1000
	s_addc_u32 s74, s74, 0
	s_add_i32 s88, s88, 1
	s_delay_alu instid0(SALU_CYCLE_1)
	s_cmp_lg_u32 s88, s79
	s_cbranch_scc0 .LBB88_302
.LBB88_12:                              ; =>This Loop Header: Depth=1
                                        ;     Child Loop BB88_109 Depth 2
	s_waitcnt lgkmcnt(14)
	v_lshlrev_b32_e32 v16, 1, v19
	s_lshl_b32 s50, s88, 11
	s_waitcnt lgkmcnt(0)
	v_mov_b32_e32 v2, 0
	s_sub_i32 s41, s69, s50
	v_add_co_u32 v0, s13, s63, v16
	s_delay_alu instid0(VALU_DEP_1) | instskip(SKIP_1) | instid1(VALU_DEP_3)
	v_add_co_ci_u32_e64 v1, null, s70, 0, s13
	v_cmp_gt_u32_e64 s13, s41, v20
	v_add_co_u32 v0, vcc_lo, v0, v93
	s_delay_alu instid0(VALU_DEP_3)
	v_add_co_ci_u32_e32 v1, vcc_lo, 0, v1, vcc_lo
	s_waitcnt_vscnt null, 0x0
	s_barrier
	buffer_gl0_inv
	s_and_saveexec_b32 s14, s13
	s_cbranch_execz .LBB88_14
; %bb.13:                               ;   in Loop: Header=BB88_12 Depth=1
	global_load_u16 v2, v[0:1], off
.LBB88_14:                              ;   in Loop: Header=BB88_12 Depth=1
	s_or_b32 exec_lo, exec_lo, s14
	v_cmp_gt_u32_e64 s14, s41, v22
	v_dual_mov_b32 v3, 0 :: v_dual_mov_b32 v4, 0
	s_delay_alu instid0(VALU_DEP_2)
	s_and_saveexec_b32 s15, s14
	s_cbranch_execz .LBB88_16
; %bb.15:                               ;   in Loop: Header=BB88_12 Depth=1
	global_load_u16 v4, v[0:1], off offset:64
.LBB88_16:                              ;   in Loop: Header=BB88_12 Depth=1
	s_or_b32 exec_lo, exec_lo, s15
	v_cmp_gt_u32_e64 s15, s41, v23
	s_delay_alu instid0(VALU_DEP_1)
	s_and_saveexec_b32 s16, s15
	s_cbranch_execz .LBB88_18
; %bb.17:                               ;   in Loop: Header=BB88_12 Depth=1
	global_load_u16 v3, v[0:1], off offset:128
.LBB88_18:                              ;   in Loop: Header=BB88_12 Depth=1
	s_or_b32 exec_lo, exec_lo, s16
	v_cmp_gt_u32_e64 s16, s41, v24
	v_dual_mov_b32 v5, 0 :: v_dual_mov_b32 v6, 0
	s_delay_alu instid0(VALU_DEP_2)
	s_and_saveexec_b32 s17, s16
	s_cbranch_execz .LBB88_20
; %bb.19:                               ;   in Loop: Header=BB88_12 Depth=1
	global_load_u16 v6, v[0:1], off offset:192
.LBB88_20:                              ;   in Loop: Header=BB88_12 Depth=1
	s_or_b32 exec_lo, exec_lo, s17
	v_cmp_gt_u32_e64 s17, s41, v25
	s_delay_alu instid0(VALU_DEP_1)
	s_and_saveexec_b32 s18, s17
	s_cbranch_execz .LBB88_22
; %bb.21:                               ;   in Loop: Header=BB88_12 Depth=1
	global_load_u16 v5, v[0:1], off offset:256
.LBB88_22:                              ;   in Loop: Header=BB88_12 Depth=1
	;; [unrolled: 17-line block ×3, first 2 shown]
	s_or_b32 exec_lo, exec_lo, s20
	v_cmp_gt_u32_e64 s20, s41, v28
	v_mov_b32_e32 v9, 0
	v_mov_b32_e32 v11, 0
	s_delay_alu instid0(VALU_DEP_3)
	s_and_saveexec_b32 s21, s20
	s_cbranch_execz .LBB88_28
; %bb.27:                               ;   in Loop: Header=BB88_12 Depth=1
	global_load_u16 v11, v[0:1], off offset:448
.LBB88_28:                              ;   in Loop: Header=BB88_12 Depth=1
	s_or_b32 exec_lo, exec_lo, s21
	v_cmp_gt_u32_e64 s21, s41, v29
	s_delay_alu instid0(VALU_DEP_1)
	s_and_saveexec_b32 s22, s21
	s_cbranch_execz .LBB88_30
; %bb.29:                               ;   in Loop: Header=BB88_12 Depth=1
	global_load_u16 v9, v[0:1], off offset:512
.LBB88_30:                              ;   in Loop: Header=BB88_12 Depth=1
	s_or_b32 exec_lo, exec_lo, s22
	v_cmp_gt_u32_e64 s22, s41, v30
	v_dual_mov_b32 v12, 0 :: v_dual_mov_b32 v13, 0
	s_delay_alu instid0(VALU_DEP_2)
	s_and_saveexec_b32 s23, s22
	s_cbranch_execz .LBB88_32
; %bb.31:                               ;   in Loop: Header=BB88_12 Depth=1
	global_load_u16 v13, v[0:1], off offset:576
.LBB88_32:                              ;   in Loop: Header=BB88_12 Depth=1
	s_or_b32 exec_lo, exec_lo, s23
	v_cmp_gt_u32_e64 s23, s41, v31
	s_delay_alu instid0(VALU_DEP_1)
	s_and_saveexec_b32 s24, s23
	s_cbranch_execz .LBB88_34
; %bb.33:                               ;   in Loop: Header=BB88_12 Depth=1
	global_load_u16 v12, v[0:1], off offset:640
.LBB88_34:                              ;   in Loop: Header=BB88_12 Depth=1
	s_or_b32 exec_lo, exec_lo, s24
	v_cmp_gt_u32_e64 s24, s41, v32
	v_dual_mov_b32 v14, 0 :: v_dual_mov_b32 v15, 0
	s_delay_alu instid0(VALU_DEP_2)
	s_and_saveexec_b32 s25, s24
	s_cbranch_execz .LBB88_36
; %bb.35:                               ;   in Loop: Header=BB88_12 Depth=1
	global_load_u16 v15, v[0:1], off offset:704
.LBB88_36:                              ;   in Loop: Header=BB88_12 Depth=1
	s_or_b32 exec_lo, exec_lo, s25
	v_cmp_gt_u32_e64 s25, s41, v33
	s_delay_alu instid0(VALU_DEP_1)
	s_and_saveexec_b32 s26, s25
	s_cbranch_execz .LBB88_38
; %bb.37:                               ;   in Loop: Header=BB88_12 Depth=1
	global_load_u16 v14, v[0:1], off offset:768
.LBB88_38:                              ;   in Loop: Header=BB88_12 Depth=1
	s_or_b32 exec_lo, exec_lo, s26
	v_cmp_gt_u32_e64 s26, s41, v34
	v_dual_mov_b32 v17, 0 :: v_dual_mov_b32 v94, 0
	s_delay_alu instid0(VALU_DEP_2)
	s_and_saveexec_b32 s27, s26
	s_cbranch_execz .LBB88_40
; %bb.39:                               ;   in Loop: Header=BB88_12 Depth=1
	global_load_u16 v94, v[0:1], off offset:832
.LBB88_40:                              ;   in Loop: Header=BB88_12 Depth=1
	s_or_b32 exec_lo, exec_lo, s27
	v_cmp_gt_u32_e64 s27, s41, v35
	s_delay_alu instid0(VALU_DEP_1)
	s_and_saveexec_b32 s28, s27
	s_cbranch_execz .LBB88_42
; %bb.41:                               ;   in Loop: Header=BB88_12 Depth=1
	global_load_u16 v17, v[0:1], off offset:896
.LBB88_42:                              ;   in Loop: Header=BB88_12 Depth=1
	s_or_b32 exec_lo, exec_lo, s28
	v_cmp_gt_u32_e64 s28, s41, v36
	v_dual_mov_b32 v10, 0 :: v_dual_mov_b32 v95, 0
	s_delay_alu instid0(VALU_DEP_2)
	s_and_saveexec_b32 s29, s28
	s_cbranch_execz .LBB88_44
; %bb.43:                               ;   in Loop: Header=BB88_12 Depth=1
	global_load_u16 v95, v[0:1], off offset:960
.LBB88_44:                              ;   in Loop: Header=BB88_12 Depth=1
	s_or_b32 exec_lo, exec_lo, s29
	s_waitcnt vmcnt(0)
	ds_store_b16 v37, v2
	ds_store_b16 v37, v4 offset:64
	ds_store_b16 v38, v3 offset:128
	;; [unrolled: 1-line block ×15, first 2 shown]
	; wave barrier
	ds_load_b128 v[0:3], v52
	ds_load_b128 v[4:7], v52 offset:16
	v_add_co_u32 v8, s29, s71, v16
	s_delay_alu instid0(VALU_DEP_1) | instskip(SKIP_1) | instid1(VALU_DEP_2)
	v_add_co_ci_u32_e64 v9, null, s56, 0, s29
	s_waitcnt lgkmcnt(0)
	v_add_co_u32 v8, vcc_lo, v8, v93
	s_delay_alu instid0(VALU_DEP_2)
	v_add_co_ci_u32_e32 v9, vcc_lo, 0, v9, vcc_lo
	s_barrier
	buffer_gl0_inv
	s_and_saveexec_b32 s29, s13
	s_cbranch_execz .LBB88_46
; %bb.45:                               ;   in Loop: Header=BB88_12 Depth=1
	global_load_u16 v10, v[8:9], off
.LBB88_46:                              ;   in Loop: Header=BB88_12 Depth=1
	s_or_b32 exec_lo, exec_lo, s29
	v_dual_mov_b32 v11, 0 :: v_dual_mov_b32 v12, 0
	s_and_saveexec_b32 s29, s14
	s_cbranch_execz .LBB88_48
; %bb.47:                               ;   in Loop: Header=BB88_12 Depth=1
	global_load_u16 v12, v[8:9], off offset:64
.LBB88_48:                              ;   in Loop: Header=BB88_12 Depth=1
	s_or_b32 exec_lo, exec_lo, s29
	s_and_saveexec_b32 s29, s15
	s_cbranch_execz .LBB88_50
; %bb.49:                               ;   in Loop: Header=BB88_12 Depth=1
	global_load_u16 v11, v[8:9], off offset:128
.LBB88_50:                              ;   in Loop: Header=BB88_12 Depth=1
	s_or_b32 exec_lo, exec_lo, s29
	v_dual_mov_b32 v13, 0 :: v_dual_mov_b32 v14, 0
	s_and_saveexec_b32 s29, s16
	s_cbranch_execz .LBB88_52
; %bb.51:                               ;   in Loop: Header=BB88_12 Depth=1
	global_load_u16 v14, v[8:9], off offset:192
.LBB88_52:                              ;   in Loop: Header=BB88_12 Depth=1
	s_or_b32 exec_lo, exec_lo, s29
	s_and_saveexec_b32 s29, s17
	s_cbranch_execz .LBB88_54
; %bb.53:                               ;   in Loop: Header=BB88_12 Depth=1
	global_load_u16 v13, v[8:9], off offset:256
.LBB88_54:                              ;   in Loop: Header=BB88_12 Depth=1
	s_or_b32 exec_lo, exec_lo, s29
	v_mov_b32_e32 v15, 0
	v_mov_b32_e32 v17, 0
	s_and_saveexec_b32 s29, s18
	s_cbranch_execz .LBB88_56
; %bb.55:                               ;   in Loop: Header=BB88_12 Depth=1
	global_load_u16 v17, v[8:9], off offset:320
.LBB88_56:                              ;   in Loop: Header=BB88_12 Depth=1
	s_or_b32 exec_lo, exec_lo, s29
	s_and_saveexec_b32 s29, s19
	s_cbranch_execz .LBB88_58
; %bb.57:                               ;   in Loop: Header=BB88_12 Depth=1
	global_load_u16 v15, v[8:9], off offset:384
.LBB88_58:                              ;   in Loop: Header=BB88_12 Depth=1
	s_or_b32 exec_lo, exec_lo, s29
	v_dual_mov_b32 v94, 0 :: v_dual_mov_b32 v95, 0
	s_and_saveexec_b32 s29, s20
	s_cbranch_execz .LBB88_60
; %bb.59:                               ;   in Loop: Header=BB88_12 Depth=1
	global_load_u16 v95, v[8:9], off offset:448
.LBB88_60:                              ;   in Loop: Header=BB88_12 Depth=1
	s_or_b32 exec_lo, exec_lo, s29
	s_and_saveexec_b32 s29, s21
	s_cbranch_execz .LBB88_62
; %bb.61:                               ;   in Loop: Header=BB88_12 Depth=1
	global_load_u16 v94, v[8:9], off offset:512
.LBB88_62:                              ;   in Loop: Header=BB88_12 Depth=1
	s_or_b32 exec_lo, exec_lo, s29
	v_dual_mov_b32 v96, 0 :: v_dual_mov_b32 v97, 0
	;; [unrolled: 13-line block ×4, first 2 shown]
	s_and_saveexec_b32 s29, s26
	s_cbranch_execnz .LBB88_269
; %bb.71:                               ;   in Loop: Header=BB88_12 Depth=1
	s_or_b32 exec_lo, exec_lo, s29
	s_and_saveexec_b32 s29, s27
	s_cbranch_execnz .LBB88_270
.LBB88_72:                              ;   in Loop: Header=BB88_12 Depth=1
	s_or_b32 exec_lo, exec_lo, s29
	v_mov_b32_e32 v102, 0
	s_and_saveexec_b32 s29, s28
	s_cbranch_execz .LBB88_74
.LBB88_73:                              ;   in Loop: Header=BB88_12 Depth=1
	global_load_u16 v102, v[8:9], off offset:960
.LBB88_74:                              ;   in Loop: Header=BB88_12 Depth=1
	s_or_b32 exec_lo, exec_lo, s29
	s_waitcnt vmcnt(0)
	ds_store_b16 v37, v10
	ds_store_b16 v37, v12 offset:64
	ds_store_b16 v38, v11 offset:128
	;; [unrolled: 1-line block ×15, first 2 shown]
	; wave barrier
	ds_load_b128 v[12:15], v52
	ds_load_b128 v[8:11], v52 offset:16
	s_waitcnt lgkmcnt(1)
	v_cvt_f32_f16_e32 v17, v12
	s_delay_alu instid0(VALU_DEP_1) | instskip(NEXT) | instid1(VALU_DEP_1)
	v_add_f32_e32 v94, s67, v17
	v_cmp_ge_f32_e32 vcc_lo, 0x41a00000, v94
	s_and_b32 s29, s80, vcc_lo
	s_delay_alu instid0(SALU_CYCLE_1)
	s_and_saveexec_b32 s30, s29
	s_cbranch_execz .LBB88_76
; %bb.75:                               ;   in Loop: Header=BB88_12 Depth=1
	v_mul_f32_e32 v17, 0x3fb8aa3b, v94
	v_cmp_ngt_f32_e32 vcc_lo, 0xc2ce8ed0, v94
	s_delay_alu instid0(VALU_DEP_2) | instskip(SKIP_1) | instid1(VALU_DEP_1)
	v_rndne_f32_e32 v95, v17
	v_fma_f32 v96, 0x3fb8aa3b, v94, -v17
	v_dual_sub_f32 v17, v17, v95 :: v_dual_fmac_f32 v96, 0x32a5705f, v94
	v_cvt_i32_f32_e32 v95, v95
	s_delay_alu instid0(VALU_DEP_2) | instskip(NEXT) | instid1(VALU_DEP_1)
	v_add_f32_e32 v17, v17, v96
	v_exp_f32_e32 v17, v17
	s_waitcnt_depctr 0xfff
	v_ldexp_f32 v17, v17, v95
	s_delay_alu instid0(VALU_DEP_1) | instskip(SKIP_1) | instid1(VALU_DEP_2)
	v_cndmask_b32_e32 v17, 0, v17, vcc_lo
	v_cmp_nlt_f32_e32 vcc_lo, 0x42b17218, v94
	v_cndmask_b32_e32 v17, 0x7f800000, v17, vcc_lo
	s_delay_alu instid0(VALU_DEP_1) | instskip(NEXT) | instid1(VALU_DEP_1)
	v_add_f32_e32 v96, 1.0, v17
	v_cvt_f64_f32_e32 v[94:95], v96
	s_delay_alu instid0(VALU_DEP_1) | instskip(SKIP_1) | instid1(VALU_DEP_1)
	v_frexp_exp_i32_f64_e32 v94, v[94:95]
	v_frexp_mant_f32_e32 v95, v96
	v_cmp_gt_f32_e32 vcc_lo, 0x3f2aaaab, v95
	v_add_f32_e32 v95, -1.0, v96
	s_delay_alu instid0(VALU_DEP_1) | instskip(NEXT) | instid1(VALU_DEP_1)
	v_dual_sub_f32 v98, v95, v96 :: v_dual_sub_f32 v95, v17, v95
	v_add_f32_e32 v98, 1.0, v98
	v_subrev_co_ci_u32_e32 v94, vcc_lo, 0, v94, vcc_lo
	s_delay_alu instid0(VALU_DEP_1) | instskip(SKIP_1) | instid1(VALU_DEP_2)
	v_sub_nc_u32_e32 v97, 0, v94
	v_cvt_f32_i32_e32 v94, v94
	v_ldexp_f32 v96, v96, v97
	v_add_f32_e32 v95, v95, v98
	s_delay_alu instid0(VALU_DEP_1) | instskip(NEXT) | instid1(VALU_DEP_3)
	v_ldexp_f32 v95, v95, v97
	v_add_f32_e32 v99, 1.0, v96
	s_delay_alu instid0(VALU_DEP_1) | instskip(NEXT) | instid1(VALU_DEP_1)
	v_add_f32_e32 v98, -1.0, v99
	v_sub_f32_e32 v98, v96, v98
	v_cmp_eq_f32_e32 vcc_lo, 0x7f800000, v17
	v_cmp_gt_f32_e64 s29, 0x33800000, v17
	s_delay_alu instid0(VALU_DEP_3) | instskip(NEXT) | instid1(VALU_DEP_2)
	v_dual_add_f32 v98, v95, v98 :: v_dual_add_f32 v97, -1.0, v96
	s_or_b32 vcc_lo, s29, vcc_lo
	s_delay_alu instid0(VALU_DEP_1) | instskip(NEXT) | instid1(VALU_DEP_1)
	v_add_f32_e32 v100, 1.0, v97
	v_sub_f32_e32 v96, v96, v100
	s_delay_alu instid0(VALU_DEP_3) | instskip(NEXT) | instid1(VALU_DEP_1)
	v_add_f32_e32 v100, v99, v98
	v_sub_f32_e32 v99, v99, v100
	s_delay_alu instid0(VALU_DEP_3) | instskip(SKIP_1) | instid1(VALU_DEP_2)
	v_add_f32_e32 v95, v95, v96
	v_rcp_f32_e32 v96, v100
	v_add_f32_e32 v98, v98, v99
	s_delay_alu instid0(VALU_DEP_2) | instskip(NEXT) | instid1(VALU_DEP_1)
	v_add_f32_e32 v101, v97, v95
	v_sub_f32_e32 v97, v97, v101
	s_waitcnt_depctr 0xfff
	v_dual_mul_f32 v102, v101, v96 :: v_dual_add_f32 v95, v95, v97
	s_delay_alu instid0(VALU_DEP_1) | instskip(NEXT) | instid1(VALU_DEP_1)
	v_mul_f32_e32 v103, v100, v102
	v_fma_f32 v99, v102, v100, -v103
	s_delay_alu instid0(VALU_DEP_1) | instskip(NEXT) | instid1(VALU_DEP_1)
	v_fmac_f32_e32 v99, v102, v98
	v_add_f32_e32 v104, v103, v99
	s_delay_alu instid0(VALU_DEP_1) | instskip(NEXT) | instid1(VALU_DEP_1)
	v_sub_f32_e32 v105, v101, v104
	v_sub_f32_e32 v101, v101, v105
	;; [unrolled: 1-line block ×3, first 2 shown]
	s_delay_alu instid0(VALU_DEP_2) | instskip(NEXT) | instid1(VALU_DEP_2)
	v_sub_f32_e32 v101, v101, v104
	v_sub_f32_e32 v97, v97, v99
	s_delay_alu instid0(VALU_DEP_2) | instskip(NEXT) | instid1(VALU_DEP_1)
	v_add_f32_e32 v95, v95, v101
	v_add_f32_e32 v95, v97, v95
	s_delay_alu instid0(VALU_DEP_1) | instskip(NEXT) | instid1(VALU_DEP_1)
	v_add_f32_e32 v97, v105, v95
	v_mul_f32_e32 v99, v96, v97
	s_delay_alu instid0(VALU_DEP_1) | instskip(NEXT) | instid1(VALU_DEP_1)
	v_dual_sub_f32 v104, v105, v97 :: v_dual_mul_f32 v101, v100, v99
	v_add_f32_e32 v95, v95, v104
	s_delay_alu instid0(VALU_DEP_2) | instskip(NEXT) | instid1(VALU_DEP_1)
	v_fma_f32 v100, v99, v100, -v101
	v_fmac_f32_e32 v100, v99, v98
	s_delay_alu instid0(VALU_DEP_1) | instskip(NEXT) | instid1(VALU_DEP_1)
	v_add_f32_e32 v98, v101, v100
	v_sub_f32_e32 v103, v97, v98
	v_sub_f32_e32 v101, v98, v101
	s_delay_alu instid0(VALU_DEP_2) | instskip(NEXT) | instid1(VALU_DEP_1)
	v_sub_f32_e32 v97, v97, v103
	v_sub_f32_e32 v97, v97, v98
	s_delay_alu instid0(VALU_DEP_1) | instskip(SKIP_1) | instid1(VALU_DEP_1)
	v_dual_sub_f32 v98, v101, v100 :: v_dual_add_f32 v95, v95, v97
	v_add_f32_e32 v97, v102, v99
	v_dual_add_f32 v95, v98, v95 :: v_dual_sub_f32 v98, v97, v102
	s_delay_alu instid0(VALU_DEP_1) | instskip(NEXT) | instid1(VALU_DEP_1)
	v_add_f32_e32 v95, v103, v95
	v_dual_sub_f32 v98, v99, v98 :: v_dual_mul_f32 v95, v96, v95
	s_delay_alu instid0(VALU_DEP_1) | instskip(NEXT) | instid1(VALU_DEP_1)
	v_add_f32_e32 v95, v98, v95
	v_add_f32_e32 v96, v97, v95
	s_delay_alu instid0(VALU_DEP_1) | instskip(NEXT) | instid1(VALU_DEP_1)
	v_mul_f32_e32 v98, v96, v96
	v_fmaak_f32 v99, s84, v98, 0x3ecc95a3
	v_mul_f32_e32 v100, v96, v98
	s_delay_alu instid0(VALU_DEP_2) | instskip(SKIP_2) | instid1(VALU_DEP_3)
	v_fmaak_f32 v98, v98, v99, 0x3f2aaada
	v_ldexp_f32 v99, v96, 1
	v_sub_f32_e32 v96, v96, v97
	v_mul_f32_e32 v98, v100, v98
	s_delay_alu instid0(VALU_DEP_2) | instskip(NEXT) | instid1(VALU_DEP_2)
	v_dual_mul_f32 v100, 0x3f317218, v94 :: v_dual_sub_f32 v95, v95, v96
	v_add_f32_e32 v97, v99, v98
	s_delay_alu instid0(VALU_DEP_2) | instskip(NEXT) | instid1(VALU_DEP_2)
	v_ldexp_f32 v95, v95, 1
	v_sub_f32_e32 v96, v97, v99
	s_delay_alu instid0(VALU_DEP_4) | instskip(NEXT) | instid1(VALU_DEP_1)
	v_fma_f32 v99, 0x3f317218, v94, -v100
	v_dual_sub_f32 v96, v98, v96 :: v_dual_fmac_f32 v99, 0xb102e308, v94
	s_delay_alu instid0(VALU_DEP_1) | instskip(NEXT) | instid1(VALU_DEP_1)
	v_dual_add_f32 v94, v95, v96 :: v_dual_add_f32 v95, v100, v99
	v_add_f32_e32 v96, v97, v94
	s_delay_alu instid0(VALU_DEP_2) | instskip(NEXT) | instid1(VALU_DEP_2)
	v_sub_f32_e32 v100, v95, v100
	v_dual_add_f32 v98, v95, v96 :: v_dual_sub_f32 v97, v96, v97
	s_delay_alu instid0(VALU_DEP_2) | instskip(NEXT) | instid1(VALU_DEP_2)
	v_sub_f32_e32 v99, v99, v100
	v_sub_f32_e32 v101, v98, v95
	s_delay_alu instid0(VALU_DEP_3) | instskip(NEXT) | instid1(VALU_DEP_2)
	v_sub_f32_e32 v94, v94, v97
	v_sub_f32_e32 v102, v98, v101
	s_delay_alu instid0(VALU_DEP_2) | instskip(NEXT) | instid1(VALU_DEP_2)
	v_dual_sub_f32 v96, v96, v101 :: v_dual_add_f32 v97, v99, v94
	v_sub_f32_e32 v95, v95, v102
	s_delay_alu instid0(VALU_DEP_1) | instskip(NEXT) | instid1(VALU_DEP_3)
	v_add_f32_e32 v95, v96, v95
	v_sub_f32_e32 v96, v97, v99
	s_delay_alu instid0(VALU_DEP_2) | instskip(NEXT) | instid1(VALU_DEP_2)
	v_add_f32_e32 v95, v97, v95
	v_sub_f32_e32 v97, v97, v96
	v_sub_f32_e32 v94, v94, v96
	s_delay_alu instid0(VALU_DEP_2) | instskip(NEXT) | instid1(VALU_DEP_1)
	v_dual_add_f32 v100, v98, v95 :: v_dual_sub_f32 v97, v99, v97
	v_sub_f32_e32 v96, v100, v98
	s_delay_alu instid0(VALU_DEP_1) | instskip(NEXT) | instid1(VALU_DEP_1)
	v_dual_add_f32 v94, v94, v97 :: v_dual_sub_f32 v95, v95, v96
	v_add_f32_e32 v94, v94, v95
	s_delay_alu instid0(VALU_DEP_1) | instskip(NEXT) | instid1(VALU_DEP_1)
	v_add_f32_e32 v94, v100, v94
	v_cndmask_b32_e32 v94, v94, v17, vcc_lo
.LBB88_76:                              ;   in Loop: Header=BB88_12 Depth=1
	s_or_b32 exec_lo, exec_lo, s30
	v_lshrrev_b32_e32 v12, 16, v12
	s_delay_alu instid0(VALU_DEP_1) | instskip(NEXT) | instid1(VALU_DEP_1)
	v_cvt_f32_f16_e32 v12, v12
	v_add_f32_e32 v95, s67, v12
	s_delay_alu instid0(VALU_DEP_1) | instskip(SKIP_1) | instid1(SALU_CYCLE_1)
	v_cmp_ge_f32_e32 vcc_lo, 0x41a00000, v95
	s_and_b32 s29, s80, vcc_lo
	s_and_saveexec_b32 s30, s29
	s_cbranch_execz .LBB88_78
; %bb.77:                               ;   in Loop: Header=BB88_12 Depth=1
	v_mul_f32_e32 v12, 0x3fb8aa3b, v95
	v_cmp_ngt_f32_e32 vcc_lo, 0xc2ce8ed0, v95
	s_delay_alu instid0(VALU_DEP_2) | instskip(SKIP_1) | instid1(VALU_DEP_2)
	v_rndne_f32_e32 v17, v12
	v_fma_f32 v96, 0x3fb8aa3b, v95, -v12
	v_sub_f32_e32 v12, v12, v17
	s_delay_alu instid0(VALU_DEP_2) | instskip(SKIP_1) | instid1(VALU_DEP_2)
	v_fmac_f32_e32 v96, 0x32a5705f, v95
	v_cvt_i32_f32_e32 v17, v17
	v_add_f32_e32 v12, v12, v96
	s_delay_alu instid0(VALU_DEP_1) | instskip(SKIP_2) | instid1(VALU_DEP_1)
	v_exp_f32_e32 v12, v12
	s_waitcnt_depctr 0xfff
	v_ldexp_f32 v12, v12, v17
	v_cndmask_b32_e32 v12, 0, v12, vcc_lo
	v_cmp_nlt_f32_e32 vcc_lo, 0x42b17218, v95
	s_delay_alu instid0(VALU_DEP_2) | instskip(NEXT) | instid1(VALU_DEP_1)
	v_cndmask_b32_e32 v12, 0x7f800000, v12, vcc_lo
	v_add_f32_e32 v17, 1.0, v12
	s_delay_alu instid0(VALU_DEP_1) | instskip(NEXT) | instid1(VALU_DEP_1)
	v_cvt_f64_f32_e32 v[95:96], v17
	v_frexp_exp_i32_f64_e32 v95, v[95:96]
	v_frexp_mant_f32_e32 v96, v17
	s_delay_alu instid0(VALU_DEP_1) | instskip(SKIP_1) | instid1(VALU_DEP_1)
	v_cmp_gt_f32_e32 vcc_lo, 0x3f2aaaab, v96
	v_add_f32_e32 v96, -1.0, v17
	v_sub_f32_e32 v98, v96, v17
	v_sub_f32_e32 v96, v12, v96
	s_delay_alu instid0(VALU_DEP_2) | instskip(NEXT) | instid1(VALU_DEP_1)
	v_add_f32_e32 v98, 1.0, v98
	v_add_f32_e32 v96, v96, v98
	v_subrev_co_ci_u32_e32 v95, vcc_lo, 0, v95, vcc_lo
	s_delay_alu instid0(VALU_DEP_1) | instskip(SKIP_1) | instid1(VALU_DEP_2)
	v_sub_nc_u32_e32 v97, 0, v95
	v_cvt_f32_i32_e32 v95, v95
	v_ldexp_f32 v17, v17, v97
	v_ldexp_f32 v96, v96, v97
	s_delay_alu instid0(VALU_DEP_2) | instskip(NEXT) | instid1(VALU_DEP_1)
	v_add_f32_e32 v99, 1.0, v17
	v_dual_add_f32 v97, -1.0, v17 :: v_dual_add_f32 v98, -1.0, v99
	s_delay_alu instid0(VALU_DEP_1) | instskip(NEXT) | instid1(VALU_DEP_2)
	v_add_f32_e32 v100, 1.0, v97
	v_sub_f32_e32 v98, v17, v98
	s_delay_alu instid0(VALU_DEP_2) | instskip(NEXT) | instid1(VALU_DEP_1)
	v_sub_f32_e32 v17, v17, v100
	v_add_f32_e32 v17, v96, v17
	s_delay_alu instid0(VALU_DEP_1) | instskip(SKIP_2) | instid1(VALU_DEP_3)
	v_add_f32_e32 v101, v97, v17
	v_cmp_eq_f32_e32 vcc_lo, 0x7f800000, v12
	v_cmp_gt_f32_e64 s29, 0x33800000, v12
	v_dual_sub_f32 v97, v97, v101 :: v_dual_add_f32 v98, v96, v98
	s_delay_alu instid0(VALU_DEP_2) | instskip(NEXT) | instid1(VALU_DEP_1)
	s_or_b32 vcc_lo, s29, vcc_lo
	v_dual_add_f32 v17, v17, v97 :: v_dual_add_f32 v100, v99, v98
	s_delay_alu instid0(VALU_DEP_1) | instskip(SKIP_1) | instid1(VALU_DEP_1)
	v_rcp_f32_e32 v96, v100
	v_sub_f32_e32 v99, v99, v100
	v_add_f32_e32 v98, v98, v99
	s_waitcnt_depctr 0xfff
	v_mul_f32_e32 v102, v101, v96
	s_delay_alu instid0(VALU_DEP_1) | instskip(NEXT) | instid1(VALU_DEP_1)
	v_mul_f32_e32 v103, v100, v102
	v_fma_f32 v99, v102, v100, -v103
	s_delay_alu instid0(VALU_DEP_1) | instskip(NEXT) | instid1(VALU_DEP_1)
	v_fmac_f32_e32 v99, v102, v98
	v_add_f32_e32 v104, v103, v99
	s_delay_alu instid0(VALU_DEP_1) | instskip(SKIP_1) | instid1(VALU_DEP_2)
	v_sub_f32_e32 v105, v101, v104
	v_sub_f32_e32 v97, v104, v103
	;; [unrolled: 1-line block ×3, first 2 shown]
	s_delay_alu instid0(VALU_DEP_2) | instskip(NEXT) | instid1(VALU_DEP_2)
	v_sub_f32_e32 v97, v97, v99
	v_sub_f32_e32 v101, v101, v104
	s_delay_alu instid0(VALU_DEP_1) | instskip(NEXT) | instid1(VALU_DEP_1)
	v_add_f32_e32 v17, v17, v101
	v_add_f32_e32 v17, v97, v17
	s_delay_alu instid0(VALU_DEP_1) | instskip(NEXT) | instid1(VALU_DEP_1)
	v_add_f32_e32 v97, v105, v17
	v_mul_f32_e32 v99, v96, v97
	s_delay_alu instid0(VALU_DEP_1) | instskip(NEXT) | instid1(VALU_DEP_1)
	v_mul_f32_e32 v101, v100, v99
	v_fma_f32 v100, v99, v100, -v101
	s_delay_alu instid0(VALU_DEP_1) | instskip(SKIP_1) | instid1(VALU_DEP_2)
	v_fmac_f32_e32 v100, v99, v98
	v_sub_f32_e32 v104, v105, v97
	v_add_f32_e32 v98, v101, v100
	s_delay_alu instid0(VALU_DEP_2) | instskip(NEXT) | instid1(VALU_DEP_2)
	v_add_f32_e32 v17, v17, v104
	v_sub_f32_e32 v103, v97, v98
	s_delay_alu instid0(VALU_DEP_1) | instskip(NEXT) | instid1(VALU_DEP_1)
	v_sub_f32_e32 v97, v97, v103
	v_sub_f32_e32 v97, v97, v98
	s_delay_alu instid0(VALU_DEP_1) | instskip(SKIP_2) | instid1(VALU_DEP_1)
	v_add_f32_e32 v17, v17, v97
	v_add_f32_e32 v97, v102, v99
	v_sub_f32_e32 v101, v98, v101
	v_sub_f32_e32 v98, v101, v100
	s_delay_alu instid0(VALU_DEP_1) | instskip(NEXT) | instid1(VALU_DEP_1)
	v_dual_add_f32 v17, v98, v17 :: v_dual_sub_f32 v98, v97, v102
	v_add_f32_e32 v17, v103, v17
	s_delay_alu instid0(VALU_DEP_1) | instskip(NEXT) | instid1(VALU_DEP_1)
	v_dual_sub_f32 v98, v99, v98 :: v_dual_mul_f32 v17, v96, v17
	v_add_f32_e32 v17, v98, v17
	s_delay_alu instid0(VALU_DEP_1) | instskip(NEXT) | instid1(VALU_DEP_1)
	v_add_f32_e32 v96, v97, v17
	v_mul_f32_e32 v98, v96, v96
	s_delay_alu instid0(VALU_DEP_1) | instskip(SKIP_1) | instid1(VALU_DEP_2)
	v_fmaak_f32 v99, s84, v98, 0x3ecc95a3
	v_mul_f32_e32 v100, v96, v98
	v_fmaak_f32 v98, v98, v99, 0x3f2aaada
	v_ldexp_f32 v99, v96, 1
	s_delay_alu instid0(VALU_DEP_2) | instskip(SKIP_1) | instid1(VALU_DEP_2)
	v_mul_f32_e32 v98, v100, v98
	v_sub_f32_e32 v96, v96, v97
	v_dual_mul_f32 v100, 0x3f317218, v95 :: v_dual_add_f32 v97, v99, v98
	s_delay_alu instid0(VALU_DEP_2) | instskip(NEXT) | instid1(VALU_DEP_2)
	v_sub_f32_e32 v17, v17, v96
	v_sub_f32_e32 v96, v97, v99
	s_delay_alu instid0(VALU_DEP_3) | instskip(NEXT) | instid1(VALU_DEP_3)
	v_fma_f32 v99, 0x3f317218, v95, -v100
	v_ldexp_f32 v17, v17, 1
	s_delay_alu instid0(VALU_DEP_2) | instskip(NEXT) | instid1(VALU_DEP_1)
	v_dual_sub_f32 v96, v98, v96 :: v_dual_fmac_f32 v99, 0xb102e308, v95
	v_add_f32_e32 v17, v17, v96
	s_delay_alu instid0(VALU_DEP_1) | instskip(NEXT) | instid1(VALU_DEP_1)
	v_dual_add_f32 v95, v100, v99 :: v_dual_add_f32 v96, v97, v17
	v_sub_f32_e32 v100, v95, v100
	s_delay_alu instid0(VALU_DEP_2) | instskip(NEXT) | instid1(VALU_DEP_2)
	v_dual_add_f32 v98, v95, v96 :: v_dual_sub_f32 v97, v96, v97
	v_sub_f32_e32 v99, v99, v100
	s_delay_alu instid0(VALU_DEP_2) | instskip(NEXT) | instid1(VALU_DEP_1)
	v_sub_f32_e32 v101, v98, v95
	v_sub_f32_e32 v102, v98, v101
	;; [unrolled: 1-line block ×4, first 2 shown]
	s_delay_alu instid0(VALU_DEP_1) | instskip(NEXT) | instid1(VALU_DEP_4)
	v_add_f32_e32 v97, v99, v17
	v_sub_f32_e32 v95, v95, v102
	s_delay_alu instid0(VALU_DEP_1) | instskip(NEXT) | instid1(VALU_DEP_3)
	v_add_f32_e32 v95, v96, v95
	v_sub_f32_e32 v96, v97, v99
	s_delay_alu instid0(VALU_DEP_2) | instskip(NEXT) | instid1(VALU_DEP_2)
	v_add_f32_e32 v95, v97, v95
	v_sub_f32_e32 v97, v97, v96
	s_delay_alu instid0(VALU_DEP_2) | instskip(NEXT) | instid1(VALU_DEP_1)
	v_dual_sub_f32 v17, v17, v96 :: v_dual_add_f32 v100, v98, v95
	v_dual_sub_f32 v96, v100, v98 :: v_dual_sub_f32 v97, v99, v97
	s_delay_alu instid0(VALU_DEP_1) | instskip(NEXT) | instid1(VALU_DEP_2)
	v_sub_f32_e32 v95, v95, v96
	v_add_f32_e32 v17, v17, v97
	s_delay_alu instid0(VALU_DEP_1) | instskip(NEXT) | instid1(VALU_DEP_1)
	v_add_f32_e32 v17, v17, v95
	v_add_f32_e32 v17, v100, v17
	s_delay_alu instid0(VALU_DEP_1)
	v_cndmask_b32_e32 v95, v17, v12, vcc_lo
.LBB88_78:                              ;   in Loop: Header=BB88_12 Depth=1
	s_or_b32 exec_lo, exec_lo, s30
	v_cvt_f32_f16_e32 v12, v13
	s_delay_alu instid0(VALU_DEP_1) | instskip(NEXT) | instid1(VALU_DEP_1)
	v_add_f32_e32 v96, s67, v12
	v_cmp_ge_f32_e32 vcc_lo, 0x41a00000, v96
	s_and_b32 s29, s80, vcc_lo
	s_delay_alu instid0(SALU_CYCLE_1)
	s_and_saveexec_b32 s30, s29
	s_cbranch_execz .LBB88_80
; %bb.79:                               ;   in Loop: Header=BB88_12 Depth=1
	v_mul_f32_e32 v12, 0x3fb8aa3b, v96
	v_cmp_ngt_f32_e32 vcc_lo, 0xc2ce8ed0, v96
	s_delay_alu instid0(VALU_DEP_2) | instskip(SKIP_1) | instid1(VALU_DEP_1)
	v_rndne_f32_e32 v17, v12
	v_fma_f32 v97, 0x3fb8aa3b, v96, -v12
	v_dual_sub_f32 v12, v12, v17 :: v_dual_fmac_f32 v97, 0x32a5705f, v96
	v_cvt_i32_f32_e32 v17, v17
	s_delay_alu instid0(VALU_DEP_2) | instskip(NEXT) | instid1(VALU_DEP_1)
	v_add_f32_e32 v12, v12, v97
	v_exp_f32_e32 v12, v12
	s_waitcnt_depctr 0xfff
	v_ldexp_f32 v12, v12, v17
	s_delay_alu instid0(VALU_DEP_1) | instskip(SKIP_1) | instid1(VALU_DEP_2)
	v_cndmask_b32_e32 v12, 0, v12, vcc_lo
	v_cmp_nlt_f32_e32 vcc_lo, 0x42b17218, v96
	v_cndmask_b32_e32 v12, 0x7f800000, v12, vcc_lo
	s_delay_alu instid0(VALU_DEP_1) | instskip(NEXT) | instid1(VALU_DEP_1)
	v_add_f32_e32 v17, 1.0, v12
	v_cvt_f64_f32_e32 v[96:97], v17
	s_delay_alu instid0(VALU_DEP_1) | instskip(SKIP_1) | instid1(VALU_DEP_1)
	v_frexp_exp_i32_f64_e32 v96, v[96:97]
	v_frexp_mant_f32_e32 v97, v17
	v_cmp_gt_f32_e32 vcc_lo, 0x3f2aaaab, v97
	v_add_f32_e32 v97, -1.0, v17
	s_delay_alu instid0(VALU_DEP_1) | instskip(SKIP_1) | instid1(VALU_DEP_2)
	v_sub_f32_e32 v99, v97, v17
	v_sub_f32_e32 v97, v12, v97
	v_add_f32_e32 v99, 1.0, v99
	s_delay_alu instid0(VALU_DEP_1) | instskip(SKIP_3) | instid1(VALU_DEP_2)
	v_add_f32_e32 v97, v97, v99
	v_cmp_gt_f32_e64 s29, 0x33800000, v12
	v_subrev_co_ci_u32_e32 v96, vcc_lo, 0, v96, vcc_lo
	v_cmp_eq_f32_e32 vcc_lo, 0x7f800000, v12
	v_sub_nc_u32_e32 v98, 0, v96
	v_cvt_f32_i32_e32 v96, v96
	s_or_b32 vcc_lo, s29, vcc_lo
	s_delay_alu instid0(VALU_DEP_2) | instskip(SKIP_1) | instid1(VALU_DEP_2)
	v_ldexp_f32 v17, v17, v98
	v_ldexp_f32 v97, v97, v98
	v_add_f32_e32 v100, 1.0, v17
	s_delay_alu instid0(VALU_DEP_1) | instskip(NEXT) | instid1(VALU_DEP_1)
	v_dual_add_f32 v98, -1.0, v17 :: v_dual_add_f32 v99, -1.0, v100
	v_add_f32_e32 v101, 1.0, v98
	s_delay_alu instid0(VALU_DEP_2) | instskip(NEXT) | instid1(VALU_DEP_2)
	v_sub_f32_e32 v99, v17, v99
	v_sub_f32_e32 v17, v17, v101
	s_delay_alu instid0(VALU_DEP_1) | instskip(NEXT) | instid1(VALU_DEP_1)
	v_add_f32_e32 v17, v97, v17
	v_dual_add_f32 v102, v98, v17 :: v_dual_add_f32 v99, v97, v99
	s_delay_alu instid0(VALU_DEP_1) | instskip(NEXT) | instid1(VALU_DEP_1)
	v_dual_sub_f32 v98, v98, v102 :: v_dual_add_f32 v101, v100, v99
	v_rcp_f32_e32 v97, v101
	v_sub_f32_e32 v100, v100, v101
	s_delay_alu instid0(VALU_DEP_1) | instskip(SKIP_2) | instid1(VALU_DEP_1)
	v_add_f32_e32 v99, v99, v100
	s_waitcnt_depctr 0xfff
	v_mul_f32_e32 v103, v102, v97
	v_mul_f32_e32 v104, v101, v103
	s_delay_alu instid0(VALU_DEP_1) | instskip(NEXT) | instid1(VALU_DEP_1)
	v_fma_f32 v100, v103, v101, -v104
	v_fmac_f32_e32 v100, v103, v99
	s_delay_alu instid0(VALU_DEP_1) | instskip(NEXT) | instid1(VALU_DEP_1)
	v_add_f32_e32 v105, v104, v100
	v_sub_f32_e32 v106, v102, v105
	s_delay_alu instid0(VALU_DEP_1) | instskip(SKIP_2) | instid1(VALU_DEP_3)
	v_sub_f32_e32 v102, v102, v106
	v_add_f32_e32 v17, v17, v98
	v_sub_f32_e32 v98, v105, v104
	v_sub_f32_e32 v102, v102, v105
	s_delay_alu instid0(VALU_DEP_1) | instskip(NEXT) | instid1(VALU_DEP_1)
	v_dual_sub_f32 v98, v98, v100 :: v_dual_add_f32 v17, v17, v102
	v_add_f32_e32 v17, v98, v17
	s_delay_alu instid0(VALU_DEP_1) | instskip(NEXT) | instid1(VALU_DEP_1)
	v_add_f32_e32 v98, v106, v17
	v_mul_f32_e32 v100, v97, v98
	s_delay_alu instid0(VALU_DEP_1) | instskip(NEXT) | instid1(VALU_DEP_1)
	v_dual_sub_f32 v105, v106, v98 :: v_dual_mul_f32 v102, v101, v100
	v_add_f32_e32 v17, v17, v105
	s_delay_alu instid0(VALU_DEP_2) | instskip(NEXT) | instid1(VALU_DEP_1)
	v_fma_f32 v101, v100, v101, -v102
	v_fmac_f32_e32 v101, v100, v99
	s_delay_alu instid0(VALU_DEP_1) | instskip(NEXT) | instid1(VALU_DEP_1)
	v_add_f32_e32 v99, v102, v101
	v_sub_f32_e32 v104, v98, v99
	s_delay_alu instid0(VALU_DEP_1) | instskip(NEXT) | instid1(VALU_DEP_1)
	v_sub_f32_e32 v98, v98, v104
	v_sub_f32_e32 v98, v98, v99
	s_delay_alu instid0(VALU_DEP_1) | instskip(SKIP_1) | instid1(VALU_DEP_1)
	v_dual_add_f32 v17, v17, v98 :: v_dual_add_f32 v98, v103, v100
	v_sub_f32_e32 v102, v99, v102
	v_sub_f32_e32 v99, v102, v101
	s_delay_alu instid0(VALU_DEP_1) | instskip(NEXT) | instid1(VALU_DEP_4)
	v_add_f32_e32 v17, v99, v17
	v_sub_f32_e32 v99, v98, v103
	s_delay_alu instid0(VALU_DEP_2) | instskip(NEXT) | instid1(VALU_DEP_2)
	v_add_f32_e32 v17, v104, v17
	v_sub_f32_e32 v99, v100, v99
	s_delay_alu instid0(VALU_DEP_2) | instskip(NEXT) | instid1(VALU_DEP_1)
	v_mul_f32_e32 v17, v97, v17
	v_add_f32_e32 v17, v99, v17
	s_delay_alu instid0(VALU_DEP_1) | instskip(NEXT) | instid1(VALU_DEP_1)
	v_add_f32_e32 v97, v98, v17
	v_mul_f32_e32 v99, v97, v97
	s_delay_alu instid0(VALU_DEP_1) | instskip(SKIP_1) | instid1(VALU_DEP_2)
	v_fmaak_f32 v100, s84, v99, 0x3ecc95a3
	v_mul_f32_e32 v101, v97, v99
	v_fmaak_f32 v99, v99, v100, 0x3f2aaada
	v_ldexp_f32 v100, v97, 1
	v_sub_f32_e32 v97, v97, v98
	s_delay_alu instid0(VALU_DEP_3) | instskip(SKIP_1) | instid1(VALU_DEP_2)
	v_mul_f32_e32 v99, v101, v99
	v_mul_f32_e32 v101, 0x3f317218, v96
	v_dual_sub_f32 v17, v17, v97 :: v_dual_add_f32 v98, v100, v99
	s_delay_alu instid0(VALU_DEP_1) | instskip(NEXT) | instid1(VALU_DEP_2)
	v_ldexp_f32 v17, v17, 1
	v_sub_f32_e32 v97, v98, v100
	s_delay_alu instid0(VALU_DEP_4) | instskip(NEXT) | instid1(VALU_DEP_1)
	v_fma_f32 v100, 0x3f317218, v96, -v101
	v_dual_sub_f32 v97, v99, v97 :: v_dual_fmac_f32 v100, 0xb102e308, v96
	s_delay_alu instid0(VALU_DEP_1) | instskip(NEXT) | instid1(VALU_DEP_1)
	v_add_f32_e32 v17, v17, v97
	v_dual_add_f32 v96, v101, v100 :: v_dual_add_f32 v97, v98, v17
	s_delay_alu instid0(VALU_DEP_1) | instskip(NEXT) | instid1(VALU_DEP_2)
	v_sub_f32_e32 v101, v96, v101
	v_dual_add_f32 v99, v96, v97 :: v_dual_sub_f32 v98, v97, v98
	s_delay_alu instid0(VALU_DEP_2) | instskip(NEXT) | instid1(VALU_DEP_2)
	v_sub_f32_e32 v100, v100, v101
	v_dual_sub_f32 v102, v99, v96 :: v_dual_sub_f32 v17, v17, v98
	s_delay_alu instid0(VALU_DEP_1) | instskip(NEXT) | instid1(VALU_DEP_2)
	v_sub_f32_e32 v103, v99, v102
	v_dual_sub_f32 v97, v97, v102 :: v_dual_add_f32 v98, v100, v17
	s_delay_alu instid0(VALU_DEP_2) | instskip(NEXT) | instid1(VALU_DEP_1)
	v_sub_f32_e32 v96, v96, v103
	v_add_f32_e32 v96, v97, v96
	s_delay_alu instid0(VALU_DEP_3) | instskip(NEXT) | instid1(VALU_DEP_2)
	v_sub_f32_e32 v97, v98, v100
	v_add_f32_e32 v96, v98, v96
	s_delay_alu instid0(VALU_DEP_2) | instskip(SKIP_1) | instid1(VALU_DEP_2)
	v_sub_f32_e32 v98, v98, v97
	v_sub_f32_e32 v17, v17, v97
	v_dual_add_f32 v101, v99, v96 :: v_dual_sub_f32 v98, v100, v98
	s_delay_alu instid0(VALU_DEP_1) | instskip(NEXT) | instid1(VALU_DEP_1)
	v_sub_f32_e32 v97, v101, v99
	v_dual_add_f32 v17, v17, v98 :: v_dual_sub_f32 v96, v96, v97
	s_delay_alu instid0(VALU_DEP_1) | instskip(NEXT) | instid1(VALU_DEP_1)
	v_add_f32_e32 v17, v17, v96
	v_add_f32_e32 v17, v101, v17
	s_delay_alu instid0(VALU_DEP_1)
	v_cndmask_b32_e32 v96, v17, v12, vcc_lo
.LBB88_80:                              ;   in Loop: Header=BB88_12 Depth=1
	s_or_b32 exec_lo, exec_lo, s30
	v_lshrrev_b32_e32 v12, 16, v13
	s_delay_alu instid0(VALU_DEP_1) | instskip(NEXT) | instid1(VALU_DEP_1)
	v_cvt_f32_f16_e32 v12, v12
	v_add_f32_e32 v97, s67, v12
	s_delay_alu instid0(VALU_DEP_1) | instskip(SKIP_1) | instid1(SALU_CYCLE_1)
	v_cmp_ge_f32_e32 vcc_lo, 0x41a00000, v97
	s_and_b32 s29, s80, vcc_lo
	s_and_saveexec_b32 s30, s29
	s_cbranch_execz .LBB88_82
; %bb.81:                               ;   in Loop: Header=BB88_12 Depth=1
	v_mul_f32_e32 v12, 0x3fb8aa3b, v97
	v_cmp_ngt_f32_e32 vcc_lo, 0xc2ce8ed0, v97
	s_delay_alu instid0(VALU_DEP_2) | instskip(SKIP_1) | instid1(VALU_DEP_2)
	v_rndne_f32_e32 v13, v12
	v_fma_f32 v17, 0x3fb8aa3b, v97, -v12
	v_sub_f32_e32 v12, v12, v13
	s_delay_alu instid0(VALU_DEP_2) | instskip(SKIP_1) | instid1(VALU_DEP_2)
	v_fmac_f32_e32 v17, 0x32a5705f, v97
	v_cvt_i32_f32_e32 v13, v13
	v_add_f32_e32 v12, v12, v17
	s_delay_alu instid0(VALU_DEP_1) | instskip(SKIP_2) | instid1(VALU_DEP_1)
	v_exp_f32_e32 v12, v12
	s_waitcnt_depctr 0xfff
	v_ldexp_f32 v12, v12, v13
	v_cndmask_b32_e32 v12, 0, v12, vcc_lo
	v_cmp_nlt_f32_e32 vcc_lo, 0x42b17218, v97
	s_delay_alu instid0(VALU_DEP_2) | instskip(NEXT) | instid1(VALU_DEP_1)
	v_cndmask_b32_e32 v17, 0x7f800000, v12, vcc_lo
	v_add_f32_e32 v97, 1.0, v17
	s_delay_alu instid0(VALU_DEP_1) | instskip(NEXT) | instid1(VALU_DEP_1)
	v_cvt_f64_f32_e32 v[12:13], v97
	v_frexp_exp_i32_f64_e32 v12, v[12:13]
	v_frexp_mant_f32_e32 v13, v97
	s_delay_alu instid0(VALU_DEP_1) | instskip(SKIP_1) | instid1(VALU_DEP_1)
	v_cmp_gt_f32_e32 vcc_lo, 0x3f2aaaab, v13
	v_add_f32_e32 v13, -1.0, v97
	v_sub_f32_e32 v99, v13, v97
	s_delay_alu instid0(VALU_DEP_1) | instskip(SKIP_1) | instid1(VALU_DEP_1)
	v_add_f32_e32 v99, 1.0, v99
	v_subrev_co_ci_u32_e32 v12, vcc_lo, 0, v12, vcc_lo
	v_sub_nc_u32_e32 v98, 0, v12
	v_cvt_f32_i32_e32 v12, v12
	s_delay_alu instid0(VALU_DEP_2) | instskip(NEXT) | instid1(VALU_DEP_1)
	v_ldexp_f32 v97, v97, v98
	v_add_f32_e32 v100, 1.0, v97
	v_sub_f32_e32 v13, v17, v13
	v_cmp_eq_f32_e32 vcc_lo, 0x7f800000, v17
	v_cmp_gt_f32_e64 s29, 0x33800000, v17
	s_delay_alu instid0(VALU_DEP_3) | instskip(SKIP_1) | instid1(VALU_DEP_3)
	v_add_f32_e32 v13, v13, v99
	v_add_f32_e32 v99, -1.0, v100
	s_or_b32 vcc_lo, s29, vcc_lo
	s_delay_alu instid0(VALU_DEP_2) | instskip(NEXT) | instid1(VALU_DEP_2)
	v_ldexp_f32 v13, v13, v98
	v_dual_add_f32 v98, -1.0, v97 :: v_dual_sub_f32 v99, v97, v99
	s_delay_alu instid0(VALU_DEP_1) | instskip(NEXT) | instid1(VALU_DEP_2)
	v_add_f32_e32 v101, 1.0, v98
	v_add_f32_e32 v99, v13, v99
	s_delay_alu instid0(VALU_DEP_2) | instskip(NEXT) | instid1(VALU_DEP_1)
	v_sub_f32_e32 v97, v97, v101
	v_add_f32_e32 v13, v13, v97
	s_delay_alu instid0(VALU_DEP_1) | instskip(NEXT) | instid1(VALU_DEP_1)
	v_dual_add_f32 v102, v98, v13 :: v_dual_add_f32 v101, v100, v99
	v_sub_f32_e32 v98, v98, v102
	s_delay_alu instid0(VALU_DEP_2) | instskip(NEXT) | instid1(VALU_DEP_1)
	v_rcp_f32_e32 v97, v101
	v_dual_sub_f32 v100, v100, v101 :: v_dual_add_f32 v13, v13, v98
	s_delay_alu instid0(VALU_DEP_1) | instskip(SKIP_2) | instid1(VALU_DEP_1)
	v_add_f32_e32 v99, v99, v100
	s_waitcnt_depctr 0xfff
	v_mul_f32_e32 v103, v102, v97
	v_mul_f32_e32 v104, v101, v103
	s_delay_alu instid0(VALU_DEP_1) | instskip(NEXT) | instid1(VALU_DEP_1)
	v_fma_f32 v100, v103, v101, -v104
	v_fmac_f32_e32 v100, v103, v99
	s_delay_alu instid0(VALU_DEP_1) | instskip(NEXT) | instid1(VALU_DEP_1)
	v_add_f32_e32 v105, v104, v100
	v_sub_f32_e32 v106, v102, v105
	v_sub_f32_e32 v98, v105, v104
	s_delay_alu instid0(VALU_DEP_2) | instskip(NEXT) | instid1(VALU_DEP_2)
	v_sub_f32_e32 v102, v102, v106
	v_sub_f32_e32 v98, v98, v100
	s_delay_alu instid0(VALU_DEP_2) | instskip(NEXT) | instid1(VALU_DEP_1)
	v_sub_f32_e32 v102, v102, v105
	v_add_f32_e32 v13, v13, v102
	s_delay_alu instid0(VALU_DEP_1) | instskip(NEXT) | instid1(VALU_DEP_1)
	v_add_f32_e32 v13, v98, v13
	v_add_f32_e32 v98, v106, v13
	s_delay_alu instid0(VALU_DEP_1) | instskip(NEXT) | instid1(VALU_DEP_1)
	v_mul_f32_e32 v100, v97, v98
	v_dual_sub_f32 v105, v106, v98 :: v_dual_mul_f32 v102, v101, v100
	s_delay_alu instid0(VALU_DEP_1) | instskip(NEXT) | instid1(VALU_DEP_1)
	v_fma_f32 v101, v100, v101, -v102
	v_fmac_f32_e32 v101, v100, v99
	s_delay_alu instid0(VALU_DEP_1) | instskip(NEXT) | instid1(VALU_DEP_1)
	v_add_f32_e32 v99, v102, v101
	v_dual_add_f32 v13, v13, v105 :: v_dual_sub_f32 v104, v98, v99
	s_delay_alu instid0(VALU_DEP_1) | instskip(NEXT) | instid1(VALU_DEP_1)
	v_sub_f32_e32 v98, v98, v104
	v_sub_f32_e32 v98, v98, v99
	s_delay_alu instid0(VALU_DEP_1) | instskip(SKIP_1) | instid1(VALU_DEP_1)
	v_dual_add_f32 v13, v13, v98 :: v_dual_add_f32 v98, v103, v100
	v_sub_f32_e32 v102, v99, v102
	v_sub_f32_e32 v99, v102, v101
	s_delay_alu instid0(VALU_DEP_1) | instskip(NEXT) | instid1(VALU_DEP_4)
	v_add_f32_e32 v13, v99, v13
	v_sub_f32_e32 v99, v98, v103
	s_delay_alu instid0(VALU_DEP_2) | instskip(NEXT) | instid1(VALU_DEP_2)
	v_add_f32_e32 v13, v104, v13
	v_sub_f32_e32 v99, v100, v99
	s_delay_alu instid0(VALU_DEP_2) | instskip(NEXT) | instid1(VALU_DEP_1)
	v_mul_f32_e32 v13, v97, v13
	v_add_f32_e32 v13, v99, v13
	s_delay_alu instid0(VALU_DEP_1) | instskip(NEXT) | instid1(VALU_DEP_1)
	v_add_f32_e32 v97, v98, v13
	v_mul_f32_e32 v99, v97, v97
	s_delay_alu instid0(VALU_DEP_1) | instskip(SKIP_1) | instid1(VALU_DEP_2)
	v_fmaak_f32 v100, s84, v99, 0x3ecc95a3
	v_mul_f32_e32 v101, v97, v99
	v_fmaak_f32 v99, v99, v100, 0x3f2aaada
	v_ldexp_f32 v100, v97, 1
	v_sub_f32_e32 v97, v97, v98
	s_delay_alu instid0(VALU_DEP_3) | instskip(SKIP_1) | instid1(VALU_DEP_2)
	v_mul_f32_e32 v99, v101, v99
	v_mul_f32_e32 v101, 0x3f317218, v12
	v_dual_sub_f32 v13, v13, v97 :: v_dual_add_f32 v98, v100, v99
	s_delay_alu instid0(VALU_DEP_1) | instskip(NEXT) | instid1(VALU_DEP_2)
	v_ldexp_f32 v13, v13, 1
	v_sub_f32_e32 v97, v98, v100
	s_delay_alu instid0(VALU_DEP_4) | instskip(NEXT) | instid1(VALU_DEP_1)
	v_fma_f32 v100, 0x3f317218, v12, -v101
	v_dual_sub_f32 v97, v99, v97 :: v_dual_fmac_f32 v100, 0xb102e308, v12
	s_delay_alu instid0(VALU_DEP_1) | instskip(NEXT) | instid1(VALU_DEP_2)
	v_add_f32_e32 v12, v13, v97
	v_add_f32_e32 v13, v101, v100
	s_delay_alu instid0(VALU_DEP_2) | instskip(NEXT) | instid1(VALU_DEP_2)
	v_add_f32_e32 v97, v98, v12
	v_sub_f32_e32 v101, v13, v101
	s_delay_alu instid0(VALU_DEP_2) | instskip(SKIP_1) | instid1(VALU_DEP_3)
	v_add_f32_e32 v99, v13, v97
	v_sub_f32_e32 v98, v97, v98
	v_sub_f32_e32 v100, v100, v101
	s_delay_alu instid0(VALU_DEP_3) | instskip(NEXT) | instid1(VALU_DEP_3)
	v_sub_f32_e32 v102, v99, v13
	v_sub_f32_e32 v12, v12, v98
	s_delay_alu instid0(VALU_DEP_2) | instskip(NEXT) | instid1(VALU_DEP_2)
	v_sub_f32_e32 v103, v99, v102
	v_dual_sub_f32 v97, v97, v102 :: v_dual_add_f32 v98, v100, v12
	s_delay_alu instid0(VALU_DEP_2) | instskip(NEXT) | instid1(VALU_DEP_1)
	v_sub_f32_e32 v13, v13, v103
	v_add_f32_e32 v13, v97, v13
	s_delay_alu instid0(VALU_DEP_3) | instskip(NEXT) | instid1(VALU_DEP_2)
	v_sub_f32_e32 v97, v98, v100
	v_add_f32_e32 v13, v98, v13
	s_delay_alu instid0(VALU_DEP_2) | instskip(SKIP_1) | instid1(VALU_DEP_1)
	v_sub_f32_e32 v12, v12, v97
	v_sub_f32_e32 v98, v98, v97
	v_dual_add_f32 v101, v99, v13 :: v_dual_sub_f32 v98, v100, v98
	s_delay_alu instid0(VALU_DEP_1) | instskip(NEXT) | instid1(VALU_DEP_1)
	v_dual_sub_f32 v97, v101, v99 :: v_dual_add_f32 v12, v12, v98
	v_sub_f32_e32 v13, v13, v97
	s_delay_alu instid0(VALU_DEP_1) | instskip(NEXT) | instid1(VALU_DEP_1)
	v_add_f32_e32 v12, v12, v13
	v_add_f32_e32 v12, v101, v12
	s_delay_alu instid0(VALU_DEP_1)
	v_cndmask_b32_e32 v97, v12, v17, vcc_lo
.LBB88_82:                              ;   in Loop: Header=BB88_12 Depth=1
	s_or_b32 exec_lo, exec_lo, s30
	v_cvt_f32_f16_e32 v12, v14
	s_delay_alu instid0(VALU_DEP_1) | instskip(NEXT) | instid1(VALU_DEP_1)
	v_add_f32_e32 v98, s67, v12
	v_cmp_ge_f32_e32 vcc_lo, 0x41a00000, v98
	s_and_b32 s29, s80, vcc_lo
	s_delay_alu instid0(SALU_CYCLE_1)
	s_and_saveexec_b32 s30, s29
	s_cbranch_execz .LBB88_84
; %bb.83:                               ;   in Loop: Header=BB88_12 Depth=1
	v_mul_f32_e32 v12, 0x3fb8aa3b, v98
	v_cmp_ngt_f32_e32 vcc_lo, 0xc2ce8ed0, v98
	s_delay_alu instid0(VALU_DEP_2) | instskip(SKIP_1) | instid1(VALU_DEP_1)
	v_rndne_f32_e32 v13, v12
	v_fma_f32 v17, 0x3fb8aa3b, v98, -v12
	v_dual_sub_f32 v12, v12, v13 :: v_dual_fmac_f32 v17, 0x32a5705f, v98
	v_cvt_i32_f32_e32 v13, v13
	s_delay_alu instid0(VALU_DEP_2) | instskip(NEXT) | instid1(VALU_DEP_1)
	v_add_f32_e32 v12, v12, v17
	v_exp_f32_e32 v12, v12
	s_waitcnt_depctr 0xfff
	v_ldexp_f32 v12, v12, v13
	s_delay_alu instid0(VALU_DEP_1) | instskip(SKIP_1) | instid1(VALU_DEP_2)
	v_cndmask_b32_e32 v12, 0, v12, vcc_lo
	v_cmp_nlt_f32_e32 vcc_lo, 0x42b17218, v98
	v_cndmask_b32_e32 v17, 0x7f800000, v12, vcc_lo
	s_delay_alu instid0(VALU_DEP_1) | instskip(NEXT) | instid1(VALU_DEP_1)
	v_add_f32_e32 v98, 1.0, v17
	v_cvt_f64_f32_e32 v[12:13], v98
	s_delay_alu instid0(VALU_DEP_1) | instskip(SKIP_1) | instid1(VALU_DEP_1)
	v_frexp_exp_i32_f64_e32 v12, v[12:13]
	v_frexp_mant_f32_e32 v13, v98
	v_cmp_gt_f32_e32 vcc_lo, 0x3f2aaaab, v13
	v_add_f32_e32 v13, -1.0, v98
	s_delay_alu instid0(VALU_DEP_1) | instskip(SKIP_2) | instid1(VALU_DEP_3)
	v_sub_f32_e32 v100, v13, v98
	v_sub_f32_e32 v13, v17, v13
	v_cmp_gt_f32_e64 s29, 0x33800000, v17
	v_add_f32_e32 v100, 1.0, v100
	s_delay_alu instid0(VALU_DEP_1) | instskip(SKIP_2) | instid1(VALU_DEP_2)
	v_add_f32_e32 v13, v13, v100
	v_subrev_co_ci_u32_e32 v12, vcc_lo, 0, v12, vcc_lo
	v_cmp_eq_f32_e32 vcc_lo, 0x7f800000, v17
	v_sub_nc_u32_e32 v99, 0, v12
	v_cvt_f32_i32_e32 v12, v12
	s_or_b32 vcc_lo, s29, vcc_lo
	s_delay_alu instid0(VALU_DEP_2) | instskip(SKIP_1) | instid1(VALU_DEP_2)
	v_ldexp_f32 v98, v98, v99
	v_ldexp_f32 v13, v13, v99
	v_add_f32_e32 v99, -1.0, v98
	s_delay_alu instid0(VALU_DEP_1) | instskip(NEXT) | instid1(VALU_DEP_1)
	v_dual_add_f32 v101, 1.0, v98 :: v_dual_add_f32 v102, 1.0, v99
	v_add_f32_e32 v100, -1.0, v101
	s_delay_alu instid0(VALU_DEP_1) | instskip(NEXT) | instid1(VALU_DEP_3)
	v_sub_f32_e32 v100, v98, v100
	v_sub_f32_e32 v98, v98, v102
	s_delay_alu instid0(VALU_DEP_2) | instskip(NEXT) | instid1(VALU_DEP_2)
	v_add_f32_e32 v100, v13, v100
	v_add_f32_e32 v13, v13, v98
	s_delay_alu instid0(VALU_DEP_1) | instskip(NEXT) | instid1(VALU_DEP_1)
	v_dual_add_f32 v103, v99, v13 :: v_dual_add_f32 v102, v101, v100
	v_sub_f32_e32 v99, v99, v103
	s_delay_alu instid0(VALU_DEP_2) | instskip(SKIP_1) | instid1(VALU_DEP_1)
	v_rcp_f32_e32 v98, v102
	v_sub_f32_e32 v101, v101, v102
	v_dual_add_f32 v13, v13, v99 :: v_dual_add_f32 v100, v100, v101
	s_waitcnt_depctr 0xfff
	v_mul_f32_e32 v104, v103, v98
	s_delay_alu instid0(VALU_DEP_1) | instskip(NEXT) | instid1(VALU_DEP_1)
	v_mul_f32_e32 v105, v102, v104
	v_fma_f32 v101, v104, v102, -v105
	s_delay_alu instid0(VALU_DEP_1) | instskip(NEXT) | instid1(VALU_DEP_1)
	v_fmac_f32_e32 v101, v104, v100
	v_add_f32_e32 v106, v105, v101
	s_delay_alu instid0(VALU_DEP_1) | instskip(SKIP_1) | instid1(VALU_DEP_2)
	v_sub_f32_e32 v107, v103, v106
	v_sub_f32_e32 v99, v106, v105
	;; [unrolled: 1-line block ×3, first 2 shown]
	s_delay_alu instid0(VALU_DEP_2) | instskip(NEXT) | instid1(VALU_DEP_2)
	v_sub_f32_e32 v99, v99, v101
	v_sub_f32_e32 v103, v103, v106
	s_delay_alu instid0(VALU_DEP_1) | instskip(NEXT) | instid1(VALU_DEP_1)
	v_add_f32_e32 v13, v13, v103
	v_add_f32_e32 v13, v99, v13
	s_delay_alu instid0(VALU_DEP_1) | instskip(NEXT) | instid1(VALU_DEP_1)
	v_add_f32_e32 v99, v107, v13
	v_mul_f32_e32 v101, v98, v99
	s_delay_alu instid0(VALU_DEP_1) | instskip(NEXT) | instid1(VALU_DEP_1)
	v_dual_sub_f32 v106, v107, v99 :: v_dual_mul_f32 v103, v102, v101
	v_add_f32_e32 v13, v13, v106
	s_delay_alu instid0(VALU_DEP_2) | instskip(NEXT) | instid1(VALU_DEP_1)
	v_fma_f32 v102, v101, v102, -v103
	v_fmac_f32_e32 v102, v101, v100
	s_delay_alu instid0(VALU_DEP_1) | instskip(NEXT) | instid1(VALU_DEP_1)
	v_add_f32_e32 v100, v103, v102
	v_sub_f32_e32 v105, v99, v100
	s_delay_alu instid0(VALU_DEP_1) | instskip(NEXT) | instid1(VALU_DEP_1)
	v_sub_f32_e32 v99, v99, v105
	v_sub_f32_e32 v99, v99, v100
	s_delay_alu instid0(VALU_DEP_1) | instskip(SKIP_2) | instid1(VALU_DEP_1)
	v_add_f32_e32 v13, v13, v99
	v_add_f32_e32 v99, v104, v101
	v_sub_f32_e32 v103, v100, v103
	v_sub_f32_e32 v100, v103, v102
	s_delay_alu instid0(VALU_DEP_1) | instskip(NEXT) | instid1(VALU_DEP_1)
	v_dual_add_f32 v13, v100, v13 :: v_dual_sub_f32 v100, v99, v104
	v_add_f32_e32 v13, v105, v13
	s_delay_alu instid0(VALU_DEP_1) | instskip(NEXT) | instid1(VALU_DEP_1)
	v_dual_sub_f32 v100, v101, v100 :: v_dual_mul_f32 v13, v98, v13
	v_add_f32_e32 v13, v100, v13
	s_delay_alu instid0(VALU_DEP_1) | instskip(NEXT) | instid1(VALU_DEP_1)
	v_add_f32_e32 v98, v99, v13
	v_mul_f32_e32 v100, v98, v98
	s_delay_alu instid0(VALU_DEP_1) | instskip(SKIP_1) | instid1(VALU_DEP_2)
	v_fmaak_f32 v101, s84, v100, 0x3ecc95a3
	v_mul_f32_e32 v102, v98, v100
	v_fmaak_f32 v100, v100, v101, 0x3f2aaada
	v_ldexp_f32 v101, v98, 1
	v_sub_f32_e32 v98, v98, v99
	s_delay_alu instid0(VALU_DEP_3) | instskip(NEXT) | instid1(VALU_DEP_2)
	v_mul_f32_e32 v100, v102, v100
	v_dual_mul_f32 v102, 0x3f317218, v12 :: v_dual_sub_f32 v13, v13, v98
	s_delay_alu instid0(VALU_DEP_2) | instskip(NEXT) | instid1(VALU_DEP_2)
	v_add_f32_e32 v99, v101, v100
	v_ldexp_f32 v13, v13, 1
	s_delay_alu instid0(VALU_DEP_2) | instskip(NEXT) | instid1(VALU_DEP_4)
	v_sub_f32_e32 v98, v99, v101
	v_fma_f32 v101, 0x3f317218, v12, -v102
	s_delay_alu instid0(VALU_DEP_1) | instskip(NEXT) | instid1(VALU_DEP_1)
	v_dual_sub_f32 v98, v100, v98 :: v_dual_fmac_f32 v101, 0xb102e308, v12
	v_add_f32_e32 v12, v13, v98
	s_delay_alu instid0(VALU_DEP_1) | instskip(NEXT) | instid1(VALU_DEP_1)
	v_add_f32_e32 v98, v99, v12
	v_sub_f32_e32 v99, v98, v99
	s_delay_alu instid0(VALU_DEP_1) | instskip(NEXT) | instid1(VALU_DEP_1)
	v_dual_sub_f32 v12, v12, v99 :: v_dual_add_f32 v13, v102, v101
	v_add_f32_e32 v100, v13, v98
	s_delay_alu instid0(VALU_DEP_1) | instskip(NEXT) | instid1(VALU_DEP_1)
	v_dual_sub_f32 v102, v13, v102 :: v_dual_sub_f32 v103, v100, v13
	v_dual_sub_f32 v101, v101, v102 :: v_dual_sub_f32 v104, v100, v103
	s_delay_alu instid0(VALU_DEP_1) | instskip(NEXT) | instid1(VALU_DEP_2)
	v_dual_sub_f32 v98, v98, v103 :: v_dual_add_f32 v99, v101, v12
	v_sub_f32_e32 v13, v13, v104
	s_delay_alu instid0(VALU_DEP_1) | instskip(NEXT) | instid1(VALU_DEP_3)
	v_add_f32_e32 v13, v98, v13
	v_sub_f32_e32 v98, v99, v101
	s_delay_alu instid0(VALU_DEP_2) | instskip(NEXT) | instid1(VALU_DEP_2)
	v_add_f32_e32 v13, v99, v13
	v_sub_f32_e32 v99, v99, v98
	v_sub_f32_e32 v12, v12, v98
	s_delay_alu instid0(VALU_DEP_2) | instskip(NEXT) | instid1(VALU_DEP_1)
	v_dual_add_f32 v102, v100, v13 :: v_dual_sub_f32 v99, v101, v99
	v_sub_f32_e32 v98, v102, v100
	s_delay_alu instid0(VALU_DEP_1) | instskip(NEXT) | instid1(VALU_DEP_1)
	v_dual_add_f32 v12, v12, v99 :: v_dual_sub_f32 v13, v13, v98
	v_add_f32_e32 v12, v12, v13
	s_delay_alu instid0(VALU_DEP_1) | instskip(NEXT) | instid1(VALU_DEP_1)
	v_add_f32_e32 v12, v102, v12
	v_cndmask_b32_e32 v98, v12, v17, vcc_lo
.LBB88_84:                              ;   in Loop: Header=BB88_12 Depth=1
	s_or_b32 exec_lo, exec_lo, s30
	v_lshrrev_b32_e32 v12, 16, v14
	s_delay_alu instid0(VALU_DEP_1) | instskip(NEXT) | instid1(VALU_DEP_1)
	v_cvt_f32_f16_e32 v12, v12
	v_add_f32_e32 v99, s67, v12
	s_delay_alu instid0(VALU_DEP_1) | instskip(SKIP_1) | instid1(SALU_CYCLE_1)
	v_cmp_ge_f32_e32 vcc_lo, 0x41a00000, v99
	s_and_b32 s29, s80, vcc_lo
	s_and_saveexec_b32 s30, s29
	s_cbranch_execz .LBB88_86
; %bb.85:                               ;   in Loop: Header=BB88_12 Depth=1
	v_mul_f32_e32 v12, 0x3fb8aa3b, v99
	v_cmp_ngt_f32_e32 vcc_lo, 0xc2ce8ed0, v99
	s_delay_alu instid0(VALU_DEP_2) | instskip(SKIP_1) | instid1(VALU_DEP_2)
	v_rndne_f32_e32 v13, v12
	v_fma_f32 v14, 0x3fb8aa3b, v99, -v12
	v_sub_f32_e32 v12, v12, v13
	s_delay_alu instid0(VALU_DEP_2) | instskip(SKIP_1) | instid1(VALU_DEP_2)
	v_fmac_f32_e32 v14, 0x32a5705f, v99
	v_cvt_i32_f32_e32 v13, v13
	v_add_f32_e32 v12, v12, v14
	s_delay_alu instid0(VALU_DEP_1) | instskip(SKIP_2) | instid1(VALU_DEP_1)
	v_exp_f32_e32 v12, v12
	s_waitcnt_depctr 0xfff
	v_ldexp_f32 v12, v12, v13
	v_cndmask_b32_e32 v12, 0, v12, vcc_lo
	v_cmp_nlt_f32_e32 vcc_lo, 0x42b17218, v99
	s_delay_alu instid0(VALU_DEP_2) | instskip(NEXT) | instid1(VALU_DEP_1)
	v_cndmask_b32_e32 v14, 0x7f800000, v12, vcc_lo
	v_add_f32_e32 v17, 1.0, v14
	s_delay_alu instid0(VALU_DEP_1) | instskip(NEXT) | instid1(VALU_DEP_1)
	v_cvt_f64_f32_e32 v[12:13], v17
	v_frexp_exp_i32_f64_e32 v12, v[12:13]
	v_frexp_mant_f32_e32 v13, v17
	s_delay_alu instid0(VALU_DEP_1) | instskip(SKIP_1) | instid1(VALU_DEP_1)
	v_cmp_gt_f32_e32 vcc_lo, 0x3f2aaaab, v13
	v_add_f32_e32 v13, -1.0, v17
	v_sub_f32_e32 v100, v13, v17
	v_sub_f32_e32 v13, v14, v13
	v_subrev_co_ci_u32_e32 v12, vcc_lo, 0, v12, vcc_lo
	s_delay_alu instid0(VALU_DEP_1) | instskip(SKIP_1) | instid1(VALU_DEP_2)
	v_sub_nc_u32_e32 v99, 0, v12
	v_cvt_f32_i32_e32 v12, v12
	v_ldexp_f32 v17, v17, v99
	s_delay_alu instid0(VALU_DEP_1) | instskip(NEXT) | instid1(VALU_DEP_1)
	v_dual_add_f32 v100, 1.0, v100 :: v_dual_add_f32 v101, 1.0, v17
	v_dual_add_f32 v13, v13, v100 :: v_dual_add_f32 v100, -1.0, v101
	s_delay_alu instid0(VALU_DEP_1) | instskip(SKIP_4) | instid1(VALU_DEP_4)
	v_ldexp_f32 v13, v13, v99
	v_add_f32_e32 v99, -1.0, v17
	v_cmp_eq_f32_e32 vcc_lo, 0x7f800000, v14
	v_cmp_gt_f32_e64 s29, 0x33800000, v14
	v_sub_f32_e32 v100, v17, v100
	v_add_f32_e32 v102, 1.0, v99
	s_delay_alu instid0(VALU_DEP_3) | instskip(NEXT) | instid1(VALU_DEP_2)
	s_or_b32 vcc_lo, s29, vcc_lo
	v_add_f32_e32 v100, v13, v100
	s_delay_alu instid0(VALU_DEP_2) | instskip(NEXT) | instid1(VALU_DEP_1)
	v_sub_f32_e32 v17, v17, v102
	v_add_f32_e32 v13, v13, v17
	s_delay_alu instid0(VALU_DEP_1) | instskip(NEXT) | instid1(VALU_DEP_1)
	v_dual_add_f32 v103, v99, v13 :: v_dual_add_f32 v102, v101, v100
	v_sub_f32_e32 v99, v99, v103
	s_delay_alu instid0(VALU_DEP_2) | instskip(SKIP_1) | instid1(VALU_DEP_1)
	v_rcp_f32_e32 v17, v102
	v_sub_f32_e32 v101, v101, v102
	v_dual_add_f32 v13, v13, v99 :: v_dual_add_f32 v100, v100, v101
	s_waitcnt_depctr 0xfff
	v_mul_f32_e32 v104, v103, v17
	s_delay_alu instid0(VALU_DEP_1) | instskip(NEXT) | instid1(VALU_DEP_1)
	v_mul_f32_e32 v105, v102, v104
	v_fma_f32 v101, v104, v102, -v105
	s_delay_alu instid0(VALU_DEP_1) | instskip(NEXT) | instid1(VALU_DEP_1)
	v_fmac_f32_e32 v101, v104, v100
	v_add_f32_e32 v106, v105, v101
	s_delay_alu instid0(VALU_DEP_1) | instskip(NEXT) | instid1(VALU_DEP_1)
	v_sub_f32_e32 v107, v103, v106
	v_sub_f32_e32 v103, v103, v107
	;; [unrolled: 1-line block ×3, first 2 shown]
	s_delay_alu instid0(VALU_DEP_2) | instskip(NEXT) | instid1(VALU_DEP_2)
	v_sub_f32_e32 v103, v103, v106
	v_sub_f32_e32 v99, v99, v101
	s_delay_alu instid0(VALU_DEP_2) | instskip(NEXT) | instid1(VALU_DEP_1)
	v_add_f32_e32 v13, v13, v103
	v_add_f32_e32 v13, v99, v13
	s_delay_alu instid0(VALU_DEP_1) | instskip(NEXT) | instid1(VALU_DEP_1)
	v_add_f32_e32 v99, v107, v13
	v_mul_f32_e32 v101, v17, v99
	s_delay_alu instid0(VALU_DEP_1) | instskip(NEXT) | instid1(VALU_DEP_1)
	v_dual_sub_f32 v106, v107, v99 :: v_dual_mul_f32 v103, v102, v101
	v_add_f32_e32 v13, v13, v106
	s_delay_alu instid0(VALU_DEP_2) | instskip(NEXT) | instid1(VALU_DEP_1)
	v_fma_f32 v102, v101, v102, -v103
	v_fmac_f32_e32 v102, v101, v100
	s_delay_alu instid0(VALU_DEP_1) | instskip(NEXT) | instid1(VALU_DEP_1)
	v_add_f32_e32 v100, v103, v102
	v_sub_f32_e32 v105, v99, v100
	v_sub_f32_e32 v103, v100, v103
	s_delay_alu instid0(VALU_DEP_2) | instskip(NEXT) | instid1(VALU_DEP_1)
	v_sub_f32_e32 v99, v99, v105
	v_sub_f32_e32 v99, v99, v100
	s_delay_alu instid0(VALU_DEP_1) | instskip(SKIP_1) | instid1(VALU_DEP_1)
	v_dual_sub_f32 v100, v103, v102 :: v_dual_add_f32 v13, v13, v99
	v_add_f32_e32 v99, v104, v101
	v_dual_add_f32 v13, v100, v13 :: v_dual_sub_f32 v100, v99, v104
	s_delay_alu instid0(VALU_DEP_1) | instskip(NEXT) | instid1(VALU_DEP_2)
	v_add_f32_e32 v13, v105, v13
	v_sub_f32_e32 v100, v101, v100
	s_delay_alu instid0(VALU_DEP_2) | instskip(NEXT) | instid1(VALU_DEP_1)
	v_mul_f32_e32 v13, v17, v13
	v_add_f32_e32 v13, v100, v13
	s_delay_alu instid0(VALU_DEP_1) | instskip(NEXT) | instid1(VALU_DEP_1)
	v_add_f32_e32 v17, v99, v13
	v_mul_f32_e32 v100, v17, v17
	s_delay_alu instid0(VALU_DEP_1) | instskip(SKIP_1) | instid1(VALU_DEP_2)
	v_fmaak_f32 v101, s84, v100, 0x3ecc95a3
	v_mul_f32_e32 v102, v17, v100
	v_fmaak_f32 v100, v100, v101, 0x3f2aaada
	v_ldexp_f32 v101, v17, 1
	s_delay_alu instid0(VALU_DEP_2) | instskip(NEXT) | instid1(VALU_DEP_1)
	v_dual_sub_f32 v17, v17, v99 :: v_dual_mul_f32 v100, v102, v100
	v_dual_mul_f32 v102, 0x3f317218, v12 :: v_dual_sub_f32 v13, v13, v17
	s_delay_alu instid0(VALU_DEP_2) | instskip(NEXT) | instid1(VALU_DEP_2)
	v_add_f32_e32 v99, v101, v100
	v_ldexp_f32 v13, v13, 1
	s_delay_alu instid0(VALU_DEP_2) | instskip(NEXT) | instid1(VALU_DEP_4)
	v_sub_f32_e32 v17, v99, v101
	v_fma_f32 v101, 0x3f317218, v12, -v102
	s_delay_alu instid0(VALU_DEP_2) | instskip(NEXT) | instid1(VALU_DEP_1)
	v_sub_f32_e32 v17, v100, v17
	v_dual_fmac_f32 v101, 0xb102e308, v12 :: v_dual_add_f32 v12, v13, v17
	s_delay_alu instid0(VALU_DEP_1) | instskip(NEXT) | instid1(VALU_DEP_1)
	v_add_f32_e32 v13, v102, v101
	v_dual_add_f32 v17, v99, v12 :: v_dual_sub_f32 v102, v13, v102
	s_delay_alu instid0(VALU_DEP_1) | instskip(SKIP_1) | instid1(VALU_DEP_3)
	v_add_f32_e32 v100, v13, v17
	v_sub_f32_e32 v99, v17, v99
	v_sub_f32_e32 v101, v101, v102
	s_delay_alu instid0(VALU_DEP_3) | instskip(NEXT) | instid1(VALU_DEP_3)
	v_sub_f32_e32 v103, v100, v13
	v_sub_f32_e32 v12, v12, v99
	s_delay_alu instid0(VALU_DEP_2) | instskip(SKIP_1) | instid1(VALU_DEP_3)
	v_sub_f32_e32 v104, v100, v103
	v_sub_f32_e32 v17, v17, v103
	v_add_f32_e32 v99, v101, v12
	s_delay_alu instid0(VALU_DEP_3) | instskip(NEXT) | instid1(VALU_DEP_1)
	v_sub_f32_e32 v13, v13, v104
	v_add_f32_e32 v13, v17, v13
	s_delay_alu instid0(VALU_DEP_3) | instskip(NEXT) | instid1(VALU_DEP_2)
	v_sub_f32_e32 v17, v99, v101
	v_add_f32_e32 v13, v99, v13
	s_delay_alu instid0(VALU_DEP_2) | instskip(SKIP_1) | instid1(VALU_DEP_2)
	v_sub_f32_e32 v99, v99, v17
	v_sub_f32_e32 v12, v12, v17
	v_dual_add_f32 v102, v100, v13 :: v_dual_sub_f32 v99, v101, v99
	s_delay_alu instid0(VALU_DEP_1) | instskip(NEXT) | instid1(VALU_DEP_1)
	v_dual_sub_f32 v17, v102, v100 :: v_dual_add_f32 v12, v12, v99
	v_sub_f32_e32 v13, v13, v17
	s_delay_alu instid0(VALU_DEP_1) | instskip(NEXT) | instid1(VALU_DEP_1)
	v_add_f32_e32 v12, v12, v13
	v_add_f32_e32 v12, v102, v12
	s_delay_alu instid0(VALU_DEP_1)
	v_cndmask_b32_e32 v99, v12, v14, vcc_lo
.LBB88_86:                              ;   in Loop: Header=BB88_12 Depth=1
	s_or_b32 exec_lo, exec_lo, s30
	v_cvt_f32_f16_e32 v12, v15
	s_delay_alu instid0(VALU_DEP_1) | instskip(NEXT) | instid1(VALU_DEP_1)
	v_add_f32_e32 v100, s67, v12
	v_cmp_ge_f32_e32 vcc_lo, 0x41a00000, v100
	s_and_b32 s29, s80, vcc_lo
	s_delay_alu instid0(SALU_CYCLE_1)
	s_and_saveexec_b32 s30, s29
	s_cbranch_execz .LBB88_88
; %bb.87:                               ;   in Loop: Header=BB88_12 Depth=1
	v_mul_f32_e32 v12, 0x3fb8aa3b, v100
	v_cmp_ngt_f32_e32 vcc_lo, 0xc2ce8ed0, v100
	s_delay_alu instid0(VALU_DEP_2) | instskip(SKIP_1) | instid1(VALU_DEP_2)
	v_rndne_f32_e32 v13, v12
	v_fma_f32 v14, 0x3fb8aa3b, v100, -v12
	v_sub_f32_e32 v12, v12, v13
	s_delay_alu instid0(VALU_DEP_2) | instskip(SKIP_1) | instid1(VALU_DEP_2)
	v_fmac_f32_e32 v14, 0x32a5705f, v100
	v_cvt_i32_f32_e32 v13, v13
	v_add_f32_e32 v12, v12, v14
	s_delay_alu instid0(VALU_DEP_1) | instskip(SKIP_2) | instid1(VALU_DEP_1)
	v_exp_f32_e32 v12, v12
	s_waitcnt_depctr 0xfff
	v_ldexp_f32 v12, v12, v13
	v_cndmask_b32_e32 v12, 0, v12, vcc_lo
	v_cmp_nlt_f32_e32 vcc_lo, 0x42b17218, v100
	s_delay_alu instid0(VALU_DEP_2) | instskip(NEXT) | instid1(VALU_DEP_1)
	v_cndmask_b32_e32 v14, 0x7f800000, v12, vcc_lo
	v_add_f32_e32 v17, 1.0, v14
	s_delay_alu instid0(VALU_DEP_1) | instskip(NEXT) | instid1(VALU_DEP_1)
	v_cvt_f64_f32_e32 v[12:13], v17
	v_frexp_exp_i32_f64_e32 v12, v[12:13]
	v_frexp_mant_f32_e32 v13, v17
	s_delay_alu instid0(VALU_DEP_1) | instskip(SKIP_1) | instid1(VALU_DEP_1)
	v_cmp_gt_f32_e32 vcc_lo, 0x3f2aaaab, v13
	v_add_f32_e32 v13, -1.0, v17
	v_sub_f32_e32 v101, v13, v17
	s_delay_alu instid0(VALU_DEP_1) | instskip(SKIP_2) | instid1(VALU_DEP_2)
	v_add_f32_e32 v101, 1.0, v101
	v_sub_f32_e32 v13, v14, v13
	v_cmp_gt_f32_e64 s29, 0x33800000, v14
	v_add_f32_e32 v13, v13, v101
	v_subrev_co_ci_u32_e32 v12, vcc_lo, 0, v12, vcc_lo
	v_cmp_eq_f32_e32 vcc_lo, 0x7f800000, v14
	s_delay_alu instid0(VALU_DEP_2) | instskip(SKIP_2) | instid1(VALU_DEP_2)
	v_sub_nc_u32_e32 v100, 0, v12
	v_cvt_f32_i32_e32 v12, v12
	s_or_b32 vcc_lo, s29, vcc_lo
	v_ldexp_f32 v17, v17, v100
	v_ldexp_f32 v13, v13, v100
	s_delay_alu instid0(VALU_DEP_2) | instskip(NEXT) | instid1(VALU_DEP_1)
	v_add_f32_e32 v100, -1.0, v17
	v_dual_add_f32 v102, 1.0, v17 :: v_dual_add_f32 v103, 1.0, v100
	s_delay_alu instid0(VALU_DEP_1) | instskip(NEXT) | instid1(VALU_DEP_1)
	v_add_f32_e32 v101, -1.0, v102
	v_sub_f32_e32 v101, v17, v101
	s_delay_alu instid0(VALU_DEP_3) | instskip(NEXT) | instid1(VALU_DEP_2)
	v_sub_f32_e32 v17, v17, v103
	v_add_f32_e32 v101, v13, v101
	s_delay_alu instid0(VALU_DEP_2) | instskip(NEXT) | instid1(VALU_DEP_1)
	v_add_f32_e32 v13, v13, v17
	v_add_f32_e32 v104, v100, v13
	s_delay_alu instid0(VALU_DEP_1) | instskip(NEXT) | instid1(VALU_DEP_1)
	v_dual_sub_f32 v100, v100, v104 :: v_dual_add_f32 v103, v102, v101
	v_add_f32_e32 v13, v13, v100
	s_delay_alu instid0(VALU_DEP_2) | instskip(SKIP_1) | instid1(VALU_DEP_1)
	v_rcp_f32_e32 v17, v103
	v_sub_f32_e32 v102, v102, v103
	v_add_f32_e32 v101, v101, v102
	s_waitcnt_depctr 0xfff
	v_mul_f32_e32 v105, v104, v17
	s_delay_alu instid0(VALU_DEP_1) | instskip(NEXT) | instid1(VALU_DEP_1)
	v_mul_f32_e32 v106, v103, v105
	v_fma_f32 v102, v105, v103, -v106
	s_delay_alu instid0(VALU_DEP_1) | instskip(NEXT) | instid1(VALU_DEP_1)
	v_fmac_f32_e32 v102, v105, v101
	v_add_f32_e32 v107, v106, v102
	s_delay_alu instid0(VALU_DEP_1) | instskip(SKIP_1) | instid1(VALU_DEP_2)
	v_sub_f32_e32 v108, v104, v107
	v_sub_f32_e32 v100, v107, v106
	;; [unrolled: 1-line block ×3, first 2 shown]
	s_delay_alu instid0(VALU_DEP_1) | instskip(NEXT) | instid1(VALU_DEP_1)
	v_sub_f32_e32 v104, v104, v107
	v_dual_sub_f32 v100, v100, v102 :: v_dual_add_f32 v13, v13, v104
	s_delay_alu instid0(VALU_DEP_1) | instskip(NEXT) | instid1(VALU_DEP_1)
	v_add_f32_e32 v13, v100, v13
	v_add_f32_e32 v100, v108, v13
	s_delay_alu instid0(VALU_DEP_1) | instskip(NEXT) | instid1(VALU_DEP_1)
	v_mul_f32_e32 v102, v17, v100
	v_dual_sub_f32 v107, v108, v100 :: v_dual_mul_f32 v104, v103, v102
	s_delay_alu instid0(VALU_DEP_1) | instskip(NEXT) | instid1(VALU_DEP_2)
	v_add_f32_e32 v13, v13, v107
	v_fma_f32 v103, v102, v103, -v104
	s_delay_alu instid0(VALU_DEP_1) | instskip(NEXT) | instid1(VALU_DEP_1)
	v_fmac_f32_e32 v103, v102, v101
	v_add_f32_e32 v101, v104, v103
	s_delay_alu instid0(VALU_DEP_1) | instskip(NEXT) | instid1(VALU_DEP_1)
	v_sub_f32_e32 v106, v100, v101
	v_sub_f32_e32 v100, v100, v106
	s_delay_alu instid0(VALU_DEP_1) | instskip(NEXT) | instid1(VALU_DEP_1)
	v_sub_f32_e32 v100, v100, v101
	v_add_f32_e32 v13, v13, v100
	v_add_f32_e32 v100, v105, v102
	v_sub_f32_e32 v104, v101, v104
	s_delay_alu instid0(VALU_DEP_1) | instskip(NEXT) | instid1(VALU_DEP_1)
	v_sub_f32_e32 v101, v104, v103
	v_add_f32_e32 v13, v101, v13
	s_delay_alu instid0(VALU_DEP_4) | instskip(NEXT) | instid1(VALU_DEP_2)
	v_sub_f32_e32 v101, v100, v105
	v_add_f32_e32 v13, v106, v13
	s_delay_alu instid0(VALU_DEP_2) | instskip(NEXT) | instid1(VALU_DEP_2)
	v_sub_f32_e32 v101, v102, v101
	v_mul_f32_e32 v13, v17, v13
	s_delay_alu instid0(VALU_DEP_1) | instskip(NEXT) | instid1(VALU_DEP_1)
	v_add_f32_e32 v13, v101, v13
	v_add_f32_e32 v17, v100, v13
	s_delay_alu instid0(VALU_DEP_1) | instskip(NEXT) | instid1(VALU_DEP_1)
	v_mul_f32_e32 v101, v17, v17
	v_fmaak_f32 v102, s84, v101, 0x3ecc95a3
	v_mul_f32_e32 v103, v17, v101
	s_delay_alu instid0(VALU_DEP_2) | instskip(SKIP_1) | instid1(VALU_DEP_2)
	v_fmaak_f32 v101, v101, v102, 0x3f2aaada
	v_ldexp_f32 v102, v17, 1
	v_mul_f32_e32 v101, v103, v101
	s_delay_alu instid0(VALU_DEP_1) | instskip(NEXT) | instid1(VALU_DEP_1)
	v_dual_sub_f32 v17, v17, v100 :: v_dual_add_f32 v100, v102, v101
	v_sub_f32_e32 v13, v13, v17
	s_delay_alu instid0(VALU_DEP_2) | instskip(NEXT) | instid1(VALU_DEP_2)
	v_sub_f32_e32 v17, v100, v102
	v_ldexp_f32 v13, v13, 1
	s_delay_alu instid0(VALU_DEP_2) | instskip(SKIP_1) | instid1(VALU_DEP_1)
	v_sub_f32_e32 v17, v101, v17
	v_mul_f32_e32 v103, 0x3f317218, v12
	v_fma_f32 v102, 0x3f317218, v12, -v103
	s_delay_alu instid0(VALU_DEP_1) | instskip(NEXT) | instid1(VALU_DEP_1)
	v_fmac_f32_e32 v102, 0xb102e308, v12
	v_dual_add_f32 v12, v13, v17 :: v_dual_add_f32 v13, v103, v102
	s_delay_alu instid0(VALU_DEP_1) | instskip(NEXT) | instid1(VALU_DEP_1)
	v_add_f32_e32 v17, v100, v12
	v_add_f32_e32 v101, v13, v17
	v_sub_f32_e32 v100, v17, v100
	s_delay_alu instid0(VALU_DEP_2) | instskip(NEXT) | instid1(VALU_DEP_2)
	v_sub_f32_e32 v104, v101, v13
	v_dual_sub_f32 v12, v12, v100 :: v_dual_sub_f32 v103, v13, v103
	s_delay_alu instid0(VALU_DEP_2) | instskip(NEXT) | instid1(VALU_DEP_2)
	v_sub_f32_e32 v105, v101, v104
	v_dual_sub_f32 v17, v17, v104 :: v_dual_sub_f32 v102, v102, v103
	s_delay_alu instid0(VALU_DEP_1) | instskip(NEXT) | instid1(VALU_DEP_1)
	v_dual_sub_f32 v13, v13, v105 :: v_dual_add_f32 v100, v102, v12
	v_add_f32_e32 v13, v17, v13
	s_delay_alu instid0(VALU_DEP_2) | instskip(NEXT) | instid1(VALU_DEP_2)
	v_sub_f32_e32 v17, v100, v102
	v_add_f32_e32 v13, v100, v13
	s_delay_alu instid0(VALU_DEP_2) | instskip(SKIP_1) | instid1(VALU_DEP_2)
	v_sub_f32_e32 v100, v100, v17
	v_sub_f32_e32 v12, v12, v17
	v_dual_add_f32 v103, v101, v13 :: v_dual_sub_f32 v100, v102, v100
	s_delay_alu instid0(VALU_DEP_1) | instskip(NEXT) | instid1(VALU_DEP_1)
	v_dual_sub_f32 v17, v103, v101 :: v_dual_add_f32 v12, v12, v100
	v_sub_f32_e32 v13, v13, v17
	s_delay_alu instid0(VALU_DEP_1) | instskip(NEXT) | instid1(VALU_DEP_1)
	v_add_f32_e32 v12, v12, v13
	v_add_f32_e32 v12, v103, v12
	s_delay_alu instid0(VALU_DEP_1)
	v_cndmask_b32_e32 v100, v12, v14, vcc_lo
.LBB88_88:                              ;   in Loop: Header=BB88_12 Depth=1
	s_or_b32 exec_lo, exec_lo, s30
	v_lshrrev_b32_e32 v12, 16, v15
	s_delay_alu instid0(VALU_DEP_1) | instskip(NEXT) | instid1(VALU_DEP_1)
	v_cvt_f32_f16_e32 v12, v12
	v_add_f32_e32 v101, s67, v12
	s_delay_alu instid0(VALU_DEP_1) | instskip(SKIP_1) | instid1(SALU_CYCLE_1)
	v_cmp_ge_f32_e32 vcc_lo, 0x41a00000, v101
	s_and_b32 s29, s80, vcc_lo
	s_and_saveexec_b32 s30, s29
	s_cbranch_execz .LBB88_90
; %bb.89:                               ;   in Loop: Header=BB88_12 Depth=1
	v_mul_f32_e32 v12, 0x3fb8aa3b, v101
	v_cmp_ngt_f32_e32 vcc_lo, 0xc2ce8ed0, v101
	s_delay_alu instid0(VALU_DEP_2) | instskip(SKIP_1) | instid1(VALU_DEP_2)
	v_rndne_f32_e32 v13, v12
	v_fma_f32 v14, 0x3fb8aa3b, v101, -v12
	v_sub_f32_e32 v12, v12, v13
	s_delay_alu instid0(VALU_DEP_2) | instskip(SKIP_1) | instid1(VALU_DEP_2)
	v_fmac_f32_e32 v14, 0x32a5705f, v101
	v_cvt_i32_f32_e32 v13, v13
	v_add_f32_e32 v12, v12, v14
	s_delay_alu instid0(VALU_DEP_1) | instskip(SKIP_2) | instid1(VALU_DEP_1)
	v_exp_f32_e32 v12, v12
	s_waitcnt_depctr 0xfff
	v_ldexp_f32 v12, v12, v13
	v_cndmask_b32_e32 v12, 0, v12, vcc_lo
	v_cmp_nlt_f32_e32 vcc_lo, 0x42b17218, v101
	s_delay_alu instid0(VALU_DEP_2) | instskip(NEXT) | instid1(VALU_DEP_1)
	v_cndmask_b32_e32 v14, 0x7f800000, v12, vcc_lo
	v_add_f32_e32 v15, 1.0, v14
	s_delay_alu instid0(VALU_DEP_1) | instskip(NEXT) | instid1(VALU_DEP_1)
	v_cvt_f64_f32_e32 v[12:13], v15
	v_frexp_exp_i32_f64_e32 v12, v[12:13]
	v_frexp_mant_f32_e32 v13, v15
	s_delay_alu instid0(VALU_DEP_1) | instskip(SKIP_1) | instid1(VALU_DEP_1)
	v_cmp_gt_f32_e32 vcc_lo, 0x3f2aaaab, v13
	v_add_f32_e32 v13, -1.0, v15
	v_sub_f32_e32 v101, v13, v15
	v_sub_f32_e32 v13, v14, v13
	s_delay_alu instid0(VALU_DEP_2) | instskip(NEXT) | instid1(VALU_DEP_1)
	v_add_f32_e32 v101, 1.0, v101
	v_add_f32_e32 v13, v13, v101
	v_cmp_gt_f32_e64 s29, 0x33800000, v14
	v_subrev_co_ci_u32_e32 v12, vcc_lo, 0, v12, vcc_lo
	v_cmp_eq_f32_e32 vcc_lo, 0x7f800000, v14
	s_delay_alu instid0(VALU_DEP_2) | instskip(SKIP_2) | instid1(VALU_DEP_2)
	v_sub_nc_u32_e32 v17, 0, v12
	v_cvt_f32_i32_e32 v12, v12
	s_or_b32 vcc_lo, s29, vcc_lo
	v_ldexp_f32 v15, v15, v17
	v_ldexp_f32 v13, v13, v17
	s_delay_alu instid0(VALU_DEP_2) | instskip(SKIP_1) | instid1(VALU_DEP_2)
	v_add_f32_e32 v102, 1.0, v15
	v_add_f32_e32 v17, -1.0, v15
	v_add_f32_e32 v101, -1.0, v102
	s_delay_alu instid0(VALU_DEP_2) | instskip(NEXT) | instid1(VALU_DEP_2)
	v_add_f32_e32 v103, 1.0, v17
	v_sub_f32_e32 v101, v15, v101
	s_delay_alu instid0(VALU_DEP_2) | instskip(NEXT) | instid1(VALU_DEP_2)
	v_sub_f32_e32 v15, v15, v103
	v_add_f32_e32 v101, v13, v101
	s_delay_alu instid0(VALU_DEP_2) | instskip(NEXT) | instid1(VALU_DEP_1)
	v_add_f32_e32 v13, v13, v15
	v_add_f32_e32 v104, v17, v13
	s_delay_alu instid0(VALU_DEP_3) | instskip(NEXT) | instid1(VALU_DEP_1)
	v_add_f32_e32 v103, v102, v101
	v_rcp_f32_e32 v15, v103
	v_sub_f32_e32 v102, v102, v103
	s_delay_alu instid0(VALU_DEP_1) | instskip(SKIP_2) | instid1(VALU_DEP_1)
	v_add_f32_e32 v101, v101, v102
	s_waitcnt_depctr 0xfff
	v_mul_f32_e32 v105, v104, v15
	v_dual_mul_f32 v106, v103, v105 :: v_dual_sub_f32 v17, v17, v104
	s_delay_alu instid0(VALU_DEP_1) | instskip(NEXT) | instid1(VALU_DEP_2)
	v_fma_f32 v102, v105, v103, -v106
	v_add_f32_e32 v13, v13, v17
	s_delay_alu instid0(VALU_DEP_2) | instskip(NEXT) | instid1(VALU_DEP_1)
	v_fmac_f32_e32 v102, v105, v101
	v_add_f32_e32 v107, v106, v102
	s_delay_alu instid0(VALU_DEP_1) | instskip(NEXT) | instid1(VALU_DEP_1)
	v_dual_sub_f32 v108, v104, v107 :: v_dual_sub_f32 v17, v107, v106
	v_dual_sub_f32 v104, v104, v108 :: v_dual_sub_f32 v17, v17, v102
	s_delay_alu instid0(VALU_DEP_1) | instskip(NEXT) | instid1(VALU_DEP_1)
	v_sub_f32_e32 v104, v104, v107
	v_add_f32_e32 v13, v13, v104
	s_delay_alu instid0(VALU_DEP_1) | instskip(NEXT) | instid1(VALU_DEP_1)
	v_add_f32_e32 v13, v17, v13
	v_add_f32_e32 v17, v108, v13
	s_delay_alu instid0(VALU_DEP_1) | instskip(NEXT) | instid1(VALU_DEP_1)
	v_mul_f32_e32 v102, v15, v17
	v_dual_sub_f32 v107, v108, v17 :: v_dual_mul_f32 v104, v103, v102
	s_delay_alu instid0(VALU_DEP_1) | instskip(NEXT) | instid1(VALU_DEP_2)
	v_add_f32_e32 v13, v13, v107
	v_fma_f32 v103, v102, v103, -v104
	s_delay_alu instid0(VALU_DEP_1) | instskip(NEXT) | instid1(VALU_DEP_1)
	v_fmac_f32_e32 v103, v102, v101
	v_add_f32_e32 v101, v104, v103
	s_delay_alu instid0(VALU_DEP_1) | instskip(SKIP_1) | instid1(VALU_DEP_2)
	v_sub_f32_e32 v106, v17, v101
	v_sub_f32_e32 v104, v101, v104
	;; [unrolled: 1-line block ×3, first 2 shown]
	s_delay_alu instid0(VALU_DEP_1) | instskip(NEXT) | instid1(VALU_DEP_3)
	v_sub_f32_e32 v17, v17, v101
	v_sub_f32_e32 v101, v104, v103
	s_delay_alu instid0(VALU_DEP_2) | instskip(SKIP_1) | instid1(VALU_DEP_2)
	v_add_f32_e32 v13, v13, v17
	v_add_f32_e32 v17, v105, v102
	;; [unrolled: 1-line block ×3, first 2 shown]
	s_delay_alu instid0(VALU_DEP_2) | instskip(NEXT) | instid1(VALU_DEP_2)
	v_sub_f32_e32 v101, v17, v105
	v_add_f32_e32 v13, v106, v13
	s_delay_alu instid0(VALU_DEP_2) | instskip(NEXT) | instid1(VALU_DEP_2)
	v_sub_f32_e32 v101, v102, v101
	v_mul_f32_e32 v13, v15, v13
	s_delay_alu instid0(VALU_DEP_1) | instskip(NEXT) | instid1(VALU_DEP_1)
	v_add_f32_e32 v13, v101, v13
	v_add_f32_e32 v15, v17, v13
	s_delay_alu instid0(VALU_DEP_1) | instskip(NEXT) | instid1(VALU_DEP_1)
	v_mul_f32_e32 v101, v15, v15
	v_fmaak_f32 v102, s84, v101, 0x3ecc95a3
	v_mul_f32_e32 v103, v15, v101
	s_delay_alu instid0(VALU_DEP_2) | instskip(SKIP_2) | instid1(VALU_DEP_3)
	v_fmaak_f32 v101, v101, v102, 0x3f2aaada
	v_ldexp_f32 v102, v15, 1
	v_sub_f32_e32 v15, v15, v17
	v_mul_f32_e32 v101, v103, v101
	v_mul_f32_e32 v103, 0x3f317218, v12
	s_delay_alu instid0(VALU_DEP_3) | instskip(NEXT) | instid1(VALU_DEP_3)
	v_sub_f32_e32 v13, v13, v15
	v_add_f32_e32 v17, v102, v101
	s_delay_alu instid0(VALU_DEP_2) | instskip(NEXT) | instid1(VALU_DEP_2)
	v_ldexp_f32 v13, v13, 1
	v_sub_f32_e32 v15, v17, v102
	v_fma_f32 v102, 0x3f317218, v12, -v103
	s_delay_alu instid0(VALU_DEP_1) | instskip(NEXT) | instid1(VALU_DEP_1)
	v_dual_sub_f32 v15, v101, v15 :: v_dual_fmac_f32 v102, 0xb102e308, v12
	v_dual_add_f32 v12, v13, v15 :: v_dual_add_f32 v13, v103, v102
	s_delay_alu instid0(VALU_DEP_1) | instskip(NEXT) | instid1(VALU_DEP_1)
	v_add_f32_e32 v15, v17, v12
	v_add_f32_e32 v101, v13, v15
	v_sub_f32_e32 v17, v15, v17
	s_delay_alu instid0(VALU_DEP_2) | instskip(NEXT) | instid1(VALU_DEP_2)
	v_sub_f32_e32 v104, v101, v13
	v_dual_sub_f32 v103, v13, v103 :: v_dual_sub_f32 v12, v12, v17
	s_delay_alu instid0(VALU_DEP_1) | instskip(SKIP_1) | instid1(VALU_DEP_2)
	v_dual_sub_f32 v105, v101, v104 :: v_dual_sub_f32 v102, v102, v103
	v_sub_f32_e32 v15, v15, v104
	v_sub_f32_e32 v13, v13, v105
	s_delay_alu instid0(VALU_DEP_3) | instskip(NEXT) | instid1(VALU_DEP_2)
	v_add_f32_e32 v17, v102, v12
	v_add_f32_e32 v13, v15, v13
	s_delay_alu instid0(VALU_DEP_2) | instskip(NEXT) | instid1(VALU_DEP_2)
	v_sub_f32_e32 v15, v17, v102
	v_add_f32_e32 v13, v17, v13
	s_delay_alu instid0(VALU_DEP_2) | instskip(NEXT) | instid1(VALU_DEP_2)
	v_sub_f32_e32 v17, v17, v15
	v_dual_sub_f32 v12, v12, v15 :: v_dual_add_f32 v103, v101, v13
	s_delay_alu instid0(VALU_DEP_2) | instskip(NEXT) | instid1(VALU_DEP_2)
	v_sub_f32_e32 v17, v102, v17
	v_sub_f32_e32 v15, v103, v101
	s_delay_alu instid0(VALU_DEP_1) | instskip(NEXT) | instid1(VALU_DEP_1)
	v_dual_add_f32 v12, v12, v17 :: v_dual_sub_f32 v13, v13, v15
	v_add_f32_e32 v12, v12, v13
	s_delay_alu instid0(VALU_DEP_1) | instskip(NEXT) | instid1(VALU_DEP_1)
	v_add_f32_e32 v12, v103, v12
	v_cndmask_b32_e32 v101, v12, v14, vcc_lo
.LBB88_90:                              ;   in Loop: Header=BB88_12 Depth=1
	s_or_b32 exec_lo, exec_lo, s30
	s_waitcnt lgkmcnt(0)
	v_cvt_f32_f16_e32 v12, v8
	s_delay_alu instid0(VALU_DEP_1) | instskip(NEXT) | instid1(VALU_DEP_1)
	v_add_f32_e32 v104, s67, v12
	v_cmp_ge_f32_e32 vcc_lo, 0x41a00000, v104
	s_and_b32 s29, s80, vcc_lo
	s_delay_alu instid0(SALU_CYCLE_1)
	s_and_saveexec_b32 s30, s29
	s_cbranch_execz .LBB88_92
; %bb.91:                               ;   in Loop: Header=BB88_12 Depth=1
	v_mul_f32_e32 v12, 0x3fb8aa3b, v104
	v_cmp_ngt_f32_e32 vcc_lo, 0xc2ce8ed0, v104
	s_delay_alu instid0(VALU_DEP_2) | instskip(SKIP_1) | instid1(VALU_DEP_2)
	v_rndne_f32_e32 v13, v12
	v_fma_f32 v14, 0x3fb8aa3b, v104, -v12
	v_sub_f32_e32 v12, v12, v13
	s_delay_alu instid0(VALU_DEP_2) | instskip(SKIP_1) | instid1(VALU_DEP_2)
	v_fmac_f32_e32 v14, 0x32a5705f, v104
	v_cvt_i32_f32_e32 v13, v13
	v_add_f32_e32 v12, v12, v14
	s_delay_alu instid0(VALU_DEP_1) | instskip(SKIP_2) | instid1(VALU_DEP_1)
	v_exp_f32_e32 v12, v12
	s_waitcnt_depctr 0xfff
	v_ldexp_f32 v12, v12, v13
	v_cndmask_b32_e32 v12, 0, v12, vcc_lo
	v_cmp_nlt_f32_e32 vcc_lo, 0x42b17218, v104
	s_delay_alu instid0(VALU_DEP_2) | instskip(NEXT) | instid1(VALU_DEP_1)
	v_cndmask_b32_e32 v14, 0x7f800000, v12, vcc_lo
	v_add_f32_e32 v15, 1.0, v14
	s_delay_alu instid0(VALU_DEP_1) | instskip(NEXT) | instid1(VALU_DEP_1)
	v_cvt_f64_f32_e32 v[12:13], v15
	v_frexp_exp_i32_f64_e32 v12, v[12:13]
	v_frexp_mant_f32_e32 v13, v15
	s_delay_alu instid0(VALU_DEP_1) | instskip(SKIP_1) | instid1(VALU_DEP_1)
	v_cmp_gt_f32_e32 vcc_lo, 0x3f2aaaab, v13
	v_add_f32_e32 v13, -1.0, v15
	v_dual_sub_f32 v102, v13, v15 :: v_dual_sub_f32 v13, v14, v13
	s_delay_alu instid0(VALU_DEP_1) | instskip(NEXT) | instid1(VALU_DEP_1)
	v_add_f32_e32 v102, 1.0, v102
	v_add_f32_e32 v13, v13, v102
	v_subrev_co_ci_u32_e32 v12, vcc_lo, 0, v12, vcc_lo
	s_delay_alu instid0(VALU_DEP_1) | instskip(SKIP_1) | instid1(VALU_DEP_2)
	v_sub_nc_u32_e32 v17, 0, v12
	v_cvt_f32_i32_e32 v12, v12
	v_ldexp_f32 v15, v15, v17
	v_ldexp_f32 v13, v13, v17
	s_delay_alu instid0(VALU_DEP_2) | instskip(SKIP_3) | instid1(VALU_DEP_4)
	v_add_f32_e32 v103, 1.0, v15
	v_add_f32_e32 v17, -1.0, v15
	v_cmp_eq_f32_e32 vcc_lo, 0x7f800000, v14
	v_cmp_gt_f32_e64 s29, 0x33800000, v14
	v_add_f32_e32 v102, -1.0, v103
	s_delay_alu instid0(VALU_DEP_4) | instskip(NEXT) | instid1(VALU_DEP_3)
	v_add_f32_e32 v104, 1.0, v17
	s_or_b32 vcc_lo, s29, vcc_lo
	s_delay_alu instid0(VALU_DEP_2) | instskip(NEXT) | instid1(VALU_DEP_1)
	v_sub_f32_e32 v102, v15, v102
	v_dual_sub_f32 v15, v15, v104 :: v_dual_add_f32 v102, v13, v102
	s_delay_alu instid0(VALU_DEP_1) | instskip(NEXT) | instid1(VALU_DEP_1)
	v_add_f32_e32 v13, v13, v15
	v_dual_add_f32 v105, v17, v13 :: v_dual_add_f32 v104, v103, v102
	s_delay_alu instid0(VALU_DEP_1) | instskip(NEXT) | instid1(VALU_DEP_2)
	v_sub_f32_e32 v17, v17, v105
	v_rcp_f32_e32 v15, v104
	v_sub_f32_e32 v103, v103, v104
	s_delay_alu instid0(VALU_DEP_1) | instskip(SKIP_2) | instid1(VALU_DEP_1)
	v_dual_add_f32 v102, v102, v103 :: v_dual_add_f32 v13, v13, v17
	s_waitcnt_depctr 0xfff
	v_mul_f32_e32 v106, v105, v15
	v_mul_f32_e32 v107, v104, v106
	s_delay_alu instid0(VALU_DEP_1) | instskip(NEXT) | instid1(VALU_DEP_1)
	v_fma_f32 v103, v106, v104, -v107
	v_fmac_f32_e32 v103, v106, v102
	s_delay_alu instid0(VALU_DEP_1) | instskip(NEXT) | instid1(VALU_DEP_1)
	v_add_f32_e32 v108, v107, v103
	v_sub_f32_e32 v109, v105, v108
	s_delay_alu instid0(VALU_DEP_1) | instskip(SKIP_1) | instid1(VALU_DEP_2)
	v_sub_f32_e32 v105, v105, v109
	v_sub_f32_e32 v17, v108, v107
	;; [unrolled: 1-line block ×3, first 2 shown]
	s_delay_alu instid0(VALU_DEP_2) | instskip(NEXT) | instid1(VALU_DEP_2)
	v_sub_f32_e32 v17, v17, v103
	v_add_f32_e32 v13, v13, v105
	s_delay_alu instid0(VALU_DEP_1) | instskip(NEXT) | instid1(VALU_DEP_1)
	v_add_f32_e32 v13, v17, v13
	v_add_f32_e32 v17, v109, v13
	s_delay_alu instid0(VALU_DEP_1) | instskip(NEXT) | instid1(VALU_DEP_1)
	v_mul_f32_e32 v103, v15, v17
	v_dual_sub_f32 v108, v109, v17 :: v_dual_mul_f32 v105, v104, v103
	s_delay_alu instid0(VALU_DEP_1) | instskip(NEXT) | instid1(VALU_DEP_2)
	v_add_f32_e32 v13, v13, v108
	v_fma_f32 v104, v103, v104, -v105
	s_delay_alu instid0(VALU_DEP_1) | instskip(NEXT) | instid1(VALU_DEP_1)
	v_fmac_f32_e32 v104, v103, v102
	v_add_f32_e32 v102, v105, v104
	s_delay_alu instid0(VALU_DEP_1) | instskip(NEXT) | instid1(VALU_DEP_1)
	v_sub_f32_e32 v107, v17, v102
	v_sub_f32_e32 v17, v17, v107
	s_delay_alu instid0(VALU_DEP_1) | instskip(NEXT) | instid1(VALU_DEP_1)
	v_sub_f32_e32 v17, v17, v102
	v_add_f32_e32 v13, v13, v17
	v_add_f32_e32 v17, v106, v103
	v_sub_f32_e32 v105, v102, v105
	s_delay_alu instid0(VALU_DEP_1) | instskip(NEXT) | instid1(VALU_DEP_1)
	v_sub_f32_e32 v102, v105, v104
	v_dual_add_f32 v13, v102, v13 :: v_dual_sub_f32 v102, v17, v106
	s_delay_alu instid0(VALU_DEP_1) | instskip(NEXT) | instid1(VALU_DEP_2)
	v_add_f32_e32 v13, v107, v13
	v_sub_f32_e32 v102, v103, v102
	s_delay_alu instid0(VALU_DEP_2) | instskip(NEXT) | instid1(VALU_DEP_1)
	v_mul_f32_e32 v13, v15, v13
	v_add_f32_e32 v13, v102, v13
	s_delay_alu instid0(VALU_DEP_1) | instskip(NEXT) | instid1(VALU_DEP_1)
	v_add_f32_e32 v15, v17, v13
	v_mul_f32_e32 v102, v15, v15
	s_delay_alu instid0(VALU_DEP_1) | instskip(SKIP_1) | instid1(VALU_DEP_2)
	v_fmaak_f32 v103, s84, v102, 0x3ecc95a3
	v_mul_f32_e32 v104, v15, v102
	v_fmaak_f32 v102, v102, v103, 0x3f2aaada
	v_ldexp_f32 v103, v15, 1
	s_delay_alu instid0(VALU_DEP_2) | instskip(NEXT) | instid1(VALU_DEP_1)
	v_dual_sub_f32 v15, v15, v17 :: v_dual_mul_f32 v102, v104, v102
	v_dual_mul_f32 v104, 0x3f317218, v12 :: v_dual_sub_f32 v13, v13, v15
	s_delay_alu instid0(VALU_DEP_2) | instskip(NEXT) | instid1(VALU_DEP_2)
	v_add_f32_e32 v17, v103, v102
	v_ldexp_f32 v13, v13, 1
	s_delay_alu instid0(VALU_DEP_2) | instskip(NEXT) | instid1(VALU_DEP_4)
	v_sub_f32_e32 v15, v17, v103
	v_fma_f32 v103, 0x3f317218, v12, -v104
	s_delay_alu instid0(VALU_DEP_2) | instskip(NEXT) | instid1(VALU_DEP_1)
	v_sub_f32_e32 v15, v102, v15
	v_dual_fmac_f32 v103, 0xb102e308, v12 :: v_dual_add_f32 v12, v13, v15
	s_delay_alu instid0(VALU_DEP_1) | instskip(NEXT) | instid1(VALU_DEP_2)
	v_add_f32_e32 v13, v104, v103
	v_add_f32_e32 v15, v17, v12
	s_delay_alu instid0(VALU_DEP_2) | instskip(NEXT) | instid1(VALU_DEP_2)
	v_sub_f32_e32 v104, v13, v104
	v_dual_add_f32 v102, v13, v15 :: v_dual_sub_f32 v17, v15, v17
	s_delay_alu instid0(VALU_DEP_2) | instskip(NEXT) | instid1(VALU_DEP_2)
	v_sub_f32_e32 v103, v103, v104
	v_sub_f32_e32 v105, v102, v13
	s_delay_alu instid0(VALU_DEP_3) | instskip(NEXT) | instid1(VALU_DEP_2)
	v_sub_f32_e32 v12, v12, v17
	v_sub_f32_e32 v106, v102, v105
	;; [unrolled: 1-line block ×3, first 2 shown]
	s_delay_alu instid0(VALU_DEP_3) | instskip(NEXT) | instid1(VALU_DEP_3)
	v_add_f32_e32 v17, v103, v12
	v_sub_f32_e32 v13, v13, v106
	s_delay_alu instid0(VALU_DEP_1) | instskip(NEXT) | instid1(VALU_DEP_3)
	v_add_f32_e32 v13, v15, v13
	v_sub_f32_e32 v15, v17, v103
	s_delay_alu instid0(VALU_DEP_2) | instskip(NEXT) | instid1(VALU_DEP_2)
	v_add_f32_e32 v13, v17, v13
	v_sub_f32_e32 v17, v17, v15
	v_sub_f32_e32 v12, v12, v15
	s_delay_alu instid0(VALU_DEP_3) | instskip(NEXT) | instid1(VALU_DEP_3)
	v_add_f32_e32 v104, v102, v13
	v_sub_f32_e32 v17, v103, v17
	s_delay_alu instid0(VALU_DEP_2) | instskip(NEXT) | instid1(VALU_DEP_1)
	v_sub_f32_e32 v15, v104, v102
	v_dual_add_f32 v12, v12, v17 :: v_dual_sub_f32 v13, v13, v15
	s_delay_alu instid0(VALU_DEP_1) | instskip(NEXT) | instid1(VALU_DEP_1)
	v_add_f32_e32 v12, v12, v13
	v_add_f32_e32 v12, v104, v12
	s_delay_alu instid0(VALU_DEP_1)
	v_cndmask_b32_e32 v104, v12, v14, vcc_lo
.LBB88_92:                              ;   in Loop: Header=BB88_12 Depth=1
	s_or_b32 exec_lo, exec_lo, s30
	v_lshrrev_b32_e32 v8, 16, v8
	s_delay_alu instid0(VALU_DEP_1) | instskip(NEXT) | instid1(VALU_DEP_1)
	v_cvt_f32_f16_e32 v8, v8
	v_add_f32_e32 v115, s67, v8
	s_delay_alu instid0(VALU_DEP_1) | instskip(SKIP_1) | instid1(SALU_CYCLE_1)
	v_cmp_ge_f32_e32 vcc_lo, 0x41a00000, v115
	s_and_b32 s29, s80, vcc_lo
	s_and_saveexec_b32 s30, s29
	s_cbranch_execz .LBB88_94
; %bb.93:                               ;   in Loop: Header=BB88_12 Depth=1
	v_mul_f32_e32 v8, 0x3fb8aa3b, v115
	v_cmp_ngt_f32_e32 vcc_lo, 0xc2ce8ed0, v115
	s_delay_alu instid0(VALU_DEP_2) | instskip(SKIP_1) | instid1(VALU_DEP_1)
	v_rndne_f32_e32 v12, v8
	v_fma_f32 v13, 0x3fb8aa3b, v115, -v8
	v_dual_sub_f32 v8, v8, v12 :: v_dual_fmac_f32 v13, 0x32a5705f, v115
	v_cvt_i32_f32_e32 v12, v12
	s_delay_alu instid0(VALU_DEP_2) | instskip(NEXT) | instid1(VALU_DEP_1)
	v_add_f32_e32 v8, v8, v13
	v_exp_f32_e32 v8, v8
	s_waitcnt_depctr 0xfff
	v_ldexp_f32 v8, v8, v12
	s_delay_alu instid0(VALU_DEP_1) | instskip(SKIP_1) | instid1(VALU_DEP_2)
	v_cndmask_b32_e32 v8, 0, v8, vcc_lo
	v_cmp_nlt_f32_e32 vcc_lo, 0x42b17218, v115
	v_cndmask_b32_e32 v8, 0x7f800000, v8, vcc_lo
	s_delay_alu instid0(VALU_DEP_1) | instskip(NEXT) | instid1(VALU_DEP_1)
	v_add_f32_e32 v14, 1.0, v8
	v_cvt_f64_f32_e32 v[12:13], v14
	s_delay_alu instid0(VALU_DEP_1) | instskip(SKIP_1) | instid1(VALU_DEP_1)
	v_frexp_exp_i32_f64_e32 v12, v[12:13]
	v_frexp_mant_f32_e32 v13, v14
	v_cmp_gt_f32_e32 vcc_lo, 0x3f2aaaab, v13
	v_add_f32_e32 v13, -1.0, v14
	s_delay_alu instid0(VALU_DEP_1) | instskip(SKIP_1) | instid1(VALU_DEP_2)
	v_sub_f32_e32 v17, v13, v14
	v_sub_f32_e32 v13, v8, v13
	v_add_f32_e32 v17, 1.0, v17
	s_delay_alu instid0(VALU_DEP_1) | instskip(SKIP_3) | instid1(VALU_DEP_2)
	v_add_f32_e32 v13, v13, v17
	v_cmp_gt_f32_e64 s29, 0x33800000, v8
	v_subrev_co_ci_u32_e32 v12, vcc_lo, 0, v12, vcc_lo
	v_cmp_eq_f32_e32 vcc_lo, 0x7f800000, v8
	v_sub_nc_u32_e32 v15, 0, v12
	v_cvt_f32_i32_e32 v12, v12
	s_or_b32 vcc_lo, s29, vcc_lo
	s_delay_alu instid0(VALU_DEP_2) | instskip(SKIP_1) | instid1(VALU_DEP_2)
	v_ldexp_f32 v14, v14, v15
	v_ldexp_f32 v13, v13, v15
	v_add_f32_e32 v102, 1.0, v14
	v_add_f32_e32 v15, -1.0, v14
	s_delay_alu instid0(VALU_DEP_1) | instskip(NEXT) | instid1(VALU_DEP_3)
	v_add_f32_e32 v103, 1.0, v15
	v_add_f32_e32 v17, -1.0, v102
	s_delay_alu instid0(VALU_DEP_1) | instskip(NEXT) | instid1(VALU_DEP_1)
	v_sub_f32_e32 v17, v14, v17
	v_dual_sub_f32 v14, v14, v103 :: v_dual_add_f32 v17, v13, v17
	s_delay_alu instid0(VALU_DEP_1) | instskip(NEXT) | instid1(VALU_DEP_1)
	v_add_f32_e32 v103, v102, v17
	v_sub_f32_e32 v102, v102, v103
	s_delay_alu instid0(VALU_DEP_1) | instskip(NEXT) | instid1(VALU_DEP_4)
	v_add_f32_e32 v17, v17, v102
	v_add_f32_e32 v13, v13, v14
	v_rcp_f32_e32 v14, v103
	s_delay_alu instid0(VALU_DEP_1) | instskip(SKIP_2) | instid1(VALU_DEP_1)
	v_add_f32_e32 v105, v15, v13
	s_waitcnt_depctr 0xfff
	v_dual_sub_f32 v15, v15, v105 :: v_dual_mul_f32 v106, v105, v14
	v_mul_f32_e32 v107, v103, v106
	s_delay_alu instid0(VALU_DEP_1) | instskip(NEXT) | instid1(VALU_DEP_1)
	v_fma_f32 v102, v106, v103, -v107
	v_dual_fmac_f32 v102, v106, v17 :: v_dual_add_f32 v13, v13, v15
	s_delay_alu instid0(VALU_DEP_1) | instskip(NEXT) | instid1(VALU_DEP_1)
	v_add_f32_e32 v108, v107, v102
	v_sub_f32_e32 v109, v105, v108
	v_sub_f32_e32 v15, v108, v107
	s_delay_alu instid0(VALU_DEP_2) | instskip(NEXT) | instid1(VALU_DEP_2)
	v_sub_f32_e32 v105, v105, v109
	v_sub_f32_e32 v15, v15, v102
	s_delay_alu instid0(VALU_DEP_2) | instskip(NEXT) | instid1(VALU_DEP_1)
	v_sub_f32_e32 v105, v105, v108
	v_add_f32_e32 v13, v13, v105
	s_delay_alu instid0(VALU_DEP_1) | instskip(NEXT) | instid1(VALU_DEP_1)
	v_add_f32_e32 v13, v15, v13
	v_add_f32_e32 v15, v109, v13
	s_delay_alu instid0(VALU_DEP_1) | instskip(NEXT) | instid1(VALU_DEP_1)
	v_mul_f32_e32 v102, v14, v15
	v_dual_sub_f32 v108, v109, v15 :: v_dual_mul_f32 v105, v103, v102
	s_delay_alu instid0(VALU_DEP_1) | instskip(NEXT) | instid1(VALU_DEP_2)
	v_add_f32_e32 v13, v13, v108
	v_fma_f32 v103, v102, v103, -v105
	s_delay_alu instid0(VALU_DEP_1) | instskip(NEXT) | instid1(VALU_DEP_1)
	v_fmac_f32_e32 v103, v102, v17
	v_add_f32_e32 v17, v105, v103
	s_delay_alu instid0(VALU_DEP_1) | instskip(SKIP_1) | instid1(VALU_DEP_2)
	v_sub_f32_e32 v107, v15, v17
	v_sub_f32_e32 v105, v17, v105
	;; [unrolled: 1-line block ×3, first 2 shown]
	s_delay_alu instid0(VALU_DEP_1) | instskip(NEXT) | instid1(VALU_DEP_3)
	v_sub_f32_e32 v15, v15, v17
	v_sub_f32_e32 v17, v105, v103
	s_delay_alu instid0(VALU_DEP_2) | instskip(SKIP_1) | instid1(VALU_DEP_2)
	v_add_f32_e32 v13, v13, v15
	v_add_f32_e32 v15, v106, v102
	;; [unrolled: 1-line block ×3, first 2 shown]
	s_delay_alu instid0(VALU_DEP_2) | instskip(NEXT) | instid1(VALU_DEP_2)
	v_sub_f32_e32 v17, v15, v106
	v_add_f32_e32 v13, v107, v13
	s_delay_alu instid0(VALU_DEP_2) | instskip(NEXT) | instid1(VALU_DEP_2)
	v_sub_f32_e32 v17, v102, v17
	v_mul_f32_e32 v13, v14, v13
	s_delay_alu instid0(VALU_DEP_1) | instskip(NEXT) | instid1(VALU_DEP_1)
	v_add_f32_e32 v13, v17, v13
	v_add_f32_e32 v14, v15, v13
	s_delay_alu instid0(VALU_DEP_1) | instskip(NEXT) | instid1(VALU_DEP_1)
	v_mul_f32_e32 v17, v14, v14
	v_fmaak_f32 v102, s84, v17, 0x3ecc95a3
	v_mul_f32_e32 v103, v14, v17
	s_delay_alu instid0(VALU_DEP_2) | instskip(SKIP_1) | instid1(VALU_DEP_2)
	v_fmaak_f32 v17, v17, v102, 0x3f2aaada
	v_ldexp_f32 v102, v14, 1
	v_dual_sub_f32 v14, v14, v15 :: v_dual_mul_f32 v17, v103, v17
	v_mul_f32_e32 v103, 0x3f317218, v12
	s_delay_alu instid0(VALU_DEP_2) | instskip(NEXT) | instid1(VALU_DEP_3)
	v_sub_f32_e32 v13, v13, v14
	v_add_f32_e32 v15, v102, v17
	s_delay_alu instid0(VALU_DEP_2) | instskip(NEXT) | instid1(VALU_DEP_2)
	v_ldexp_f32 v13, v13, 1
	v_sub_f32_e32 v14, v15, v102
	v_fma_f32 v102, 0x3f317218, v12, -v103
	s_delay_alu instid0(VALU_DEP_2) | instskip(NEXT) | instid1(VALU_DEP_2)
	v_sub_f32_e32 v14, v17, v14
	v_fmac_f32_e32 v102, 0xb102e308, v12
	s_delay_alu instid0(VALU_DEP_2) | instskip(NEXT) | instid1(VALU_DEP_2)
	v_add_f32_e32 v12, v13, v14
	v_add_f32_e32 v13, v103, v102
	s_delay_alu instid0(VALU_DEP_1) | instskip(NEXT) | instid1(VALU_DEP_1)
	v_dual_add_f32 v14, v15, v12 :: v_dual_sub_f32 v103, v13, v103
	v_add_f32_e32 v17, v13, v14
	v_sub_f32_e32 v15, v14, v15
	s_delay_alu instid0(VALU_DEP_2) | instskip(NEXT) | instid1(VALU_DEP_2)
	v_dual_sub_f32 v102, v102, v103 :: v_dual_sub_f32 v105, v17, v13
	v_sub_f32_e32 v12, v12, v15
	s_delay_alu instid0(VALU_DEP_2) | instskip(SKIP_1) | instid1(VALU_DEP_3)
	v_sub_f32_e32 v106, v17, v105
	v_sub_f32_e32 v14, v14, v105
	v_add_f32_e32 v15, v102, v12
	s_delay_alu instid0(VALU_DEP_3) | instskip(NEXT) | instid1(VALU_DEP_1)
	v_sub_f32_e32 v13, v13, v106
	v_dual_add_f32 v13, v14, v13 :: v_dual_sub_f32 v14, v15, v102
	s_delay_alu instid0(VALU_DEP_1) | instskip(NEXT) | instid1(VALU_DEP_2)
	v_add_f32_e32 v13, v15, v13
	v_sub_f32_e32 v15, v15, v14
	s_delay_alu instid0(VALU_DEP_2) | instskip(NEXT) | instid1(VALU_DEP_1)
	v_dual_sub_f32 v12, v12, v14 :: v_dual_add_f32 v103, v17, v13
	v_dual_sub_f32 v15, v102, v15 :: v_dual_sub_f32 v14, v103, v17
	s_delay_alu instid0(VALU_DEP_1) | instskip(NEXT) | instid1(VALU_DEP_1)
	v_dual_add_f32 v12, v12, v15 :: v_dual_sub_f32 v13, v13, v14
	v_add_f32_e32 v12, v12, v13
	s_delay_alu instid0(VALU_DEP_1) | instskip(NEXT) | instid1(VALU_DEP_1)
	v_add_f32_e32 v12, v103, v12
	v_cndmask_b32_e32 v115, v12, v8, vcc_lo
.LBB88_94:                              ;   in Loop: Header=BB88_12 Depth=1
	s_or_b32 exec_lo, exec_lo, s30
	v_cvt_f32_f16_e32 v8, v9
	s_delay_alu instid0(VALU_DEP_1) | instskip(NEXT) | instid1(VALU_DEP_1)
	v_add_f32_e32 v118, s67, v8
	v_cmp_ge_f32_e32 vcc_lo, 0x41a00000, v118
	s_and_b32 s29, s80, vcc_lo
	s_delay_alu instid0(SALU_CYCLE_1)
	s_and_saveexec_b32 s30, s29
	s_cbranch_execz .LBB88_96
; %bb.95:                               ;   in Loop: Header=BB88_12 Depth=1
	v_mul_f32_e32 v8, 0x3fb8aa3b, v118
	v_cmp_ngt_f32_e32 vcc_lo, 0xc2ce8ed0, v118
	s_delay_alu instid0(VALU_DEP_2) | instskip(SKIP_1) | instid1(VALU_DEP_1)
	v_rndne_f32_e32 v12, v8
	v_fma_f32 v13, 0x3fb8aa3b, v118, -v8
	v_dual_sub_f32 v8, v8, v12 :: v_dual_fmac_f32 v13, 0x32a5705f, v118
	v_cvt_i32_f32_e32 v12, v12
	s_delay_alu instid0(VALU_DEP_2) | instskip(NEXT) | instid1(VALU_DEP_1)
	v_add_f32_e32 v8, v8, v13
	v_exp_f32_e32 v8, v8
	s_waitcnt_depctr 0xfff
	v_ldexp_f32 v8, v8, v12
	s_delay_alu instid0(VALU_DEP_1) | instskip(SKIP_1) | instid1(VALU_DEP_2)
	v_cndmask_b32_e32 v8, 0, v8, vcc_lo
	v_cmp_nlt_f32_e32 vcc_lo, 0x42b17218, v118
	v_cndmask_b32_e32 v8, 0x7f800000, v8, vcc_lo
	s_delay_alu instid0(VALU_DEP_1) | instskip(NEXT) | instid1(VALU_DEP_1)
	v_add_f32_e32 v14, 1.0, v8
	v_cvt_f64_f32_e32 v[12:13], v14
	s_delay_alu instid0(VALU_DEP_1) | instskip(SKIP_1) | instid1(VALU_DEP_1)
	v_frexp_exp_i32_f64_e32 v12, v[12:13]
	v_frexp_mant_f32_e32 v13, v14
	v_cmp_gt_f32_e32 vcc_lo, 0x3f2aaaab, v13
	v_add_f32_e32 v13, -1.0, v14
	s_delay_alu instid0(VALU_DEP_1) | instskip(SKIP_1) | instid1(VALU_DEP_2)
	v_sub_f32_e32 v17, v13, v14
	v_sub_f32_e32 v13, v8, v13
	v_add_f32_e32 v17, 1.0, v17
	s_delay_alu instid0(VALU_DEP_1) | instskip(SKIP_3) | instid1(VALU_DEP_2)
	v_add_f32_e32 v13, v13, v17
	v_cmp_gt_f32_e64 s29, 0x33800000, v8
	v_subrev_co_ci_u32_e32 v12, vcc_lo, 0, v12, vcc_lo
	v_cmp_eq_f32_e32 vcc_lo, 0x7f800000, v8
	v_sub_nc_u32_e32 v15, 0, v12
	v_cvt_f32_i32_e32 v12, v12
	s_or_b32 vcc_lo, s29, vcc_lo
	s_delay_alu instid0(VALU_DEP_2) | instskip(SKIP_1) | instid1(VALU_DEP_2)
	v_ldexp_f32 v14, v14, v15
	v_ldexp_f32 v13, v13, v15
	v_add_f32_e32 v102, 1.0, v14
	v_add_f32_e32 v15, -1.0, v14
	s_delay_alu instid0(VALU_DEP_1) | instskip(NEXT) | instid1(VALU_DEP_3)
	v_add_f32_e32 v103, 1.0, v15
	v_add_f32_e32 v17, -1.0, v102
	s_delay_alu instid0(VALU_DEP_1) | instskip(NEXT) | instid1(VALU_DEP_1)
	v_sub_f32_e32 v17, v14, v17
	v_dual_sub_f32 v14, v14, v103 :: v_dual_add_f32 v17, v13, v17
	s_delay_alu instid0(VALU_DEP_1) | instskip(NEXT) | instid1(VALU_DEP_1)
	v_add_f32_e32 v103, v102, v17
	v_sub_f32_e32 v102, v102, v103
	s_delay_alu instid0(VALU_DEP_1) | instskip(NEXT) | instid1(VALU_DEP_4)
	v_add_f32_e32 v17, v17, v102
	v_add_f32_e32 v13, v13, v14
	v_rcp_f32_e32 v14, v103
	s_delay_alu instid0(VALU_DEP_1) | instskip(SKIP_2) | instid1(VALU_DEP_1)
	v_add_f32_e32 v105, v15, v13
	s_waitcnt_depctr 0xfff
	v_dual_sub_f32 v15, v15, v105 :: v_dual_mul_f32 v106, v105, v14
	v_mul_f32_e32 v107, v103, v106
	s_delay_alu instid0(VALU_DEP_1) | instskip(NEXT) | instid1(VALU_DEP_1)
	v_fma_f32 v102, v106, v103, -v107
	v_dual_fmac_f32 v102, v106, v17 :: v_dual_add_f32 v13, v13, v15
	s_delay_alu instid0(VALU_DEP_1) | instskip(NEXT) | instid1(VALU_DEP_1)
	v_add_f32_e32 v108, v107, v102
	v_sub_f32_e32 v109, v105, v108
	v_sub_f32_e32 v15, v108, v107
	s_delay_alu instid0(VALU_DEP_2) | instskip(NEXT) | instid1(VALU_DEP_2)
	v_sub_f32_e32 v105, v105, v109
	v_sub_f32_e32 v15, v15, v102
	s_delay_alu instid0(VALU_DEP_2) | instskip(NEXT) | instid1(VALU_DEP_1)
	v_sub_f32_e32 v105, v105, v108
	v_add_f32_e32 v13, v13, v105
	s_delay_alu instid0(VALU_DEP_1) | instskip(NEXT) | instid1(VALU_DEP_1)
	v_add_f32_e32 v13, v15, v13
	v_add_f32_e32 v15, v109, v13
	s_delay_alu instid0(VALU_DEP_1) | instskip(NEXT) | instid1(VALU_DEP_1)
	v_mul_f32_e32 v102, v14, v15
	v_dual_sub_f32 v108, v109, v15 :: v_dual_mul_f32 v105, v103, v102
	s_delay_alu instid0(VALU_DEP_1) | instskip(NEXT) | instid1(VALU_DEP_2)
	v_add_f32_e32 v13, v13, v108
	v_fma_f32 v103, v102, v103, -v105
	s_delay_alu instid0(VALU_DEP_1) | instskip(NEXT) | instid1(VALU_DEP_1)
	v_fmac_f32_e32 v103, v102, v17
	v_add_f32_e32 v17, v105, v103
	s_delay_alu instid0(VALU_DEP_1) | instskip(SKIP_1) | instid1(VALU_DEP_2)
	v_sub_f32_e32 v107, v15, v17
	v_sub_f32_e32 v105, v17, v105
	;; [unrolled: 1-line block ×3, first 2 shown]
	s_delay_alu instid0(VALU_DEP_1) | instskip(NEXT) | instid1(VALU_DEP_3)
	v_sub_f32_e32 v15, v15, v17
	v_sub_f32_e32 v17, v105, v103
	s_delay_alu instid0(VALU_DEP_2) | instskip(SKIP_1) | instid1(VALU_DEP_2)
	v_add_f32_e32 v13, v13, v15
	v_add_f32_e32 v15, v106, v102
	;; [unrolled: 1-line block ×3, first 2 shown]
	s_delay_alu instid0(VALU_DEP_2) | instskip(NEXT) | instid1(VALU_DEP_2)
	v_sub_f32_e32 v17, v15, v106
	v_add_f32_e32 v13, v107, v13
	s_delay_alu instid0(VALU_DEP_2) | instskip(NEXT) | instid1(VALU_DEP_2)
	v_sub_f32_e32 v17, v102, v17
	v_mul_f32_e32 v13, v14, v13
	s_delay_alu instid0(VALU_DEP_1) | instskip(NEXT) | instid1(VALU_DEP_1)
	v_add_f32_e32 v13, v17, v13
	v_add_f32_e32 v14, v15, v13
	s_delay_alu instid0(VALU_DEP_1) | instskip(NEXT) | instid1(VALU_DEP_1)
	v_mul_f32_e32 v17, v14, v14
	v_fmaak_f32 v102, s84, v17, 0x3ecc95a3
	v_mul_f32_e32 v103, v14, v17
	s_delay_alu instid0(VALU_DEP_2) | instskip(SKIP_1) | instid1(VALU_DEP_2)
	v_fmaak_f32 v17, v17, v102, 0x3f2aaada
	v_ldexp_f32 v102, v14, 1
	v_dual_sub_f32 v14, v14, v15 :: v_dual_mul_f32 v17, v103, v17
	v_mul_f32_e32 v103, 0x3f317218, v12
	s_delay_alu instid0(VALU_DEP_2) | instskip(NEXT) | instid1(VALU_DEP_3)
	v_sub_f32_e32 v13, v13, v14
	v_add_f32_e32 v15, v102, v17
	s_delay_alu instid0(VALU_DEP_2) | instskip(NEXT) | instid1(VALU_DEP_2)
	v_ldexp_f32 v13, v13, 1
	v_sub_f32_e32 v14, v15, v102
	v_fma_f32 v102, 0x3f317218, v12, -v103
	s_delay_alu instid0(VALU_DEP_2) | instskip(NEXT) | instid1(VALU_DEP_2)
	v_sub_f32_e32 v14, v17, v14
	v_fmac_f32_e32 v102, 0xb102e308, v12
	s_delay_alu instid0(VALU_DEP_2) | instskip(NEXT) | instid1(VALU_DEP_2)
	v_add_f32_e32 v12, v13, v14
	v_add_f32_e32 v13, v103, v102
	s_delay_alu instid0(VALU_DEP_1) | instskip(NEXT) | instid1(VALU_DEP_1)
	v_dual_add_f32 v14, v15, v12 :: v_dual_sub_f32 v103, v13, v103
	v_add_f32_e32 v17, v13, v14
	v_sub_f32_e32 v15, v14, v15
	s_delay_alu instid0(VALU_DEP_2) | instskip(NEXT) | instid1(VALU_DEP_2)
	v_dual_sub_f32 v102, v102, v103 :: v_dual_sub_f32 v105, v17, v13
	v_sub_f32_e32 v12, v12, v15
	s_delay_alu instid0(VALU_DEP_2) | instskip(SKIP_1) | instid1(VALU_DEP_3)
	v_sub_f32_e32 v106, v17, v105
	v_sub_f32_e32 v14, v14, v105
	v_add_f32_e32 v15, v102, v12
	s_delay_alu instid0(VALU_DEP_3) | instskip(NEXT) | instid1(VALU_DEP_1)
	v_sub_f32_e32 v13, v13, v106
	v_dual_add_f32 v13, v14, v13 :: v_dual_sub_f32 v14, v15, v102
	s_delay_alu instid0(VALU_DEP_1) | instskip(NEXT) | instid1(VALU_DEP_2)
	v_add_f32_e32 v13, v15, v13
	v_sub_f32_e32 v15, v15, v14
	s_delay_alu instid0(VALU_DEP_2) | instskip(NEXT) | instid1(VALU_DEP_1)
	v_dual_sub_f32 v12, v12, v14 :: v_dual_add_f32 v103, v17, v13
	v_dual_sub_f32 v15, v102, v15 :: v_dual_sub_f32 v14, v103, v17
	s_delay_alu instid0(VALU_DEP_1) | instskip(NEXT) | instid1(VALU_DEP_1)
	v_dual_add_f32 v12, v12, v15 :: v_dual_sub_f32 v13, v13, v14
	v_add_f32_e32 v12, v12, v13
	s_delay_alu instid0(VALU_DEP_1) | instskip(NEXT) | instid1(VALU_DEP_1)
	v_add_f32_e32 v12, v103, v12
	v_cndmask_b32_e32 v118, v12, v8, vcc_lo
.LBB88_96:                              ;   in Loop: Header=BB88_12 Depth=1
	s_or_b32 exec_lo, exec_lo, s30
	v_lshrrev_b32_e32 v8, 16, v9
	s_delay_alu instid0(VALU_DEP_1) | instskip(NEXT) | instid1(VALU_DEP_1)
	v_cvt_f32_f16_e32 v8, v8
	v_add_f32_e32 v121, s67, v8
	s_delay_alu instid0(VALU_DEP_1) | instskip(SKIP_1) | instid1(SALU_CYCLE_1)
	v_cmp_ge_f32_e32 vcc_lo, 0x41a00000, v121
	s_and_b32 s29, s80, vcc_lo
	s_and_saveexec_b32 s30, s29
	s_cbranch_execz .LBB88_98
; %bb.97:                               ;   in Loop: Header=BB88_12 Depth=1
	v_mul_f32_e32 v8, 0x3fb8aa3b, v121
	v_cmp_ngt_f32_e32 vcc_lo, 0xc2ce8ed0, v121
	s_delay_alu instid0(VALU_DEP_2) | instskip(SKIP_1) | instid1(VALU_DEP_2)
	v_rndne_f32_e32 v9, v8
	v_fma_f32 v12, 0x3fb8aa3b, v121, -v8
	v_sub_f32_e32 v8, v8, v9
	s_delay_alu instid0(VALU_DEP_2) | instskip(SKIP_1) | instid1(VALU_DEP_2)
	v_fmac_f32_e32 v12, 0x32a5705f, v121
	v_cvt_i32_f32_e32 v9, v9
	v_add_f32_e32 v8, v8, v12
	s_delay_alu instid0(VALU_DEP_1) | instskip(SKIP_2) | instid1(VALU_DEP_1)
	v_exp_f32_e32 v8, v8
	s_waitcnt_depctr 0xfff
	v_ldexp_f32 v8, v8, v9
	v_cndmask_b32_e32 v8, 0, v8, vcc_lo
	v_cmp_nlt_f32_e32 vcc_lo, 0x42b17218, v121
	s_delay_alu instid0(VALU_DEP_2) | instskip(NEXT) | instid1(VALU_DEP_1)
	v_cndmask_b32_e32 v12, 0x7f800000, v8, vcc_lo
	v_add_f32_e32 v13, 1.0, v12
	s_delay_alu instid0(VALU_DEP_1) | instskip(NEXT) | instid1(VALU_DEP_1)
	v_cvt_f64_f32_e32 v[8:9], v13
	v_frexp_exp_i32_f64_e32 v8, v[8:9]
	v_frexp_mant_f32_e32 v9, v13
	s_delay_alu instid0(VALU_DEP_1) | instskip(SKIP_1) | instid1(VALU_DEP_1)
	v_cmp_gt_f32_e32 vcc_lo, 0x3f2aaaab, v9
	v_add_f32_e32 v9, -1.0, v13
	v_sub_f32_e32 v15, v9, v13
	s_delay_alu instid0(VALU_DEP_1) | instskip(SKIP_1) | instid1(VALU_DEP_1)
	v_add_f32_e32 v15, 1.0, v15
	v_subrev_co_ci_u32_e32 v8, vcc_lo, 0, v8, vcc_lo
	v_sub_nc_u32_e32 v14, 0, v8
	v_cvt_f32_i32_e32 v8, v8
	s_delay_alu instid0(VALU_DEP_2) | instskip(NEXT) | instid1(VALU_DEP_1)
	v_ldexp_f32 v13, v13, v14
	v_add_f32_e32 v17, 1.0, v13
	v_sub_f32_e32 v9, v12, v9
	v_cmp_eq_f32_e32 vcc_lo, 0x7f800000, v12
	v_cmp_gt_f32_e64 s29, 0x33800000, v12
	s_delay_alu instid0(VALU_DEP_3) | instskip(SKIP_1) | instid1(VALU_DEP_3)
	v_add_f32_e32 v9, v9, v15
	v_add_f32_e32 v15, -1.0, v17
	s_or_b32 vcc_lo, s29, vcc_lo
	s_delay_alu instid0(VALU_DEP_2) | instskip(NEXT) | instid1(VALU_DEP_2)
	v_ldexp_f32 v9, v9, v14
	v_dual_add_f32 v14, -1.0, v13 :: v_dual_sub_f32 v15, v13, v15
	s_delay_alu instid0(VALU_DEP_1) | instskip(NEXT) | instid1(VALU_DEP_1)
	v_dual_add_f32 v102, 1.0, v14 :: v_dual_add_f32 v15, v9, v15
	v_sub_f32_e32 v13, v13, v102
	s_delay_alu instid0(VALU_DEP_1) | instskip(NEXT) | instid1(VALU_DEP_1)
	v_add_f32_e32 v9, v9, v13
	v_dual_add_f32 v102, v17, v15 :: v_dual_add_f32 v103, v14, v9
	s_delay_alu instid0(VALU_DEP_1) | instskip(NEXT) | instid1(VALU_DEP_1)
	v_rcp_f32_e32 v13, v102
	v_dual_sub_f32 v17, v17, v102 :: v_dual_sub_f32 v14, v14, v103
	s_delay_alu instid0(VALU_DEP_1) | instskip(SKIP_2) | instid1(VALU_DEP_1)
	v_add_f32_e32 v9, v9, v14
	s_waitcnt_depctr 0xfff
	v_mul_f32_e32 v105, v103, v13
	v_mul_f32_e32 v106, v102, v105
	v_add_f32_e32 v15, v15, v17
	s_delay_alu instid0(VALU_DEP_2) | instskip(NEXT) | instid1(VALU_DEP_1)
	v_fma_f32 v17, v105, v102, -v106
	v_fmac_f32_e32 v17, v105, v15
	s_delay_alu instid0(VALU_DEP_1) | instskip(NEXT) | instid1(VALU_DEP_1)
	v_add_f32_e32 v107, v106, v17
	v_sub_f32_e32 v108, v103, v107
	v_sub_f32_e32 v14, v107, v106
	s_delay_alu instid0(VALU_DEP_1) | instskip(NEXT) | instid1(VALU_DEP_1)
	v_dual_sub_f32 v103, v103, v108 :: v_dual_sub_f32 v14, v14, v17
	v_sub_f32_e32 v103, v103, v107
	s_delay_alu instid0(VALU_DEP_1) | instskip(NEXT) | instid1(VALU_DEP_1)
	v_add_f32_e32 v9, v9, v103
	v_add_f32_e32 v9, v14, v9
	s_delay_alu instid0(VALU_DEP_1) | instskip(NEXT) | instid1(VALU_DEP_1)
	v_add_f32_e32 v14, v108, v9
	v_mul_f32_e32 v17, v13, v14
	v_sub_f32_e32 v107, v108, v14
	s_delay_alu instid0(VALU_DEP_2) | instskip(NEXT) | instid1(VALU_DEP_2)
	v_mul_f32_e32 v103, v102, v17
	v_add_f32_e32 v9, v9, v107
	s_delay_alu instid0(VALU_DEP_2) | instskip(NEXT) | instid1(VALU_DEP_1)
	v_fma_f32 v102, v17, v102, -v103
	v_fmac_f32_e32 v102, v17, v15
	s_delay_alu instid0(VALU_DEP_1) | instskip(NEXT) | instid1(VALU_DEP_1)
	v_add_f32_e32 v15, v103, v102
	v_sub_f32_e32 v106, v14, v15
	s_delay_alu instid0(VALU_DEP_1) | instskip(NEXT) | instid1(VALU_DEP_1)
	v_dual_sub_f32 v103, v15, v103 :: v_dual_sub_f32 v14, v14, v106
	v_dual_sub_f32 v14, v14, v15 :: v_dual_sub_f32 v15, v103, v102
	s_delay_alu instid0(VALU_DEP_1) | instskip(SKIP_1) | instid1(VALU_DEP_2)
	v_add_f32_e32 v9, v9, v14
	v_add_f32_e32 v14, v105, v17
	v_add_f32_e32 v9, v15, v9
	s_delay_alu instid0(VALU_DEP_2) | instskip(NEXT) | instid1(VALU_DEP_2)
	v_sub_f32_e32 v15, v14, v105
	v_add_f32_e32 v9, v106, v9
	s_delay_alu instid0(VALU_DEP_2) | instskip(NEXT) | instid1(VALU_DEP_2)
	v_sub_f32_e32 v15, v17, v15
	v_mul_f32_e32 v9, v13, v9
	s_delay_alu instid0(VALU_DEP_1) | instskip(NEXT) | instid1(VALU_DEP_1)
	v_add_f32_e32 v9, v15, v9
	v_add_f32_e32 v13, v14, v9
	s_delay_alu instid0(VALU_DEP_1) | instskip(NEXT) | instid1(VALU_DEP_1)
	v_mul_f32_e32 v15, v13, v13
	v_fmaak_f32 v17, s84, v15, 0x3ecc95a3
	s_delay_alu instid0(VALU_DEP_1) | instskip(SKIP_2) | instid1(VALU_DEP_3)
	v_dual_mul_f32 v102, v13, v15 :: v_dual_fmaak_f32 v15, v15, v17, 0x3f2aaada
	v_ldexp_f32 v17, v13, 1
	v_sub_f32_e32 v13, v13, v14
	v_dual_mul_f32 v15, v102, v15 :: v_dual_mul_f32 v102, 0x3f317218, v8
	s_delay_alu instid0(VALU_DEP_2) | instskip(NEXT) | instid1(VALU_DEP_2)
	v_sub_f32_e32 v9, v9, v13
	v_add_f32_e32 v14, v17, v15
	s_delay_alu instid0(VALU_DEP_2) | instskip(NEXT) | instid1(VALU_DEP_2)
	v_ldexp_f32 v9, v9, 1
	v_sub_f32_e32 v13, v14, v17
	v_fma_f32 v17, 0x3f317218, v8, -v102
	s_delay_alu instid0(VALU_DEP_2) | instskip(NEXT) | instid1(VALU_DEP_1)
	v_sub_f32_e32 v13, v15, v13
	v_dual_fmac_f32 v17, 0xb102e308, v8 :: v_dual_add_f32 v8, v9, v13
	s_delay_alu instid0(VALU_DEP_1) | instskip(NEXT) | instid1(VALU_DEP_1)
	v_add_f32_e32 v9, v102, v17
	v_dual_add_f32 v13, v14, v8 :: v_dual_sub_f32 v102, v9, v102
	s_delay_alu instid0(VALU_DEP_1) | instskip(SKIP_1) | instid1(VALU_DEP_3)
	v_add_f32_e32 v15, v9, v13
	v_sub_f32_e32 v14, v13, v14
	v_sub_f32_e32 v17, v17, v102
	s_delay_alu instid0(VALU_DEP_2) | instskip(NEXT) | instid1(VALU_DEP_1)
	v_dual_sub_f32 v103, v15, v9 :: v_dual_sub_f32 v8, v8, v14
	v_sub_f32_e32 v105, v15, v103
	v_sub_f32_e32 v13, v13, v103
	s_delay_alu instid0(VALU_DEP_3) | instskip(NEXT) | instid1(VALU_DEP_3)
	v_add_f32_e32 v14, v17, v8
	v_sub_f32_e32 v9, v9, v105
	s_delay_alu instid0(VALU_DEP_1) | instskip(NEXT) | instid1(VALU_DEP_3)
	v_add_f32_e32 v9, v13, v9
	v_sub_f32_e32 v13, v14, v17
	s_delay_alu instid0(VALU_DEP_2) | instskip(NEXT) | instid1(VALU_DEP_2)
	v_add_f32_e32 v9, v14, v9
	v_sub_f32_e32 v14, v14, v13
	v_sub_f32_e32 v8, v8, v13
	s_delay_alu instid0(VALU_DEP_3) | instskip(NEXT) | instid1(VALU_DEP_1)
	v_add_f32_e32 v102, v15, v9
	v_dual_sub_f32 v14, v17, v14 :: v_dual_sub_f32 v13, v102, v15
	s_delay_alu instid0(VALU_DEP_1) | instskip(NEXT) | instid1(VALU_DEP_1)
	v_dual_add_f32 v8, v8, v14 :: v_dual_sub_f32 v9, v9, v13
	v_add_f32_e32 v8, v8, v9
	s_delay_alu instid0(VALU_DEP_1) | instskip(NEXT) | instid1(VALU_DEP_1)
	v_add_f32_e32 v8, v102, v8
	v_cndmask_b32_e32 v121, v8, v12, vcc_lo
.LBB88_98:                              ;   in Loop: Header=BB88_12 Depth=1
	s_or_b32 exec_lo, exec_lo, s30
	v_cvt_f32_f16_e32 v8, v10
	s_delay_alu instid0(VALU_DEP_1) | instskip(NEXT) | instid1(VALU_DEP_1)
	v_add_f32_e32 v122, s67, v8
	v_cmp_ge_f32_e32 vcc_lo, 0x41a00000, v122
	s_and_b32 s29, s80, vcc_lo
	s_delay_alu instid0(SALU_CYCLE_1)
	s_and_saveexec_b32 s30, s29
	s_cbranch_execz .LBB88_100
; %bb.99:                               ;   in Loop: Header=BB88_12 Depth=1
	v_mul_f32_e32 v8, 0x3fb8aa3b, v122
	v_cmp_ngt_f32_e32 vcc_lo, 0xc2ce8ed0, v122
	s_delay_alu instid0(VALU_DEP_2) | instskip(SKIP_1) | instid1(VALU_DEP_2)
	v_rndne_f32_e32 v9, v8
	v_fma_f32 v12, 0x3fb8aa3b, v122, -v8
	v_sub_f32_e32 v8, v8, v9
	s_delay_alu instid0(VALU_DEP_2) | instskip(SKIP_1) | instid1(VALU_DEP_2)
	v_fmac_f32_e32 v12, 0x32a5705f, v122
	v_cvt_i32_f32_e32 v9, v9
	v_add_f32_e32 v8, v8, v12
	s_delay_alu instid0(VALU_DEP_1) | instskip(SKIP_2) | instid1(VALU_DEP_1)
	v_exp_f32_e32 v8, v8
	s_waitcnt_depctr 0xfff
	v_ldexp_f32 v8, v8, v9
	v_cndmask_b32_e32 v8, 0, v8, vcc_lo
	v_cmp_nlt_f32_e32 vcc_lo, 0x42b17218, v122
	s_delay_alu instid0(VALU_DEP_2) | instskip(NEXT) | instid1(VALU_DEP_1)
	v_cndmask_b32_e32 v12, 0x7f800000, v8, vcc_lo
	v_add_f32_e32 v13, 1.0, v12
	s_delay_alu instid0(VALU_DEP_1) | instskip(NEXT) | instid1(VALU_DEP_1)
	v_cvt_f64_f32_e32 v[8:9], v13
	v_frexp_exp_i32_f64_e32 v8, v[8:9]
	v_frexp_mant_f32_e32 v9, v13
	s_delay_alu instid0(VALU_DEP_1) | instskip(SKIP_1) | instid1(VALU_DEP_1)
	v_cmp_gt_f32_e32 vcc_lo, 0x3f2aaaab, v9
	v_add_f32_e32 v9, -1.0, v13
	v_sub_f32_e32 v15, v9, v13
	s_delay_alu instid0(VALU_DEP_1) | instskip(SKIP_1) | instid1(VALU_DEP_1)
	v_add_f32_e32 v15, 1.0, v15
	v_subrev_co_ci_u32_e32 v8, vcc_lo, 0, v8, vcc_lo
	v_sub_nc_u32_e32 v14, 0, v8
	v_cvt_f32_i32_e32 v8, v8
	s_delay_alu instid0(VALU_DEP_2) | instskip(NEXT) | instid1(VALU_DEP_1)
	v_ldexp_f32 v13, v13, v14
	v_add_f32_e32 v17, 1.0, v13
	v_sub_f32_e32 v9, v12, v9
	v_cmp_eq_f32_e32 vcc_lo, 0x7f800000, v12
	v_cmp_gt_f32_e64 s29, 0x33800000, v12
	s_delay_alu instid0(VALU_DEP_3) | instskip(NEXT) | instid1(VALU_DEP_2)
	v_add_f32_e32 v9, v9, v15
	s_or_b32 vcc_lo, s29, vcc_lo
	s_delay_alu instid0(VALU_DEP_1) | instskip(SKIP_1) | instid1(VALU_DEP_1)
	v_ldexp_f32 v9, v9, v14
	v_add_f32_e32 v14, -1.0, v13
	v_dual_add_f32 v15, -1.0, v17 :: v_dual_add_f32 v102, 1.0, v14
	s_delay_alu instid0(VALU_DEP_1) | instskip(NEXT) | instid1(VALU_DEP_2)
	v_sub_f32_e32 v15, v13, v15
	v_sub_f32_e32 v13, v13, v102
	s_delay_alu instid0(VALU_DEP_2) | instskip(NEXT) | instid1(VALU_DEP_2)
	v_add_f32_e32 v15, v9, v15
	v_add_f32_e32 v9, v9, v13
	s_delay_alu instid0(VALU_DEP_1) | instskip(NEXT) | instid1(VALU_DEP_1)
	v_dual_add_f32 v102, v17, v15 :: v_dual_add_f32 v103, v14, v9
	v_rcp_f32_e32 v13, v102
	s_delay_alu instid0(VALU_DEP_1) | instskip(NEXT) | instid1(VALU_DEP_1)
	v_dual_sub_f32 v17, v17, v102 :: v_dual_sub_f32 v14, v14, v103
	v_add_f32_e32 v15, v15, v17
	s_delay_alu instid0(VALU_DEP_2) | instskip(SKIP_2) | instid1(VALU_DEP_1)
	v_add_f32_e32 v9, v9, v14
	s_waitcnt_depctr 0xfff
	v_mul_f32_e32 v105, v103, v13
	v_mul_f32_e32 v106, v102, v105
	s_delay_alu instid0(VALU_DEP_1) | instskip(NEXT) | instid1(VALU_DEP_1)
	v_fma_f32 v17, v105, v102, -v106
	v_fmac_f32_e32 v17, v105, v15
	s_delay_alu instid0(VALU_DEP_1) | instskip(NEXT) | instid1(VALU_DEP_1)
	v_add_f32_e32 v107, v106, v17
	v_sub_f32_e32 v108, v103, v107
	v_sub_f32_e32 v14, v107, v106
	s_delay_alu instid0(VALU_DEP_1) | instskip(NEXT) | instid1(VALU_DEP_1)
	v_dual_sub_f32 v103, v103, v108 :: v_dual_sub_f32 v14, v14, v17
	v_sub_f32_e32 v103, v103, v107
	s_delay_alu instid0(VALU_DEP_1) | instskip(NEXT) | instid1(VALU_DEP_1)
	v_add_f32_e32 v9, v9, v103
	v_add_f32_e32 v9, v14, v9
	s_delay_alu instid0(VALU_DEP_1) | instskip(NEXT) | instid1(VALU_DEP_1)
	v_add_f32_e32 v14, v108, v9
	v_mul_f32_e32 v17, v13, v14
	v_sub_f32_e32 v107, v108, v14
	s_delay_alu instid0(VALU_DEP_2) | instskip(NEXT) | instid1(VALU_DEP_2)
	v_mul_f32_e32 v103, v102, v17
	v_add_f32_e32 v9, v9, v107
	s_delay_alu instid0(VALU_DEP_2) | instskip(NEXT) | instid1(VALU_DEP_1)
	v_fma_f32 v102, v17, v102, -v103
	v_fmac_f32_e32 v102, v17, v15
	s_delay_alu instid0(VALU_DEP_1) | instskip(NEXT) | instid1(VALU_DEP_1)
	v_add_f32_e32 v15, v103, v102
	v_sub_f32_e32 v106, v14, v15
	s_delay_alu instid0(VALU_DEP_1) | instskip(NEXT) | instid1(VALU_DEP_1)
	v_dual_sub_f32 v103, v15, v103 :: v_dual_sub_f32 v14, v14, v106
	v_dual_sub_f32 v14, v14, v15 :: v_dual_sub_f32 v15, v103, v102
	s_delay_alu instid0(VALU_DEP_1) | instskip(SKIP_1) | instid1(VALU_DEP_2)
	v_add_f32_e32 v9, v9, v14
	v_add_f32_e32 v14, v105, v17
	;; [unrolled: 1-line block ×3, first 2 shown]
	s_delay_alu instid0(VALU_DEP_2) | instskip(NEXT) | instid1(VALU_DEP_2)
	v_sub_f32_e32 v15, v14, v105
	v_add_f32_e32 v9, v106, v9
	s_delay_alu instid0(VALU_DEP_2) | instskip(NEXT) | instid1(VALU_DEP_2)
	v_sub_f32_e32 v15, v17, v15
	v_mul_f32_e32 v9, v13, v9
	s_delay_alu instid0(VALU_DEP_1) | instskip(NEXT) | instid1(VALU_DEP_1)
	v_add_f32_e32 v9, v15, v9
	v_add_f32_e32 v13, v14, v9
	s_delay_alu instid0(VALU_DEP_1) | instskip(NEXT) | instid1(VALU_DEP_1)
	v_mul_f32_e32 v15, v13, v13
	v_fmaak_f32 v17, s84, v15, 0x3ecc95a3
	s_delay_alu instid0(VALU_DEP_1) | instskip(SKIP_2) | instid1(VALU_DEP_3)
	v_dual_mul_f32 v102, v13, v15 :: v_dual_fmaak_f32 v15, v15, v17, 0x3f2aaada
	v_ldexp_f32 v17, v13, 1
	v_sub_f32_e32 v13, v13, v14
	v_dual_mul_f32 v15, v102, v15 :: v_dual_mul_f32 v102, 0x3f317218, v8
	s_delay_alu instid0(VALU_DEP_2) | instskip(NEXT) | instid1(VALU_DEP_2)
	v_sub_f32_e32 v9, v9, v13
	v_add_f32_e32 v14, v17, v15
	s_delay_alu instid0(VALU_DEP_2) | instskip(NEXT) | instid1(VALU_DEP_2)
	v_ldexp_f32 v9, v9, 1
	v_sub_f32_e32 v13, v14, v17
	v_fma_f32 v17, 0x3f317218, v8, -v102
	s_delay_alu instid0(VALU_DEP_2) | instskip(NEXT) | instid1(VALU_DEP_1)
	v_sub_f32_e32 v13, v15, v13
	v_dual_fmac_f32 v17, 0xb102e308, v8 :: v_dual_add_f32 v8, v9, v13
	s_delay_alu instid0(VALU_DEP_1) | instskip(NEXT) | instid1(VALU_DEP_1)
	v_add_f32_e32 v9, v102, v17
	v_dual_add_f32 v13, v14, v8 :: v_dual_sub_f32 v102, v9, v102
	s_delay_alu instid0(VALU_DEP_1) | instskip(SKIP_1) | instid1(VALU_DEP_3)
	v_add_f32_e32 v15, v9, v13
	v_sub_f32_e32 v14, v13, v14
	v_sub_f32_e32 v17, v17, v102
	s_delay_alu instid0(VALU_DEP_2) | instskip(NEXT) | instid1(VALU_DEP_1)
	v_dual_sub_f32 v103, v15, v9 :: v_dual_sub_f32 v8, v8, v14
	v_sub_f32_e32 v105, v15, v103
	v_sub_f32_e32 v13, v13, v103
	s_delay_alu instid0(VALU_DEP_3) | instskip(NEXT) | instid1(VALU_DEP_3)
	v_add_f32_e32 v14, v17, v8
	v_sub_f32_e32 v9, v9, v105
	s_delay_alu instid0(VALU_DEP_1) | instskip(NEXT) | instid1(VALU_DEP_3)
	v_add_f32_e32 v9, v13, v9
	v_sub_f32_e32 v13, v14, v17
	s_delay_alu instid0(VALU_DEP_2) | instskip(NEXT) | instid1(VALU_DEP_2)
	v_add_f32_e32 v9, v14, v9
	v_sub_f32_e32 v14, v14, v13
	v_sub_f32_e32 v8, v8, v13
	s_delay_alu instid0(VALU_DEP_3) | instskip(NEXT) | instid1(VALU_DEP_1)
	v_add_f32_e32 v102, v15, v9
	v_dual_sub_f32 v14, v17, v14 :: v_dual_sub_f32 v13, v102, v15
	s_delay_alu instid0(VALU_DEP_1) | instskip(NEXT) | instid1(VALU_DEP_1)
	v_dual_add_f32 v8, v8, v14 :: v_dual_sub_f32 v9, v9, v13
	v_add_f32_e32 v8, v8, v9
	s_delay_alu instid0(VALU_DEP_1) | instskip(NEXT) | instid1(VALU_DEP_1)
	v_add_f32_e32 v8, v102, v8
	v_cndmask_b32_e32 v122, v8, v12, vcc_lo
.LBB88_100:                             ;   in Loop: Header=BB88_12 Depth=1
	s_or_b32 exec_lo, exec_lo, s30
	v_lshrrev_b32_e32 v8, 16, v10
	s_delay_alu instid0(VALU_DEP_1) | instskip(NEXT) | instid1(VALU_DEP_1)
	v_cvt_f32_f16_e32 v8, v8
	v_add_f32_e32 v123, s67, v8
	s_delay_alu instid0(VALU_DEP_1) | instskip(SKIP_1) | instid1(SALU_CYCLE_1)
	v_cmp_ge_f32_e32 vcc_lo, 0x41a00000, v123
	s_and_b32 s29, s80, vcc_lo
	s_and_saveexec_b32 s30, s29
	s_cbranch_execz .LBB88_102
; %bb.101:                              ;   in Loop: Header=BB88_12 Depth=1
	v_mul_f32_e32 v8, 0x3fb8aa3b, v123
	v_cmp_ngt_f32_e32 vcc_lo, 0xc2ce8ed0, v123
	s_delay_alu instid0(VALU_DEP_2) | instskip(SKIP_1) | instid1(VALU_DEP_2)
	v_rndne_f32_e32 v9, v8
	v_fma_f32 v10, 0x3fb8aa3b, v123, -v8
	v_sub_f32_e32 v8, v8, v9
	s_delay_alu instid0(VALU_DEP_2) | instskip(SKIP_1) | instid1(VALU_DEP_2)
	v_fmac_f32_e32 v10, 0x32a5705f, v123
	v_cvt_i32_f32_e32 v9, v9
	v_add_f32_e32 v8, v8, v10
	s_delay_alu instid0(VALU_DEP_1) | instskip(SKIP_2) | instid1(VALU_DEP_1)
	v_exp_f32_e32 v8, v8
	s_waitcnt_depctr 0xfff
	v_ldexp_f32 v8, v8, v9
	v_cndmask_b32_e32 v8, 0, v8, vcc_lo
	v_cmp_nlt_f32_e32 vcc_lo, 0x42b17218, v123
	s_delay_alu instid0(VALU_DEP_2) | instskip(NEXT) | instid1(VALU_DEP_1)
	v_cndmask_b32_e32 v10, 0x7f800000, v8, vcc_lo
	v_add_f32_e32 v12, 1.0, v10
	s_delay_alu instid0(VALU_DEP_1) | instskip(NEXT) | instid1(VALU_DEP_1)
	v_cvt_f64_f32_e32 v[8:9], v12
	v_frexp_exp_i32_f64_e32 v8, v[8:9]
	v_frexp_mant_f32_e32 v9, v12
	s_delay_alu instid0(VALU_DEP_1) | instskip(SKIP_1) | instid1(VALU_DEP_1)
	v_cmp_gt_f32_e32 vcc_lo, 0x3f2aaaab, v9
	v_add_f32_e32 v9, -1.0, v12
	v_dual_sub_f32 v14, v9, v12 :: v_dual_sub_f32 v9, v10, v9
	v_subrev_co_ci_u32_e32 v8, vcc_lo, 0, v8, vcc_lo
	s_delay_alu instid0(VALU_DEP_1) | instskip(SKIP_1) | instid1(VALU_DEP_2)
	v_sub_nc_u32_e32 v13, 0, v8
	v_cvt_f32_i32_e32 v8, v8
	v_ldexp_f32 v12, v12, v13
	s_delay_alu instid0(VALU_DEP_1) | instskip(NEXT) | instid1(VALU_DEP_1)
	v_dual_add_f32 v14, 1.0, v14 :: v_dual_add_f32 v15, 1.0, v12
	v_add_f32_e32 v9, v9, v14
	s_delay_alu instid0(VALU_DEP_1) | instskip(NEXT) | instid1(VALU_DEP_3)
	v_ldexp_f32 v9, v9, v13
	v_dual_add_f32 v13, -1.0, v12 :: v_dual_add_f32 v14, -1.0, v15
	s_delay_alu instid0(VALU_DEP_1) | instskip(NEXT) | instid1(VALU_DEP_1)
	v_dual_add_f32 v17, 1.0, v13 :: v_dual_sub_f32 v14, v12, v14
	v_sub_f32_e32 v12, v12, v17
	s_delay_alu instid0(VALU_DEP_2) | instskip(NEXT) | instid1(VALU_DEP_2)
	v_add_f32_e32 v14, v9, v14
	v_add_f32_e32 v9, v9, v12
	s_delay_alu instid0(VALU_DEP_2) | instskip(SKIP_2) | instid1(VALU_DEP_3)
	v_add_f32_e32 v17, v15, v14
	v_cmp_eq_f32_e32 vcc_lo, 0x7f800000, v10
	v_cmp_gt_f32_e64 s29, 0x33800000, v10
	v_rcp_f32_e32 v12, v17
	v_sub_f32_e32 v15, v15, v17
	s_delay_alu instid0(VALU_DEP_2) | instskip(NEXT) | instid1(VALU_DEP_1)
	s_or_b32 vcc_lo, s29, vcc_lo
	v_add_f32_e32 v14, v14, v15
	v_add_f32_e32 v102, v13, v9
	s_waitcnt_depctr 0xfff
	v_mul_f32_e32 v103, v102, v12
	s_delay_alu instid0(VALU_DEP_1) | instskip(NEXT) | instid1(VALU_DEP_1)
	v_mul_f32_e32 v105, v17, v103
	v_fma_f32 v15, v103, v17, -v105
	s_delay_alu instid0(VALU_DEP_1) | instskip(SKIP_1) | instid1(VALU_DEP_2)
	v_fmac_f32_e32 v15, v103, v14
	v_sub_f32_e32 v13, v13, v102
	v_add_f32_e32 v106, v105, v15
	s_delay_alu instid0(VALU_DEP_2) | instskip(NEXT) | instid1(VALU_DEP_2)
	v_add_f32_e32 v9, v9, v13
	v_sub_f32_e32 v107, v102, v106
	v_sub_f32_e32 v13, v106, v105
	s_delay_alu instid0(VALU_DEP_2) | instskip(NEXT) | instid1(VALU_DEP_1)
	v_sub_f32_e32 v102, v102, v107
	v_dual_sub_f32 v13, v13, v15 :: v_dual_sub_f32 v102, v102, v106
	s_delay_alu instid0(VALU_DEP_1) | instskip(NEXT) | instid1(VALU_DEP_1)
	v_add_f32_e32 v9, v9, v102
	v_add_f32_e32 v9, v13, v9
	s_delay_alu instid0(VALU_DEP_1) | instskip(NEXT) | instid1(VALU_DEP_1)
	v_add_f32_e32 v13, v107, v9
	v_mul_f32_e32 v15, v12, v13
	v_sub_f32_e32 v106, v107, v13
	s_delay_alu instid0(VALU_DEP_2) | instskip(NEXT) | instid1(VALU_DEP_1)
	v_mul_f32_e32 v102, v17, v15
	v_fma_f32 v17, v15, v17, -v102
	s_delay_alu instid0(VALU_DEP_1) | instskip(NEXT) | instid1(VALU_DEP_1)
	v_fmac_f32_e32 v17, v15, v14
	v_add_f32_e32 v14, v102, v17
	s_delay_alu instid0(VALU_DEP_1) | instskip(SKIP_2) | instid1(VALU_DEP_3)
	v_sub_f32_e32 v105, v13, v14
	v_sub_f32_e32 v102, v14, v102
	v_add_f32_e32 v9, v9, v106
	v_sub_f32_e32 v13, v13, v105
	s_delay_alu instid0(VALU_DEP_1) | instskip(NEXT) | instid1(VALU_DEP_1)
	v_dual_sub_f32 v13, v13, v14 :: v_dual_sub_f32 v14, v102, v17
	v_add_f32_e32 v9, v9, v13
	v_add_f32_e32 v13, v103, v15
	s_delay_alu instid0(VALU_DEP_1) | instskip(NEXT) | instid1(VALU_DEP_1)
	v_dual_add_f32 v9, v14, v9 :: v_dual_sub_f32 v14, v13, v103
	v_dual_add_f32 v9, v105, v9 :: v_dual_sub_f32 v14, v15, v14
	s_delay_alu instid0(VALU_DEP_1) | instskip(NEXT) | instid1(VALU_DEP_1)
	v_mul_f32_e32 v9, v12, v9
	v_add_f32_e32 v9, v14, v9
	s_delay_alu instid0(VALU_DEP_1) | instskip(NEXT) | instid1(VALU_DEP_1)
	v_add_f32_e32 v12, v13, v9
	v_mul_f32_e32 v14, v12, v12
	s_delay_alu instid0(VALU_DEP_1) | instskip(NEXT) | instid1(VALU_DEP_1)
	v_fmaak_f32 v15, s84, v14, 0x3ecc95a3
	v_dual_mul_f32 v17, v12, v14 :: v_dual_fmaak_f32 v14, v14, v15, 0x3f2aaada
	v_ldexp_f32 v15, v12, 1
	s_delay_alu instid0(VALU_DEP_2) | instskip(SKIP_1) | instid1(VALU_DEP_2)
	v_mul_f32_e32 v14, v17, v14
	v_dual_sub_f32 v12, v12, v13 :: v_dual_mul_f32 v17, 0x3f317218, v8
	v_add_f32_e32 v13, v15, v14
	s_delay_alu instid0(VALU_DEP_2) | instskip(NEXT) | instid1(VALU_DEP_2)
	v_sub_f32_e32 v9, v9, v12
	v_sub_f32_e32 v12, v13, v15
	s_delay_alu instid0(VALU_DEP_4) | instskip(NEXT) | instid1(VALU_DEP_3)
	v_fma_f32 v15, 0x3f317218, v8, -v17
	v_ldexp_f32 v9, v9, 1
	s_delay_alu instid0(VALU_DEP_3) | instskip(NEXT) | instid1(VALU_DEP_3)
	v_sub_f32_e32 v12, v14, v12
	v_fmac_f32_e32 v15, 0xb102e308, v8
	s_delay_alu instid0(VALU_DEP_2) | instskip(NEXT) | instid1(VALU_DEP_1)
	v_add_f32_e32 v8, v9, v12
	v_add_f32_e32 v12, v13, v8
	s_delay_alu instid0(VALU_DEP_1) | instskip(NEXT) | instid1(VALU_DEP_1)
	v_sub_f32_e32 v13, v12, v13
	v_dual_sub_f32 v8, v8, v13 :: v_dual_add_f32 v9, v17, v15
	s_delay_alu instid0(VALU_DEP_1) | instskip(NEXT) | instid1(VALU_DEP_1)
	v_add_f32_e32 v14, v9, v12
	v_sub_f32_e32 v102, v14, v9
	s_delay_alu instid0(VALU_DEP_1) | instskip(NEXT) | instid1(VALU_DEP_1)
	v_dual_sub_f32 v17, v9, v17 :: v_dual_sub_f32 v12, v12, v102
	v_sub_f32_e32 v15, v15, v17
	s_delay_alu instid0(VALU_DEP_1) | instskip(SKIP_1) | instid1(VALU_DEP_1)
	v_add_f32_e32 v13, v15, v8
	v_sub_f32_e32 v103, v14, v102
	v_sub_f32_e32 v9, v9, v103
	s_delay_alu instid0(VALU_DEP_1) | instskip(NEXT) | instid1(VALU_DEP_1)
	v_dual_add_f32 v9, v12, v9 :: v_dual_sub_f32 v12, v13, v15
	v_add_f32_e32 v9, v13, v9
	s_delay_alu instid0(VALU_DEP_2) | instskip(NEXT) | instid1(VALU_DEP_2)
	v_sub_f32_e32 v13, v13, v12
	v_dual_sub_f32 v8, v8, v12 :: v_dual_add_f32 v17, v14, v9
	s_delay_alu instid0(VALU_DEP_1) | instskip(NEXT) | instid1(VALU_DEP_1)
	v_dual_sub_f32 v13, v15, v13 :: v_dual_sub_f32 v12, v17, v14
	v_dual_add_f32 v8, v8, v13 :: v_dual_sub_f32 v9, v9, v12
	s_delay_alu instid0(VALU_DEP_1) | instskip(NEXT) | instid1(VALU_DEP_1)
	v_add_f32_e32 v8, v8, v9
	v_add_f32_e32 v8, v17, v8
	s_delay_alu instid0(VALU_DEP_1)
	v_cndmask_b32_e32 v123, v8, v10, vcc_lo
.LBB88_102:                             ;   in Loop: Header=BB88_12 Depth=1
	s_or_b32 exec_lo, exec_lo, s30
	v_cvt_f32_f16_e32 v8, v11
	s_delay_alu instid0(VALU_DEP_1) | instskip(NEXT) | instid1(VALU_DEP_1)
	v_add_f32_e32 v124, s67, v8
	v_cmp_ge_f32_e32 vcc_lo, 0x41a00000, v124
	s_and_b32 s29, s80, vcc_lo
	s_delay_alu instid0(SALU_CYCLE_1)
	s_and_saveexec_b32 s30, s29
	s_cbranch_execz .LBB88_104
; %bb.103:                              ;   in Loop: Header=BB88_12 Depth=1
	v_mul_f32_e32 v8, 0x3fb8aa3b, v124
	v_cmp_ngt_f32_e32 vcc_lo, 0xc2ce8ed0, v124
	s_delay_alu instid0(VALU_DEP_2) | instskip(SKIP_1) | instid1(VALU_DEP_2)
	v_rndne_f32_e32 v9, v8
	v_fma_f32 v10, 0x3fb8aa3b, v124, -v8
	v_sub_f32_e32 v8, v8, v9
	s_delay_alu instid0(VALU_DEP_2) | instskip(SKIP_1) | instid1(VALU_DEP_2)
	v_fmac_f32_e32 v10, 0x32a5705f, v124
	v_cvt_i32_f32_e32 v9, v9
	v_add_f32_e32 v8, v8, v10
	s_delay_alu instid0(VALU_DEP_1) | instskip(SKIP_2) | instid1(VALU_DEP_1)
	v_exp_f32_e32 v8, v8
	s_waitcnt_depctr 0xfff
	v_ldexp_f32 v8, v8, v9
	v_cndmask_b32_e32 v8, 0, v8, vcc_lo
	v_cmp_nlt_f32_e32 vcc_lo, 0x42b17218, v124
	s_delay_alu instid0(VALU_DEP_2) | instskip(NEXT) | instid1(VALU_DEP_1)
	v_cndmask_b32_e32 v10, 0x7f800000, v8, vcc_lo
	v_add_f32_e32 v12, 1.0, v10
	s_delay_alu instid0(VALU_DEP_1) | instskip(NEXT) | instid1(VALU_DEP_1)
	v_cvt_f64_f32_e32 v[8:9], v12
	v_frexp_exp_i32_f64_e32 v8, v[8:9]
	v_frexp_mant_f32_e32 v9, v12
	s_delay_alu instid0(VALU_DEP_1) | instskip(SKIP_1) | instid1(VALU_DEP_1)
	v_cmp_gt_f32_e32 vcc_lo, 0x3f2aaaab, v9
	v_add_f32_e32 v9, -1.0, v12
	v_dual_sub_f32 v14, v9, v12 :: v_dual_sub_f32 v9, v10, v9
	v_subrev_co_ci_u32_e32 v8, vcc_lo, 0, v8, vcc_lo
	s_delay_alu instid0(VALU_DEP_1) | instskip(SKIP_1) | instid1(VALU_DEP_2)
	v_sub_nc_u32_e32 v13, 0, v8
	v_cvt_f32_i32_e32 v8, v8
	v_ldexp_f32 v12, v12, v13
	s_delay_alu instid0(VALU_DEP_1) | instskip(NEXT) | instid1(VALU_DEP_1)
	v_dual_add_f32 v14, 1.0, v14 :: v_dual_add_f32 v15, 1.0, v12
	v_add_f32_e32 v9, v9, v14
	s_delay_alu instid0(VALU_DEP_1) | instskip(NEXT) | instid1(VALU_DEP_3)
	v_ldexp_f32 v9, v9, v13
	v_dual_add_f32 v13, -1.0, v12 :: v_dual_add_f32 v14, -1.0, v15
	s_delay_alu instid0(VALU_DEP_1) | instskip(NEXT) | instid1(VALU_DEP_1)
	v_dual_add_f32 v17, 1.0, v13 :: v_dual_sub_f32 v14, v12, v14
	v_sub_f32_e32 v12, v12, v17
	s_delay_alu instid0(VALU_DEP_2) | instskip(NEXT) | instid1(VALU_DEP_2)
	v_add_f32_e32 v14, v9, v14
	v_add_f32_e32 v9, v9, v12
	s_delay_alu instid0(VALU_DEP_2) | instskip(SKIP_2) | instid1(VALU_DEP_3)
	v_add_f32_e32 v17, v15, v14
	v_cmp_eq_f32_e32 vcc_lo, 0x7f800000, v10
	v_cmp_gt_f32_e64 s29, 0x33800000, v10
	v_rcp_f32_e32 v12, v17
	v_sub_f32_e32 v15, v15, v17
	s_delay_alu instid0(VALU_DEP_2) | instskip(NEXT) | instid1(VALU_DEP_1)
	s_or_b32 vcc_lo, s29, vcc_lo
	v_add_f32_e32 v14, v14, v15
	v_add_f32_e32 v102, v13, v9
	s_waitcnt_depctr 0xfff
	v_mul_f32_e32 v103, v102, v12
	s_delay_alu instid0(VALU_DEP_1) | instskip(NEXT) | instid1(VALU_DEP_1)
	v_mul_f32_e32 v105, v17, v103
	v_fma_f32 v15, v103, v17, -v105
	s_delay_alu instid0(VALU_DEP_1) | instskip(SKIP_1) | instid1(VALU_DEP_2)
	v_fmac_f32_e32 v15, v103, v14
	v_sub_f32_e32 v13, v13, v102
	v_add_f32_e32 v106, v105, v15
	s_delay_alu instid0(VALU_DEP_2) | instskip(NEXT) | instid1(VALU_DEP_2)
	v_add_f32_e32 v9, v9, v13
	v_sub_f32_e32 v107, v102, v106
	v_sub_f32_e32 v13, v106, v105
	s_delay_alu instid0(VALU_DEP_2) | instskip(NEXT) | instid1(VALU_DEP_1)
	v_sub_f32_e32 v102, v102, v107
	v_dual_sub_f32 v13, v13, v15 :: v_dual_sub_f32 v102, v102, v106
	s_delay_alu instid0(VALU_DEP_1) | instskip(NEXT) | instid1(VALU_DEP_1)
	v_add_f32_e32 v9, v9, v102
	v_add_f32_e32 v9, v13, v9
	s_delay_alu instid0(VALU_DEP_1) | instskip(NEXT) | instid1(VALU_DEP_1)
	v_add_f32_e32 v13, v107, v9
	v_mul_f32_e32 v15, v12, v13
	v_sub_f32_e32 v106, v107, v13
	s_delay_alu instid0(VALU_DEP_2) | instskip(NEXT) | instid1(VALU_DEP_1)
	v_mul_f32_e32 v102, v17, v15
	v_fma_f32 v17, v15, v17, -v102
	s_delay_alu instid0(VALU_DEP_1) | instskip(NEXT) | instid1(VALU_DEP_1)
	v_fmac_f32_e32 v17, v15, v14
	v_add_f32_e32 v14, v102, v17
	s_delay_alu instid0(VALU_DEP_1) | instskip(SKIP_2) | instid1(VALU_DEP_3)
	v_sub_f32_e32 v105, v13, v14
	v_sub_f32_e32 v102, v14, v102
	v_add_f32_e32 v9, v9, v106
	v_sub_f32_e32 v13, v13, v105
	s_delay_alu instid0(VALU_DEP_1) | instskip(NEXT) | instid1(VALU_DEP_1)
	v_dual_sub_f32 v13, v13, v14 :: v_dual_sub_f32 v14, v102, v17
	v_add_f32_e32 v9, v9, v13
	v_add_f32_e32 v13, v103, v15
	s_delay_alu instid0(VALU_DEP_1) | instskip(NEXT) | instid1(VALU_DEP_1)
	v_dual_add_f32 v9, v14, v9 :: v_dual_sub_f32 v14, v13, v103
	v_dual_add_f32 v9, v105, v9 :: v_dual_sub_f32 v14, v15, v14
	s_delay_alu instid0(VALU_DEP_1) | instskip(NEXT) | instid1(VALU_DEP_1)
	v_mul_f32_e32 v9, v12, v9
	v_add_f32_e32 v9, v14, v9
	s_delay_alu instid0(VALU_DEP_1) | instskip(NEXT) | instid1(VALU_DEP_1)
	v_add_f32_e32 v12, v13, v9
	v_mul_f32_e32 v14, v12, v12
	s_delay_alu instid0(VALU_DEP_1) | instskip(NEXT) | instid1(VALU_DEP_1)
	v_fmaak_f32 v15, s84, v14, 0x3ecc95a3
	v_dual_mul_f32 v17, v12, v14 :: v_dual_fmaak_f32 v14, v14, v15, 0x3f2aaada
	v_ldexp_f32 v15, v12, 1
	s_delay_alu instid0(VALU_DEP_2) | instskip(SKIP_1) | instid1(VALU_DEP_2)
	v_mul_f32_e32 v14, v17, v14
	v_dual_sub_f32 v12, v12, v13 :: v_dual_mul_f32 v17, 0x3f317218, v8
	v_add_f32_e32 v13, v15, v14
	s_delay_alu instid0(VALU_DEP_2) | instskip(NEXT) | instid1(VALU_DEP_2)
	v_sub_f32_e32 v9, v9, v12
	v_sub_f32_e32 v12, v13, v15
	s_delay_alu instid0(VALU_DEP_4) | instskip(NEXT) | instid1(VALU_DEP_3)
	v_fma_f32 v15, 0x3f317218, v8, -v17
	v_ldexp_f32 v9, v9, 1
	s_delay_alu instid0(VALU_DEP_3) | instskip(NEXT) | instid1(VALU_DEP_3)
	v_sub_f32_e32 v12, v14, v12
	v_fmac_f32_e32 v15, 0xb102e308, v8
	s_delay_alu instid0(VALU_DEP_2) | instskip(NEXT) | instid1(VALU_DEP_1)
	v_add_f32_e32 v8, v9, v12
	v_add_f32_e32 v12, v13, v8
	s_delay_alu instid0(VALU_DEP_1) | instskip(NEXT) | instid1(VALU_DEP_1)
	v_sub_f32_e32 v13, v12, v13
	v_dual_sub_f32 v8, v8, v13 :: v_dual_add_f32 v9, v17, v15
	s_delay_alu instid0(VALU_DEP_1) | instskip(NEXT) | instid1(VALU_DEP_1)
	v_add_f32_e32 v14, v9, v12
	v_sub_f32_e32 v102, v14, v9
	s_delay_alu instid0(VALU_DEP_1) | instskip(NEXT) | instid1(VALU_DEP_1)
	v_dual_sub_f32 v17, v9, v17 :: v_dual_sub_f32 v12, v12, v102
	v_sub_f32_e32 v15, v15, v17
	s_delay_alu instid0(VALU_DEP_1) | instskip(SKIP_1) | instid1(VALU_DEP_1)
	v_add_f32_e32 v13, v15, v8
	v_sub_f32_e32 v103, v14, v102
	v_sub_f32_e32 v9, v9, v103
	s_delay_alu instid0(VALU_DEP_1) | instskip(NEXT) | instid1(VALU_DEP_1)
	v_dual_add_f32 v9, v12, v9 :: v_dual_sub_f32 v12, v13, v15
	v_add_f32_e32 v9, v13, v9
	s_delay_alu instid0(VALU_DEP_2) | instskip(NEXT) | instid1(VALU_DEP_2)
	v_sub_f32_e32 v13, v13, v12
	v_dual_sub_f32 v8, v8, v12 :: v_dual_add_f32 v17, v14, v9
	s_delay_alu instid0(VALU_DEP_1) | instskip(NEXT) | instid1(VALU_DEP_1)
	v_dual_sub_f32 v13, v15, v13 :: v_dual_sub_f32 v12, v17, v14
	v_dual_add_f32 v8, v8, v13 :: v_dual_sub_f32 v9, v9, v12
	s_delay_alu instid0(VALU_DEP_1) | instskip(NEXT) | instid1(VALU_DEP_1)
	v_add_f32_e32 v8, v8, v9
	v_add_f32_e32 v8, v17, v8
	s_delay_alu instid0(VALU_DEP_1)
	v_cndmask_b32_e32 v124, v8, v10, vcc_lo
.LBB88_104:                             ;   in Loop: Header=BB88_12 Depth=1
	s_or_b32 exec_lo, exec_lo, s30
	v_lshrrev_b32_e32 v8, 16, v11
	s_delay_alu instid0(VALU_DEP_1) | instskip(NEXT) | instid1(VALU_DEP_1)
	v_cvt_f32_f16_e32 v8, v8
	v_add_f32_e32 v125, s67, v8
	s_delay_alu instid0(VALU_DEP_1) | instskip(SKIP_1) | instid1(SALU_CYCLE_1)
	v_cmp_ge_f32_e32 vcc_lo, 0x41a00000, v125
	s_and_b32 s29, s80, vcc_lo
	s_and_saveexec_b32 s30, s29
	s_cbranch_execz .LBB88_106
; %bb.105:                              ;   in Loop: Header=BB88_12 Depth=1
	v_mul_f32_e32 v8, 0x3fb8aa3b, v125
	v_cmp_ngt_f32_e32 vcc_lo, 0xc2ce8ed0, v125
	s_delay_alu instid0(VALU_DEP_2) | instskip(SKIP_1) | instid1(VALU_DEP_2)
	v_rndne_f32_e32 v9, v8
	v_fma_f32 v10, 0x3fb8aa3b, v125, -v8
	v_sub_f32_e32 v8, v8, v9
	s_delay_alu instid0(VALU_DEP_2) | instskip(SKIP_1) | instid1(VALU_DEP_2)
	v_fmac_f32_e32 v10, 0x32a5705f, v125
	v_cvt_i32_f32_e32 v9, v9
	v_add_f32_e32 v8, v8, v10
	s_delay_alu instid0(VALU_DEP_1) | instskip(SKIP_2) | instid1(VALU_DEP_1)
	v_exp_f32_e32 v8, v8
	s_waitcnt_depctr 0xfff
	v_ldexp_f32 v8, v8, v9
	v_cndmask_b32_e32 v8, 0, v8, vcc_lo
	v_cmp_nlt_f32_e32 vcc_lo, 0x42b17218, v125
	s_delay_alu instid0(VALU_DEP_2) | instskip(NEXT) | instid1(VALU_DEP_1)
	v_cndmask_b32_e32 v10, 0x7f800000, v8, vcc_lo
	v_add_f32_e32 v11, 1.0, v10
	s_delay_alu instid0(VALU_DEP_1) | instskip(NEXT) | instid1(VALU_DEP_1)
	v_cvt_f64_f32_e32 v[8:9], v11
	v_frexp_exp_i32_f64_e32 v8, v[8:9]
	v_frexp_mant_f32_e32 v9, v11
	s_delay_alu instid0(VALU_DEP_1) | instskip(SKIP_1) | instid1(VALU_DEP_1)
	v_cmp_gt_f32_e32 vcc_lo, 0x3f2aaaab, v9
	v_add_f32_e32 v9, -1.0, v11
	v_sub_f32_e32 v13, v9, v11
	v_sub_f32_e32 v9, v10, v9
	s_delay_alu instid0(VALU_DEP_2) | instskip(NEXT) | instid1(VALU_DEP_1)
	v_add_f32_e32 v13, 1.0, v13
	v_add_f32_e32 v9, v9, v13
	v_cmp_gt_f32_e64 s29, 0x33800000, v10
	v_subrev_co_ci_u32_e32 v8, vcc_lo, 0, v8, vcc_lo
	v_cmp_eq_f32_e32 vcc_lo, 0x7f800000, v10
	s_delay_alu instid0(VALU_DEP_2) | instskip(SKIP_2) | instid1(VALU_DEP_2)
	v_sub_nc_u32_e32 v12, 0, v8
	v_cvt_f32_i32_e32 v8, v8
	s_or_b32 vcc_lo, s29, vcc_lo
	v_ldexp_f32 v11, v11, v12
	v_ldexp_f32 v9, v9, v12
	s_delay_alu instid0(VALU_DEP_2) | instskip(NEXT) | instid1(VALU_DEP_1)
	v_add_f32_e32 v14, 1.0, v11
	v_dual_add_f32 v12, -1.0, v11 :: v_dual_add_f32 v13, -1.0, v14
	s_delay_alu instid0(VALU_DEP_1) | instskip(NEXT) | instid1(VALU_DEP_2)
	v_add_f32_e32 v15, 1.0, v12
	v_sub_f32_e32 v13, v11, v13
	s_delay_alu instid0(VALU_DEP_2) | instskip(NEXT) | instid1(VALU_DEP_2)
	v_sub_f32_e32 v11, v11, v15
	v_add_f32_e32 v13, v9, v13
	s_delay_alu instid0(VALU_DEP_2) | instskip(NEXT) | instid1(VALU_DEP_2)
	v_add_f32_e32 v9, v9, v11
	v_add_f32_e32 v15, v14, v13
	s_delay_alu instid0(VALU_DEP_1) | instskip(NEXT) | instid1(VALU_DEP_2)
	v_rcp_f32_e32 v11, v15
	v_dual_add_f32 v17, v12, v9 :: v_dual_sub_f32 v14, v14, v15
	s_delay_alu instid0(VALU_DEP_1) | instskip(SKIP_2) | instid1(VALU_DEP_1)
	v_dual_sub_f32 v12, v12, v17 :: v_dual_add_f32 v13, v13, v14
	s_waitcnt_depctr 0xfff
	v_mul_f32_e32 v102, v17, v11
	v_mul_f32_e32 v103, v15, v102
	s_delay_alu instid0(VALU_DEP_1) | instskip(NEXT) | instid1(VALU_DEP_1)
	v_fma_f32 v14, v102, v15, -v103
	v_dual_fmac_f32 v14, v102, v13 :: v_dual_add_f32 v9, v9, v12
	s_delay_alu instid0(VALU_DEP_1) | instskip(NEXT) | instid1(VALU_DEP_1)
	v_add_f32_e32 v105, v103, v14
	v_sub_f32_e32 v106, v17, v105
	v_sub_f32_e32 v12, v105, v103
	s_delay_alu instid0(VALU_DEP_2) | instskip(NEXT) | instid1(VALU_DEP_1)
	v_sub_f32_e32 v17, v17, v106
	v_dual_sub_f32 v12, v12, v14 :: v_dual_sub_f32 v17, v17, v105
	s_delay_alu instid0(VALU_DEP_1) | instskip(NEXT) | instid1(VALU_DEP_1)
	v_add_f32_e32 v9, v9, v17
	v_add_f32_e32 v9, v12, v9
	s_delay_alu instid0(VALU_DEP_1) | instskip(NEXT) | instid1(VALU_DEP_1)
	v_add_f32_e32 v12, v106, v9
	v_mul_f32_e32 v14, v11, v12
	v_sub_f32_e32 v105, v106, v12
	s_delay_alu instid0(VALU_DEP_2) | instskip(NEXT) | instid1(VALU_DEP_2)
	v_mul_f32_e32 v17, v15, v14
	v_add_f32_e32 v9, v9, v105
	s_delay_alu instid0(VALU_DEP_2) | instskip(NEXT) | instid1(VALU_DEP_1)
	v_fma_f32 v15, v14, v15, -v17
	v_fmac_f32_e32 v15, v14, v13
	s_delay_alu instid0(VALU_DEP_1) | instskip(NEXT) | instid1(VALU_DEP_1)
	v_add_f32_e32 v13, v17, v15
	v_sub_f32_e32 v103, v12, v13
	s_delay_alu instid0(VALU_DEP_1) | instskip(NEXT) | instid1(VALU_DEP_1)
	v_dual_sub_f32 v17, v13, v17 :: v_dual_sub_f32 v12, v12, v103
	v_dual_sub_f32 v12, v12, v13 :: v_dual_sub_f32 v13, v17, v15
	s_delay_alu instid0(VALU_DEP_1) | instskip(NEXT) | instid1(VALU_DEP_1)
	v_dual_add_f32 v9, v9, v12 :: v_dual_add_f32 v12, v102, v14
	v_add_f32_e32 v9, v13, v9
	s_delay_alu instid0(VALU_DEP_2) | instskip(NEXT) | instid1(VALU_DEP_2)
	v_sub_f32_e32 v13, v12, v102
	v_add_f32_e32 v9, v103, v9
	s_delay_alu instid0(VALU_DEP_2) | instskip(NEXT) | instid1(VALU_DEP_2)
	v_sub_f32_e32 v13, v14, v13
	v_mul_f32_e32 v9, v11, v9
	s_delay_alu instid0(VALU_DEP_1) | instskip(NEXT) | instid1(VALU_DEP_1)
	v_add_f32_e32 v9, v13, v9
	v_add_f32_e32 v11, v12, v9
	s_delay_alu instid0(VALU_DEP_1) | instskip(NEXT) | instid1(VALU_DEP_1)
	v_mul_f32_e32 v13, v11, v11
	v_fmaak_f32 v14, s84, v13, 0x3ecc95a3
	v_mul_f32_e32 v15, v11, v13
	s_delay_alu instid0(VALU_DEP_2) | instskip(SKIP_2) | instid1(VALU_DEP_3)
	v_fmaak_f32 v13, v13, v14, 0x3f2aaada
	v_ldexp_f32 v14, v11, 1
	v_sub_f32_e32 v11, v11, v12
	v_mul_f32_e32 v13, v15, v13
	v_mul_f32_e32 v15, 0x3f317218, v8
	s_delay_alu instid0(VALU_DEP_2) | instskip(NEXT) | instid1(VALU_DEP_1)
	v_dual_sub_f32 v9, v9, v11 :: v_dual_add_f32 v12, v14, v13
	v_ldexp_f32 v9, v9, 1
	s_delay_alu instid0(VALU_DEP_2) | instskip(NEXT) | instid1(VALU_DEP_4)
	v_sub_f32_e32 v11, v12, v14
	v_fma_f32 v14, 0x3f317218, v8, -v15
	s_delay_alu instid0(VALU_DEP_1) | instskip(NEXT) | instid1(VALU_DEP_1)
	v_dual_sub_f32 v11, v13, v11 :: v_dual_fmac_f32 v14, 0xb102e308, v8
	v_dual_add_f32 v8, v9, v11 :: v_dual_add_f32 v9, v15, v14
	s_delay_alu instid0(VALU_DEP_1) | instskip(NEXT) | instid1(VALU_DEP_2)
	v_add_f32_e32 v11, v12, v8
	v_sub_f32_e32 v15, v9, v15
	s_delay_alu instid0(VALU_DEP_2) | instskip(NEXT) | instid1(VALU_DEP_1)
	v_dual_add_f32 v13, v9, v11 :: v_dual_sub_f32 v12, v11, v12
	v_dual_sub_f32 v14, v14, v15 :: v_dual_sub_f32 v17, v13, v9
	s_delay_alu instid0(VALU_DEP_2) | instskip(NEXT) | instid1(VALU_DEP_2)
	v_sub_f32_e32 v8, v8, v12
	v_sub_f32_e32 v102, v13, v17
	s_delay_alu instid0(VALU_DEP_2) | instskip(NEXT) | instid1(VALU_DEP_2)
	v_dual_sub_f32 v11, v11, v17 :: v_dual_add_f32 v12, v14, v8
	v_sub_f32_e32 v9, v9, v102
	s_delay_alu instid0(VALU_DEP_1) | instskip(NEXT) | instid1(VALU_DEP_3)
	v_add_f32_e32 v9, v11, v9
	v_sub_f32_e32 v11, v12, v14
	s_delay_alu instid0(VALU_DEP_2) | instskip(NEXT) | instid1(VALU_DEP_2)
	v_add_f32_e32 v9, v12, v9
	v_sub_f32_e32 v12, v12, v11
	s_delay_alu instid0(VALU_DEP_2) | instskip(NEXT) | instid1(VALU_DEP_1)
	v_dual_sub_f32 v8, v8, v11 :: v_dual_add_f32 v15, v13, v9
	v_dual_sub_f32 v12, v14, v12 :: v_dual_sub_f32 v11, v15, v13
	s_delay_alu instid0(VALU_DEP_1) | instskip(NEXT) | instid1(VALU_DEP_1)
	v_dual_add_f32 v8, v8, v12 :: v_dual_sub_f32 v9, v9, v11
	v_add_f32_e32 v8, v8, v9
	s_delay_alu instid0(VALU_DEP_1) | instskip(NEXT) | instid1(VALU_DEP_1)
	v_add_f32_e32 v8, v15, v8
	v_cndmask_b32_e32 v125, v8, v10, vcc_lo
.LBB88_106:                             ;   in Loop: Header=BB88_12 Depth=1
	s_or_b32 exec_lo, exec_lo, s30
	v_lshrrev_b32_e32 v9, 16, v6
	v_lshrrev_b32_e32 v10, 16, v7
	;; [unrolled: 1-line block ×6, first 2 shown]
	v_cvt_f32_f16_e32 v8, v7
	v_cvt_f32_f16_e32 v7, v9
	;; [unrolled: 1-line block ×7, first 2 shown]
	v_lshrrev_b32_e32 v14, 16, v1
	v_lshrrev_b32_e32 v15, 16, v0
	v_cvt_f32_f16_e32 v6, v6
	v_cvt_f32_f16_e32 v5, v5
	;; [unrolled: 1-line block ×9, first 2 shown]
	v_dual_mul_f32 v106, s68, v8 :: v_dual_mul_f32 v107, s68, v6
	v_dual_mul_f32 v102, s68, v7 :: v_dual_mul_f32 v103, s68, v9
	;; [unrolled: 1-line block ×7, first 2 shown]
	v_mul_f32_e32 v113, s68, v15
	v_mul_f32_e32 v112, s68, v11
	s_and_b32 vcc_lo, exec_lo, s81
	s_barrier
	buffer_gl0_inv
	s_cbranch_vccz .LBB88_204
; %bb.107:                              ;   in Loop: Header=BB88_12 Depth=1
	v_dual_mul_f32 v126, v125, v11 :: v_dual_mul_f32 v131, v124, v8
	v_add_co_u32 v11, s29, s61, v16
	s_delay_alu instid0(VALU_DEP_1) | instskip(SKIP_1) | instid1(VALU_DEP_1)
	v_add_co_ci_u32_e64 v17, null, s62, 0, s29
	v_add_co_u32 v16, s29, s49, v16
	v_add_co_ci_u32_e64 v130, null, s74, 0, s29
	s_delay_alu instid0(VALU_DEP_4) | instskip(NEXT) | instid1(VALU_DEP_4)
	v_add_co_u32 v127, vcc_lo, v11, v93
	v_add_co_ci_u32_e32 v128, vcc_lo, 0, v17, vcc_lo
	s_delay_alu instid0(VALU_DEP_4) | instskip(NEXT) | instid1(VALU_DEP_4)
	v_add_co_u32 v129, vcc_lo, v16, v93
	v_add_co_ci_u32_e32 v130, vcc_lo, 0, v130, vcc_lo
	v_cmp_gt_u32_e32 vcc_lo, s41, v18
	s_cmp_lg_u32 s88, 0
	v_cmp_gt_u32_e64 s31, s41, v79
	s_cselect_b32 s51, -1, 0
	s_cmp_eq_u32 s88, s83
	v_cmp_gt_u32_e64 s33, s41, v80
	s_cselect_b32 s89, -1, 0
	s_or_b32 s29, s82, vcc_lo
	v_cmp_gt_u32_e32 vcc_lo, s41, v78
	v_cmp_gt_u32_e64 s34, s41, v81
	v_cmp_gt_u32_e64 s35, s41, v82
	;; [unrolled: 1-line block ×4, first 2 shown]
	s_or_b32 s30, s82, vcc_lo
	v_cmp_gt_u32_e32 vcc_lo, s41, v83
	v_cmp_gt_u32_e64 s39, s41, v86
	v_cmp_gt_u32_e64 s40, s41, v87
	;; [unrolled: 1-line block ×4, first 2 shown]
	s_or_b32 s36, s82, vcc_lo
	v_cmp_gt_u32_e32 vcc_lo, s41, v88
	v_cmp_gt_u32_e64 s44, s41, v91
	v_cmp_gt_u32_e64 s45, s41, v92
	v_dual_mul_f32 v132, v123, v7 :: v_dual_mul_f32 v133, v122, v6
	v_dual_mul_f32 v134, v121, v9 :: v_dual_mul_f32 v137, v104, v4
	;; [unrolled: 1-line block ×7, first 2 shown]
	s_mov_b32 s64, 0
	s_or_b32 s31, s82, s31
	s_or_b32 s33, s82, s33
	;; [unrolled: 1-line block ×8, first 2 shown]
	s_or_b32 s41, s82, vcc_lo
	s_or_b32 s42, s82, s42
	s_or_b32 s43, s82, s43
	;; [unrolled: 1-line block ×4, first 2 shown]
	s_mov_b32 s52, s64
	s_mov_b32 s54, s64
	;; [unrolled: 1-line block ×5, first 2 shown]
	s_branch .LBB88_109
.LBB88_108:                             ;   in Loop: Header=BB88_109 Depth=2
	s_or_b32 exec_lo, exec_lo, s46
	v_cndmask_b32_e64 v9, v175, v11, s12
	v_cndmask_b32_e64 v10, v174, v10, s12
	s_add_i32 s90, s90, -1
	s_add_i32 s91, s91, 8
	s_add_i32 s58, s58, s75
	v_fma_f32 v9, v9, v146, v15
	v_mul_f32_e32 v10, v10, v146
	s_add_i32 s54, s54, s48
	s_add_i32 s52, s52, s60
	;; [unrolled: 1-line block ×3, first 2 shown]
	v_cndmask_b32_e64 v9, v9, v15, s11
	v_cndmask_b32_e64 v10, v10, v146, s11
	s_cmp_eq_u32 s90, 0
	s_waitcnt lgkmcnt(0)
	s_delay_alu instid0(VALU_DEP_1) | instskip(NEXT) | instid1(VALU_DEP_1)
	v_fmac_f32_e32 v9, v8, v10
	v_fmac_f32_e32 v12, v9, v148
	s_delay_alu instid0(VALU_DEP_1) | instskip(NEXT) | instid1(VALU_DEP_1)
	v_fmac_f32_e32 v13, v12, v150
	v_fmac_f32_e32 v14, v13, v152
	v_fma_mix_f32 v120, v9, v4, v120 op_sel_hi:[0,1,0]
	s_delay_alu instid0(VALU_DEP_2) | instskip(SKIP_2) | instid1(VALU_DEP_3)
	v_fmac_f32_e32 v147, v14, v154
	v_fma_mix_f32 v113, v12, v4, v113 op_sel:[0,1,0] op_sel_hi:[0,1,0]
	v_fma_mix_f32 v114, v14, v5, v114 op_sel:[0,1,0] op_sel_hi:[0,1,0]
	v_fmac_f32_e32 v149, v147, v155
	v_fma_mix_f32 v117, v147, v6, v117 op_sel_hi:[0,1,0]
	s_delay_alu instid0(VALU_DEP_2) | instskip(SKIP_1) | instid1(VALU_DEP_2)
	v_fmac_f32_e32 v151, v149, v157
	v_fma_mix_f32 v110, v149, v6, v110 op_sel:[0,1,0] op_sel_hi:[0,1,0]
	v_fmac_f32_e32 v153, v151, v160
	s_delay_alu instid0(VALU_DEP_1) | instskip(SKIP_1) | instid1(VALU_DEP_2)
	v_fmac_f32_e32 v156, v153, v161
	v_fma_mix_f32 v119, v13, v5, v119 op_sel_hi:[0,1,0]
	v_fmac_f32_e32 v158, v156, v162
	v_fma_mix_f32 v116, v151, v7, v116 op_sel_hi:[0,1,0]
	v_fma_mix_f32 v111, v156, v0, v111 op_sel_hi:[0,1,0]
	s_delay_alu instid0(VALU_DEP_3) | instskip(SKIP_1) | instid1(VALU_DEP_2)
	v_fmac_f32_e32 v159, v158, v163
	v_fma_mix_f32 v105, v158, v0, v105 op_sel:[0,1,0] op_sel_hi:[0,1,0]
	v_fmac_f32_e32 v164, v159, v170
	v_fma_mix_f32 v108, v159, v1, v108 op_sel_hi:[0,1,0]
	s_delay_alu instid0(VALU_DEP_2) | instskip(NEXT) | instid1(VALU_DEP_1)
	v_fmac_f32_e32 v165, v164, v167
	v_fmac_f32_e32 v166, v165, v169
	v_fma_mix_f32 v109, v153, v7, v109 op_sel:[0,1,0] op_sel_hi:[0,1,0]
	s_delay_alu instid0(VALU_DEP_2) | instskip(SKIP_2) | instid1(VALU_DEP_3)
	v_fmac_f32_e32 v168, v166, v172
	v_fma_mix_f32 v107, v165, v2, v107 op_sel_hi:[0,1,0]
	v_fma_mix_f32 v102, v166, v2, v102 op_sel:[0,1,0] op_sel_hi:[0,1,0]
	v_fmac_f32_e32 v171, v168, v173
	v_fma_mix_f32 v103, v164, v1, v103 op_sel:[0,1,0] op_sel_hi:[0,1,0]
	v_fma_mix_f32 v106, v168, v3, v106 op_sel_hi:[0,1,0]
	s_delay_alu instid0(VALU_DEP_3)
	v_fma_mix_f32 v112, v171, v3, v112 op_sel:[0,1,0] op_sel_hi:[0,1,0]
	s_cbranch_scc1 .LBB88_204
.LBB88_109:                             ;   Parent Loop BB88_12 Depth=1
                                        ; =>  This Inner Loop Header: Depth=2
	s_lshl_b64 s[46:47], s[64:65], 2
	s_mov_b32 s53, s65
	s_add_u32 s46, s72, s46
	s_addc_u32 s47, s73, s47
	v_dual_mov_b32 v2, 0 :: v_dual_mov_b32 v3, 0
	global_load_b32 v146, v21, s[46:47]
	s_lshl_b64 s[46:47], s[52:53], 1
	s_delay_alu instid0(SALU_CYCLE_1)
	v_add_co_u32 v0, vcc_lo, v127, s46
	v_add_co_ci_u32_e32 v1, vcc_lo, s47, v128, vcc_lo
	s_and_saveexec_b32 s46, s13
	s_cbranch_execnz .LBB88_145
; %bb.110:                              ;   in Loop: Header=BB88_109 Depth=2
	s_or_b32 exec_lo, exec_lo, s46
	s_and_saveexec_b32 s46, s14
	s_cbranch_execnz .LBB88_146
.LBB88_111:                             ;   in Loop: Header=BB88_109 Depth=2
	s_or_b32 exec_lo, exec_lo, s46
	v_mov_b32_e32 v4, 0
	s_and_saveexec_b32 s46, s15
	s_cbranch_execnz .LBB88_147
.LBB88_112:                             ;   in Loop: Header=BB88_109 Depth=2
	s_or_b32 exec_lo, exec_lo, s46
	s_and_saveexec_b32 s46, s16
	s_cbranch_execnz .LBB88_148
.LBB88_113:                             ;   in Loop: Header=BB88_109 Depth=2
	s_or_b32 exec_lo, exec_lo, s46
	v_mov_b32_e32 v5, 0
	s_and_saveexec_b32 s46, s17
	s_cbranch_execnz .LBB88_149
.LBB88_114:                             ;   in Loop: Header=BB88_109 Depth=2
	s_or_b32 exec_lo, exec_lo, s46
	s_and_saveexec_b32 s46, s18
	s_cbranch_execnz .LBB88_150
.LBB88_115:                             ;   in Loop: Header=BB88_109 Depth=2
	s_or_b32 exec_lo, exec_lo, s46
	v_mov_b32_e32 v6, 0
	s_and_saveexec_b32 s46, s19
	s_cbranch_execnz .LBB88_151
.LBB88_116:                             ;   in Loop: Header=BB88_109 Depth=2
	s_or_b32 exec_lo, exec_lo, s46
	s_and_saveexec_b32 s46, s20
	s_cbranch_execnz .LBB88_152
.LBB88_117:                             ;   in Loop: Header=BB88_109 Depth=2
	s_or_b32 exec_lo, exec_lo, s46
	v_mov_b32_e32 v7, 0
	s_and_saveexec_b32 s46, s21
	s_cbranch_execnz .LBB88_153
.LBB88_118:                             ;   in Loop: Header=BB88_109 Depth=2
	s_or_b32 exec_lo, exec_lo, s46
	s_and_saveexec_b32 s46, s22
	s_cbranch_execnz .LBB88_154
.LBB88_119:                             ;   in Loop: Header=BB88_109 Depth=2
	s_or_b32 exec_lo, exec_lo, s46
	v_mov_b32_e32 v8, 0
	s_and_saveexec_b32 s46, s23
	s_cbranch_execnz .LBB88_155
.LBB88_120:                             ;   in Loop: Header=BB88_109 Depth=2
	s_or_b32 exec_lo, exec_lo, s46
	s_and_saveexec_b32 s46, s24
	s_cbranch_execnz .LBB88_156
.LBB88_121:                             ;   in Loop: Header=BB88_109 Depth=2
	s_or_b32 exec_lo, exec_lo, s46
	v_mov_b32_e32 v9, 0
	s_and_saveexec_b32 s46, s25
	s_cbranch_execnz .LBB88_157
.LBB88_122:                             ;   in Loop: Header=BB88_109 Depth=2
	s_or_b32 exec_lo, exec_lo, s46
	s_and_saveexec_b32 s46, s26
	s_cbranch_execnz .LBB88_158
.LBB88_123:                             ;   in Loop: Header=BB88_109 Depth=2
	s_or_b32 exec_lo, exec_lo, s46
	v_mov_b32_e32 v10, 0
	s_and_saveexec_b32 s46, s27
	s_cbranch_execnz .LBB88_159
.LBB88_124:                             ;   in Loop: Header=BB88_109 Depth=2
	s_or_b32 exec_lo, exec_lo, s46
	s_and_saveexec_b32 s46, s28
	s_cbranch_execz .LBB88_126
.LBB88_125:                             ;   in Loop: Header=BB88_109 Depth=2
	global_load_u16 v0, v[0:1], off offset:960
	s_waitcnt vmcnt(0)
	v_lshl_or_b32 v10, v0, 16, v10
.LBB88_126:                             ;   in Loop: Header=BB88_109 Depth=2
	s_or_b32 exec_lo, exec_lo, s46
	s_waitcnt vmcnt(0)
	ds_store_b16 v37, v3
	ds_store_b16 v37, v2 offset:64
	ds_store_b16 v38, v4 offset:128
	ds_store_b16_d16_hi v39, v4 offset:192
	ds_store_b16 v40, v5 offset:256
	ds_store_b16_d16_hi v41, v5 offset:320
	;; [unrolled: 2-line block ×7, first 2 shown]
	; wave barrier
	ds_load_b128 v[12:15], v52
	ds_load_b128 v[8:11], v52 offset:16
	s_mov_b32 s55, s65
	v_dual_mov_b32 v2, 0 :: v_dual_mov_b32 v3, 0
	s_lshl_b64 s[46:47], s[54:55], 1
	s_delay_alu instid0(SALU_CYCLE_1)
	v_add_co_u32 v0, vcc_lo, v129, s46
	v_add_co_ci_u32_e32 v1, vcc_lo, s47, v130, vcc_lo
	s_and_saveexec_b32 s46, s13
	s_cbranch_execnz .LBB88_160
; %bb.127:                              ;   in Loop: Header=BB88_109 Depth=2
	s_or_b32 exec_lo, exec_lo, s46
	s_and_saveexec_b32 s46, s14
	s_cbranch_execnz .LBB88_161
.LBB88_128:                             ;   in Loop: Header=BB88_109 Depth=2
	s_or_b32 exec_lo, exec_lo, s46
	v_mov_b32_e32 v4, 0
	s_and_saveexec_b32 s46, s15
	s_cbranch_execnz .LBB88_162
.LBB88_129:                             ;   in Loop: Header=BB88_109 Depth=2
	s_or_b32 exec_lo, exec_lo, s46
	s_and_saveexec_b32 s46, s16
	s_cbranch_execnz .LBB88_163
.LBB88_130:                             ;   in Loop: Header=BB88_109 Depth=2
	s_or_b32 exec_lo, exec_lo, s46
	v_mov_b32_e32 v5, 0
	s_and_saveexec_b32 s46, s17
	s_cbranch_execnz .LBB88_164
.LBB88_131:                             ;   in Loop: Header=BB88_109 Depth=2
	s_or_b32 exec_lo, exec_lo, s46
	s_and_saveexec_b32 s46, s18
	s_cbranch_execnz .LBB88_165
.LBB88_132:                             ;   in Loop: Header=BB88_109 Depth=2
	s_or_b32 exec_lo, exec_lo, s46
	v_mov_b32_e32 v6, 0
	s_and_saveexec_b32 s46, s19
	s_cbranch_execnz .LBB88_166
.LBB88_133:                             ;   in Loop: Header=BB88_109 Depth=2
	s_or_b32 exec_lo, exec_lo, s46
	s_and_saveexec_b32 s46, s20
	s_cbranch_execnz .LBB88_167
.LBB88_134:                             ;   in Loop: Header=BB88_109 Depth=2
	s_or_b32 exec_lo, exec_lo, s46
	v_mov_b32_e32 v7, 0
	s_and_saveexec_b32 s46, s21
	s_cbranch_execnz .LBB88_168
.LBB88_135:                             ;   in Loop: Header=BB88_109 Depth=2
	s_or_b32 exec_lo, exec_lo, s46
	s_and_saveexec_b32 s46, s22
	s_cbranch_execnz .LBB88_169
.LBB88_136:                             ;   in Loop: Header=BB88_109 Depth=2
	s_or_b32 exec_lo, exec_lo, s46
	v_mov_b32_e32 v16, 0
	s_and_saveexec_b32 s46, s23
	s_cbranch_execnz .LBB88_170
.LBB88_137:                             ;   in Loop: Header=BB88_109 Depth=2
	s_or_b32 exec_lo, exec_lo, s46
	s_and_saveexec_b32 s46, s24
	s_cbranch_execnz .LBB88_171
.LBB88_138:                             ;   in Loop: Header=BB88_109 Depth=2
	s_or_b32 exec_lo, exec_lo, s46
	v_mov_b32_e32 v17, 0
	s_and_saveexec_b32 s46, s25
	s_cbranch_execnz .LBB88_172
.LBB88_139:                             ;   in Loop: Header=BB88_109 Depth=2
	s_or_b32 exec_lo, exec_lo, s46
	s_and_saveexec_b32 s46, s26
	s_cbranch_execnz .LBB88_173
.LBB88_140:                             ;   in Loop: Header=BB88_109 Depth=2
	s_or_b32 exec_lo, exec_lo, s46
	v_mov_b32_e32 v147, 0
	s_and_saveexec_b32 s46, s27
	s_cbranch_execnz .LBB88_174
.LBB88_141:                             ;   in Loop: Header=BB88_109 Depth=2
	s_or_b32 exec_lo, exec_lo, s46
	s_and_saveexec_b32 s46, s28
	s_cbranch_execz .LBB88_143
.LBB88_142:                             ;   in Loop: Header=BB88_109 Depth=2
	global_load_u16 v0, v[0:1], off offset:960
	s_waitcnt vmcnt(0)
	v_lshl_or_b32 v147, v0, 16, v147
.LBB88_143:                             ;   in Loop: Header=BB88_109 Depth=2
	s_or_b32 exec_lo, exec_lo, s46
	s_waitcnt vmcnt(0)
	ds_store_b16 v37, v3 offset:4224
	ds_store_b16 v53, v2 offset:64
	ds_store_b16 v54, v4 offset:128
	ds_store_b16_d16_hi v55, v4 offset:192
	ds_store_b16 v56, v5 offset:256
	ds_store_b16_d16_hi v57, v5 offset:320
	ds_store_b16 v58, v6 offset:384
	;; [unrolled: 2-line block ×6, first 2 shown]
	ds_store_b16_d16_hi v67, v147 offset:960
	; wave barrier
	ds_load_b128 v[4:7], v52 offset:4224
	ds_load_b128 v[0:3], v68 offset:16
	s_and_not1_b32 vcc_lo, exec_lo, s51
	s_cbranch_vccnz .LBB88_175
; %bb.144:                              ;   in Loop: Header=BB88_109 Depth=2
	v_mov_b32_e32 v16, s91
	ds_load_b64 v[16:17], v16
	s_cbranch_execz .LBB88_176
	s_branch .LBB88_179
.LBB88_145:                             ;   in Loop: Header=BB88_109 Depth=2
	global_load_u16 v3, v[0:1], off
	s_or_b32 exec_lo, exec_lo, s46
	s_and_saveexec_b32 s46, s14
	s_cbranch_execz .LBB88_111
.LBB88_146:                             ;   in Loop: Header=BB88_109 Depth=2
	global_load_u16 v2, v[0:1], off offset:64
	s_or_b32 exec_lo, exec_lo, s46
	v_mov_b32_e32 v4, 0
	s_and_saveexec_b32 s46, s15
	s_cbranch_execz .LBB88_112
.LBB88_147:                             ;   in Loop: Header=BB88_109 Depth=2
	global_load_u16 v4, v[0:1], off offset:128
	s_or_b32 exec_lo, exec_lo, s46
	s_and_saveexec_b32 s46, s16
	s_cbranch_execz .LBB88_113
.LBB88_148:                             ;   in Loop: Header=BB88_109 Depth=2
	global_load_u16 v5, v[0:1], off offset:192
	s_waitcnt vmcnt(0)
	v_lshl_or_b32 v4, v5, 16, v4
	s_or_b32 exec_lo, exec_lo, s46
	v_mov_b32_e32 v5, 0
	s_and_saveexec_b32 s46, s17
	s_cbranch_execz .LBB88_114
.LBB88_149:                             ;   in Loop: Header=BB88_109 Depth=2
	global_load_u16 v5, v[0:1], off offset:256
	s_or_b32 exec_lo, exec_lo, s46
	s_and_saveexec_b32 s46, s18
	s_cbranch_execz .LBB88_115
.LBB88_150:                             ;   in Loop: Header=BB88_109 Depth=2
	global_load_u16 v6, v[0:1], off offset:320
	s_waitcnt vmcnt(0)
	v_lshl_or_b32 v5, v6, 16, v5
	s_or_b32 exec_lo, exec_lo, s46
	v_mov_b32_e32 v6, 0
	s_and_saveexec_b32 s46, s19
	s_cbranch_execz .LBB88_116
.LBB88_151:                             ;   in Loop: Header=BB88_109 Depth=2
	global_load_u16 v6, v[0:1], off offset:384
	s_or_b32 exec_lo, exec_lo, s46
	s_and_saveexec_b32 s46, s20
	s_cbranch_execz .LBB88_117
.LBB88_152:                             ;   in Loop: Header=BB88_109 Depth=2
	global_load_u16 v7, v[0:1], off offset:448
	s_waitcnt vmcnt(0)
	v_lshl_or_b32 v6, v7, 16, v6
	s_or_b32 exec_lo, exec_lo, s46
	v_mov_b32_e32 v7, 0
	s_and_saveexec_b32 s46, s21
	s_cbranch_execz .LBB88_118
.LBB88_153:                             ;   in Loop: Header=BB88_109 Depth=2
	global_load_u16 v7, v[0:1], off offset:512
	s_or_b32 exec_lo, exec_lo, s46
	s_and_saveexec_b32 s46, s22
	s_cbranch_execz .LBB88_119
.LBB88_154:                             ;   in Loop: Header=BB88_109 Depth=2
	global_load_u16 v8, v[0:1], off offset:576
	s_waitcnt vmcnt(0)
	v_lshl_or_b32 v7, v8, 16, v7
	s_or_b32 exec_lo, exec_lo, s46
	v_mov_b32_e32 v8, 0
	s_and_saveexec_b32 s46, s23
	s_cbranch_execz .LBB88_120
.LBB88_155:                             ;   in Loop: Header=BB88_109 Depth=2
	global_load_u16 v8, v[0:1], off offset:640
	s_or_b32 exec_lo, exec_lo, s46
	s_and_saveexec_b32 s46, s24
	s_cbranch_execz .LBB88_121
.LBB88_156:                             ;   in Loop: Header=BB88_109 Depth=2
	global_load_u16 v9, v[0:1], off offset:704
	s_waitcnt vmcnt(0)
	v_lshl_or_b32 v8, v9, 16, v8
	s_or_b32 exec_lo, exec_lo, s46
	v_mov_b32_e32 v9, 0
	s_and_saveexec_b32 s46, s25
	s_cbranch_execz .LBB88_122
.LBB88_157:                             ;   in Loop: Header=BB88_109 Depth=2
	global_load_u16 v9, v[0:1], off offset:768
	s_or_b32 exec_lo, exec_lo, s46
	s_and_saveexec_b32 s46, s26
	s_cbranch_execz .LBB88_123
.LBB88_158:                             ;   in Loop: Header=BB88_109 Depth=2
	global_load_u16 v10, v[0:1], off offset:832
	s_waitcnt vmcnt(0)
	v_lshl_or_b32 v9, v10, 16, v9
	s_or_b32 exec_lo, exec_lo, s46
	v_mov_b32_e32 v10, 0
	s_and_saveexec_b32 s46, s27
	s_cbranch_execz .LBB88_124
.LBB88_159:                             ;   in Loop: Header=BB88_109 Depth=2
	global_load_u16 v10, v[0:1], off offset:896
	s_or_b32 exec_lo, exec_lo, s46
	s_and_saveexec_b32 s46, s28
	s_cbranch_execnz .LBB88_125
	s_branch .LBB88_126
.LBB88_160:                             ;   in Loop: Header=BB88_109 Depth=2
	global_load_u16 v3, v[0:1], off
	s_or_b32 exec_lo, exec_lo, s46
	s_and_saveexec_b32 s46, s14
	s_cbranch_execz .LBB88_128
.LBB88_161:                             ;   in Loop: Header=BB88_109 Depth=2
	global_load_u16 v2, v[0:1], off offset:64
	s_or_b32 exec_lo, exec_lo, s46
	v_mov_b32_e32 v4, 0
	s_and_saveexec_b32 s46, s15
	s_cbranch_execz .LBB88_129
.LBB88_162:                             ;   in Loop: Header=BB88_109 Depth=2
	global_load_u16 v4, v[0:1], off offset:128
	s_or_b32 exec_lo, exec_lo, s46
	s_and_saveexec_b32 s46, s16
	s_cbranch_execz .LBB88_130
.LBB88_163:                             ;   in Loop: Header=BB88_109 Depth=2
	global_load_u16 v5, v[0:1], off offset:192
	s_waitcnt vmcnt(0)
	v_lshl_or_b32 v4, v5, 16, v4
	s_or_b32 exec_lo, exec_lo, s46
	v_mov_b32_e32 v5, 0
	s_and_saveexec_b32 s46, s17
	s_cbranch_execz .LBB88_131
.LBB88_164:                             ;   in Loop: Header=BB88_109 Depth=2
	global_load_u16 v5, v[0:1], off offset:256
	s_or_b32 exec_lo, exec_lo, s46
	s_and_saveexec_b32 s46, s18
	s_cbranch_execz .LBB88_132
.LBB88_165:                             ;   in Loop: Header=BB88_109 Depth=2
	global_load_u16 v6, v[0:1], off offset:320
	s_waitcnt vmcnt(0)
	v_lshl_or_b32 v5, v6, 16, v5
	s_or_b32 exec_lo, exec_lo, s46
	v_mov_b32_e32 v6, 0
	s_and_saveexec_b32 s46, s19
	s_cbranch_execz .LBB88_133
.LBB88_166:                             ;   in Loop: Header=BB88_109 Depth=2
	global_load_u16 v6, v[0:1], off offset:384
	s_or_b32 exec_lo, exec_lo, s46
	s_and_saveexec_b32 s46, s20
	s_cbranch_execz .LBB88_134
.LBB88_167:                             ;   in Loop: Header=BB88_109 Depth=2
	global_load_u16 v7, v[0:1], off offset:448
	s_waitcnt vmcnt(0)
	v_lshl_or_b32 v6, v7, 16, v6
	s_or_b32 exec_lo, exec_lo, s46
	v_mov_b32_e32 v7, 0
	s_and_saveexec_b32 s46, s21
	s_cbranch_execz .LBB88_135
.LBB88_168:                             ;   in Loop: Header=BB88_109 Depth=2
	global_load_u16 v7, v[0:1], off offset:512
	s_or_b32 exec_lo, exec_lo, s46
	s_and_saveexec_b32 s46, s22
	s_cbranch_execz .LBB88_136
.LBB88_169:                             ;   in Loop: Header=BB88_109 Depth=2
	global_load_u16 v16, v[0:1], off offset:576
	s_waitcnt vmcnt(0)
	v_lshl_or_b32 v7, v16, 16, v7
	s_or_b32 exec_lo, exec_lo, s46
	v_mov_b32_e32 v16, 0
	s_and_saveexec_b32 s46, s23
	s_cbranch_execz .LBB88_137
.LBB88_170:                             ;   in Loop: Header=BB88_109 Depth=2
	global_load_u16 v16, v[0:1], off offset:640
	s_or_b32 exec_lo, exec_lo, s46
	s_and_saveexec_b32 s46, s24
	s_cbranch_execz .LBB88_138
.LBB88_171:                             ;   in Loop: Header=BB88_109 Depth=2
	global_load_u16 v17, v[0:1], off offset:704
	s_waitcnt vmcnt(0)
	v_lshl_or_b32 v16, v17, 16, v16
	s_or_b32 exec_lo, exec_lo, s46
	v_mov_b32_e32 v17, 0
	s_and_saveexec_b32 s46, s25
	s_cbranch_execz .LBB88_139
.LBB88_172:                             ;   in Loop: Header=BB88_109 Depth=2
	global_load_u16 v17, v[0:1], off offset:768
	s_or_b32 exec_lo, exec_lo, s46
	s_and_saveexec_b32 s46, s26
	s_cbranch_execz .LBB88_140
.LBB88_173:                             ;   in Loop: Header=BB88_109 Depth=2
	global_load_u16 v147, v[0:1], off offset:832
	s_waitcnt vmcnt(0)
	v_lshl_or_b32 v17, v147, 16, v17
	s_or_b32 exec_lo, exec_lo, s46
	v_mov_b32_e32 v147, 0
	s_and_saveexec_b32 s46, s27
	s_cbranch_execz .LBB88_141
.LBB88_174:                             ;   in Loop: Header=BB88_109 Depth=2
	global_load_u16 v147, v[0:1], off offset:896
	s_or_b32 exec_lo, exec_lo, s46
	s_and_saveexec_b32 s46, s28
	s_cbranch_execnz .LBB88_142
	s_branch .LBB88_143
.LBB88_175:                             ;   in Loop: Header=BB88_109 Depth=2
                                        ; implicit-def: $vgpr16
.LBB88_176:                             ;   in Loop: Header=BB88_109 Depth=2
	s_waitcnt lgkmcnt(0)
	v_mov_b32_e32 v17, 0
	s_and_not1_b32 vcc_lo, exec_lo, s66
	s_cbranch_vccnz .LBB88_178
; %bb.177:                              ;   in Loop: Header=BB88_109 Depth=2
	s_mov_b32 s59, s65
	s_delay_alu instid0(SALU_CYCLE_1) | instskip(NEXT) | instid1(SALU_CYCLE_1)
	s_lshl_b64 s[46:47], s[58:59], 1
	s_add_u32 s46, s76, s46
	s_addc_u32 s47, s77, s47
	global_load_u16 v16, v21, s[46:47]
	s_waitcnt vmcnt(0)
	v_cvt_f32_f16_e32 v17, v16
.LBB88_178:                             ;   in Loop: Header=BB88_109 Depth=2
	v_mov_b32_e32 v16, 1.0
.LBB88_179:                             ;   in Loop: Header=BB88_109 Depth=2
	v_mul_f32_e32 v168, 0x3fb8aa3b, v146
	s_waitcnt lgkmcnt(19)
	v_lshrrev_b32_e32 v148, 16, v13
	v_lshrrev_b32_e32 v149, 16, v14
	v_cvt_f32_f16_e32 v13, v13
	v_cvt_f32_f16_e64 v156, v14
	v_mul_f32_e32 v14, v168, v94
	v_lshrrev_b32_e32 v147, 16, v12
	v_lshrrev_b32_e32 v150, 16, v15
	v_mul_f32_e32 v13, v143, v13
	v_cvt_f32_f16_e32 v12, v12
	v_cmp_gt_f32_e32 vcc_lo, 0xc2fc0000, v14
	v_cvt_f32_f16_e64 v157, v15
	v_mul_f32_e32 v15, v168, v95
	v_cvt_f32_f16_e64 v155, v148
	v_mul_f32_e32 v12, v145, v12
	v_cndmask_b32_e64 v14, 0, 0x42800000, vcc_lo
	v_mul_f32_e32 v146, v168, v96
	v_cmp_gt_f32_e64 s46, 0xc2fc0000, v15
	v_cndmask_b32_e64 v148, 1.0, 0x1f800000, vcc_lo
	s_waitcnt lgkmcnt(18)
	v_lshrrev_b32_e32 v151, 16, v8
	v_fmac_f32_e32 v14, v168, v94
	v_cvt_f32_f16_e64 v147, v147
	v_cndmask_b32_e64 v15, 0, 0x42800000, s46
	v_cvt_f32_f16_e64 v158, v150
	v_cmp_gt_f32_e32 vcc_lo, 0xc2fc0000, v146
	v_exp_f32_e32 v14, v14
	v_mul_f32_e32 v146, v168, v97
	v_fmac_f32_e32 v15, v168, v95
	v_cvt_f32_f16_e64 v159, v151
	v_cndmask_b32_e64 v151, 0, 0x42800000, vcc_lo
	v_lshrrev_b32_e32 v152, 16, v9
	v_lshrrev_b32_e32 v153, 16, v10
	;; [unrolled: 1-line block ×3, first 2 shown]
	v_cvt_f32_f16_e32 v9, v9
	v_cvt_f32_f16_e32 v8, v8
	v_mul_f32_e32 v14, v14, v148
	v_exp_f32_e32 v150, v15
	v_cndmask_b32_e64 v15, 0, v12, s29
	v_cndmask_b32_e64 v12, 1.0, 0x1f800000, s46
	v_cmp_gt_f32_e64 s46, 0xc2fc0000, v146
	v_cndmask_b32_e64 v146, 1.0, v14, s29
	v_mul_f32_e32 v14, v144, v147
	v_cvt_f32_f16_e64 v164, v152
	v_cvt_f32_f16_e64 v166, v153
	v_cndmask_b32_e64 v148, 0, 0x42800000, s46
	v_cvt_f32_f16_e64 v171, v154
	v_mul_f32_e32 v147, v150, v12
	v_cndmask_b32_e64 v12, 0, v14, s30
	v_cndmask_b32_e64 v14, 1.0, 0x1f800000, vcc_lo
	v_fmac_f32_e32 v151, v168, v96
	v_fmac_f32_e32 v148, v168, v97
	v_dual_mul_f32 v153, v168, v99 :: v_dual_mul_f32 v158, v138, v158
	v_dual_mul_f32 v154, v168, v100 :: v_dual_mul_f32 v9, v135, v9
	s_delay_alu instid0(VALU_DEP_4)
	v_exp_f32_e32 v150, v151
	v_mul_f32_e32 v151, v168, v98
	v_exp_f32_e32 v152, v148
	v_cndmask_b32_e64 v148, 1.0, v147, s30
	v_cndmask_b32_e64 v147, 1.0, 0x1f800000, s46
	v_cmp_gt_f32_e64 s46, 0xc2fc0000, v153
	v_cvt_f32_f16_e32 v10, v10
	v_cvt_f32_f16_e32 v11, v11
	v_mul_f32_e32 v169, v168, v122
	s_delay_alu instid0(TRANS32_DEP_2) | instskip(SKIP_1) | instid1(TRANS32_DEP_1)
	v_dual_mul_f32 v159, v136, v159 :: v_dual_mul_f32 v14, v150, v14
	v_cndmask_b32_e64 v153, 0, 0x42800000, s46
	v_dual_mul_f32 v147, v152, v147 :: v_dual_mul_f32 v10, v133, v10
	v_cndmask_b32_e64 v13, 0, v13, s31
	s_delay_alu instid0(VALU_DEP_4)
	v_cndmask_b32_e64 v150, 1.0, v14, s31
	v_mul_f32_e32 v14, v142, v155
	v_cmp_gt_f32_e32 vcc_lo, 0xc2fc0000, v151
	v_cndmask_b32_e64 v152, 1.0, v147, s33
	v_dual_fmac_f32 v153, v168, v99 :: v_dual_mul_f32 v8, v137, v8
	v_mul_f32_e32 v155, v168, v101
	v_cndmask_b32_e64 v151, 0, 0x42800000, vcc_lo
	v_cndmask_b32_e64 v147, 1.0, 0x1f800000, vcc_lo
	v_cmp_gt_f32_e32 vcc_lo, 0xc2fc0000, v154
	v_exp_f32_e32 v153, v153
	v_cmp_gt_f32_e64 s47, 0xc2fc0000, v155
	v_fmac_f32_e32 v151, v168, v98
	v_mul_f32_e32 v162, v168, v115
	v_cndmask_b32_e64 v154, 0, 0x42800000, vcc_lo
	v_cvt_f32_f16_e64 v149, v149
	v_cndmask_b32_e64 v155, 0, 0x42800000, s47
	v_exp_f32_e32 v151, v151
	v_cndmask_b32_e64 v14, 0, v14, s33
	v_dual_fmac_f32 v154, v168, v100 :: v_dual_mul_f32 v11, v131, v11
	s_delay_alu instid0(VALU_DEP_3) | instskip(SKIP_2) | instid1(VALU_DEP_4)
	v_fmac_f32_e32 v155, v168, v101
	v_mul_f32_e32 v170, v168, v123
	v_mul_f32_e32 v166, v132, v166
	v_exp_f32_e32 v160, v154
	s_delay_alu instid0(TRANS32_DEP_2)
	v_mul_f32_e32 v151, v151, v147
	v_mul_f32_e32 v147, v141, v156
	v_cndmask_b32_e64 v156, 1.0, 0x1f800000, s46
	v_cmp_gt_f32_e64 s46, 0xc2fc0000, v162
	v_mul_f32_e32 v162, v168, v121
	v_cndmask_b32_e64 v154, 1.0, v151, s34
	v_cndmask_b32_e64 v147, 0, v147, s34
	v_mul_f32_e32 v151, v153, v156
	v_cndmask_b32_e64 v153, 1.0, 0x1f800000, vcc_lo
	v_exp_f32_e32 v156, v155
	v_cndmask_b32_e64 v166, 0, v166, s43
	s_delay_alu instid0(VALU_DEP_3) | instskip(NEXT) | instid1(VALU_DEP_3)
	v_cndmask_b32_e64 v155, 1.0, v151, s35
	v_mul_f32_e32 v153, v160, v153
	v_mul_f32_e32 v151, v139, v157
	v_cndmask_b32_e64 v160, 1.0, 0x1f800000, s47
	s_delay_alu instid0(VALU_DEP_3)
	v_cndmask_b32_e64 v157, 1.0, v153, s36
	v_mul_f32_e32 v161, v168, v104
	v_cndmask_b32_e64 v153, 0, v158, s37
	v_mul_f32_e32 v158, v168, v118
	v_mul_f32_e32 v156, v156, v160
	v_cndmask_b32_e64 v151, 0, v151, s36
	v_cmp_gt_f32_e32 vcc_lo, 0xc2fc0000, v161
	s_delay_alu instid0(VALU_DEP_4) | instskip(NEXT) | instid1(VALU_DEP_4)
	v_cmp_gt_f32_e64 s47, 0xc2fc0000, v158
	v_cndmask_b32_e64 v160, 1.0, v156, s37
	v_cndmask_b32_e64 v161, 0, 0x42800000, vcc_lo
	v_cndmask_b32_e64 v163, 1.0, 0x1f800000, vcc_lo
	s_delay_alu instid0(VALU_DEP_4) | instskip(SKIP_1) | instid1(VALU_DEP_4)
	v_cndmask_b32_e64 v158, 0, 0x42800000, s47
	v_cmp_gt_f32_e32 vcc_lo, 0xc2fc0000, v162
	v_fmac_f32_e32 v161, v168, v104
	s_delay_alu instid0(VALU_DEP_3) | instskip(SKIP_1) | instid1(VALU_DEP_3)
	v_fmac_f32_e32 v158, v168, v118
	v_cndmask_b32_e64 v162, 0, 0x42800000, vcc_lo
	v_exp_f32_e32 v156, v161
	v_cndmask_b32_e64 v161, 0, 0x42800000, s46
	s_delay_alu instid0(VALU_DEP_2) | instskip(NEXT) | instid1(VALU_DEP_2)
	v_fmac_f32_e32 v162, v168, v121
	v_fmac_f32_e32 v161, v168, v115
	s_delay_alu instid0(VALU_DEP_2) | instskip(NEXT) | instid1(VALU_DEP_1)
	v_exp_f32_e32 v167, v162
	v_exp_f32_e32 v165, v161
	s_delay_alu instid0(TRANS32_DEP_3)
	v_mul_f32_e32 v161, v156, v163
	v_cndmask_b32_e64 v156, 0, v8, s38
	v_exp_f32_e32 v8, v158
	v_cndmask_b32_e64 v158, 1.0, 0x1f800000, s46
	v_cndmask_b32_e64 v163, 1.0, 0x1f800000, s47
	v_cmp_gt_f32_e64 s46, 0xc2fc0000, v170
	v_cndmask_b32_e64 v161, 1.0, v161, s38
	s_delay_alu instid0(TRANS32_DEP_2) | instid1(VALU_DEP_4)
	v_mul_f32_e32 v162, v165, v158
	v_cndmask_b32_e64 v165, 1.0, 0x1f800000, vcc_lo
	v_cmp_gt_f32_e32 vcc_lo, 0xc2fc0000, v169
	s_delay_alu instid0(TRANS32_DEP_1)
	v_mul_f32_e32 v8, v8, v163
	v_cndmask_b32_e64 v158, 0, v159, s39
	v_cndmask_b32_e64 v159, 0, v9, s40
	v_mul_f32_e32 v9, v134, v164
	v_fma_f32 v169, v148, v15, v12
	v_cndmask_b32_e64 v163, 1.0, v8, s40
	v_mul_f32_e32 v8, v167, v165
	v_cndmask_b32_e64 v165, 0, 0x42800000, vcc_lo
	v_mul_f32_e32 v167, v148, v146
	v_cndmask_b32_e64 v164, 0, v9, s41
	v_cndmask_b32_e64 v162, 1.0, v162, s39
	v_cndmask_b32_e64 v170, 1.0, v8, s41
	v_fmac_f32_e32 v165, v168, v122
	v_mul_f32_e32 v9, v167, v150
	v_fma_f32 v167, v169, v150, v13
	v_cndmask_b32_e64 v8, 1.0, 0x1f800000, vcc_lo
	v_cndmask_b32_e64 v169, 0, 0x42800000, s46
	v_exp_f32_e32 v165, v165
	v_mul_f32_e32 v149, v140, v149
	v_mul_f32_e32 v9, v9, v152
	v_fma_f32 v167, v167, v152, v14
	v_fmac_f32_e32 v169, v168, v123
	s_delay_alu instid0(VALU_DEP_3) | instskip(NEXT) | instid1(VALU_DEP_3)
	v_mul_f32_e32 v9, v9, v154
	v_fma_f32 v167, v167, v154, v147
	s_delay_alu instid0(VALU_DEP_3) | instskip(NEXT) | instid1(TRANS32_DEP_2)
	v_exp_f32_e32 v169, v169
	v_mul_f32_e32 v8, v165, v8
	v_cndmask_b32_e64 v149, 0, v149, s35
	v_mul_f32_e32 v9, v9, v155
	v_cndmask_b32_e64 v165, 0, v10, s42
	v_cndmask_b32_e64 v10, 1.0, 0x1f800000, s46
	s_delay_alu instid0(VALU_DEP_4)
	v_fma_f32 v172, v167, v155, v149
	v_cndmask_b32_e64 v167, 1.0, v8, s42
	v_mul_f32_e32 v8, v9, v157
	s_delay_alu instid0(TRANS32_DEP_1) | instid1(VALU_DEP_4)
	v_mul_f32_e32 v10, v169, v10
	s_delay_alu instid0(VALU_DEP_4) | instskip(SKIP_1) | instid1(VALU_DEP_4)
	v_fma_f32 v9, v172, v157, v151
	v_mul_f32_e32 v172, v168, v124
	v_mul_f32_e32 v8, v8, v160
	s_delay_alu instid0(VALU_DEP_3) | instskip(NEXT) | instid1(VALU_DEP_3)
	v_fma_f32 v9, v9, v160, v153
	v_cmp_gt_f32_e32 vcc_lo, 0xc2fc0000, v172
	v_mul_f32_e32 v172, v168, v125
	s_delay_alu instid0(VALU_DEP_4) | instskip(NEXT) | instid1(VALU_DEP_4)
	v_mul_f32_e32 v8, v8, v161
	v_fma_f32 v9, v9, v161, v156
	v_cndmask_b32_e64 v169, 0, 0x42800000, vcc_lo
	s_delay_alu instid0(VALU_DEP_4) | instskip(NEXT) | instid1(VALU_DEP_4)
	v_cmp_gt_f32_e64 s46, 0xc2fc0000, v172
	v_mul_f32_e32 v8, v8, v162
	s_delay_alu instid0(VALU_DEP_4) | instskip(NEXT) | instid1(VALU_DEP_4)
	v_fma_f32 v9, v9, v162, v158
	v_fmac_f32_e32 v169, v168, v124
	s_delay_alu instid0(VALU_DEP_4) | instskip(NEXT) | instid1(VALU_DEP_4)
	v_cndmask_b32_e64 v172, 0, 0x42800000, s46
	v_mul_f32_e32 v8, v8, v163
	s_delay_alu instid0(VALU_DEP_4) | instskip(NEXT) | instid1(VALU_DEP_4)
	v_fma_f32 v9, v9, v163, v159
	v_exp_f32_e32 v173, v169
	s_delay_alu instid0(VALU_DEP_3)
	v_fmac_f32_e32 v172, v168, v125
	v_cndmask_b32_e64 v169, 1.0, v10, s43
	v_cndmask_b32_e64 v10, 1.0, 0x1f800000, vcc_lo
	v_mul_f32_e32 v8, v8, v170
	v_fma_f32 v9, v9, v170, v164
	v_exp_f32_e32 v174, v172
	v_cndmask_b32_e64 v168, 0, v11, s44
	v_cndmask_b32_e64 v11, 1.0, 0x1f800000, s46
	v_mul_f32_e32 v8, v8, v167
	v_mul_f32_e32 v10, v173, v10
	v_fma_f32 v9, v9, v167, v165
	s_delay_alu instid0(VALU_DEP_3) | instskip(NEXT) | instid1(VALU_DEP_3)
	v_mul_f32_e32 v8, v8, v169
	v_cndmask_b32_e64 v172, 1.0, v10, s44
	v_mul_f32_e32 v10, v126, v171
	s_delay_alu instid0(TRANS32_DEP_1) | instskip(SKIP_1) | instid1(VALU_DEP_4)
	v_mul_f32_e32 v11, v174, v11
	v_fma_f32 v9, v9, v169, v166
	v_mul_f32_e32 v8, v8, v172
	s_delay_alu instid0(VALU_DEP_4) | instskip(NEXT) | instid1(VALU_DEP_4)
	v_cndmask_b32_e64 v171, 0, v10, s45
	v_cndmask_b32_e64 v173, 1.0, v11, s45
	s_delay_alu instid0(VALU_DEP_4) | instskip(NEXT) | instid1(VALU_DEP_2)
	v_fma_f32 v9, v9, v172, v168
	v_mul_f32_e32 v8, v8, v173
	s_delay_alu instid0(VALU_DEP_2) | instskip(NEXT) | instid1(VALU_DEP_2)
	v_fma_f32 v9, v9, v173, v171
	v_mov_b32_dpp v11, v8 row_shr:1 row_mask:0xf bank_mask:0xf
	s_delay_alu instid0(VALU_DEP_2)
	v_mov_b32_dpp v10, v9 row_shr:1 row_mask:0xf bank_mask:0xf
	s_and_saveexec_b32 s46, s0
; %bb.180:                              ;   in Loop: Header=BB88_109 Depth=2
	s_delay_alu instid0(VALU_DEP_2) | instskip(NEXT) | instid1(VALU_DEP_1)
	v_mul_f32_e32 v11, v8, v11
	v_dual_fmac_f32 v9, v8, v10 :: v_dual_mov_b32 v8, v11
; %bb.181:                              ;   in Loop: Header=BB88_109 Depth=2
	s_or_b32 exec_lo, exec_lo, s46
	s_delay_alu instid0(VALU_DEP_1) | instskip(NEXT) | instid1(VALU_DEP_2)
	v_mov_b32_dpp v10, v8 row_shr:2 row_mask:0xf bank_mask:0xf
	v_mov_b32_dpp v11, v9 row_shr:2 row_mask:0xf bank_mask:0xf
	s_and_saveexec_b32 s46, s1
; %bb.182:                              ;   in Loop: Header=BB88_109 Depth=2
	s_delay_alu instid0(VALU_DEP_1) | instskip(NEXT) | instid1(VALU_DEP_3)
	v_fmac_f32_e32 v9, v8, v11
	v_mul_f32_e32 v8, v8, v10
; %bb.183:                              ;   in Loop: Header=BB88_109 Depth=2
	s_or_b32 exec_lo, exec_lo, s46
	s_delay_alu instid0(VALU_DEP_1) | instskip(NEXT) | instid1(VALU_DEP_3)
	v_mov_b32_dpp v10, v8 row_shr:4 row_mask:0xf bank_mask:0xf
	v_mov_b32_dpp v11, v9 row_shr:4 row_mask:0xf bank_mask:0xf
	s_and_saveexec_b32 s46, s2
; %bb.184:                              ;   in Loop: Header=BB88_109 Depth=2
	s_delay_alu instid0(VALU_DEP_1) | instskip(NEXT) | instid1(VALU_DEP_3)
	v_fmac_f32_e32 v9, v8, v11
	v_mul_f32_e32 v8, v8, v10
; %bb.185:                              ;   in Loop: Header=BB88_109 Depth=2
	s_or_b32 exec_lo, exec_lo, s46
	s_delay_alu instid0(VALU_DEP_1) | instskip(NEXT) | instid1(VALU_DEP_3)
	v_mov_b32_dpp v10, v8 row_shr:8 row_mask:0xf bank_mask:0xf
	v_mov_b32_dpp v11, v9 row_shr:8 row_mask:0xf bank_mask:0xf
	s_and_saveexec_b32 s46, s3
; %bb.186:                              ;   in Loop: Header=BB88_109 Depth=2
	s_delay_alu instid0(VALU_DEP_1) | instskip(NEXT) | instid1(VALU_DEP_3)
	v_fmac_f32_e32 v9, v8, v11
	v_mul_f32_e32 v8, v8, v10
; %bb.187:                              ;   in Loop: Header=BB88_109 Depth=2
	s_or_b32 exec_lo, exec_lo, s46
	ds_swizzle_b32 v11, v8 offset:swizzle(BROADCAST,32,15)
	ds_swizzle_b32 v10, v9 offset:swizzle(BROADCAST,32,15)
	s_and_saveexec_b32 s46, s4
	s_cbranch_execz .LBB88_189
; %bb.188:                              ;   in Loop: Header=BB88_109 Depth=2
	s_waitcnt lgkmcnt(1)
	v_mul_f32_e32 v11, v8, v11
	s_waitcnt lgkmcnt(0)
	s_delay_alu instid0(VALU_DEP_1)
	v_dual_fmac_f32 v9, v8, v10 :: v_dual_mov_b32 v8, v11
.LBB88_189:                             ;   in Loop: Header=BB88_109 Depth=2
	s_or_b32 exec_lo, exec_lo, s46
	s_and_saveexec_b32 s46, s5
	s_cbranch_execz .LBB88_191
; %bb.190:                              ;   in Loop: Header=BB88_109 Depth=2
	ds_store_b64 v69, v[8:9] offset:8448
.LBB88_191:                             ;   in Loop: Header=BB88_109 Depth=2
	s_or_b32 exec_lo, exec_lo, s46
	s_waitcnt lgkmcnt(0)
	s_waitcnt_vscnt null, 0x0
	s_barrier
	buffer_gl0_inv
	s_and_saveexec_b32 s46, s6
	s_cbranch_execz .LBB88_195
; %bb.192:                              ;   in Loop: Header=BB88_109 Depth=2
	ds_load_b64 v[10:11], v70 offset:8448
	s_waitcnt lgkmcnt(0)
	v_mov_b32_dpp v176, v10 row_shr:1 row_mask:0xf bank_mask:0xf
	v_mov_b32_dpp v175, v11 row_shr:1 row_mask:0xf bank_mask:0xf
	v_mov_b32_e32 v174, v10
	s_and_saveexec_b32 s47, s7
; %bb.193:                              ;   in Loop: Header=BB88_109 Depth=2
	s_delay_alu instid0(VALU_DEP_3) | instskip(NEXT) | instid1(VALU_DEP_3)
	v_mul_f32_e32 v174, v10, v176
	v_fmac_f32_e32 v11, v10, v175
	s_delay_alu instid0(VALU_DEP_2)
	v_mov_b32_e32 v10, v174
; %bb.194:                              ;   in Loop: Header=BB88_109 Depth=2
	s_or_b32 exec_lo, exec_lo, s47
	v_mov_b32_dpp v174, v174 row_shr:2 row_mask:0xf bank_mask:0xf
	s_delay_alu instid0(VALU_DEP_3) | instskip(NEXT) | instid1(VALU_DEP_2)
	v_mov_b32_dpp v175, v11 row_shr:2 row_mask:0xf bank_mask:0xf
	v_mul_f32_e32 v174, v10, v174
	s_delay_alu instid0(VALU_DEP_2) | instskip(NEXT) | instid1(VALU_DEP_2)
	v_fma_f32 v175, v10, v175, v11
	v_cndmask_b32_e64 v10, v10, v174, s8
	s_delay_alu instid0(VALU_DEP_2)
	v_cndmask_b32_e64 v11, v11, v175, s8
	ds_store_b64 v70, v[10:11] offset:8448
.LBB88_195:                             ;   in Loop: Header=BB88_109 Depth=2
	s_or_b32 exec_lo, exec_lo, s46
	s_waitcnt lgkmcnt(0)
	s_barrier
	buffer_gl0_inv
                                        ; implicit-def: $vgpr11
	s_and_saveexec_b32 s46, s10
	s_cbranch_execz .LBB88_197
; %bb.196:                              ;   in Loop: Header=BB88_109 Depth=2
	ds_load_b64 v[10:11], v69 offset:8440
	s_waitcnt lgkmcnt(0)
	v_mul_f32_e32 v174, v8, v10
	s_delay_alu instid0(VALU_DEP_1)
	v_dual_fmac_f32 v9, v8, v11 :: v_dual_mov_b32 v8, v174
.LBB88_197:                             ;   in Loop: Header=BB88_109 Depth=2
	s_or_b32 exec_lo, exec_lo, s46
	ds_bpermute_b32 v174, v71, v8
	ds_bpermute_b32 v175, v71, v9
	s_and_saveexec_b32 s46, s9
	s_cbranch_execz .LBB88_201
; %bb.198:                              ;   in Loop: Header=BB88_109 Depth=2
	ds_load_b64 v[8:9], v21 offset:8472
	s_and_saveexec_b32 s47, s11
	s_cbranch_execz .LBB88_200
; %bb.199:                              ;   in Loop: Header=BB88_109 Depth=2
	ds_store_b64 v21, v[16:17] offset:8472
.LBB88_200:                             ;   in Loop: Header=BB88_109 Depth=2
	s_or_b32 exec_lo, exec_lo, s47
	s_waitcnt lgkmcnt(0)
	v_fmac_f32_e32 v9, v17, v8
	s_delay_alu instid0(VALU_DEP_1)
	v_dual_mul_f32 v16, v16, v8 :: v_dual_mov_b32 v17, v9
.LBB88_201:                             ;   in Loop: Header=BB88_109 Depth=2
	s_or_b32 exec_lo, exec_lo, s46
	s_waitcnt lgkmcnt(0)
	s_barrier
	buffer_gl0_inv
	ds_load_b32 v8, v21 offset:8476
	s_and_saveexec_b32 s46, s11
	s_cbranch_execz .LBB88_108
; %bb.202:                              ;   in Loop: Header=BB88_109 Depth=2
	v_mov_b32_e32 v9, s91
	s_and_not1_b32 vcc_lo, exec_lo, s89
	ds_store_b64 v9, v[16:17]
	s_cbranch_vccnz .LBB88_108
; %bb.203:                              ;   in Loop: Header=BB88_109 Depth=2
	s_mov_b32 s59, s65
	v_cvt_f16_f32_e32 v9, v17
	s_lshl_b64 s[92:93], s[58:59], 1
	s_delay_alu instid0(SALU_CYCLE_1)
	s_add_u32 s92, s76, s92
	s_addc_u32 s93, s77, s93
	global_store_b16 v21, v9, s[92:93]
	s_branch .LBB88_108
.LBB88_204:                             ;   in Loop: Header=BB88_12 Depth=1
	v_cvt_f16_f32_e32 v0, v120
	v_cvt_f16_f32_e32 v4, v113
	;; [unrolled: 1-line block ×16, first 2 shown]
	v_pack_b32_f16 v3, v3, v7
	v_pack_b32_f16 v2, v2, v6
	v_pack_b32_f16 v1, v1, v5
	v_pack_b32_f16 v0, v0, v4
	v_pack_b32_f16 v7, v14, v15
	v_pack_b32_f16 v6, v12, v13
	v_pack_b32_f16 v5, v10, v11
	v_pack_b32_f16 v4, v8, v9
	s_waitcnt_vscnt null, 0x0
	s_barrier
	buffer_gl0_inv
	ds_store_b128 v52, v[0:3]
	ds_store_b128 v52, v[4:7] offset:16
	; wave barrier
	ds_load_u16 v16, v37 offset:64
	ds_load_u16 v15, v38 offset:128
	;; [unrolled: 1-line block ×15, first 2 shown]
	s_mov_b32 s51, s65
	s_delay_alu instid0(SALU_CYCLE_1) | instskip(NEXT) | instid1(SALU_CYCLE_1)
	s_lshl_b64 s[34:35], s[50:51], 1
	v_add_co_u32 v0, vcc_lo, v72, s34
	v_add_co_ci_u32_e32 v1, vcc_lo, s35, v73, vcc_lo
	s_and_saveexec_b32 s29, s13
	s_cbranch_execnz .LBB88_271
; %bb.205:                              ;   in Loop: Header=BB88_12 Depth=1
	s_or_b32 exec_lo, exec_lo, s29
	s_and_saveexec_b32 s29, s14
	s_cbranch_execnz .LBB88_272
.LBB88_206:                             ;   in Loop: Header=BB88_12 Depth=1
	s_or_b32 exec_lo, exec_lo, s29
	s_and_saveexec_b32 s29, s15
	s_cbranch_execnz .LBB88_273
.LBB88_207:                             ;   in Loop: Header=BB88_12 Depth=1
	s_or_b32 exec_lo, exec_lo, s29
	s_and_saveexec_b32 s29, s16
	s_cbranch_execnz .LBB88_274
.LBB88_208:                             ;   in Loop: Header=BB88_12 Depth=1
	s_or_b32 exec_lo, exec_lo, s29
	s_and_saveexec_b32 s29, s17
	s_cbranch_execnz .LBB88_275
.LBB88_209:                             ;   in Loop: Header=BB88_12 Depth=1
	s_or_b32 exec_lo, exec_lo, s29
	s_and_saveexec_b32 s29, s18
	s_cbranch_execnz .LBB88_276
.LBB88_210:                             ;   in Loop: Header=BB88_12 Depth=1
	s_or_b32 exec_lo, exec_lo, s29
	s_and_saveexec_b32 s29, s19
	s_cbranch_execnz .LBB88_277
.LBB88_211:                             ;   in Loop: Header=BB88_12 Depth=1
	s_or_b32 exec_lo, exec_lo, s29
	s_and_saveexec_b32 s29, s20
	s_cbranch_execnz .LBB88_278
.LBB88_212:                             ;   in Loop: Header=BB88_12 Depth=1
	s_or_b32 exec_lo, exec_lo, s29
	s_and_saveexec_b32 s29, s21
	s_cbranch_execnz .LBB88_279
.LBB88_213:                             ;   in Loop: Header=BB88_12 Depth=1
	s_or_b32 exec_lo, exec_lo, s29
	s_and_saveexec_b32 s29, s22
	s_cbranch_execnz .LBB88_280
.LBB88_214:                             ;   in Loop: Header=BB88_12 Depth=1
	s_or_b32 exec_lo, exec_lo, s29
	s_and_saveexec_b32 s29, s23
	s_cbranch_execnz .LBB88_281
.LBB88_215:                             ;   in Loop: Header=BB88_12 Depth=1
	s_or_b32 exec_lo, exec_lo, s29
	s_and_saveexec_b32 s29, s24
	s_cbranch_execnz .LBB88_282
.LBB88_216:                             ;   in Loop: Header=BB88_12 Depth=1
	s_or_b32 exec_lo, exec_lo, s29
	s_and_saveexec_b32 s29, s25
	s_cbranch_execnz .LBB88_283
.LBB88_217:                             ;   in Loop: Header=BB88_12 Depth=1
	s_or_b32 exec_lo, exec_lo, s29
	s_and_saveexec_b32 s29, s26
	s_cbranch_execnz .LBB88_284
.LBB88_218:                             ;   in Loop: Header=BB88_12 Depth=1
	s_or_b32 exec_lo, exec_lo, s29
	s_and_saveexec_b32 s29, s27
	s_cbranch_execnz .LBB88_285
.LBB88_219:                             ;   in Loop: Header=BB88_12 Depth=1
	s_or_b32 exec_lo, exec_lo, s29
	s_and_saveexec_b32 s29, s28
	s_cbranch_execz .LBB88_221
.LBB88_220:                             ;   in Loop: Header=BB88_12 Depth=1
	s_waitcnt lgkmcnt(0)
	global_store_b16 v[0:1], v2, off offset:960
.LBB88_221:                             ;   in Loop: Header=BB88_12 Depth=1
	s_or_b32 exec_lo, exec_lo, s29
	v_add_co_u32 v0, vcc_lo, v74, s34
	v_add_co_ci_u32_e32 v1, vcc_lo, s35, v75, vcc_lo
	s_waitcnt lgkmcnt(0)
	v_dual_mov_b32 v2, 0 :: v_dual_mov_b32 v3, 0
	s_waitcnt_vscnt null, 0x0
	s_barrier
	buffer_gl0_inv
	s_and_saveexec_b32 s29, s13
	s_cbranch_execz .LBB88_223
; %bb.222:                              ;   in Loop: Header=BB88_12 Depth=1
	global_load_u16 v3, v[0:1], off
.LBB88_223:                             ;   in Loop: Header=BB88_12 Depth=1
	s_or_b32 exec_lo, exec_lo, s29
	s_and_saveexec_b32 s29, s14
	s_cbranch_execz .LBB88_225
; %bb.224:                              ;   in Loop: Header=BB88_12 Depth=1
	global_load_u16 v2, v[0:1], off offset:64
.LBB88_225:                             ;   in Loop: Header=BB88_12 Depth=1
	s_or_b32 exec_lo, exec_lo, s29
	v_dual_mov_b32 v4, 0 :: v_dual_mov_b32 v5, 0
	s_and_saveexec_b32 s29, s15
	s_cbranch_execz .LBB88_227
; %bb.226:                              ;   in Loop: Header=BB88_12 Depth=1
	global_load_u16 v5, v[0:1], off offset:128
.LBB88_227:                             ;   in Loop: Header=BB88_12 Depth=1
	s_or_b32 exec_lo, exec_lo, s29
	s_and_saveexec_b32 s29, s16
	s_cbranch_execz .LBB88_229
; %bb.228:                              ;   in Loop: Header=BB88_12 Depth=1
	global_load_u16 v4, v[0:1], off offset:192
.LBB88_229:                             ;   in Loop: Header=BB88_12 Depth=1
	s_or_b32 exec_lo, exec_lo, s29
	v_dual_mov_b32 v6, 0 :: v_dual_mov_b32 v7, 0
	s_and_saveexec_b32 s29, s17
	s_cbranch_execz .LBB88_231
; %bb.230:                              ;   in Loop: Header=BB88_12 Depth=1
	global_load_u16 v7, v[0:1], off offset:256
.LBB88_231:                             ;   in Loop: Header=BB88_12 Depth=1
	;; [unrolled: 13-line block ×7, first 2 shown]
	s_or_b32 exec_lo, exec_lo, s29
	s_and_saveexec_b32 s29, s28
	s_cbranch_execz .LBB88_253
; %bb.252:                              ;   in Loop: Header=BB88_12 Depth=1
	global_load_u16 v16, v[0:1], off offset:960
.LBB88_253:                             ;   in Loop: Header=BB88_12 Depth=1
	s_or_b32 exec_lo, exec_lo, s29
	s_waitcnt vmcnt(0)
	ds_store_b16 v37, v3
	ds_store_b16 v37, v2 offset:64
	ds_store_b16 v38, v5 offset:128
	;; [unrolled: 1-line block ×15, first 2 shown]
	; wave barrier
	ds_load_b128 v[4:7], v52
	ds_load_b128 v[0:3], v52 offset:16
	s_waitcnt lgkmcnt(0)
	s_barrier
	buffer_gl0_inv
	v_lshrrev_b32_e32 v8, 16, v4
	v_lshrrev_b32_e32 v9, 16, v5
	v_cvt_f32_f16_e32 v10, v5
	v_cvt_f32_f16_e32 v11, v4
	v_lshrrev_b32_e32 v104, 16, v6
	v_cvt_f32_f16_e32 v8, v8
	v_cvt_f32_f16_e32 v9, v9
	v_mul_f32_e32 v12, 0xbfb8aa3b, v10
	v_mul_f32_e32 v14, 0xbfb8aa3b, v11
	v_cvt_f32_f16_e32 v104, v104
	v_mul_f32_e32 v13, 0xbfb8aa3b, v8
	v_mul_f32_e32 v15, 0xbfb8aa3b, v9
	v_rndne_f32_e32 v16, v12
	v_fma_mix_f32 v17, v5, s86, -v12 op_sel_hi:[1,0,0]
	v_cmp_nlt_f32_e32 vcc_lo, 0x42ce8ed0, v8
	v_rndne_f32_e32 v94, v13
	v_fma_mix_f32 v95, v4, s86, -v13 op_sel:[1,0,0] op_sel_hi:[1,0,0]
	v_fma_mix_f32 v97, v5, s86, -v15 op_sel:[1,0,0] op_sel_hi:[1,0,0]
	v_rndne_f32_e32 v96, v15
	s_delay_alu instid0(VALU_DEP_4) | instskip(NEXT) | instid1(VALU_DEP_4)
	v_dual_sub_f32 v12, v12, v16 :: v_dual_sub_f32 v13, v13, v94
	v_fma_mix_f32 v95, v4, s87, v95 op_sel:[1,0,0] op_sel_hi:[1,0,0]
	s_delay_alu instid0(VALU_DEP_4) | instskip(SKIP_4) | instid1(VALU_DEP_4)
	v_fma_mix_f32 v97, v5, s87, v97 op_sel:[1,0,0] op_sel_hi:[1,0,0]
	v_fma_mix_f32 v5, v5, s87, v17 op_sel_hi:[1,0,0]
	v_rndne_f32_e32 v17, v14
	v_sub_f32_e32 v15, v15, v96
	v_cvt_i32_f32_e32 v16, v16
	v_add_f32_e32 v5, v12, v5
	s_delay_alu instid0(VALU_DEP_4) | instskip(SKIP_2) | instid1(VALU_DEP_4)
	v_dual_sub_f32 v12, v14, v17 :: v_dual_add_f32 v13, v13, v95
	v_fma_mix_f32 v95, v4, s86, -v14 op_sel_hi:[1,0,0]
	v_add_f32_e32 v15, v15, v97
	v_exp_f32_e32 v5, v5
	v_cvt_i32_f32_e32 v17, v17
	s_delay_alu instid0(VALU_DEP_3) | instskip(NEXT) | instid1(VALU_DEP_3)
	v_fma_mix_f32 v4, v4, s87, v95 op_sel_hi:[1,0,0]
	v_exp_f32_e32 v14, v15
	v_cvt_i32_f32_e32 v15, v94
	s_delay_alu instid0(VALU_DEP_2) | instskip(SKIP_2) | instid1(TRANS32_DEP_3)
	v_add_f32_e32 v4, v12, v4
	v_exp_f32_e32 v13, v13
	v_cvt_i32_f32_e32 v12, v96
	v_ldexp_f32 v5, v5, v16
	s_delay_alu instid0(VALU_DEP_3)
	v_exp_f32_e32 v4, v4
	s_delay_alu instid0(TRANS32_DEP_3) | instid1(VALU_DEP_2)
	v_ldexp_f32 v12, v14, v12
	s_waitcnt_depctr 0xfff
	v_ldexp_f32 v13, v13, v15
	v_ldexp_f32 v4, v4, v17
	s_delay_alu instid0(VALU_DEP_2)
	v_cndmask_b32_e32 v13, 0, v13, vcc_lo
	v_cmp_nlt_f32_e32 vcc_lo, 0x42ce8ed0, v9
	v_cndmask_b32_e32 v12, 0, v12, vcc_lo
	v_cmp_nlt_f32_e32 vcc_lo, 0x42ce8ed0, v10
	v_cndmask_b32_e32 v5, 0, v5, vcc_lo
	v_cmp_ngt_f32_e32 vcc_lo, 0xc2b17218, v8
	v_cndmask_b32_e32 v13, 0x7f800000, v13, vcc_lo
	v_cmp_ngt_f32_e32 vcc_lo, 0xc2b17218, v9
	;; [unrolled: 2-line block ×3, first 2 shown]
	s_delay_alu instid0(VALU_DEP_2) | instskip(NEXT) | instid1(VALU_DEP_1)
	v_add_f32_e32 v12, 1.0, v12
	v_div_scale_f32 v15, null, v12, v12, v9
	v_div_scale_f32 v99, s29, v9, v12, v9
	s_delay_alu instid0(VALU_DEP_2) | instskip(SKIP_4) | instid1(VALU_DEP_3)
	v_rcp_f32_e32 v94, v15
	s_waitcnt_depctr 0xfff
	v_fma_f32 v98, -v15, v94, 1.0
	v_cndmask_b32_e32 v5, 0x7f800000, v5, vcc_lo
	v_cmp_nlt_f32_e32 vcc_lo, 0x42ce8ed0, v11
	v_fmac_f32_e32 v94, v98, v94
	s_delay_alu instid0(VALU_DEP_3) | instskip(SKIP_2) | instid1(VALU_DEP_3)
	v_add_f32_e32 v14, 1.0, v5
	v_cndmask_b32_e32 v4, 0, v4, vcc_lo
	v_cmp_ngt_f32_e32 vcc_lo, 0xc2b17218, v11
	v_div_scale_f32 v16, null, v14, v14, v10
	s_delay_alu instid0(VALU_DEP_3) | instskip(NEXT) | instid1(VALU_DEP_2)
	v_cndmask_b32_e32 v4, 0x7f800000, v4, vcc_lo
	v_rcp_f32_e32 v95, v16
	s_delay_alu instid0(VALU_DEP_1) | instskip(NEXT) | instid1(VALU_DEP_1)
	v_dual_add_f32 v96, 1.0, v4 :: v_dual_add_f32 v13, 1.0, v13
	v_div_scale_f32 v101, null, v96, v96, v11
	s_waitcnt_depctr 0xfff
	v_fma_f32 v100, -v16, v95, 1.0
	v_rcp_f32_e32 v122, v101
	s_delay_alu instid0(VALU_DEP_1) | instskip(SKIP_2) | instid1(VALU_DEP_3)
	v_dual_fmac_f32 v95, v100, v95 :: v_dual_mul_f32 v100, v99, v94
	v_div_scale_f32 v5, null, v13, v13, v8
	v_div_scale_f32 v4, vcc_lo, v8, v13, v8
	v_fma_f32 v121, -v15, v100, v99
	s_delay_alu instid0(VALU_DEP_3) | instskip(SKIP_2) | instid1(VALU_DEP_1)
	v_rcp_f32_e32 v17, v5
	s_waitcnt_depctr 0xfff
	v_fma_f32 v97, -v5, v17, 1.0
	v_fmac_f32_e32 v17, v97, v17
	v_div_scale_f32 v97, s30, v10, v14, v10
	s_delay_alu instid0(VALU_DEP_1) | instskip(NEXT) | instid1(VALU_DEP_1)
	v_dual_mul_f32 v98, v4, v17 :: v_dual_mul_f32 v115, v97, v95
	v_fma_f32 v118, -v5, v98, v4
	s_delay_alu instid0(VALU_DEP_2) | instskip(SKIP_1) | instid1(VALU_DEP_3)
	v_fma_f32 v123, -v16, v115, v97
	v_dual_fmac_f32 v100, v121, v94 :: v_dual_mul_f32 v121, 0xbfb8aa3b, v104
	v_fmac_f32_e32 v98, v118, v17
	v_lshrrev_b32_e32 v118, 16, v7
	s_delay_alu instid0(VALU_DEP_4) | instskip(NEXT) | instid1(VALU_DEP_3)
	v_fmac_f32_e32 v115, v123, v95
	v_fma_f32 v4, -v5, v98, v4
	v_fma_f32 v5, -v15, v100, v99
	v_fma_f32 v15, -v101, v122, 1.0
	v_cvt_f32_f16_e32 v99, v118
	v_rndne_f32_e32 v118, v121
	v_div_fmas_f32 v4, v4, v17, v98
	s_mov_b32 vcc_lo, s29
	v_fma_mix_f32 v17, v6, s86, -v121 op_sel:[1,0,0] op_sel_hi:[1,0,0]
	v_div_fmas_f32 v5, v5, v94, v100
	v_fmac_f32_e32 v122, v15, v122
	v_div_fixup_f32 v4, v4, v13, v8
	v_mul_f32_e32 v13, 0xbfb8aa3b, v99
	v_div_scale_f32 v8, s29, v11, v96, v11
	v_div_fixup_f32 v5, v5, v12, v9
	v_sub_f32_e32 v9, v121, v118
	v_fma_mix_f32 v12, v6, s87, v17 op_sel:[1,0,0] op_sel_hi:[1,0,0]
	v_fma_f32 v15, -v16, v115, v97
	v_mul_f32_e32 v16, v8, v122
	s_mov_b32 vcc_lo, s30
	v_rndne_f32_e32 v17, v13
	v_add_f32_e32 v9, v9, v12
	v_cvt_f32_f16_e32 v12, v7
	v_div_fmas_f32 v15, v15, v95, v115
	v_fma_mix_f32 v94, v7, s86, -v13 op_sel:[1,0,0] op_sel_hi:[1,0,0]
	v_fma_f32 v97, -v101, v16, v8
	v_sub_f32_e32 v13, v13, v17
	v_mul_f32_e32 v95, 0xbfb8aa3b, v12
	v_exp_f32_e32 v9, v9
	v_fma_mix_f32 v94, v7, s87, v94 op_sel:[1,0,0] op_sel_hi:[1,0,0]
	v_fmac_f32_e32 v16, v97, v122
	v_cvt_i32_f32_e32 v98, v118
	v_rndne_f32_e32 v100, v95
	v_fma_mix_f32 v115, v7, s86, -v95 op_sel_hi:[1,0,0]
	v_add_f32_e32 v13, v13, v94
	v_cmp_nlt_f32_e32 vcc_lo, 0x42ce8ed0, v104
	v_cvt_i32_f32_e32 v17, v17
	v_sub_f32_e32 v94, v95, v100
	v_fma_mix_f32 v7, v7, s87, v115 op_sel_hi:[1,0,0]
	v_cvt_f32_f16_e32 v95, v6
	v_ldexp_f32 v9, v9, v98
	v_fma_f32 v8, -v101, v16, v8
	v_div_fixup_f32 v10, v15, v14, v10
	v_add_f32_e32 v7, v94, v7
	v_mul_f32_e32 v94, 0xbfb8aa3b, v95
	s_delay_alu instid0(VALU_DEP_2) | instskip(NEXT) | instid1(VALU_DEP_1)
	v_exp_f32_e32 v7, v7
	v_rndne_f32_e32 v97, v94
	v_fma_mix_f32 v98, v6, s86, -v94 op_sel_hi:[1,0,0]
	s_delay_alu instid0(VALU_DEP_2) | instskip(SKIP_1) | instid1(VALU_DEP_2)
	v_sub_f32_e32 v94, v94, v97
	v_exp_f32_e32 v13, v13
	v_fma_mix_f32 v6, v6, s87, v98 op_sel_hi:[1,0,0]
	v_cndmask_b32_e32 v9, 0, v9, vcc_lo
	v_cmp_ngt_f32_e32 vcc_lo, 0xc2b17218, v104
	s_delay_alu instid0(VALU_DEP_3) | instskip(SKIP_1) | instid1(VALU_DEP_4)
	v_add_f32_e32 v6, v94, v6
	v_cvt_i32_f32_e32 v94, v97
	v_cndmask_b32_e32 v9, 0x7f800000, v9, vcc_lo
	v_cmp_nlt_f32_e32 vcc_lo, 0x42ce8ed0, v99
	s_delay_alu instid0(TRANS32_DEP_1) | instskip(SKIP_2) | instid1(VALU_DEP_2)
	v_ldexp_f32 v13, v13, v17
	v_cvt_i32_f32_e32 v17, v100
	v_exp_f32_e32 v6, v6
	v_cndmask_b32_e32 v13, 0, v13, vcc_lo
	v_cmp_ngt_f32_e32 vcc_lo, 0xc2b17218, v99
	s_delay_alu instid0(VALU_DEP_3) | instskip(NEXT) | instid1(VALU_DEP_3)
	v_ldexp_f32 v7, v7, v17
	v_cndmask_b32_e32 v13, 0x7f800000, v13, vcc_lo
	v_cmp_nlt_f32_e32 vcc_lo, 0x42ce8ed0, v12
	s_waitcnt_depctr 0xfff
	v_ldexp_f32 v6, v6, v94
	v_add_f32_e32 v13, 1.0, v13
	v_cndmask_b32_e32 v7, 0, v7, vcc_lo
	v_cmp_ngt_f32_e32 vcc_lo, 0xc2b17218, v12
	s_delay_alu instid0(VALU_DEP_3) | instskip(NEXT) | instid1(VALU_DEP_3)
	v_div_scale_f32 v100, null, v13, v13, v99
	v_cndmask_b32_e32 v7, 0x7f800000, v7, vcc_lo
	s_mov_b32 vcc_lo, s29
	v_cmp_nlt_f32_e64 s29, 0x42ce8ed0, v95
	v_div_fmas_f32 v8, v8, v122, v16
	v_rcp_f32_e32 v16, v100
	v_add_f32_e32 v94, 1.0, v7
	s_delay_alu instid0(VALU_DEP_3) | instskip(SKIP_2) | instid1(VALU_DEP_2)
	v_cndmask_b32_e64 v6, 0, v6, s29
	v_cmp_ngt_f32_e64 s29, 0xc2b17218, v95
	v_div_fixup_f32 v8, v8, v96, v11
	v_cndmask_b32_e64 v6, 0x7f800000, v6, s29
	s_waitcnt_depctr 0xfff
	v_fma_f32 v115, -v100, v16, 1.0
	s_delay_alu instid0(VALU_DEP_1) | instskip(SKIP_1) | instid1(VALU_DEP_1)
	v_dual_add_f32 v11, 1.0, v6 :: v_dual_fmac_f32 v16, v115, v16
	v_div_scale_f32 v115, s29, v99, v13, v99
	v_dual_add_f32 v9, 1.0, v9 :: v_dual_mul_f32 v14, v115, v16
	s_delay_alu instid0(VALU_DEP_1) | instskip(SKIP_1) | instid1(VALU_DEP_3)
	v_div_scale_f32 v98, null, v9, v9, v104
	v_div_scale_f32 v7, vcc_lo, v104, v9, v104
	v_fma_f32 v96, -v100, v14, v115
	s_delay_alu instid0(VALU_DEP_3) | instskip(NEXT) | instid1(VALU_DEP_1)
	v_rcp_f32_e32 v17, v98
	v_fmac_f32_e32 v14, v96, v16
	s_waitcnt_depctr 0xfff
	v_fma_f32 v97, -v98, v17, 1.0
	s_delay_alu instid0(VALU_DEP_1) | instskip(SKIP_1) | instid1(VALU_DEP_2)
	v_fmac_f32_e32 v17, v97, v17
	v_div_scale_f32 v97, null, v94, v94, v12
	v_mul_f32_e32 v101, v7, v17
	s_delay_alu instid0(VALU_DEP_2) | instskip(NEXT) | instid1(VALU_DEP_1)
	v_rcp_f32_e32 v118, v97
	v_fma_f32 v121, -v98, v101, v7
	s_delay_alu instid0(VALU_DEP_1) | instskip(SKIP_3) | instid1(VALU_DEP_2)
	v_fmac_f32_e32 v101, v121, v17
	s_waitcnt_depctr 0xfff
	v_fma_f32 v6, -v97, v118, 1.0
	v_fma_f32 v7, -v98, v101, v7
	v_fmac_f32_e32 v118, v6, v118
	v_div_scale_f32 v98, s30, v12, v94, v12
	v_fma_mixlo_f16 v6, v120, v8, 0
	s_delay_alu instid0(VALU_DEP_4) | instskip(SKIP_1) | instid1(VALU_DEP_4)
	v_div_fmas_f32 v17, v7, v17, v101
	v_fma_f32 v8, -v100, v14, v115
	v_mul_f32_e32 v96, v98, v118
	v_lshrrev_b32_e32 v101, 16, v0
	s_mov_b32 vcc_lo, s29
	v_fma_mixlo_f16 v7, v119, v10, 0
	v_div_fixup_f32 v10, v17, v9, v104
	v_fma_f32 v9, -v97, v96, v98
	v_div_fmas_f32 v8, v8, v16, v14
	v_cvt_f32_f16_e32 v14, v101
	v_lshrrev_b32_e32 v100, 16, v1
	s_mov_b32 vcc_lo, s30
	v_fmac_f32_e32 v96, v9, v118
	v_div_fixup_f32 v13, v8, v13, v99
	v_mul_f32_e32 v8, 0xbfb8aa3b, v14
	v_cvt_f32_f16_e32 v16, v100
	v_cvt_f32_f16_e32 v99, v1
	v_fma_mixhi_f16 v7, v114, v5, 0
	v_fma_mixhi_f16 v6, v113, v4, 0
	v_rndne_f32_e32 v100, v8
	v_fma_mix_f32 v101, v0, s86, -v8 op_sel:[1,0,0] op_sel_hi:[1,0,0]
	s_delay_alu instid0(VALU_DEP_2) | instskip(NEXT) | instid1(VALU_DEP_2)
	v_sub_f32_e32 v8, v8, v100
	v_fma_mix_f32 v101, v0, s87, v101 op_sel:[1,0,0] op_sel_hi:[1,0,0]
	v_cvt_i32_f32_e32 v100, v100
	s_delay_alu instid0(VALU_DEP_2) | instskip(SKIP_2) | instid1(VALU_DEP_3)
	v_add_f32_e32 v8, v8, v101
	v_div_scale_f32 v15, null, v11, v11, v95
	v_div_scale_f32 v9, s29, v95, v11, v95
	v_exp_f32_e32 v8, v8
	s_delay_alu instid0(VALU_DEP_2) | instskip(SKIP_3) | instid1(VALU_DEP_1)
	v_rcp_f32_e32 v121, v15
	s_waitcnt_depctr 0xfff
	v_ldexp_f32 v8, v8, v100
	v_fma_f32 v17, -v15, v121, 1.0
	v_fmac_f32_e32 v121, v17, v121
	v_fma_f32 v17, -v97, v96, v98
	v_mul_f32_e32 v97, 0xbfb8aa3b, v16
	s_delay_alu instid0(VALU_DEP_2) | instskip(NEXT) | instid1(VALU_DEP_2)
	v_div_fmas_f32 v17, v17, v118, v96
	v_rndne_f32_e32 v104, v97
	v_fma_mix_f32 v115, v1, s86, -v97 op_sel:[1,0,0] op_sel_hi:[1,0,0]
	v_cmp_nlt_f32_e32 vcc_lo, 0x42ce8ed0, v14
	s_delay_alu instid0(VALU_DEP_4) | instskip(NEXT) | instid1(VALU_DEP_4)
	v_div_fixup_f32 v12, v17, v94, v12
	v_sub_f32_e32 v97, v97, v104
	s_delay_alu instid0(VALU_DEP_4) | instskip(SKIP_3) | instid1(VALU_DEP_4)
	v_fma_mix_f32 v115, v1, s87, v115 op_sel:[1,0,0] op_sel_hi:[1,0,0]
	v_cndmask_b32_e32 v8, 0, v8, vcc_lo
	v_cvt_i32_f32_e32 v96, v104
	v_cmp_nlt_f32_e32 vcc_lo, 0x42ce8ed0, v16
	v_add_f32_e32 v97, v97, v115
	s_delay_alu instid0(VALU_DEP_1) | instskip(SKIP_2) | instid1(VALU_DEP_1)
	v_exp_f32_e32 v97, v97
	s_waitcnt_depctr 0xfff
	v_ldexp_f32 v96, v97, v96
	v_cndmask_b32_e32 v96, 0, v96, vcc_lo
	v_cmp_ngt_f32_e32 vcc_lo, 0xc2b17218, v14
	v_mul_f32_e32 v98, v9, v121
	v_cndmask_b32_e32 v8, 0x7f800000, v8, vcc_lo
	v_mul_f32_e32 v119, 0xbfb8aa3b, v99
	s_delay_alu instid0(VALU_DEP_3) | instskip(SKIP_1) | instid1(VALU_DEP_4)
	v_fma_f32 v101, -v15, v98, v9
	v_cmp_ngt_f32_e32 vcc_lo, 0xc2b17218, v16
	v_add_f32_e32 v100, 1.0, v8
	s_delay_alu instid0(VALU_DEP_4)
	v_rndne_f32_e32 v120, v119
	v_fma_mix_f32 v122, v1, s86, -v119 op_sel_hi:[1,0,0]
	v_fmac_f32_e32 v98, v101, v121
	v_cndmask_b32_e32 v96, 0x7f800000, v96, vcc_lo
	v_cmp_nlt_f32_e32 vcc_lo, 0x42ce8ed0, v99
	v_sub_f32_e32 v115, v119, v120
	v_fma_mix_f32 v1, v1, s87, v122 op_sel_hi:[1,0,0]
	v_fma_f32 v9, -v15, v98, v9
	v_cvt_f32_f16_e32 v15, v0
	v_cvt_i32_f32_e32 v97, v120
	s_delay_alu instid0(VALU_DEP_4) | instskip(SKIP_1) | instid1(VALU_DEP_4)
	v_dual_add_f32 v96, 1.0, v96 :: v_dual_add_f32 v1, v115, v1
	v_div_scale_f32 v101, null, v100, v100, v14
	v_cmp_nlt_f32_e64 s30, 0x42ce8ed0, v15
	v_cmp_ngt_f32_e64 s31, 0xc2b17218, v15
	s_delay_alu instid0(VALU_DEP_4) | instskip(NEXT) | instid1(VALU_DEP_3)
	v_exp_f32_e32 v1, v1
	v_rcp_f32_e32 v115, v101
	s_waitcnt_depctr 0xfff
	v_ldexp_f32 v1, v1, v97
	v_mul_f32_e32 v97, 0xbfb8aa3b, v15
	s_delay_alu instid0(VALU_DEP_1) | instskip(SKIP_1) | instid1(VALU_DEP_2)
	v_rndne_f32_e32 v8, v97
	v_fma_mix_f32 v104, v0, s86, -v97 op_sel_hi:[1,0,0]
	v_sub_f32_e32 v97, v97, v8
	s_delay_alu instid0(VALU_DEP_2) | instskip(SKIP_3) | instid1(VALU_DEP_4)
	v_fma_mix_f32 v0, v0, s87, v104 op_sel_hi:[1,0,0]
	v_cndmask_b32_e32 v1, 0, v1, vcc_lo
	v_cmp_ngt_f32_e32 vcc_lo, 0xc2b17218, v99
	v_div_scale_f32 v104, null, v96, v96, v16
	v_add_f32_e32 v0, v97, v0
	v_fma_f32 v97, -v101, v115, 1.0
	v_cndmask_b32_e32 v1, 0x7f800000, v1, vcc_lo
	s_mov_b32 vcc_lo, s29
	v_div_scale_f32 v17, s29, v16, v96, v16
	v_div_fmas_f32 v9, v9, v121, v98
	v_exp_f32_e32 v0, v0
	v_rcp_f32_e32 v98, v104
	v_fmac_f32_e32 v115, v97, v115
	v_div_scale_f32 v97, vcc_lo, v14, v100, v14
	v_div_fixup_f32 v9, v9, v11, v95
	v_cvt_i32_f32_e32 v11, v8
	s_delay_alu instid0(VALU_DEP_2)
	v_fma_mixlo_f16 v8, v117, v9, 0
	s_delay_alu instid0(TRANS32_DEP_2) | instid1(VALU_DEP_2)
	v_ldexp_f32 v0, v0, v11
	s_delay_alu instid0(TRANS32_DEP_1) | instskip(SKIP_1) | instid1(VALU_DEP_4)
	v_fma_f32 v119, -v104, v98, 1.0
	v_mul_f32_e32 v11, v97, v115
	v_fma_mixhi_f16 v8, v110, v10, 0
	s_delay_alu instid0(VALU_DEP_4) | instskip(NEXT) | instid1(VALU_DEP_4)
	v_cndmask_b32_e64 v0, 0, v0, s30
	v_fmac_f32_e32 v98, v119, v98
	s_delay_alu instid0(VALU_DEP_4) | instskip(NEXT) | instid1(VALU_DEP_3)
	v_fma_f32 v94, -v101, v11, v97
	v_cndmask_b32_e64 v0, 0x7f800000, v0, s31
	v_add_f32_e32 v1, 1.0, v1
	s_delay_alu instid0(VALU_DEP_4) | instskip(NEXT) | instid1(VALU_DEP_3)
	v_mul_f32_e32 v117, v17, v98
	v_dual_fmac_f32 v11, v94, v115 :: v_dual_add_f32 v0, 1.0, v0
	s_delay_alu instid0(VALU_DEP_3) | instskip(SKIP_1) | instid1(VALU_DEP_4)
	v_div_scale_f32 v118, null, v1, v1, v99
	v_div_scale_f32 v119, s30, v99, v1, v99
	v_fma_f32 v94, -v104, v117, v17
	s_delay_alu instid0(VALU_DEP_3) | instskip(NEXT) | instid1(VALU_DEP_1)
	v_rcp_f32_e32 v95, v118
	v_fmac_f32_e32 v117, v94, v98
	s_delay_alu instid0(VALU_DEP_1) | instskip(SKIP_3) | instid1(VALU_DEP_2)
	v_fma_f32 v17, -v104, v117, v17
	s_waitcnt_depctr 0xfff
	v_fma_f32 v9, -v118, v95, 1.0
	v_lshrrev_b32_e32 v104, 16, v3
	v_fmac_f32_e32 v95, v9, v95
	v_fma_mixlo_f16 v9, v116, v12, 0
	v_fma_f32 v12, -v101, v11, v97
	s_delay_alu instid0(VALU_DEP_4) | instskip(NEXT) | instid1(VALU_DEP_4)
	v_cvt_f32_f16_e32 v104, v104
	v_mul_f32_e32 v120, v119, v95
	s_delay_alu instid0(VALU_DEP_4) | instskip(NEXT) | instid1(VALU_DEP_4)
	v_fma_mixhi_f16 v9, v109, v13, 0
	v_div_fmas_f32 v11, v12, v115, v11
	v_lshrrev_b32_e32 v12, 16, v2
	s_mov_b32 vcc_lo, s29
	v_fma_f32 v94, -v118, v120, v119
	v_div_fmas_f32 v17, v17, v98, v117
	s_mov_b32 vcc_lo, s30
	v_cvt_f32_f16_e32 v12, v12
	v_cvt_f32_f16_e32 v117, v3
	v_fmac_f32_e32 v120, v94, v95
	v_div_scale_f32 v94, null, v0, v0, v15
	s_delay_alu instid0(VALU_DEP_4) | instskip(SKIP_1) | instid1(VALU_DEP_4)
	v_mul_f32_e32 v101, 0xbfb8aa3b, v12
	v_cmp_nlt_f32_e64 s29, 0x42ce8ed0, v12
	v_fma_f32 v98, -v118, v120, v119
	s_delay_alu instid0(VALU_DEP_4)
	v_rcp_f32_e32 v97, v94
	v_mul_f32_e32 v118, 0xbfb8aa3b, v104
	v_fma_mix_f32 v115, v2, s86, -v101 op_sel:[1,0,0] op_sel_hi:[1,0,0]
	v_cvt_f32_f16_e32 v119, v2
	v_div_fmas_f32 v95, v98, v95, v120
	v_rndne_f32_e32 v98, v101
	v_fma_mix_f32 v120, v3, s86, -v118 op_sel:[1,0,0] op_sel_hi:[1,0,0]
	v_fma_mix_f32 v115, v2, s87, v115 op_sel:[1,0,0] op_sel_hi:[1,0,0]
	v_div_scale_f32 v123, vcc_lo, v15, v0, v15
	s_delay_alu instid0(TRANS32_DEP_1)
	v_fma_f32 v116, -v94, v97, 1.0
	v_sub_f32_e32 v101, v101, v98
	v_fma_mix_f32 v120, v3, s87, v120 op_sel:[1,0,0] op_sel_hi:[1,0,0]
	v_cvt_i32_f32_e32 v98, v98
	v_div_fixup_f32 v1, v95, v1, v99
	v_fmac_f32_e32 v97, v116, v97
	v_dual_mul_f32 v116, 0xbfb8aa3b, v117 :: v_dual_add_f32 v101, v101, v115
	v_rndne_f32_e32 v115, v118
	v_div_fixup_f32 v11, v11, v100, v14
	v_div_fixup_f32 v14, v17, v96, v16
	s_delay_alu instid0(VALU_DEP_4)
	v_rndne_f32_e32 v121, v116
	v_fma_mix_f32 v122, v3, s86, -v116 op_sel_hi:[1,0,0]
	v_exp_f32_e32 v101, v101
	v_sub_f32_e32 v118, v118, v115
	v_cvt_i32_f32_e32 v115, v115
	v_sub_f32_e32 v116, v116, v121
	v_fma_mix_f32 v3, v3, s87, v122 op_sel_hi:[1,0,0]
	v_mul_f32_e32 v122, 0xbfb8aa3b, v119
	v_add_f32_e32 v118, v118, v120
	v_fma_mixlo_f16 v1, v108, v1, 0
	s_delay_alu instid0(VALU_DEP_4) | instskip(NEXT) | instid1(VALU_DEP_4)
	v_add_f32_e32 v3, v116, v3
	v_rndne_f32_e32 v116, v122
	v_fma_mix_f32 v120, v2, s86, -v122 op_sel_hi:[1,0,0]
	v_exp_f32_e32 v118, v118
	v_ldexp_f32 v98, v101, v98
	v_exp_f32_e32 v3, v3
	v_sub_f32_e32 v101, v122, v116
	v_fma_mix_f32 v2, v2, s87, v120 op_sel_hi:[1,0,0]
	v_cvt_i32_f32_e32 v120, v121
	v_cndmask_b32_e64 v98, 0, v98, s29
	v_cmp_ngt_f32_e64 s29, 0xc2b17218, v12
	v_fma_mixhi_f16 v1, v103, v14, 0
	v_add_f32_e32 v2, v101, v2
	v_ldexp_f32 v101, v118, v115
	v_cvt_i32_f32_e32 v115, v116
	v_cndmask_b32_e64 v98, 0x7f800000, v98, s29
	v_cmp_nlt_f32_e64 s29, 0x42ce8ed0, v104
	v_ldexp_f32 v3, v3, v120
	v_exp_f32_e32 v2, v2
	s_delay_alu instid0(VALU_DEP_3) | instskip(NEXT) | instid1(VALU_DEP_3)
	v_add_f32_e32 v98, 1.0, v98
	v_cndmask_b32_e64 v101, 0, v101, s29
	v_cmp_nlt_f32_e64 s29, 0x42ce8ed0, v117
	s_delay_alu instid0(VALU_DEP_1)
	v_cndmask_b32_e64 v3, 0, v3, s29
	v_cmp_ngt_f32_e64 s29, 0xc2b17218, v104
	s_waitcnt_depctr 0xfff
	v_ldexp_f32 v2, v2, v115
	v_div_scale_f32 v115, null, v98, v98, v12
	v_cndmask_b32_e64 v101, 0x7f800000, v101, s29
	v_cmp_ngt_f32_e64 s29, 0xc2b17218, v117
	s_delay_alu instid0(VALU_DEP_3) | instskip(NEXT) | instid1(VALU_DEP_2)
	v_rcp_f32_e32 v116, v115
	v_add_f32_e32 v101, 1.0, v101
	s_delay_alu instid0(VALU_DEP_2) | instskip(SKIP_1) | instid1(VALU_DEP_3)
	v_cndmask_b32_e64 v3, 0x7f800000, v3, s29
	v_cmp_nlt_f32_e64 s29, 0x42ce8ed0, v119
	v_div_scale_f32 v118, null, v101, v101, v104
	s_delay_alu instid0(VALU_DEP_2) | instskip(SKIP_1) | instid1(TRANS32_DEP_1)
	v_cndmask_b32_e64 v2, 0, v2, s29
	v_cmp_ngt_f32_e64 s29, 0xc2b17218, v119
	v_fma_f32 v124, -v115, v116, 1.0
	s_delay_alu instid0(VALU_DEP_4) | instskip(NEXT) | instid1(VALU_DEP_2)
	v_rcp_f32_e32 v122, v118
	v_cndmask_b32_e64 v2, 0x7f800000, v2, s29
	s_delay_alu instid0(VALU_DEP_2) | instskip(SKIP_1) | instid1(VALU_DEP_3)
	v_fmac_f32_e32 v116, v124, v116
	v_div_scale_f32 v124, s29, v12, v98, v12
	v_dual_add_f32 v2, 1.0, v2 :: v_dual_mul_f32 v121, v123, v97
	s_waitcnt_depctr 0xfff
	v_fma_f32 v128, -v118, v122, 1.0
	v_mul_f32_e32 v130, v124, v116
	v_div_scale_f32 v127, null, v2, v2, v119
	v_fma_f32 v126, -v94, v121, v123
	s_delay_alu instid0(VALU_DEP_4) | instskip(SKIP_1) | instid1(VALU_DEP_4)
	v_fmac_f32_e32 v122, v128, v122
	v_div_scale_f32 v128, s30, v104, v101, v104
	v_rcp_f32_e32 v129, v127
	s_delay_alu instid0(VALU_DEP_1) | instskip(NEXT) | instid1(VALU_DEP_1)
	v_dual_fmac_f32 v121, v126, v97 :: v_dual_mul_f32 v132, v128, v122
	v_fma_f32 v94, -v94, v121, v123
	v_fma_f32 v123, -v115, v130, v124
	s_waitcnt_depctr 0xfff
	v_fma_f32 v131, -v127, v129, 1.0
	v_div_fmas_f32 v94, v94, v97, v121
	v_fma_f32 v97, -v118, v132, v128
	v_dual_add_f32 v3, 1.0, v3 :: v_dual_fmac_f32 v130, v123, v116
	s_delay_alu instid0(VALU_DEP_4) | instskip(SKIP_1) | instid1(VALU_DEP_4)
	v_fmac_f32_e32 v129, v131, v129
	v_div_scale_f32 v131, s33, v119, v2, v119
	v_fmac_f32_e32 v132, v97, v122
	s_delay_alu instid0(VALU_DEP_4) | instskip(NEXT) | instid1(VALU_DEP_3)
	v_div_scale_f32 v120, null, v3, v3, v117
	v_mul_f32_e32 v123, v131, v129
	v_div_fixup_f32 v0, v94, v0, v15
	v_fma_f32 v15, -v115, v130, v124
	s_delay_alu instid0(VALU_DEP_4)
	v_rcp_f32_e32 v125, v120
	v_fma_f32 v97, -v118, v132, v128
	v_fma_f32 v94, -v127, v123, v131
	s_mov_b32 vcc_lo, s29
	v_fma_mixlo_f16 v0, v111, v0, 0
	v_div_fmas_f32 v15, v15, v116, v130
	s_mov_b32 vcc_lo, s30
	v_fmac_f32_e32 v123, v94, v129
	v_div_fmas_f32 v97, v97, v122, v132
	v_fma_mixhi_f16 v0, v105, v11, 0
	v_fma_f32 v126, -v120, v125, 1.0
	v_div_fixup_f32 v12, v15, v98, v12
	v_fma_f32 v115, -v127, v123, v131
	v_div_fixup_f32 v15, v97, v101, v104
	s_delay_alu instid0(VALU_DEP_4) | instskip(SKIP_1) | instid1(VALU_DEP_1)
	v_fmac_f32_e32 v125, v126, v125
	v_div_scale_f32 v126, s31, v117, v3, v117
	s_mov_b32 vcc_lo, s31
	s_delay_alu instid0(VALU_DEP_1) | instskip(NEXT) | instid1(VALU_DEP_1)
	v_mul_f32_e32 v133, v126, v125
	v_fma_f32 v121, -v120, v133, v126
	s_delay_alu instid0(VALU_DEP_1) | instskip(NEXT) | instid1(VALU_DEP_1)
	v_fmac_f32_e32 v133, v121, v125
	v_fma_f32 v94, -v120, v133, v126
	s_delay_alu instid0(VALU_DEP_1) | instskip(SKIP_2) | instid1(VALU_DEP_2)
	v_div_fmas_f32 v94, v94, v125, v133
	s_mov_b32 vcc_lo, s33
	v_div_fmas_f32 v115, v115, v129, v123
	v_div_fixup_f32 v3, v94, v3, v117
	s_delay_alu instid0(VALU_DEP_2) | instskip(NEXT) | instid1(VALU_DEP_2)
	v_div_fixup_f32 v2, v115, v2, v119
	v_fma_mixlo_f16 v3, v106, v3, 0
	s_delay_alu instid0(VALU_DEP_2) | instskip(NEXT) | instid1(VALU_DEP_2)
	v_fma_mixlo_f16 v2, v107, v2, 0
	v_fma_mixhi_f16 v3, v112, v15, 0
	s_delay_alu instid0(VALU_DEP_2)
	v_fma_mixhi_f16 v2, v102, v12, 0
	ds_store_b128 v52, v[6:9]
	ds_store_b128 v52, v[0:3] offset:16
	; wave barrier
	ds_load_u16 v16, v37 offset:64
	ds_load_u16 v15, v38 offset:128
	;; [unrolled: 1-line block ×15, first 2 shown]
	v_add_co_u32 v0, vcc_lo, v76, s34
	v_add_co_ci_u32_e32 v1, vcc_lo, s35, v77, vcc_lo
	s_and_saveexec_b32 s29, s13
	s_cbranch_execnz .LBB88_286
; %bb.254:                              ;   in Loop: Header=BB88_12 Depth=1
	s_or_b32 exec_lo, exec_lo, s29
	s_and_saveexec_b32 s13, s14
	s_cbranch_execnz .LBB88_287
.LBB88_255:                             ;   in Loop: Header=BB88_12 Depth=1
	s_or_b32 exec_lo, exec_lo, s13
	s_and_saveexec_b32 s13, s15
	s_cbranch_execnz .LBB88_288
.LBB88_256:                             ;   in Loop: Header=BB88_12 Depth=1
	s_or_b32 exec_lo, exec_lo, s13
	s_and_saveexec_b32 s13, s16
	s_cbranch_execnz .LBB88_289
.LBB88_257:                             ;   in Loop: Header=BB88_12 Depth=1
	s_or_b32 exec_lo, exec_lo, s13
	s_and_saveexec_b32 s13, s17
	s_cbranch_execnz .LBB88_290
.LBB88_258:                             ;   in Loop: Header=BB88_12 Depth=1
	s_or_b32 exec_lo, exec_lo, s13
	s_and_saveexec_b32 s13, s18
	s_cbranch_execnz .LBB88_291
.LBB88_259:                             ;   in Loop: Header=BB88_12 Depth=1
	s_or_b32 exec_lo, exec_lo, s13
	s_and_saveexec_b32 s13, s19
	s_cbranch_execnz .LBB88_292
.LBB88_260:                             ;   in Loop: Header=BB88_12 Depth=1
	s_or_b32 exec_lo, exec_lo, s13
	s_and_saveexec_b32 s13, s20
	s_cbranch_execnz .LBB88_293
.LBB88_261:                             ;   in Loop: Header=BB88_12 Depth=1
	s_or_b32 exec_lo, exec_lo, s13
	s_and_saveexec_b32 s13, s21
	s_cbranch_execnz .LBB88_294
.LBB88_262:                             ;   in Loop: Header=BB88_12 Depth=1
	s_or_b32 exec_lo, exec_lo, s13
	s_and_saveexec_b32 s13, s22
	s_cbranch_execnz .LBB88_295
.LBB88_263:                             ;   in Loop: Header=BB88_12 Depth=1
	s_or_b32 exec_lo, exec_lo, s13
	s_and_saveexec_b32 s13, s23
	s_cbranch_execnz .LBB88_296
.LBB88_264:                             ;   in Loop: Header=BB88_12 Depth=1
	s_or_b32 exec_lo, exec_lo, s13
	s_and_saveexec_b32 s13, s24
	s_cbranch_execnz .LBB88_297
.LBB88_265:                             ;   in Loop: Header=BB88_12 Depth=1
	s_or_b32 exec_lo, exec_lo, s13
	s_and_saveexec_b32 s13, s25
	s_cbranch_execnz .LBB88_298
.LBB88_266:                             ;   in Loop: Header=BB88_12 Depth=1
	s_or_b32 exec_lo, exec_lo, s13
	s_and_saveexec_b32 s13, s26
	s_cbranch_execnz .LBB88_299
.LBB88_267:                             ;   in Loop: Header=BB88_12 Depth=1
	s_or_b32 exec_lo, exec_lo, s13
	s_and_saveexec_b32 s13, s27
	s_cbranch_execnz .LBB88_300
.LBB88_268:                             ;   in Loop: Header=BB88_12 Depth=1
	s_or_b32 exec_lo, exec_lo, s13
	s_and_saveexec_b32 s13, s28
	s_cbranch_execz .LBB88_11
	s_branch .LBB88_301
.LBB88_269:                             ;   in Loop: Header=BB88_12 Depth=1
	global_load_u16 v101, v[8:9], off offset:832
	s_or_b32 exec_lo, exec_lo, s29
	s_and_saveexec_b32 s29, s27
	s_cbranch_execz .LBB88_72
.LBB88_270:                             ;   in Loop: Header=BB88_12 Depth=1
	global_load_u16 v100, v[8:9], off offset:896
	s_or_b32 exec_lo, exec_lo, s29
	v_mov_b32_e32 v102, 0
	s_and_saveexec_b32 s29, s28
	s_cbranch_execnz .LBB88_73
	s_branch .LBB88_74
.LBB88_271:                             ;   in Loop: Header=BB88_12 Depth=1
	ds_load_u16 v17, v37
	s_waitcnt lgkmcnt(0)
	global_store_b16 v[0:1], v17, off
	s_or_b32 exec_lo, exec_lo, s29
	s_and_saveexec_b32 s29, s14
	s_cbranch_execz .LBB88_206
.LBB88_272:                             ;   in Loop: Header=BB88_12 Depth=1
	s_waitcnt lgkmcnt(14)
	global_store_b16 v[0:1], v16, off offset:64
	s_or_b32 exec_lo, exec_lo, s29
	s_and_saveexec_b32 s29, s15
	s_cbranch_execz .LBB88_207
.LBB88_273:                             ;   in Loop: Header=BB88_12 Depth=1
	s_waitcnt lgkmcnt(13)
	global_store_b16 v[0:1], v15, off offset:128
	s_or_b32 exec_lo, exec_lo, s29
	s_and_saveexec_b32 s29, s16
	s_cbranch_execz .LBB88_208
.LBB88_274:                             ;   in Loop: Header=BB88_12 Depth=1
	s_waitcnt lgkmcnt(12)
	global_store_b16 v[0:1], v14, off offset:192
	s_or_b32 exec_lo, exec_lo, s29
	s_and_saveexec_b32 s29, s17
	s_cbranch_execz .LBB88_209
.LBB88_275:                             ;   in Loop: Header=BB88_12 Depth=1
	s_waitcnt lgkmcnt(11)
	global_store_b16 v[0:1], v13, off offset:256
	s_or_b32 exec_lo, exec_lo, s29
	s_and_saveexec_b32 s29, s18
	s_cbranch_execz .LBB88_210
.LBB88_276:                             ;   in Loop: Header=BB88_12 Depth=1
	s_waitcnt lgkmcnt(10)
	global_store_b16 v[0:1], v12, off offset:320
	s_or_b32 exec_lo, exec_lo, s29
	s_and_saveexec_b32 s29, s19
	s_cbranch_execz .LBB88_211
.LBB88_277:                             ;   in Loop: Header=BB88_12 Depth=1
	s_waitcnt lgkmcnt(9)
	global_store_b16 v[0:1], v11, off offset:384
	s_or_b32 exec_lo, exec_lo, s29
	s_and_saveexec_b32 s29, s20
	s_cbranch_execz .LBB88_212
.LBB88_278:                             ;   in Loop: Header=BB88_12 Depth=1
	s_waitcnt lgkmcnt(8)
	global_store_b16 v[0:1], v10, off offset:448
	s_or_b32 exec_lo, exec_lo, s29
	s_and_saveexec_b32 s29, s21
	s_cbranch_execz .LBB88_213
.LBB88_279:                             ;   in Loop: Header=BB88_12 Depth=1
	s_waitcnt lgkmcnt(7)
	global_store_b16 v[0:1], v9, off offset:512
	s_or_b32 exec_lo, exec_lo, s29
	s_and_saveexec_b32 s29, s22
	s_cbranch_execz .LBB88_214
.LBB88_280:                             ;   in Loop: Header=BB88_12 Depth=1
	s_waitcnt lgkmcnt(6)
	global_store_b16 v[0:1], v8, off offset:576
	s_or_b32 exec_lo, exec_lo, s29
	s_and_saveexec_b32 s29, s23
	s_cbranch_execz .LBB88_215
.LBB88_281:                             ;   in Loop: Header=BB88_12 Depth=1
	s_waitcnt lgkmcnt(5)
	global_store_b16 v[0:1], v7, off offset:640
	s_or_b32 exec_lo, exec_lo, s29
	s_and_saveexec_b32 s29, s24
	s_cbranch_execz .LBB88_216
.LBB88_282:                             ;   in Loop: Header=BB88_12 Depth=1
	s_waitcnt lgkmcnt(4)
	global_store_b16 v[0:1], v6, off offset:704
	s_or_b32 exec_lo, exec_lo, s29
	s_and_saveexec_b32 s29, s25
	s_cbranch_execz .LBB88_217
.LBB88_283:                             ;   in Loop: Header=BB88_12 Depth=1
	s_waitcnt lgkmcnt(3)
	global_store_b16 v[0:1], v5, off offset:768
	s_or_b32 exec_lo, exec_lo, s29
	s_and_saveexec_b32 s29, s26
	s_cbranch_execz .LBB88_218
.LBB88_284:                             ;   in Loop: Header=BB88_12 Depth=1
	s_waitcnt lgkmcnt(2)
	global_store_b16 v[0:1], v4, off offset:832
	s_or_b32 exec_lo, exec_lo, s29
	s_and_saveexec_b32 s29, s27
	s_cbranch_execz .LBB88_219
.LBB88_285:                             ;   in Loop: Header=BB88_12 Depth=1
	s_waitcnt lgkmcnt(1)
	global_store_b16 v[0:1], v3, off offset:896
	s_or_b32 exec_lo, exec_lo, s29
	s_and_saveexec_b32 s29, s28
	s_cbranch_execnz .LBB88_220
	s_branch .LBB88_221
.LBB88_286:                             ;   in Loop: Header=BB88_12 Depth=1
	ds_load_u16 v17, v37
	s_waitcnt lgkmcnt(0)
	global_store_b16 v[0:1], v17, off
	s_or_b32 exec_lo, exec_lo, s29
	s_and_saveexec_b32 s13, s14
	s_cbranch_execz .LBB88_255
.LBB88_287:                             ;   in Loop: Header=BB88_12 Depth=1
	s_waitcnt lgkmcnt(14)
	global_store_b16 v[0:1], v16, off offset:64
	s_or_b32 exec_lo, exec_lo, s13
	s_and_saveexec_b32 s13, s15
	s_cbranch_execz .LBB88_256
.LBB88_288:                             ;   in Loop: Header=BB88_12 Depth=1
	s_waitcnt lgkmcnt(13)
	global_store_b16 v[0:1], v15, off offset:128
	s_or_b32 exec_lo, exec_lo, s13
	s_and_saveexec_b32 s13, s16
	s_cbranch_execz .LBB88_257
.LBB88_289:                             ;   in Loop: Header=BB88_12 Depth=1
	s_waitcnt lgkmcnt(12)
	global_store_b16 v[0:1], v14, off offset:192
	s_or_b32 exec_lo, exec_lo, s13
	s_and_saveexec_b32 s13, s17
	s_cbranch_execz .LBB88_258
.LBB88_290:                             ;   in Loop: Header=BB88_12 Depth=1
	s_waitcnt lgkmcnt(11)
	global_store_b16 v[0:1], v13, off offset:256
	s_or_b32 exec_lo, exec_lo, s13
	s_and_saveexec_b32 s13, s18
	s_cbranch_execz .LBB88_259
.LBB88_291:                             ;   in Loop: Header=BB88_12 Depth=1
	s_waitcnt lgkmcnt(10)
	global_store_b16 v[0:1], v12, off offset:320
	s_or_b32 exec_lo, exec_lo, s13
	s_and_saveexec_b32 s13, s19
	s_cbranch_execz .LBB88_260
.LBB88_292:                             ;   in Loop: Header=BB88_12 Depth=1
	s_waitcnt lgkmcnt(9)
	global_store_b16 v[0:1], v11, off offset:384
	s_or_b32 exec_lo, exec_lo, s13
	s_and_saveexec_b32 s13, s20
	s_cbranch_execz .LBB88_261
.LBB88_293:                             ;   in Loop: Header=BB88_12 Depth=1
	s_waitcnt lgkmcnt(8)
	global_store_b16 v[0:1], v10, off offset:448
	s_or_b32 exec_lo, exec_lo, s13
	s_and_saveexec_b32 s13, s21
	s_cbranch_execz .LBB88_262
.LBB88_294:                             ;   in Loop: Header=BB88_12 Depth=1
	s_waitcnt lgkmcnt(7)
	global_store_b16 v[0:1], v9, off offset:512
	s_or_b32 exec_lo, exec_lo, s13
	s_and_saveexec_b32 s13, s22
	s_cbranch_execz .LBB88_263
.LBB88_295:                             ;   in Loop: Header=BB88_12 Depth=1
	s_waitcnt lgkmcnt(6)
	global_store_b16 v[0:1], v8, off offset:576
	s_or_b32 exec_lo, exec_lo, s13
	s_and_saveexec_b32 s13, s23
	s_cbranch_execz .LBB88_264
.LBB88_296:                             ;   in Loop: Header=BB88_12 Depth=1
	s_waitcnt lgkmcnt(5)
	global_store_b16 v[0:1], v7, off offset:640
	s_or_b32 exec_lo, exec_lo, s13
	s_and_saveexec_b32 s13, s24
	s_cbranch_execz .LBB88_265
.LBB88_297:                             ;   in Loop: Header=BB88_12 Depth=1
	s_waitcnt lgkmcnt(4)
	global_store_b16 v[0:1], v6, off offset:704
	s_or_b32 exec_lo, exec_lo, s13
	s_and_saveexec_b32 s13, s25
	s_cbranch_execz .LBB88_266
.LBB88_298:                             ;   in Loop: Header=BB88_12 Depth=1
	s_waitcnt lgkmcnt(3)
	global_store_b16 v[0:1], v5, off offset:768
	s_or_b32 exec_lo, exec_lo, s13
	s_and_saveexec_b32 s13, s26
	s_cbranch_execz .LBB88_267
.LBB88_299:                             ;   in Loop: Header=BB88_12 Depth=1
	s_waitcnt lgkmcnt(2)
	global_store_b16 v[0:1], v4, off offset:832
	s_or_b32 exec_lo, exec_lo, s13
	s_and_saveexec_b32 s13, s27
	s_cbranch_execz .LBB88_268
.LBB88_300:                             ;   in Loop: Header=BB88_12 Depth=1
	s_waitcnt lgkmcnt(1)
	global_store_b16 v[0:1], v3, off offset:896
	s_or_b32 exec_lo, exec_lo, s13
	s_and_saveexec_b32 s13, s28
	s_cbranch_execz .LBB88_11
.LBB88_301:                             ;   in Loop: Header=BB88_12 Depth=1
	s_waitcnt lgkmcnt(0)
	global_store_b16 v[0:1], v2, off offset:960
	s_branch .LBB88_11
.LBB88_302:
	s_nop 0
	s_sendmsg sendmsg(MSG_DEALLOC_VGPRS)
	s_endpgm
	.section	.rodata,"a",@progbits
	.p2align	6, 0x0
	.amdhsa_kernel _Z25selective_scan_fwd_kernelI32Selective_Scan_fwd_kernel_traitsILi128ELi16ELi1ELb1ELb1ELb1ELb1ELb1EN3c104HalfEfS2_EEv13SSMParamsBase
		.amdhsa_group_segment_fixed_size 0
		.amdhsa_private_segment_fixed_size 0
		.amdhsa_kernarg_size 248
		.amdhsa_user_sgpr_count 14
		.amdhsa_user_sgpr_dispatch_ptr 0
		.amdhsa_user_sgpr_queue_ptr 0
		.amdhsa_user_sgpr_kernarg_segment_ptr 1
		.amdhsa_user_sgpr_dispatch_id 0
		.amdhsa_user_sgpr_private_segment_size 0
		.amdhsa_wavefront_size32 1
		.amdhsa_uses_dynamic_stack 0
		.amdhsa_enable_private_segment 0
		.amdhsa_system_sgpr_workgroup_id_x 1
		.amdhsa_system_sgpr_workgroup_id_y 1
		.amdhsa_system_sgpr_workgroup_id_z 0
		.amdhsa_system_sgpr_workgroup_info 0
		.amdhsa_system_vgpr_workitem_id 0
		.amdhsa_next_free_vgpr 177
		.amdhsa_next_free_sgpr 94
		.amdhsa_reserve_vcc 1
		.amdhsa_float_round_mode_32 0
		.amdhsa_float_round_mode_16_64 0
		.amdhsa_float_denorm_mode_32 3
		.amdhsa_float_denorm_mode_16_64 3
		.amdhsa_dx10_clamp 1
		.amdhsa_ieee_mode 1
		.amdhsa_fp16_overflow 0
		.amdhsa_workgroup_processor_mode 1
		.amdhsa_memory_ordered 1
		.amdhsa_forward_progress 0
		.amdhsa_shared_vgpr_count 0
		.amdhsa_exception_fp_ieee_invalid_op 0
		.amdhsa_exception_fp_denorm_src 0
		.amdhsa_exception_fp_ieee_div_zero 0
		.amdhsa_exception_fp_ieee_overflow 0
		.amdhsa_exception_fp_ieee_underflow 0
		.amdhsa_exception_fp_ieee_inexact 0
		.amdhsa_exception_int_div_zero 0
	.end_amdhsa_kernel
	.section	.text._Z25selective_scan_fwd_kernelI32Selective_Scan_fwd_kernel_traitsILi128ELi16ELi1ELb1ELb1ELb1ELb1ELb1EN3c104HalfEfS2_EEv13SSMParamsBase,"axG",@progbits,_Z25selective_scan_fwd_kernelI32Selective_Scan_fwd_kernel_traitsILi128ELi16ELi1ELb1ELb1ELb1ELb1ELb1EN3c104HalfEfS2_EEv13SSMParamsBase,comdat
.Lfunc_end88:
	.size	_Z25selective_scan_fwd_kernelI32Selective_Scan_fwd_kernel_traitsILi128ELi16ELi1ELb1ELb1ELb1ELb1ELb1EN3c104HalfEfS2_EEv13SSMParamsBase, .Lfunc_end88-_Z25selective_scan_fwd_kernelI32Selective_Scan_fwd_kernel_traitsILi128ELi16ELi1ELb1ELb1ELb1ELb1ELb1EN3c104HalfEfS2_EEv13SSMParamsBase
                                        ; -- End function
	.section	.AMDGPU.csdata,"",@progbits
; Kernel info:
; codeLenInByte = 26136
; NumSgprs: 96
; NumVgprs: 177
; ScratchSize: 0
; MemoryBound: 0
; FloatMode: 240
; IeeeMode: 1
; LDSByteSize: 0 bytes/workgroup (compile time only)
; SGPRBlocks: 11
; VGPRBlocks: 22
; NumSGPRsForWavesPerEU: 96
; NumVGPRsForWavesPerEU: 177
; Occupancy: 8
; WaveLimiterHint : 1
; COMPUTE_PGM_RSRC2:SCRATCH_EN: 0
; COMPUTE_PGM_RSRC2:USER_SGPR: 14
; COMPUTE_PGM_RSRC2:TRAP_HANDLER: 0
; COMPUTE_PGM_RSRC2:TGID_X_EN: 1
; COMPUTE_PGM_RSRC2:TGID_Y_EN: 1
; COMPUTE_PGM_RSRC2:TGID_Z_EN: 0
; COMPUTE_PGM_RSRC2:TIDIG_COMP_CNT: 0
	.section	.text._Z25selective_scan_fwd_kernelI32Selective_Scan_fwd_kernel_traitsILi128ELi16ELi1ELb1ELb1ELb1ELb1ELb0EN3c104HalfEfS2_EEv13SSMParamsBase,"axG",@progbits,_Z25selective_scan_fwd_kernelI32Selective_Scan_fwd_kernel_traitsILi128ELi16ELi1ELb1ELb1ELb1ELb1ELb0EN3c104HalfEfS2_EEv13SSMParamsBase,comdat
	.protected	_Z25selective_scan_fwd_kernelI32Selective_Scan_fwd_kernel_traitsILi128ELi16ELi1ELb1ELb1ELb1ELb1ELb0EN3c104HalfEfS2_EEv13SSMParamsBase ; -- Begin function _Z25selective_scan_fwd_kernelI32Selective_Scan_fwd_kernel_traitsILi128ELi16ELi1ELb1ELb1ELb1ELb1ELb0EN3c104HalfEfS2_EEv13SSMParamsBase
	.globl	_Z25selective_scan_fwd_kernelI32Selective_Scan_fwd_kernel_traitsILi128ELi16ELi1ELb1ELb1ELb1ELb1ELb0EN3c104HalfEfS2_EEv13SSMParamsBase
	.p2align	8
	.type	_Z25selective_scan_fwd_kernelI32Selective_Scan_fwd_kernel_traitsILi128ELi16ELi1ELb1ELb1ELb1ELb1ELb0EN3c104HalfEfS2_EEv13SSMParamsBase,@function
_Z25selective_scan_fwd_kernelI32Selective_Scan_fwd_kernel_traitsILi128ELi16ELi1ELb1ELb1ELb1ELb1ELb0EN3c104HalfEfS2_EEv13SSMParamsBase: ; @_Z25selective_scan_fwd_kernelI32Selective_Scan_fwd_kernel_traitsILi128ELi16ELi1ELb1ELb1ELb1ELb1ELb0EN3c104HalfEfS2_EEv13SSMParamsBase
; %bb.0:
	s_clause 0x1
	s_load_b32 s9, s[0:1], 0x18
	s_load_b128 s[4:7], s[0:1], 0xe8
	s_mov_b32 s54, s15
	s_mov_b32 s56, 0
	s_waitcnt lgkmcnt(0)
	s_abs_i32 s8, s9
	s_cmp_eq_u64 s[6:7], 0
	v_cvt_f32_u32_e32 v1, s8
	s_delay_alu instid0(VALU_DEP_1) | instskip(SKIP_2) | instid1(VALU_DEP_1)
	v_rcp_iflag_f32_e32 v1, v1
	s_waitcnt_depctr 0xfff
	v_mul_f32_e32 v1, 0x4f7ffffe, v1
	v_cvt_u32_f32_e32 v1, v1
	s_delay_alu instid0(VALU_DEP_1)
	v_readfirstlane_b32 s10, v1
	s_cbranch_scc1 .LBB89_2
; %bb.1:
	v_mov_b32_e32 v1, 0
	s_ashr_i32 s3, s14, 31
	s_add_u32 s2, s6, s14
	s_addc_u32 s3, s7, s3
	global_load_u8 v1, v1, s[2:3]
	s_waitcnt vmcnt(0)
	v_and_b32_e32 v1, 1, v1
	s_delay_alu instid0(VALU_DEP_1)
	v_cmp_eq_u32_e64 s56, 1, v1
.LBB89_2:
	s_load_b64 s[6:7], s[0:1], 0x20
	s_cmp_eq_u64 s[4:5], 0
	s_cbranch_scc1 .LBB89_4
; %bb.3:
	s_ashr_i32 s15, s14, 31
	s_delay_alu instid0(SALU_CYCLE_1) | instskip(NEXT) | instid1(SALU_CYCLE_1)
	s_lshl_b64 s[2:3], s[14:15], 2
	s_add_u32 s2, s4, s2
	s_addc_u32 s3, s5, s3
	s_load_b32 s2, s[2:3], 0x0
	s_waitcnt lgkmcnt(0)
	s_ashr_i32 s3, s2, 31
	s_delay_alu instid0(SALU_CYCLE_1)
	s_cmp_eq_u64 s[6:7], s[2:3]
	s_cbranch_scc0 .LBB89_5
	s_branch .LBB89_90
.LBB89_4:
	s_mov_b32 s2, s14
	s_delay_alu instid0(SALU_CYCLE_1)
	s_ashr_i32 s3, s2, 31
	s_waitcnt lgkmcnt(0)
	s_cmp_eq_u64 s[6:7], s[2:3]
	s_cbranch_scc1 .LBB89_90
.LBB89_5:
	s_clause 0x1
	s_load_b512 s[16:31], s[0:1], 0x88
	s_load_b64 s[34:35], s[0:1], 0x8
	s_mov_b32 s57, 0
	s_mov_b32 s58, 0
	s_waitcnt lgkmcnt(0)
	s_cmp_eq_u64 s[22:23], 0
	s_cbranch_scc1 .LBB89_7
; %bb.6:
	s_ashr_i32 s55, s54, 31
	s_delay_alu instid0(SALU_CYCLE_1) | instskip(NEXT) | instid1(SALU_CYCLE_1)
	s_lshl_b64 s[4:5], s[54:55], 2
	s_add_u32 s4, s22, s4
	s_addc_u32 s5, s23, s5
	s_load_b32 s58, s[4:5], 0x0
.LBB89_7:
	s_cmp_eq_u64 s[28:29], 0
	s_cbranch_scc1 .LBB89_9
; %bb.8:
	s_ashr_i32 s55, s54, 31
	s_delay_alu instid0(SALU_CYCLE_1) | instskip(NEXT) | instid1(SALU_CYCLE_1)
	s_lshl_b64 s[4:5], s[54:55], 2
	s_add_u32 s4, s28, s4
	s_addc_u32 s5, s29, s5
	s_load_b32 s57, s[4:5], 0x0
.LBB89_9:
	s_cmp_lt_i32 s34, 1
	s_cbranch_scc1 .LBB89_90
; %bb.10:
	s_sub_i32 s3, 0, s8
	s_load_b256 s[36:43], s[0:1], 0x4c
	s_mul_i32 s3, s3, s10
	s_abs_i32 s4, s54
	s_mul_hi_u32 s3, s10, s3
	s_ashr_i32 s6, s9, 31
	s_add_i32 s10, s10, s3
	s_ashr_i32 s3, s54, 31
	s_mul_hi_u32 s5, s4, s10
	s_xor_b32 s3, s3, s6
	s_mul_i32 s7, s5, s8
	s_add_i32 s6, s5, 1
	s_sub_i32 s4, s4, s7
	s_load_b256 s[44:51], s[0:1], 0x2c
	s_sub_i32 s7, s4, s8
	s_cmp_ge_u32 s4, s8
	s_mov_b32 s53, 0
	s_cselect_b32 s5, s6, s5
	s_cselect_b32 s4, s7, s4
	s_add_i32 s6, s5, 1
	s_cmp_ge_u32 s4, s8
	s_waitcnt lgkmcnt(0)
	s_mul_i32 s52, s38, s14
	s_cselect_b32 s6, s6, s5
	s_lshl_b64 s[4:5], s[52:53], 1
	s_xor_b32 s6, s6, s3
	s_mul_i32 s52, s39, s54
	s_sub_i32 s3, s6, s3
	s_add_u32 s6, s24, s4
	s_addc_u32 s7, s25, s5
	s_lshl_b64 s[4:5], s[52:53], 1
	s_mul_i32 s52, s40, s14
	s_add_u32 s51, s6, s4
	s_addc_u32 s55, s7, s5
	s_lshl_b64 s[4:5], s[52:53], 1
	s_mul_i32 s52, s41, s54
	;; [unrolled: 4-line block ×3, first 2 shown]
	s_add_u32 s59, s6, s4
	s_addc_u32 s44, s7, s5
	s_clause 0x1
	s_load_b64 s[6:7], s[0:1], 0x7c
	s_load_b32 s63, s[0:1], 0x84
	s_lshl_b64 s[4:5], s[52:53], 2
	s_mul_i32 s52, s46, s14
	s_add_u32 s60, s16, s4
	s_addc_u32 s61, s17, s5
	s_lshl_b64 s[4:5], s[52:53], 1
	s_mul_i32 s52, s3, s49
	s_load_b128 s[24:27], s[0:1], 0xc8
	s_add_u32 s8, s18, s4
	s_addc_u32 s9, s19, s5
	s_lshl_b64 s[4:5], s[52:53], 1
	s_mul_i32 s52, s50, s14
	s_add_u32 s49, s8, s4
	v_dual_mov_b32 v42, 0 :: v_dual_lshlrev_b32 v1, 1, v0
	s_addc_u32 s50, s9, s5
	s_lshl_b64 s[4:5], s[52:53], 1
	s_mul_i32 s52, s3, s37
	s_add_u32 s8, s20, s4
	s_addc_u32 s3, s21, s5
	s_lshl_b64 s[4:5], s[52:53], 1
	s_load_b128 s[16:19], s[0:1], 0x6c
	s_waitcnt lgkmcnt(0)
	s_mul_i32 s52, s2, s6
	s_load_b32 s6, s[0:1], 0x28
	v_mbcnt_lo_u32_b32 v2, -1, 0
	v_and_b32_e32 v1, 0xc0, v1
	s_add_u32 s37, s8, s4
	s_addc_u32 s62, s3, s5
	s_lshl_b64 s[2:3], s[52:53], 1
	v_and_b32_e32 v4, 0x60, v0
	v_or_b32_e32 v3, v2, v1
	s_mul_i32 s52, s7, s54
	s_load_b64 s[20:21], s[0:1], 0xd8
	s_add_u32 s4, s24, s2
	s_addc_u32 s5, s25, s3
	v_or_b32_e32 v6, 32, v3
	s_lshl_b64 s[2:3], s[52:53], 1
	v_lshrrev_b32_e32 v5, 5, v1
	s_add_u32 s64, s4, s2
	v_or_b32_e32 v7, v2, v4
	v_lshrrev_b32_e32 v8, 5, v6
	s_addc_u32 s65, s5, s3
	s_add_i32 s2, s34, 0x7ff
	v_cmp_gt_u32_e64 s0, 0x100, v3
	s_lshr_b32 s66, s2, 11
	s_waitcnt lgkmcnt(0)
	s_bitcmp1_b32 s6, 0
	v_add_nc_u32_e32 v5, v5, v3
	v_lshlrev_b32_e32 v9, 1, v7
	v_bfe_u32 v7, v7, 4, 27
	v_add_lshl_u32 v3, v8, v3, 4
	s_cselect_b32 s67, -1, 0
	s_cmp_gt_i32 s35, 0
	v_lshl_add_u32 v43, v5, 4, 0
	s_cselect_b32 s68, -1, 0
	s_add_i32 s2, 0, 0x1080
	v_add_lshl_u32 v5, v7, v9, 4
	v_add_nc_u32_e32 v44, 0, v3
	v_add_nc_u32_e32 v46, s2, v3
	v_and_b32_e32 v3, 15, v2
	s_and_b32 s3, s34, 0x7ff
	v_add_nc_u32_e32 v47, s2, v5
	s_cmp_eq_u32 s3, 0
	s_mul_i32 s52, s16, s14
	v_cmp_ne_u32_e64 s2, 0, v3
	v_cmp_lt_u32_e64 s3, 1, v3
	v_cmp_lt_u32_e64 s4, 3, v3
	;; [unrolled: 1-line block ×3, first 2 shown]
	v_add_nc_u32_e32 v3, -1, v2
	s_cselect_b32 s69, -1, 0
	s_lshl_b64 s[22:23], s[52:53], 1
	s_add_i32 s70, s66, -1
	s_mul_i32 s52, s17, s54
	v_cmp_gt_i32_e32 vcc_lo, 0, v3
	v_add_nc_u32_e32 v45, 0, v5
	v_lshrrev_b32_e32 v5, 2, v0
	s_add_u32 s22, s30, s22
	s_addc_u32 s23, s31, s23
	v_cndmask_b32_e32 v3, v3, v2, vcc_lo
	v_or_b32_e32 v4, 31, v4
	s_lshl_b64 s[16:17], s[52:53], 1
	v_lshlrev_b32_e32 v48, 4, v0
	v_cmp_gt_u32_e64 s8, 4, v0
	v_lshl_add_u32 v50, v0, 3, 0
	v_cmp_eq_u32_e64 s7, v4, v0
	v_cmp_gt_u32_e64 s11, 32, v0
	v_cmp_lt_u32_e64 s12, 31, v0
	v_cmp_eq_u32_e64 s13, 0, v0
	s_mul_i32 s52, s42, s14
	v_lshlrev_b32_e32 v0, 4, v2
	s_add_u32 s22, s22, s16
	v_and_b32_e32 v4, 3, v2
	s_addc_u32 s23, s23, s17
	s_lshl_b64 s[16:17], s[52:53], 1
	v_and_b32_e32 v5, 24, v5
	s_mul_i32 s52, s43, s54
	s_add_u32 s24, s26, s16
	v_lshlrev_b32_e32 v51, 2, v3
	s_addc_u32 s25, s27, s17
	s_lshl_b64 s[16:17], s[52:53], 1
	v_add_co_u32 v3, s22, s22, v0
	s_mul_i32 s52, s18, s14
	v_cmp_ne_u32_e64 s9, 0, v4
	v_cmp_lt_u32_e64 s10, 1, v4
	v_add_co_ci_u32_e64 v4, null, s23, 0, s22
	s_add_u32 s22, s24, s16
	v_add_nc_u32_e32 v49, 0, v5
	s_addc_u32 s14, s25, s17
	s_lshl_b64 s[16:17], s[52:53], 1
	v_lshlrev_b32_e32 v5, 4, v1
	s_mul_i32 s52, s19, s54
	s_add_u32 s18, s20, s16
	s_addc_u32 s19, s21, s17
	s_lshl_b64 s[16:17], s[52:53], 1
	v_cmp_gt_u32_e64 s1, 0x100, v6
	v_and_b32_e32 v6, 16, v2
	v_add_co_u32 v52, vcc_lo, v3, v5
	s_add_u32 s16, s18, s16
	v_add_co_u32 v3, s18, s22, v0
	v_add_co_ci_u32_e32 v53, vcc_lo, 0, v4, vcc_lo
	v_add_co_ci_u32_e64 v4, null, s14, 0, s18
	s_addc_u32 s17, s19, s17
	v_add_co_u32 v0, s14, s16, v0
	v_cmp_ne_u32_e64 s6, 0, v6
	v_add_co_ci_u32_e64 v6, null, s17, 0, s14
	v_add_co_u32 v54, vcc_lo, v3, v5
	v_add_co_ci_u32_e32 v55, vcc_lo, 0, v4, vcc_lo
	v_add_co_u32 v56, vcc_lo, v0, v5
	v_cmp_eq_u32_e64 s15, 0, v2
	v_add_co_ci_u32_e32 v57, vcc_lo, 0, v6, vcc_lo
	v_or_b32_e32 v58, 1, v48
	v_or_b32_e32 v59, 2, v48
	;; [unrolled: 1-line block ×15, first 2 shown]
	v_lshlrev_b32_e32 v73, 4, v2
	v_lshlrev_b32_e32 v74, 4, v1
	s_mov_b32 s54, 0x3e9b6dac
	s_add_i32 s71, 0, 0x2120
	s_mov_b32 s72, 0xbfb8aa3b
	s_mov_b32 s73, 0xb2a5705f
	;; [unrolled: 1-line block ×3, first 2 shown]
                                        ; implicit-def: $vgpr0
                                        ; implicit-def: $vgpr4
                                        ; implicit-def: $vgpr12
                                        ; implicit-def: $vgpr8
                                        ; implicit-def: $vgpr20
                                        ; implicit-def: $vgpr16
	s_branch .LBB89_12
.LBB89_11:                              ;   in Loop: Header=BB89_12 Depth=1
	s_or_b32 exec_lo, exec_lo, s14
	s_waitcnt vmcnt(0)
	ds_store_2addr_b32 v43, v0, v1 offset1:1
	ds_store_2addr_b32 v43, v2, v3 offset0:2 offset1:3
	ds_store_b128 v44, v[4:7] offset:512
	; wave barrier
	ds_load_b128 v[0:3], v45
	ds_load_b128 v[4:7], v45 offset:16
	s_waitcnt lgkmcnt(0)
	s_barrier
	buffer_gl0_inv
	s_add_u32 s59, s59, 0x1000
	s_addc_u32 s44, s44, 0
	s_add_u32 s51, s51, 0x1000
	s_addc_u32 s55, s55, 0
	;; [unrolled: 2-line block ×4, first 2 shown]
	s_add_i32 s74, s74, 1
	s_delay_alu instid0(SALU_CYCLE_1)
	s_cmp_eq_u32 s74, s66
	v_cvt_f32_f16_e32 v25, v0
	v_lshrrev_b32_e32 v28, 16, v2
	v_cvt_f32_f16_e32 v30, v2
	v_lshrrev_b32_e32 v26, 16, v1
	v_cvt_f32_f16_e32 v27, v1
	v_mul_f32_e32 v29, 0xbfb8aa3b, v25
	v_cvt_f32_f16_e32 v32, v28
	v_mul_f32_e32 v28, 0xbfb8aa3b, v30
	v_lshrrev_b32_e32 v24, 16, v0
	v_cvt_f32_f16_e32 v26, v26
	v_mul_f32_e32 v31, 0xbfb8aa3b, v27
	v_rndne_f32_e32 v34, v29
	v_rndne_f32_e32 v40, v28
	v_fma_mix_f32 v41, v2, s72, -v28 op_sel_hi:[1,0,0]
	v_mul_f32_e32 v36, 0xbfb8aa3b, v26
	v_cvt_f32_f16_e32 v24, v24
	v_fma_mix_f32 v35, v0, s72, -v29 op_sel_hi:[1,0,0]
	v_rndne_f32_e32 v37, v31
	v_fma_mix_f32 v38, v1, s72, -v31 op_sel_hi:[1,0,0]
	v_dual_sub_f32 v29, v29, v34 :: v_dual_sub_f32 v28, v28, v40
	v_fma_mix_f32 v41, v2, s73, v41 op_sel_hi:[1,0,0]
	v_mul_f32_e32 v39, 0xbfb8aa3b, v32
	v_sub_f32_e32 v31, v31, v37
	v_fma_mix_f32 v38, v1, s73, v38 op_sel_hi:[1,0,0]
	v_fma_mix_f32 v35, v0, s73, v35 op_sel_hi:[1,0,0]
	v_add_f32_e32 v28, v28, v41
	v_rndne_f32_e32 v79, v39
	v_mul_f32_e32 v33, 0xbfb8aa3b, v24
	v_add_f32_e32 v31, v31, v38
	v_cmp_nlt_f32_e32 vcc_lo, 0x42ce8ed0, v24
	v_rndne_f32_e32 v77, v36
	v_sub_f32_e32 v38, v39, v79
	v_rndne_f32_e32 v75, v33
	v_fma_mix_f32 v76, v0, s72, -v33 op_sel:[1,0,0] op_sel_hi:[1,0,0]
	v_fma_mix_f32 v78, v1, s72, -v36 op_sel:[1,0,0] op_sel_hi:[1,0,0]
	v_cvt_i32_f32_e32 v34, v34
	v_fma_mix_f32 v80, v2, s72, -v39 op_sel:[1,0,0] op_sel_hi:[1,0,0]
	v_sub_f32_e32 v33, v33, v75
	v_fma_mix_f32 v76, v0, s73, v76 op_sel:[1,0,0] op_sel_hi:[1,0,0]
	v_cvt_i32_f32_e32 v75, v75
	v_exp_f32_e32 v31, v31
	v_fma_mix_f32 v39, v2, s73, v80 op_sel:[1,0,0] op_sel_hi:[1,0,0]
	v_cvt_i32_f32_e32 v37, v37
	v_add_f32_e32 v33, v33, v76
	v_cvt_i32_f32_e32 v76, v77
	v_cmp_nlt_f32_e64 s17, 0x42ce8ed0, v32
	v_add_f32_e32 v38, v38, v39
	s_delay_alu instid0(VALU_DEP_4) | instskip(NEXT) | instid1(TRANS32_DEP_2)
	v_exp_f32_e32 v33, v33
	v_ldexp_f32 v31, v31, v37
	s_waitcnt_depctr 0xfff
	v_ldexp_f32 v33, v33, v75
	s_delay_alu instid0(VALU_DEP_1) | instskip(SKIP_4) | instid1(VALU_DEP_3)
	v_cndmask_b32_e32 v33, 0, v33, vcc_lo
	v_cmp_ngt_f32_e32 vcc_lo, 0xc2b17218, v24
	v_add_f32_e32 v29, v29, v35
	v_sub_f32_e32 v35, v36, v77
	v_fma_mix_f32 v36, v1, s73, v78 op_sel:[1,0,0] op_sel_hi:[1,0,0]
	v_exp_f32_e32 v29, v29
	s_delay_alu instid0(VALU_DEP_1) | instskip(SKIP_1) | instid1(VALU_DEP_2)
	v_add_f32_e32 v35, v35, v36
	v_cvt_i32_f32_e32 v36, v79
	v_exp_f32_e32 v35, v35
	s_waitcnt_depctr 0xfff
	v_ldexp_f32 v29, v29, v34
	v_exp_f32_e32 v34, v28
	v_cndmask_b32_e32 v28, 0x7f800000, v33, vcc_lo
	v_cmp_nlt_f32_e32 vcc_lo, 0x42ce8ed0, v25
	v_exp_f32_e32 v33, v38
	s_delay_alu instid0(VALU_DEP_2) | instskip(SKIP_2) | instid1(VALU_DEP_3)
	v_dual_add_f32 v28, 1.0, v28 :: v_dual_cndmask_b32 v29, 0, v29
	v_cmp_ngt_f32_e32 vcc_lo, 0xc2b17218, v25
	v_ldexp_f32 v35, v35, v76
	v_div_scale_f32 v38, null, v28, v28, v24
	s_delay_alu instid0(VALU_DEP_4) | instskip(SKIP_1) | instid1(TRANS32_DEP_1)
	v_cndmask_b32_e32 v29, 0x7f800000, v29, vcc_lo
	v_cmp_nlt_f32_e32 vcc_lo, 0x42ce8ed0, v26
	v_ldexp_f32 v33, v33, v36
	s_delay_alu instid0(VALU_DEP_4) | instskip(NEXT) | instid1(VALU_DEP_3)
	v_rcp_f32_e32 v37, v38
	v_add_f32_e32 v29, 1.0, v29
	v_cndmask_b32_e32 v35, 0, v35, vcc_lo
	v_cmp_ngt_f32_e32 vcc_lo, 0xc2b17218, v26
	v_cndmask_b32_e64 v33, 0, v33, s17
	s_delay_alu instid0(VALU_DEP_4) | instskip(NEXT) | instid1(VALU_DEP_4)
	v_div_scale_f32 v39, null, v29, v29, v25
	v_cndmask_b32_e32 v35, 0x7f800000, v35, vcc_lo
	v_cmp_nlt_f32_e32 vcc_lo, 0x42ce8ed0, v27
	s_delay_alu instid0(TRANS32_DEP_1) | instskip(NEXT) | instid1(VALU_DEP_4)
	v_fma_f32 v75, -v38, v37, 1.0
	v_rcp_f32_e32 v36, v39
	v_div_scale_f32 v78, s14, v25, v29, v25
	v_add_f32_e32 v35, 1.0, v35
	v_cndmask_b32_e32 v31, 0, v31, vcc_lo
	v_cmp_ngt_f32_e32 vcc_lo, 0xc2b17218, v27
	v_fmac_f32_e32 v37, v75, v37
	s_delay_alu instid0(VALU_DEP_4) | instskip(NEXT) | instid1(VALU_DEP_4)
	v_div_scale_f32 v41, null, v35, v35, v26
	v_cndmask_b32_e32 v31, 0x7f800000, v31, vcc_lo
	v_div_scale_f32 v76, vcc_lo, v24, v28, v24
	s_delay_alu instid0(VALU_DEP_3) | instskip(SKIP_1) | instid1(VALU_DEP_3)
	v_rcp_f32_e32 v77, v41
	v_fma_f32 v75, -v39, v36, 1.0
	v_add_f32_e32 v31, 1.0, v31
	s_delay_alu instid0(VALU_DEP_3) | instskip(SKIP_1) | instid1(VALU_DEP_4)
	v_mul_f32_e32 v79, v76, v37
	v_div_scale_f32 v83, s16, v26, v35, v26
	v_fmac_f32_e32 v36, v75, v36
	s_delay_alu instid0(VALU_DEP_4) | instskip(NEXT) | instid1(VALU_DEP_4)
	v_div_scale_f32 v75, null, v31, v31, v27
	v_fma_f32 v81, -v38, v79, v76
	s_delay_alu instid0(TRANS32_DEP_1) | instskip(NEXT) | instid1(VALU_DEP_4)
	v_fma_f32 v80, -v41, v77, 1.0
	v_mul_f32_e32 v82, v78, v36
	s_delay_alu instid0(VALU_DEP_4) | instskip(NEXT) | instid1(VALU_DEP_3)
	v_rcp_f32_e32 v84, v75
	v_fmac_f32_e32 v79, v81, v37
	s_delay_alu instid0(VALU_DEP_3) | instskip(NEXT) | instid1(VALU_DEP_3)
	v_fmac_f32_e32 v77, v80, v77
	v_fma_f32 v80, -v39, v82, v78
	s_delay_alu instid0(VALU_DEP_3) | instskip(NEXT) | instid1(VALU_DEP_3)
	v_fma_f32 v38, -v38, v79, v76
	v_mul_f32_e32 v76, v83, v77
	s_delay_alu instid0(VALU_DEP_3) | instskip(NEXT) | instid1(VALU_DEP_3)
	v_fmac_f32_e32 v82, v80, v36
	v_div_fmas_f32 v37, v38, v37, v79
	v_cmp_ngt_f32_e32 vcc_lo, 0xc2b17218, v32
	s_delay_alu instid0(VALU_DEP_3)
	v_fma_f32 v39, -v39, v82, v78
	v_fma_f32 v78, -v41, v76, v83
	v_fma_f32 v38, -v75, v84, 1.0
	v_div_fixup_f32 v28, v37, v28, v24
	v_cndmask_b32_e32 v33, 0x7f800000, v33, vcc_lo
	s_mov_b32 vcc_lo, s14
	v_fmac_f32_e32 v76, v78, v77
	v_div_fmas_f32 v24, v39, v36, v82
	v_cvt_i32_f32_e32 v36, v40
	v_cmp_nlt_f32_e32 vcc_lo, 0x42ce8ed0, v30
	v_dual_add_f32 v33, 1.0, v33 :: v_dual_fmac_f32 v84, v38, v84
	v_div_scale_f32 v37, s14, v27, v31, v27
	s_delay_alu instid0(VALU_DEP_4) | instskip(SKIP_1) | instid1(VALU_DEP_4)
	v_ldexp_f32 v34, v34, v36
	v_lshrrev_b32_e32 v36, 16, v3
	v_div_scale_f32 v38, null, v33, v33, v32
	s_delay_alu instid0(VALU_DEP_3) | instskip(NEXT) | instid1(VALU_DEP_3)
	v_dual_mul_f32 v39, v37, v84 :: v_dual_cndmask_b32 v34, 0, v34
	v_cvt_f32_f16_e32 v36, v36
	v_cmp_ngt_f32_e32 vcc_lo, 0xc2b17218, v30
	s_delay_alu instid0(VALU_DEP_4) | instskip(NEXT) | instid1(VALU_DEP_2)
	v_rcp_f32_e32 v40, v38
	v_mul_f32_e32 v78, 0xbfb8aa3b, v36
	v_cndmask_b32_e32 v34, 0x7f800000, v34, vcc_lo
	v_div_fixup_f32 v24, v24, v29, v25
	v_fma_f32 v25, -v41, v76, v83
	s_mov_b32 vcc_lo, s16
	v_rndne_f32_e32 v41, v78
	v_fma_mix_f32 v79, v3, s72, -v78 op_sel:[1,0,0] op_sel_hi:[1,0,0]
	v_add_f32_e32 v34, 1.0, v34
	v_fma_f32 v29, -v75, v39, v37
	v_div_fmas_f32 v25, v25, v77, v76
	v_sub_f32_e32 v78, v78, v41
	v_fma_mix_f32 v79, v3, s73, v79 op_sel:[1,0,0] op_sel_hi:[1,0,0]
	v_div_scale_f32 v81, null, v34, v34, v30
	v_fma_f32 v80, -v38, v40, 1.0
	v_fmac_f32_e32 v39, v29, v84
	s_delay_alu instid0(VALU_DEP_4) | instskip(NEXT) | instid1(VALU_DEP_4)
	v_add_f32_e32 v77, v78, v79
	v_rcp_f32_e32 v76, v81
	v_div_fixup_f32 v29, v25, v35, v26
	v_fmac_f32_e32 v40, v80, v40
	v_div_scale_f32 v78, s16, v32, v33, v32
	v_exp_f32_e32 v26, v77
	v_fma_f32 v25, -v75, v39, v37
	v_cvt_i32_f32_e32 v41, v41
	s_mov_b32 vcc_lo, s14
	v_mul_f32_e32 v35, v78, v40
	s_delay_alu instid0(TRANS32_DEP_2)
	v_fma_f32 v37, -v81, v76, 1.0
	v_div_fmas_f32 v25, v25, v84, v39
	v_cvt_f32_f16_e32 v75, v3
	v_cmp_nlt_f32_e32 vcc_lo, 0x42ce8ed0, v36
	v_fma_f32 v39, -v38, v35, v78
	v_ldexp_f32 v26, v26, v41
	v_fmac_f32_e32 v76, v37, v76
	v_div_scale_f32 v37, s14, v30, v34, v30
	s_delay_alu instid0(VALU_DEP_3) | instskip(SKIP_2) | instid1(VALU_DEP_4)
	v_dual_mul_f32 v41, 0xbfb8aa3b, v75 :: v_dual_cndmask_b32 v26, 0, v26
	v_cmp_ngt_f32_e32 vcc_lo, 0xc2b17218, v36
	v_fmac_f32_e32 v35, v39, v40
	v_mul_f32_e32 v39, v37, v76
	s_delay_alu instid0(VALU_DEP_4)
	v_rndne_f32_e32 v77, v41
	v_fma_mix_f32 v79, v3, s72, -v41 op_sel_hi:[1,0,0]
	v_cndmask_b32_e32 v26, 0x7f800000, v26, vcc_lo
	v_div_fixup_f32 v25, v25, v31, v27
	v_fma_f32 v80, -v81, v39, v37
	v_sub_f32_e32 v41, v41, v77
	v_fma_mix_f32 v79, v3, s73, v79 op_sel_hi:[1,0,0]
	v_add_f32_e32 v27, 1.0, v26
	v_fma_f32 v26, -v38, v35, v78
	v_fmac_f32_e32 v39, v80, v76
	s_mov_b32 vcc_lo, s16
	v_add_f32_e32 v31, v41, v79
	v_div_scale_f32 v38, null, v27, v27, v36
	v_lshrrev_b32_e32 v41, 16, v4
	v_div_fmas_f32 v26, v26, v40, v35
	v_fma_f32 v35, -v81, v39, v37
	v_exp_f32_e32 v31, v31
	v_rcp_f32_e32 v37, v38
	v_cvt_f32_f16_e32 v40, v41
	s_mov_b32 vcc_lo, s14
	v_cmp_ngt_f32_e64 s14, 0xc2b17218, v75
	v_div_fmas_f32 v35, v35, v76, v39
	v_cvt_i32_f32_e32 v39, v77
	v_mul_f32_e32 v41, 0xbfb8aa3b, v40
	v_div_fixup_f32 v76, v26, v33, v32
	v_cmp_nlt_f32_e32 vcc_lo, 0x42ce8ed0, v75
	v_div_fixup_f32 v26, v35, v34, v30
	v_ldexp_f32 v30, v31, v39
	v_fma_f32 v31, -v38, v37, 1.0
	v_rndne_f32_e32 v32, v41
	v_fma_mix_f32 v33, v4, s72, -v41 op_sel:[1,0,0] op_sel_hi:[1,0,0]
	v_lshrrev_b32_e32 v80, 16, v5
	s_delay_alu instid0(VALU_DEP_4) | instskip(NEXT) | instid1(VALU_DEP_4)
	v_dual_cndmask_b32 v30, 0, v30 :: v_dual_fmac_f32 v37, v31, v37
	v_sub_f32_e32 v31, v41, v32
	s_delay_alu instid0(VALU_DEP_4) | instskip(SKIP_1) | instid1(VALU_DEP_4)
	v_fma_mix_f32 v33, v4, s73, v33 op_sel:[1,0,0] op_sel_hi:[1,0,0]
	v_div_scale_f32 v34, vcc_lo, v36, v27, v36
	v_cndmask_b32_e64 v30, 0x7f800000, v30, s14
	v_cvt_i32_f32_e32 v32, v32
	s_delay_alu instid0(VALU_DEP_4) | instskip(SKIP_1) | instid1(VALU_DEP_4)
	v_add_f32_e32 v31, v31, v33
	v_cvt_f32_f16_e32 v33, v4
	v_dual_mul_f32 v35, v34, v37 :: v_dual_add_f32 v30, 1.0, v30
	v_cmp_nlt_f32_e64 s14, 0x42ce8ed0, v40
	s_delay_alu instid0(VALU_DEP_4) | instskip(NEXT) | instid1(VALU_DEP_3)
	v_exp_f32_e32 v31, v31
	v_mul_f32_e32 v39, 0xbfb8aa3b, v33
	s_delay_alu instid0(VALU_DEP_3) | instskip(SKIP_2) | instid1(VALU_DEP_4)
	v_fma_f32 v41, -v38, v35, v34
	v_div_scale_f32 v77, null, v30, v30, v75
	v_cmp_nlt_f32_e64 s16, 0x42ce8ed0, v33
	v_rndne_f32_e32 v78, v39
	v_fma_mix_f32 v79, v4, s72, -v39 op_sel_hi:[1,0,0]
	s_delay_alu instid0(VALU_DEP_4) | instskip(SKIP_1) | instid1(TRANS32_DEP_2)
	v_rcp_f32_e32 v81, v77
	v_fmac_f32_e32 v35, v41, v37
	v_ldexp_f32 v31, v31, v32
	v_sub_f32_e32 v32, v39, v78
	v_fma_mix_f32 v39, v4, s73, v79 op_sel_hi:[1,0,0]
	v_cvt_f32_f16_e32 v79, v80
	v_fma_f32 v34, -v38, v35, v34
	v_cndmask_b32_e64 v31, 0, v31, s14
	v_cmp_ngt_f32_e64 s14, 0xc2b17218, v40
	v_add_f32_e32 v32, v32, v39
	v_mul_f32_e32 v39, 0xbfb8aa3b, v79
	v_fma_f32 v41, -v77, v81, 1.0
	v_fma_mixlo_f16 v26, v100, v26, 0
	v_cndmask_b32_e64 v31, 0x7f800000, v31, s14
	v_exp_f32_e32 v32, v32
	v_rndne_f32_e32 v80, v39
	v_fma_mix_f32 v82, v5, s72, -v39 op_sel:[1,0,0] op_sel_hi:[1,0,0]
	v_fmac_f32_e32 v81, v41, v81
	v_cvt_i32_f32_e32 v41, v78
	v_add_f32_e32 v31, 1.0, v31
	v_sub_f32_e32 v39, v39, v80
	v_fma_mix_f32 v78, v5, s73, v82 op_sel:[1,0,0] op_sel_hi:[1,0,0]
	v_cvt_i32_f32_e32 v38, v80
	v_cvt_f32_f16_e32 v80, v5
	v_ldexp_f32 v32, v32, v41
	v_div_scale_f32 v82, s14, v75, v30, v75
	v_add_f32_e32 v39, v39, v78
	v_div_scale_f32 v41, null, v31, v31, v40
	s_delay_alu instid0(VALU_DEP_4) | instskip(SKIP_1) | instid1(VALU_DEP_4)
	v_cndmask_b32_e64 v32, 0, v32, s16
	v_cmp_ngt_f32_e64 s16, 0xc2b17218, v33
	v_exp_f32_e32 v39, v39
	v_mul_f32_e32 v78, v82, v81
	v_fma_mixlo_f16 v25, v101, v25, 0
	v_rcp_f32_e32 v83, v41
	v_cndmask_b32_e64 v32, 0x7f800000, v32, s16
	v_cmp_nlt_f32_e64 s16, 0x42ce8ed0, v79
	v_fma_f32 v84, -v77, v78, v82
	v_div_fmas_f32 v34, v34, v37, v35
	s_mov_b32 vcc_lo, s14
	v_add_f32_e32 v32, 1.0, v32
	v_ldexp_f32 v38, v39, v38
	v_dual_mul_f32 v39, 0xbfb8aa3b, v80 :: v_dual_fmac_f32 v78, v84, v81
	s_delay_alu instid0(TRANS32_DEP_1) | instskip(NEXT) | instid1(VALU_DEP_4)
	v_fma_f32 v84, -v41, v83, 1.0
	v_div_scale_f32 v97, null, v32, v32, v33
	s_delay_alu instid0(VALU_DEP_3) | instskip(SKIP_2) | instid1(VALU_DEP_4)
	v_rndne_f32_e32 v99, v39
	v_fma_mix_f32 v100, v5, s72, -v39 op_sel_hi:[1,0,0]
	v_cndmask_b32_e64 v38, 0, v38, s16
	v_rcp_f32_e32 v101, v97
	v_cmp_ngt_f32_e64 s16, 0xc2b17218, v79
	v_sub_f32_e32 v39, v39, v99
	v_fma_mix_f32 v100, v5, s73, v100 op_sel_hi:[1,0,0]
	v_fma_f32 v35, -v77, v78, v82
	v_fmac_f32_e32 v83, v84, v83
	v_cndmask_b32_e64 v38, 0x7f800000, v38, s16
	v_div_scale_f32 v84, s14, v33, v32, v33
	v_add_f32_e32 v37, v39, v100
	s_delay_alu instid0(TRANS32_DEP_1) | instskip(NEXT) | instid1(VALU_DEP_4)
	v_fma_f32 v77, -v97, v101, 1.0
	v_add_f32_e32 v38, 1.0, v38
	v_div_scale_f32 v39, s16, v40, v31, v40
	s_delay_alu instid0(VALU_DEP_4) | instskip(NEXT) | instid1(VALU_DEP_3)
	v_exp_f32_e32 v37, v37
	v_fmac_f32_e32 v101, v77, v101
	s_delay_alu instid0(VALU_DEP_3) | instskip(SKIP_3) | instid1(VALU_DEP_4)
	v_div_scale_f32 v82, null, v38, v38, v79
	v_cvt_i32_f32_e32 v77, v99
	v_div_fmas_f32 v35, v35, v81, v78
	v_mul_f32_e32 v78, v39, v83
	v_rcp_f32_e32 v81, v82
	v_div_fixup_f32 v34, v34, v27, v36
	v_cmp_nlt_f32_e32 vcc_lo, 0x42ce8ed0, v80
	s_delay_alu instid0(TRANS32_DEP_2)
	v_ldexp_f32 v27, v37, v77
	v_div_fixup_f32 v30, v35, v30, v75
	v_fma_f32 v35, -v41, v78, v39
	v_mul_f32_e32 v36, v84, v101
	v_fma_mixlo_f16 v24, v103, v24, 0
	v_cndmask_b32_e32 v27, 0, v27, vcc_lo
	v_cmp_ngt_f32_e32 vcc_lo, 0xc2b17218, v80
	v_fma_f32 v37, -v82, v81, 1.0
	v_fmac_f32_e32 v78, v35, v83
	v_fma_f32 v35, -v97, v36, v84
	v_fma_mixhi_f16 v26, v92, v76, 0
	v_cndmask_b32_e32 v75, 0x7f800000, v27, vcc_lo
	v_fmac_f32_e32 v81, v37, v81
	v_div_scale_f32 v37, s17, v79, v38, v79
	v_fma_mixlo_f16 v27, v98, v30, 0
	s_delay_alu instid0(VALU_DEP_4)
	v_add_f32_e32 v30, 1.0, v75
	v_fma_f32 v39, -v41, v78, v39
	v_fmac_f32_e32 v36, v35, v101
	v_lshrrev_b32_e32 v75, 16, v6
	s_mov_b32 vcc_lo, s16
	v_mul_f32_e32 v35, v37, v81
	v_div_fmas_f32 v39, v39, v83, v78
	v_fma_f32 v77, -v97, v36, v84
	v_cvt_f32_f16_e32 v75, v75
	s_mov_b32 vcc_lo, s14
	v_fma_f32 v78, -v82, v35, v37
	v_div_fixup_f32 v39, v39, v31, v40
	v_div_fmas_f32 v36, v77, v101, v36
	v_cvt_f32_f16_e32 v77, v6
	v_mul_f32_e32 v31, 0xbfb8aa3b, v75
	v_div_scale_f32 v41, null, v30, v30, v80
	v_fmac_f32_e32 v35, v78, v81
	v_div_fixup_f32 v32, v36, v32, v33
	v_mul_f32_e32 v33, 0xbfb8aa3b, v77
	v_rndne_f32_e32 v40, v31
	v_fma_mix_f32 v78, v6, s72, -v31 op_sel:[1,0,0] op_sel_hi:[1,0,0]
	v_rcp_f32_e32 v83, v41
	v_fma_f32 v36, -v82, v35, v37
	v_rndne_f32_e32 v82, v33
	v_lshrrev_b32_e32 v84, 16, v7
	v_fma_mix_f32 v97, v6, s72, -v33 op_sel_hi:[1,0,0]
	v_sub_f32_e32 v31, v31, v40
	v_fma_mix_f32 v78, v6, s73, v78 op_sel:[1,0,0] op_sel_hi:[1,0,0]
	v_sub_f32_e32 v33, v33, v82
	v_cvt_f32_f16_e32 v84, v84
	v_fma_mix_f32 v97, v6, s73, v97 op_sel_hi:[1,0,0]
	s_mov_b32 vcc_lo, s17
	v_add_f32_e32 v31, v31, v78
	v_fma_f32 v37, -v41, v83, 1.0
	v_div_fmas_f32 v35, v36, v81, v35
	v_dual_mul_f32 v36, 0xbfb8aa3b, v84 :: v_dual_add_f32 v33, v33, v97
	s_delay_alu instid0(VALU_DEP_4) | instskip(NEXT) | instid1(VALU_DEP_3)
	v_exp_f32_e32 v31, v31
	v_fmac_f32_e32 v83, v37, v83
	v_cvt_f32_f16_e32 v37, v7
	s_delay_alu instid0(VALU_DEP_3) | instskip(SKIP_3) | instid1(VALU_DEP_3)
	v_rndne_f32_e32 v78, v36
	v_fma_mix_f32 v81, v7, s72, -v36 op_sel:[1,0,0] op_sel_hi:[1,0,0]
	v_exp_f32_e32 v33, v33
	v_cvt_i32_f32_e32 v40, v40
	v_dual_mul_f32 v97, 0xbfb8aa3b, v37 :: v_dual_sub_f32 v36, v36, v78
	s_delay_alu instid0(VALU_DEP_3) | instskip(SKIP_1) | instid1(VALU_DEP_4)
	v_fma_mix_f32 v81, v7, s73, v81 op_sel:[1,0,0] op_sel_hi:[1,0,0]
	v_cvt_i32_f32_e32 v82, v82
	v_ldexp_f32 v31, v31, v40
	v_cmp_nlt_f32_e32 vcc_lo, 0x42ce8ed0, v75
	v_rndne_f32_e32 v98, v97
	v_fma_mix_f32 v99, v7, s72, -v97 op_sel_hi:[1,0,0]
	v_add_f32_e32 v36, v36, v81
	v_ldexp_f32 v33, v33, v82
	v_cndmask_b32_e32 v31, 0, v31, vcc_lo
	v_cmp_nlt_f32_e32 vcc_lo, 0x42ce8ed0, v77
	v_sub_f32_e32 v40, v97, v98
	v_fma_mix_f32 v81, v7, s73, v99 op_sel_hi:[1,0,0]
	v_exp_f32_e32 v36, v36
	v_cvt_i32_f32_e32 v78, v78
	v_cndmask_b32_e32 v33, 0, v33, vcc_lo
	v_cmp_ngt_f32_e32 vcc_lo, 0xc2b17218, v75
	v_add_f32_e32 v40, v40, v81
	v_div_fixup_f32 v35, v35, v38, v79
	v_fma_mixhi_f16 v27, v91, v34, 0
	v_fma_mixhi_f16 v25, v96, v29, 0
	v_cndmask_b32_e32 v31, 0x7f800000, v31, vcc_lo
	v_cmp_ngt_f32_e32 vcc_lo, 0xc2b17218, v77
	v_exp_f32_e32 v40, v40
	v_ldexp_f32 v36, v36, v78
	v_fma_mixhi_f16 v24, v95, v28, 0
	v_dual_add_f32 v78, 1.0, v31 :: v_dual_cndmask_b32 v33, 0x7f800000, v33
	v_cmp_nlt_f32_e32 vcc_lo, 0x42ce8ed0, v84
	v_cvt_i32_f32_e32 v31, v98
	s_delay_alu instid0(VALU_DEP_3)
	v_div_scale_f32 v81, null, v78, v78, v75
	v_cndmask_b32_e32 v36, 0, v36, vcc_lo
	v_cmp_ngt_f32_e32 vcc_lo, 0xc2b17218, v84
	s_delay_alu instid0(TRANS32_DEP_1) | instid1(VALU_DEP_4)
	v_ldexp_f32 v31, v40, v31
	v_add_f32_e32 v33, 1.0, v33
	v_rcp_f32_e32 v40, v81
	v_cndmask_b32_e32 v36, 0x7f800000, v36, vcc_lo
	v_cmp_nlt_f32_e32 vcc_lo, 0x42ce8ed0, v37
	s_delay_alu instid0(VALU_DEP_3) | instskip(NEXT) | instid1(VALU_DEP_3)
	v_div_scale_f32 v82, null, v33, v33, v77
	v_dual_add_f32 v36, 1.0, v36 :: v_dual_cndmask_b32 v31, 0, v31
	v_cmp_ngt_f32_e32 vcc_lo, 0xc2b17218, v37
	s_delay_alu instid0(VALU_DEP_3) | instskip(NEXT) | instid1(TRANS32_DEP_2)
	v_rcp_f32_e32 v99, v82
	v_fma_f32 v100, -v81, v40, 1.0
	s_delay_alu instid0(VALU_DEP_3) | instskip(SKIP_2) | instid1(VALU_DEP_3)
	v_div_scale_f32 v97, null, v36, v36, v84
	v_cndmask_b32_e32 v31, 0x7f800000, v31, vcc_lo
	v_div_scale_f32 v98, vcc_lo, v80, v30, v80
	v_rcp_f32_e32 v101, v97
	s_delay_alu instid0(VALU_DEP_2) | instskip(NEXT) | instid1(VALU_DEP_2)
	v_dual_fmac_f32 v40, v100, v40 :: v_dual_add_f32 v31, 1.0, v31
	v_mul_f32_e32 v102, v98, v83
	v_div_scale_f32 v100, s14, v75, v78, v75
	s_delay_alu instid0(TRANS32_DEP_2) | instskip(NEXT) | instid1(VALU_DEP_4)
	v_fma_f32 v104, -v82, v99, 1.0
	v_div_scale_f32 v103, null, v31, v31, v37
	s_delay_alu instid0(VALU_DEP_4) | instskip(NEXT) | instid1(TRANS32_DEP_1)
	v_fma_f32 v106, -v41, v102, v98
	v_fma_f32 v107, -v97, v101, 1.0
	v_mul_f32_e32 v108, v100, v40
	s_delay_alu instid0(VALU_DEP_4)
	v_rcp_f32_e32 v105, v103
	v_fmac_f32_e32 v99, v104, v99
	v_div_scale_f32 v104, s16, v77, v33, v77
	v_fmac_f32_e32 v101, v107, v101
	v_div_scale_f32 v107, s17, v84, v36, v84
	v_fmac_f32_e32 v102, v106, v83
	v_fma_f32 v106, -v81, v108, v100
	v_mul_f32_e32 v110, v104, v99
	s_delay_alu instid0(TRANS32_DEP_1)
	v_fma_f32 v109, -v103, v105, 1.0
	v_mul_f32_e32 v111, v107, v101
	v_fma_f32 v41, -v41, v102, v98
	v_fmac_f32_e32 v108, v106, v40
	v_fma_f32 v98, -v82, v110, v104
	v_fmac_f32_e32 v105, v109, v105
	v_div_scale_f32 v109, s18, v37, v31, v37
	v_fma_f32 v106, -v97, v111, v107
	v_div_fmas_f32 v41, v41, v83, v102
	v_fma_f32 v81, -v81, v108, v100
	s_delay_alu instid0(VALU_DEP_4)
	v_mul_f32_e32 v112, v109, v105
	v_fmac_f32_e32 v110, v98, v99
	v_fmac_f32_e32 v111, v106, v101
	s_mov_b32 vcc_lo, s14
	v_div_fixup_f32 v41, v41, v30, v80
	v_fma_f32 v83, -v103, v112, v109
	v_div_fmas_f32 v40, v81, v40, v108
	v_fma_f32 v81, -v82, v110, v104
	v_fma_f32 v82, -v97, v111, v107
	s_mov_b32 vcc_lo, s16
	v_fmac_f32_e32 v112, v83, v105
	v_fma_mixlo_f16 v30, v93, v32, 0
	v_div_fmas_f32 v81, v81, v99, v110
	s_mov_b32 vcc_lo, s17
	s_delay_alu instid0(VALU_DEP_3)
	v_fma_f32 v83, -v103, v112, v109
	v_div_fmas_f32 v82, v82, v101, v111
	s_mov_b32 vcc_lo, s18
	v_div_fixup_f32 v32, v81, v33, v77
	v_fma_mixhi_f16 v30, v88, v39, 0
	v_div_fmas_f32 v83, v83, v105, v112
	v_div_fixup_f32 v36, v82, v36, v84
	s_delay_alu instid0(VALU_DEP_4) | instskip(NEXT) | instid1(VALU_DEP_3)
	v_fma_mixlo_f16 v32, v89, v32, 0
	v_div_fixup_f32 v33, v83, v31, v37
	v_fma_mixlo_f16 v31, v90, v41, 0
	v_div_fixup_f32 v37, v40, v78, v75
	s_delay_alu instid0(VALU_DEP_3) | instskip(NEXT) | instid1(VALU_DEP_3)
	v_fma_mixlo_f16 v33, v87, v33, 0
	v_fma_mixhi_f16 v31, v86, v35, 0
	s_delay_alu instid0(VALU_DEP_3) | instskip(NEXT) | instid1(VALU_DEP_3)
	v_fma_mixhi_f16 v32, v85, v37, 0
	v_fma_mixhi_f16 v33, v94, v36, 0
	ds_store_b128 v45, v[24:27]
	ds_store_b128 v45, v[30:33] offset:16
	; wave barrier
	ds_load_b128 v[24:27], v43
	ds_load_b128 v[28:31], v44 offset:512
	v_add_co_u32 v32, vcc_lo, v56, s20
	v_add_co_ci_u32_e32 v33, vcc_lo, s21, v57, vcc_lo
	s_waitcnt lgkmcnt(1)
	v_lshrrev_b32_e32 v36, 16, v27
	v_alignbit_b32 v35, v26, v25, 16
	v_alignbit_b32 v34, v25, v24, 16
	;; [unrolled: 1-line block ×3, first 2 shown]
	s_clause 0x3
	global_store_b16 v[32:33], v24, off
	global_store_b16 v[32:33], v36, off offset:14
	global_store_b32 v[32:33], v25, off offset:10
	global_store_b64 v[32:33], v[34:35], off offset:2
	s_waitcnt lgkmcnt(0)
	global_store_b128 v[32:33], v[28:31], off offset:512
	s_cbranch_scc1 .LBB89_90
.LBB89_12:                              ; =>This Loop Header: Depth=1
                                        ;     Child Loop BB89_55 Depth 2
	v_add_co_u32 v24, s14, s51, v73
	s_delay_alu instid0(VALU_DEP_1) | instskip(NEXT) | instid1(VALU_DEP_2)
	v_add_co_ci_u32_e64 v25, null, s55, 0, s14
	v_add_co_u32 v24, vcc_lo, v24, v74
	s_delay_alu instid0(VALU_DEP_2)
	v_add_co_ci_u32_e32 v25, vcc_lo, 0, v25, vcc_lo
	s_waitcnt_vscnt null, 0x0
	s_barrier
	buffer_gl0_inv
	s_and_saveexec_b32 s14, s0
	s_cbranch_execz .LBB89_14
; %bb.13:                               ;   in Loop: Header=BB89_12 Depth=1
	global_load_b128 v[20:23], v[24:25], off
.LBB89_14:                              ;   in Loop: Header=BB89_12 Depth=1
	s_or_b32 exec_lo, exec_lo, s14
	s_and_saveexec_b32 s14, s1
	s_cbranch_execz .LBB89_16
; %bb.15:                               ;   in Loop: Header=BB89_12 Depth=1
	global_load_b128 v[16:19], v[24:25], off offset:512
.LBB89_16:                              ;   in Loop: Header=BB89_12 Depth=1
	s_or_b32 exec_lo, exec_lo, s14
	s_waitcnt vmcnt(0)
	ds_store_b128 v43, v[20:23]
	ds_store_b128 v44, v[16:19] offset:512
	; wave barrier
	ds_load_b128 v[20:23], v45
	ds_load_b128 v[16:19], v45 offset:16
	v_add_co_u32 v24, s14, s59, v73
	s_delay_alu instid0(VALU_DEP_1) | instskip(SKIP_1) | instid1(VALU_DEP_2)
	v_add_co_ci_u32_e64 v25, null, s44, 0, s14
	s_waitcnt lgkmcnt(0)
	v_add_co_u32 v24, vcc_lo, v24, v74
	s_delay_alu instid0(VALU_DEP_2)
	v_add_co_ci_u32_e32 v25, vcc_lo, 0, v25, vcc_lo
	s_barrier
	buffer_gl0_inv
	s_and_saveexec_b32 s14, s0
	s_cbranch_execz .LBB89_18
; %bb.17:                               ;   in Loop: Header=BB89_12 Depth=1
	global_load_b128 v[12:15], v[24:25], off
.LBB89_18:                              ;   in Loop: Header=BB89_12 Depth=1
	s_or_b32 exec_lo, exec_lo, s14
	s_and_saveexec_b32 s14, s1
	s_cbranch_execz .LBB89_20
; %bb.19:                               ;   in Loop: Header=BB89_12 Depth=1
	global_load_b128 v[8:11], v[24:25], off offset:512
.LBB89_20:                              ;   in Loop: Header=BB89_12 Depth=1
	s_or_b32 exec_lo, exec_lo, s14
	s_waitcnt vmcnt(0)
	ds_store_b128 v43, v[12:15]
	ds_store_b128 v44, v[8:11] offset:512
	; wave barrier
	ds_load_b128 v[12:15], v45
	ds_load_b128 v[8:11], v45 offset:16
	s_waitcnt lgkmcnt(1)
	v_cvt_f32_f16_e32 v24, v12
	s_delay_alu instid0(VALU_DEP_1) | instskip(NEXT) | instid1(VALU_DEP_1)
	v_add_f32_e32 v75, s57, v24
	v_cmp_ge_f32_e32 vcc_lo, 0x41a00000, v75
	s_and_b32 s14, s67, vcc_lo
	s_delay_alu instid0(SALU_CYCLE_1)
	s_and_saveexec_b32 s16, s14
	s_cbranch_execz .LBB89_22
; %bb.21:                               ;   in Loop: Header=BB89_12 Depth=1
	v_mul_f32_e32 v24, 0x3fb8aa3b, v75
	v_cmp_ngt_f32_e32 vcc_lo, 0xc2ce8ed0, v75
	s_delay_alu instid0(VALU_DEP_2) | instskip(SKIP_1) | instid1(VALU_DEP_2)
	v_rndne_f32_e32 v25, v24
	v_fma_f32 v26, 0x3fb8aa3b, v75, -v24
	v_sub_f32_e32 v24, v24, v25
	s_delay_alu instid0(VALU_DEP_2) | instskip(SKIP_1) | instid1(VALU_DEP_2)
	v_fmac_f32_e32 v26, 0x32a5705f, v75
	v_cvt_i32_f32_e32 v25, v25
	v_add_f32_e32 v24, v24, v26
	s_delay_alu instid0(VALU_DEP_1) | instskip(SKIP_2) | instid1(VALU_DEP_1)
	v_exp_f32_e32 v24, v24
	s_waitcnt_depctr 0xfff
	v_ldexp_f32 v24, v24, v25
	v_cndmask_b32_e32 v24, 0, v24, vcc_lo
	v_cmp_nlt_f32_e32 vcc_lo, 0x42b17218, v75
	s_delay_alu instid0(VALU_DEP_2) | instskip(NEXT) | instid1(VALU_DEP_1)
	v_cndmask_b32_e32 v26, 0x7f800000, v24, vcc_lo
	v_add_f32_e32 v27, 1.0, v26
	s_delay_alu instid0(VALU_DEP_1) | instskip(NEXT) | instid1(VALU_DEP_1)
	v_cvt_f64_f32_e32 v[24:25], v27
	v_frexp_exp_i32_f64_e32 v24, v[24:25]
	v_frexp_mant_f32_e32 v25, v27
	s_delay_alu instid0(VALU_DEP_1) | instskip(SKIP_1) | instid1(VALU_DEP_1)
	v_cmp_gt_f32_e32 vcc_lo, 0x3f2aaaab, v25
	v_add_f32_e32 v25, -1.0, v27
	v_sub_f32_e32 v29, v25, v27
	v_sub_f32_e32 v25, v26, v25
	s_delay_alu instid0(VALU_DEP_2) | instskip(NEXT) | instid1(VALU_DEP_1)
	v_add_f32_e32 v29, 1.0, v29
	v_add_f32_e32 v25, v25, v29
	v_cmp_gt_f32_e64 s14, 0x33800000, v26
	v_subrev_co_ci_u32_e32 v24, vcc_lo, 0, v24, vcc_lo
	v_cmp_eq_f32_e32 vcc_lo, 0x7f800000, v26
	s_delay_alu instid0(VALU_DEP_2) | instskip(SKIP_2) | instid1(VALU_DEP_2)
	v_sub_nc_u32_e32 v28, 0, v24
	v_cvt_f32_i32_e32 v24, v24
	s_or_b32 vcc_lo, s14, vcc_lo
	v_ldexp_f32 v27, v27, v28
	v_ldexp_f32 v25, v25, v28
	s_delay_alu instid0(VALU_DEP_2) | instskip(NEXT) | instid1(VALU_DEP_1)
	v_add_f32_e32 v30, 1.0, v27
	v_dual_add_f32 v28, -1.0, v27 :: v_dual_add_f32 v29, -1.0, v30
	s_delay_alu instid0(VALU_DEP_1) | instskip(NEXT) | instid1(VALU_DEP_2)
	v_add_f32_e32 v31, 1.0, v28
	v_sub_f32_e32 v29, v27, v29
	s_delay_alu instid0(VALU_DEP_2) | instskip(NEXT) | instid1(VALU_DEP_2)
	v_sub_f32_e32 v27, v27, v31
	v_add_f32_e32 v29, v25, v29
	s_delay_alu instid0(VALU_DEP_2) | instskip(NEXT) | instid1(VALU_DEP_1)
	v_add_f32_e32 v25, v25, v27
	v_add_f32_e32 v32, v28, v25
	s_delay_alu instid0(VALU_DEP_1) | instskip(NEXT) | instid1(VALU_DEP_1)
	v_dual_add_f32 v31, v30, v29 :: v_dual_sub_f32 v28, v28, v32
	v_rcp_f32_e32 v27, v31
	v_sub_f32_e32 v30, v30, v31
	s_delay_alu instid0(VALU_DEP_1) | instskip(SKIP_2) | instid1(VALU_DEP_1)
	v_add_f32_e32 v29, v29, v30
	s_waitcnt_depctr 0xfff
	v_mul_f32_e32 v33, v32, v27
	v_mul_f32_e32 v34, v31, v33
	s_delay_alu instid0(VALU_DEP_1) | instskip(NEXT) | instid1(VALU_DEP_1)
	v_fma_f32 v30, v33, v31, -v34
	v_fmac_f32_e32 v30, v33, v29
	s_delay_alu instid0(VALU_DEP_1) | instskip(NEXT) | instid1(VALU_DEP_1)
	v_add_f32_e32 v35, v34, v30
	v_sub_f32_e32 v36, v32, v35
	s_delay_alu instid0(VALU_DEP_1) | instskip(SKIP_1) | instid1(VALU_DEP_2)
	v_sub_f32_e32 v32, v32, v36
	v_dual_add_f32 v25, v25, v28 :: v_dual_sub_f32 v28, v35, v34
	v_sub_f32_e32 v32, v32, v35
	s_delay_alu instid0(VALU_DEP_1) | instskip(NEXT) | instid1(VALU_DEP_1)
	v_dual_sub_f32 v28, v28, v30 :: v_dual_add_f32 v25, v25, v32
	v_add_f32_e32 v25, v28, v25
	s_delay_alu instid0(VALU_DEP_1) | instskip(NEXT) | instid1(VALU_DEP_1)
	v_add_f32_e32 v28, v36, v25
	v_mul_f32_e32 v30, v27, v28
	s_delay_alu instid0(VALU_DEP_1) | instskip(NEXT) | instid1(VALU_DEP_1)
	v_dual_sub_f32 v35, v36, v28 :: v_dual_mul_f32 v32, v31, v30
	v_add_f32_e32 v25, v25, v35
	s_delay_alu instid0(VALU_DEP_2) | instskip(NEXT) | instid1(VALU_DEP_1)
	v_fma_f32 v31, v30, v31, -v32
	v_fmac_f32_e32 v31, v30, v29
	s_delay_alu instid0(VALU_DEP_1) | instskip(NEXT) | instid1(VALU_DEP_1)
	v_add_f32_e32 v29, v32, v31
	v_sub_f32_e32 v34, v28, v29
	s_delay_alu instid0(VALU_DEP_1) | instskip(NEXT) | instid1(VALU_DEP_1)
	v_sub_f32_e32 v28, v28, v34
	v_sub_f32_e32 v28, v28, v29
	s_delay_alu instid0(VALU_DEP_1) | instskip(SKIP_2) | instid1(VALU_DEP_1)
	v_add_f32_e32 v25, v25, v28
	v_add_f32_e32 v28, v33, v30
	v_sub_f32_e32 v32, v29, v32
	v_sub_f32_e32 v29, v32, v31
	s_delay_alu instid0(VALU_DEP_1) | instskip(NEXT) | instid1(VALU_DEP_4)
	v_add_f32_e32 v25, v29, v25
	v_sub_f32_e32 v29, v28, v33
	s_delay_alu instid0(VALU_DEP_2) | instskip(NEXT) | instid1(VALU_DEP_2)
	v_add_f32_e32 v25, v34, v25
	v_sub_f32_e32 v29, v30, v29
	s_delay_alu instid0(VALU_DEP_2) | instskip(NEXT) | instid1(VALU_DEP_1)
	v_mul_f32_e32 v25, v27, v25
	v_add_f32_e32 v25, v29, v25
	s_delay_alu instid0(VALU_DEP_1) | instskip(NEXT) | instid1(VALU_DEP_1)
	v_add_f32_e32 v27, v28, v25
	v_mul_f32_e32 v29, v27, v27
	s_delay_alu instid0(VALU_DEP_1) | instskip(SKIP_1) | instid1(VALU_DEP_2)
	v_fmaak_f32 v30, s54, v29, 0x3ecc95a3
	v_mul_f32_e32 v31, v27, v29
	v_fmaak_f32 v29, v29, v30, 0x3f2aaada
	v_ldexp_f32 v30, v27, 1
	s_delay_alu instid0(VALU_DEP_2) | instskip(SKIP_1) | instid1(VALU_DEP_2)
	v_mul_f32_e32 v29, v31, v29
	v_sub_f32_e32 v27, v27, v28
	v_dual_mul_f32 v31, 0x3f317218, v24 :: v_dual_add_f32 v28, v30, v29
	s_delay_alu instid0(VALU_DEP_2) | instskip(NEXT) | instid1(VALU_DEP_2)
	v_sub_f32_e32 v25, v25, v27
	v_sub_f32_e32 v27, v28, v30
	s_delay_alu instid0(VALU_DEP_3) | instskip(NEXT) | instid1(VALU_DEP_3)
	v_fma_f32 v30, 0x3f317218, v24, -v31
	v_ldexp_f32 v25, v25, 1
	s_delay_alu instid0(VALU_DEP_2) | instskip(NEXT) | instid1(VALU_DEP_1)
	v_dual_sub_f32 v27, v29, v27 :: v_dual_fmac_f32 v30, 0xb102e308, v24
	v_dual_add_f32 v24, v25, v27 :: v_dual_add_f32 v25, v31, v30
	s_delay_alu instid0(VALU_DEP_1) | instskip(NEXT) | instid1(VALU_DEP_1)
	v_add_f32_e32 v27, v28, v24
	v_dual_add_f32 v29, v25, v27 :: v_dual_sub_f32 v28, v27, v28
	s_delay_alu instid0(VALU_DEP_1) | instskip(NEXT) | instid1(VALU_DEP_2)
	v_sub_f32_e32 v32, v29, v25
	v_dual_sub_f32 v31, v25, v31 :: v_dual_sub_f32 v24, v24, v28
	s_delay_alu instid0(VALU_DEP_1) | instskip(SKIP_1) | instid1(VALU_DEP_2)
	v_dual_sub_f32 v33, v29, v32 :: v_dual_sub_f32 v30, v30, v31
	v_sub_f32_e32 v27, v27, v32
	v_dual_sub_f32 v25, v25, v33 :: v_dual_add_f32 v28, v30, v24
	s_delay_alu instid0(VALU_DEP_1) | instskip(NEXT) | instid1(VALU_DEP_2)
	v_add_f32_e32 v25, v27, v25
	v_sub_f32_e32 v27, v28, v30
	s_delay_alu instid0(VALU_DEP_2) | instskip(NEXT) | instid1(VALU_DEP_2)
	v_add_f32_e32 v25, v28, v25
	v_sub_f32_e32 v28, v28, v27
	s_delay_alu instid0(VALU_DEP_2) | instskip(NEXT) | instid1(VALU_DEP_1)
	v_dual_sub_f32 v24, v24, v27 :: v_dual_add_f32 v31, v29, v25
	v_dual_sub_f32 v28, v30, v28 :: v_dual_sub_f32 v27, v31, v29
	s_delay_alu instid0(VALU_DEP_1) | instskip(NEXT) | instid1(VALU_DEP_1)
	v_dual_add_f32 v24, v24, v28 :: v_dual_sub_f32 v25, v25, v27
	v_add_f32_e32 v24, v24, v25
	s_delay_alu instid0(VALU_DEP_1) | instskip(NEXT) | instid1(VALU_DEP_1)
	v_add_f32_e32 v24, v31, v24
	v_cndmask_b32_e32 v75, v24, v26, vcc_lo
.LBB89_22:                              ;   in Loop: Header=BB89_12 Depth=1
	s_or_b32 exec_lo, exec_lo, s16
	v_lshrrev_b32_e32 v24, 16, v12
	s_delay_alu instid0(VALU_DEP_1) | instskip(NEXT) | instid1(VALU_DEP_1)
	v_cvt_f32_f16_e32 v24, v24
	v_add_f32_e32 v76, s57, v24
	s_delay_alu instid0(VALU_DEP_1) | instskip(SKIP_1) | instid1(SALU_CYCLE_1)
	v_cmp_ge_f32_e32 vcc_lo, 0x41a00000, v76
	s_and_b32 s14, s67, vcc_lo
	s_and_saveexec_b32 s16, s14
	s_cbranch_execz .LBB89_24
; %bb.23:                               ;   in Loop: Header=BB89_12 Depth=1
	v_mul_f32_e32 v24, 0x3fb8aa3b, v76
	v_cmp_ngt_f32_e32 vcc_lo, 0xc2ce8ed0, v76
	s_delay_alu instid0(VALU_DEP_2) | instskip(SKIP_1) | instid1(VALU_DEP_2)
	v_rndne_f32_e32 v25, v24
	v_fma_f32 v26, 0x3fb8aa3b, v76, -v24
	v_sub_f32_e32 v24, v24, v25
	s_delay_alu instid0(VALU_DEP_2) | instskip(SKIP_1) | instid1(VALU_DEP_2)
	v_fmac_f32_e32 v26, 0x32a5705f, v76
	v_cvt_i32_f32_e32 v25, v25
	v_add_f32_e32 v24, v24, v26
	s_delay_alu instid0(VALU_DEP_1) | instskip(SKIP_2) | instid1(VALU_DEP_1)
	v_exp_f32_e32 v24, v24
	s_waitcnt_depctr 0xfff
	v_ldexp_f32 v24, v24, v25
	v_cndmask_b32_e32 v24, 0, v24, vcc_lo
	v_cmp_nlt_f32_e32 vcc_lo, 0x42b17218, v76
	s_delay_alu instid0(VALU_DEP_2) | instskip(NEXT) | instid1(VALU_DEP_1)
	v_cndmask_b32_e32 v26, 0x7f800000, v24, vcc_lo
	v_add_f32_e32 v27, 1.0, v26
	s_delay_alu instid0(VALU_DEP_1) | instskip(NEXT) | instid1(VALU_DEP_1)
	v_cvt_f64_f32_e32 v[24:25], v27
	v_frexp_exp_i32_f64_e32 v24, v[24:25]
	v_frexp_mant_f32_e32 v25, v27
	s_delay_alu instid0(VALU_DEP_1) | instskip(SKIP_1) | instid1(VALU_DEP_1)
	v_cmp_gt_f32_e32 vcc_lo, 0x3f2aaaab, v25
	v_add_f32_e32 v25, -1.0, v27
	v_sub_f32_e32 v29, v25, v27
	v_sub_f32_e32 v25, v26, v25
	s_delay_alu instid0(VALU_DEP_2) | instskip(NEXT) | instid1(VALU_DEP_1)
	v_add_f32_e32 v29, 1.0, v29
	v_add_f32_e32 v25, v25, v29
	v_cmp_gt_f32_e64 s14, 0x33800000, v26
	v_subrev_co_ci_u32_e32 v24, vcc_lo, 0, v24, vcc_lo
	v_cmp_eq_f32_e32 vcc_lo, 0x7f800000, v26
	s_delay_alu instid0(VALU_DEP_2) | instskip(SKIP_2) | instid1(VALU_DEP_2)
	v_sub_nc_u32_e32 v28, 0, v24
	v_cvt_f32_i32_e32 v24, v24
	s_or_b32 vcc_lo, s14, vcc_lo
	v_ldexp_f32 v27, v27, v28
	v_ldexp_f32 v25, v25, v28
	s_delay_alu instid0(VALU_DEP_2) | instskip(NEXT) | instid1(VALU_DEP_1)
	v_add_f32_e32 v30, 1.0, v27
	v_dual_add_f32 v28, -1.0, v27 :: v_dual_add_f32 v29, -1.0, v30
	s_delay_alu instid0(VALU_DEP_1) | instskip(NEXT) | instid1(VALU_DEP_2)
	v_add_f32_e32 v31, 1.0, v28
	v_sub_f32_e32 v29, v27, v29
	s_delay_alu instid0(VALU_DEP_2) | instskip(NEXT) | instid1(VALU_DEP_2)
	v_sub_f32_e32 v27, v27, v31
	v_add_f32_e32 v29, v25, v29
	s_delay_alu instid0(VALU_DEP_2) | instskip(NEXT) | instid1(VALU_DEP_1)
	v_add_f32_e32 v25, v25, v27
	v_add_f32_e32 v32, v28, v25
	s_delay_alu instid0(VALU_DEP_1) | instskip(NEXT) | instid1(VALU_DEP_1)
	v_dual_add_f32 v31, v30, v29 :: v_dual_sub_f32 v28, v28, v32
	v_rcp_f32_e32 v27, v31
	v_sub_f32_e32 v30, v30, v31
	s_delay_alu instid0(VALU_DEP_1) | instskip(SKIP_2) | instid1(VALU_DEP_1)
	v_add_f32_e32 v29, v29, v30
	s_waitcnt_depctr 0xfff
	v_mul_f32_e32 v33, v32, v27
	v_mul_f32_e32 v34, v31, v33
	s_delay_alu instid0(VALU_DEP_1) | instskip(NEXT) | instid1(VALU_DEP_1)
	v_fma_f32 v30, v33, v31, -v34
	v_fmac_f32_e32 v30, v33, v29
	s_delay_alu instid0(VALU_DEP_1) | instskip(NEXT) | instid1(VALU_DEP_1)
	v_add_f32_e32 v35, v34, v30
	v_sub_f32_e32 v36, v32, v35
	s_delay_alu instid0(VALU_DEP_1) | instskip(SKIP_1) | instid1(VALU_DEP_2)
	v_sub_f32_e32 v32, v32, v36
	v_dual_add_f32 v25, v25, v28 :: v_dual_sub_f32 v28, v35, v34
	v_sub_f32_e32 v32, v32, v35
	s_delay_alu instid0(VALU_DEP_1) | instskip(NEXT) | instid1(VALU_DEP_1)
	v_dual_sub_f32 v28, v28, v30 :: v_dual_add_f32 v25, v25, v32
	v_add_f32_e32 v25, v28, v25
	s_delay_alu instid0(VALU_DEP_1) | instskip(NEXT) | instid1(VALU_DEP_1)
	v_add_f32_e32 v28, v36, v25
	v_mul_f32_e32 v30, v27, v28
	s_delay_alu instid0(VALU_DEP_1) | instskip(NEXT) | instid1(VALU_DEP_1)
	v_dual_sub_f32 v35, v36, v28 :: v_dual_mul_f32 v32, v31, v30
	v_add_f32_e32 v25, v25, v35
	s_delay_alu instid0(VALU_DEP_2) | instskip(NEXT) | instid1(VALU_DEP_1)
	v_fma_f32 v31, v30, v31, -v32
	v_fmac_f32_e32 v31, v30, v29
	s_delay_alu instid0(VALU_DEP_1) | instskip(NEXT) | instid1(VALU_DEP_1)
	v_add_f32_e32 v29, v32, v31
	v_sub_f32_e32 v34, v28, v29
	s_delay_alu instid0(VALU_DEP_1) | instskip(NEXT) | instid1(VALU_DEP_1)
	v_sub_f32_e32 v28, v28, v34
	v_sub_f32_e32 v28, v28, v29
	s_delay_alu instid0(VALU_DEP_1) | instskip(SKIP_2) | instid1(VALU_DEP_1)
	v_add_f32_e32 v25, v25, v28
	v_add_f32_e32 v28, v33, v30
	v_sub_f32_e32 v32, v29, v32
	v_sub_f32_e32 v29, v32, v31
	s_delay_alu instid0(VALU_DEP_1) | instskip(NEXT) | instid1(VALU_DEP_4)
	v_add_f32_e32 v25, v29, v25
	v_sub_f32_e32 v29, v28, v33
	s_delay_alu instid0(VALU_DEP_2) | instskip(NEXT) | instid1(VALU_DEP_2)
	v_add_f32_e32 v25, v34, v25
	v_sub_f32_e32 v29, v30, v29
	s_delay_alu instid0(VALU_DEP_2) | instskip(NEXT) | instid1(VALU_DEP_1)
	v_mul_f32_e32 v25, v27, v25
	v_add_f32_e32 v25, v29, v25
	s_delay_alu instid0(VALU_DEP_1) | instskip(NEXT) | instid1(VALU_DEP_1)
	v_add_f32_e32 v27, v28, v25
	v_mul_f32_e32 v29, v27, v27
	s_delay_alu instid0(VALU_DEP_1) | instskip(SKIP_1) | instid1(VALU_DEP_2)
	v_fmaak_f32 v30, s54, v29, 0x3ecc95a3
	v_mul_f32_e32 v31, v27, v29
	v_fmaak_f32 v29, v29, v30, 0x3f2aaada
	v_ldexp_f32 v30, v27, 1
	s_delay_alu instid0(VALU_DEP_2) | instskip(SKIP_1) | instid1(VALU_DEP_2)
	v_mul_f32_e32 v29, v31, v29
	v_sub_f32_e32 v27, v27, v28
	v_dual_mul_f32 v31, 0x3f317218, v24 :: v_dual_add_f32 v28, v30, v29
	s_delay_alu instid0(VALU_DEP_2) | instskip(NEXT) | instid1(VALU_DEP_2)
	v_sub_f32_e32 v25, v25, v27
	v_sub_f32_e32 v27, v28, v30
	s_delay_alu instid0(VALU_DEP_3) | instskip(NEXT) | instid1(VALU_DEP_3)
	v_fma_f32 v30, 0x3f317218, v24, -v31
	v_ldexp_f32 v25, v25, 1
	s_delay_alu instid0(VALU_DEP_2) | instskip(NEXT) | instid1(VALU_DEP_1)
	v_dual_sub_f32 v27, v29, v27 :: v_dual_fmac_f32 v30, 0xb102e308, v24
	v_dual_add_f32 v24, v25, v27 :: v_dual_add_f32 v25, v31, v30
	s_delay_alu instid0(VALU_DEP_1) | instskip(NEXT) | instid1(VALU_DEP_1)
	v_add_f32_e32 v27, v28, v24
	v_dual_add_f32 v29, v25, v27 :: v_dual_sub_f32 v28, v27, v28
	s_delay_alu instid0(VALU_DEP_1) | instskip(NEXT) | instid1(VALU_DEP_2)
	v_sub_f32_e32 v32, v29, v25
	v_dual_sub_f32 v31, v25, v31 :: v_dual_sub_f32 v24, v24, v28
	s_delay_alu instid0(VALU_DEP_1) | instskip(SKIP_1) | instid1(VALU_DEP_2)
	v_dual_sub_f32 v33, v29, v32 :: v_dual_sub_f32 v30, v30, v31
	v_sub_f32_e32 v27, v27, v32
	v_dual_sub_f32 v25, v25, v33 :: v_dual_add_f32 v28, v30, v24
	s_delay_alu instid0(VALU_DEP_1) | instskip(NEXT) | instid1(VALU_DEP_2)
	v_add_f32_e32 v25, v27, v25
	v_sub_f32_e32 v27, v28, v30
	s_delay_alu instid0(VALU_DEP_2) | instskip(NEXT) | instid1(VALU_DEP_2)
	v_add_f32_e32 v25, v28, v25
	v_sub_f32_e32 v28, v28, v27
	s_delay_alu instid0(VALU_DEP_2) | instskip(NEXT) | instid1(VALU_DEP_1)
	v_dual_sub_f32 v24, v24, v27 :: v_dual_add_f32 v31, v29, v25
	v_dual_sub_f32 v28, v30, v28 :: v_dual_sub_f32 v27, v31, v29
	s_delay_alu instid0(VALU_DEP_1) | instskip(NEXT) | instid1(VALU_DEP_1)
	v_dual_add_f32 v24, v24, v28 :: v_dual_sub_f32 v25, v25, v27
	v_add_f32_e32 v24, v24, v25
	s_delay_alu instid0(VALU_DEP_1) | instskip(NEXT) | instid1(VALU_DEP_1)
	v_add_f32_e32 v24, v31, v24
	v_cndmask_b32_e32 v76, v24, v26, vcc_lo
.LBB89_24:                              ;   in Loop: Header=BB89_12 Depth=1
	s_or_b32 exec_lo, exec_lo, s16
	v_cvt_f32_f16_e32 v24, v13
	s_delay_alu instid0(VALU_DEP_1) | instskip(NEXT) | instid1(VALU_DEP_1)
	v_add_f32_e32 v77, s57, v24
	v_cmp_ge_f32_e32 vcc_lo, 0x41a00000, v77
	s_and_b32 s14, s67, vcc_lo
	s_delay_alu instid0(SALU_CYCLE_1)
	s_and_saveexec_b32 s16, s14
	s_cbranch_execz .LBB89_26
; %bb.25:                               ;   in Loop: Header=BB89_12 Depth=1
	v_mul_f32_e32 v24, 0x3fb8aa3b, v77
	v_cmp_ngt_f32_e32 vcc_lo, 0xc2ce8ed0, v77
	s_delay_alu instid0(VALU_DEP_2) | instskip(SKIP_1) | instid1(VALU_DEP_2)
	v_rndne_f32_e32 v25, v24
	v_fma_f32 v26, 0x3fb8aa3b, v77, -v24
	v_sub_f32_e32 v24, v24, v25
	s_delay_alu instid0(VALU_DEP_2) | instskip(SKIP_1) | instid1(VALU_DEP_2)
	v_fmac_f32_e32 v26, 0x32a5705f, v77
	v_cvt_i32_f32_e32 v25, v25
	v_add_f32_e32 v24, v24, v26
	s_delay_alu instid0(VALU_DEP_1) | instskip(SKIP_2) | instid1(VALU_DEP_1)
	v_exp_f32_e32 v24, v24
	s_waitcnt_depctr 0xfff
	v_ldexp_f32 v24, v24, v25
	v_cndmask_b32_e32 v24, 0, v24, vcc_lo
	v_cmp_nlt_f32_e32 vcc_lo, 0x42b17218, v77
	s_delay_alu instid0(VALU_DEP_2) | instskip(NEXT) | instid1(VALU_DEP_1)
	v_cndmask_b32_e32 v26, 0x7f800000, v24, vcc_lo
	v_add_f32_e32 v27, 1.0, v26
	s_delay_alu instid0(VALU_DEP_1) | instskip(NEXT) | instid1(VALU_DEP_1)
	v_cvt_f64_f32_e32 v[24:25], v27
	v_frexp_exp_i32_f64_e32 v24, v[24:25]
	v_frexp_mant_f32_e32 v25, v27
	s_delay_alu instid0(VALU_DEP_1) | instskip(SKIP_1) | instid1(VALU_DEP_1)
	v_cmp_gt_f32_e32 vcc_lo, 0x3f2aaaab, v25
	v_add_f32_e32 v25, -1.0, v27
	v_sub_f32_e32 v29, v25, v27
	v_sub_f32_e32 v25, v26, v25
	s_delay_alu instid0(VALU_DEP_2) | instskip(NEXT) | instid1(VALU_DEP_1)
	v_add_f32_e32 v29, 1.0, v29
	v_add_f32_e32 v25, v25, v29
	v_cmp_gt_f32_e64 s14, 0x33800000, v26
	v_subrev_co_ci_u32_e32 v24, vcc_lo, 0, v24, vcc_lo
	v_cmp_eq_f32_e32 vcc_lo, 0x7f800000, v26
	s_delay_alu instid0(VALU_DEP_2) | instskip(SKIP_2) | instid1(VALU_DEP_2)
	v_sub_nc_u32_e32 v28, 0, v24
	v_cvt_f32_i32_e32 v24, v24
	s_or_b32 vcc_lo, s14, vcc_lo
	v_ldexp_f32 v27, v27, v28
	v_ldexp_f32 v25, v25, v28
	s_delay_alu instid0(VALU_DEP_2) | instskip(NEXT) | instid1(VALU_DEP_1)
	v_add_f32_e32 v30, 1.0, v27
	v_dual_add_f32 v28, -1.0, v27 :: v_dual_add_f32 v29, -1.0, v30
	s_delay_alu instid0(VALU_DEP_1) | instskip(NEXT) | instid1(VALU_DEP_2)
	v_add_f32_e32 v31, 1.0, v28
	v_sub_f32_e32 v29, v27, v29
	s_delay_alu instid0(VALU_DEP_2) | instskip(NEXT) | instid1(VALU_DEP_2)
	v_sub_f32_e32 v27, v27, v31
	v_add_f32_e32 v29, v25, v29
	s_delay_alu instid0(VALU_DEP_2) | instskip(NEXT) | instid1(VALU_DEP_1)
	v_add_f32_e32 v25, v25, v27
	v_add_f32_e32 v32, v28, v25
	s_delay_alu instid0(VALU_DEP_1) | instskip(NEXT) | instid1(VALU_DEP_1)
	v_dual_add_f32 v31, v30, v29 :: v_dual_sub_f32 v28, v28, v32
	v_rcp_f32_e32 v27, v31
	v_sub_f32_e32 v30, v30, v31
	s_delay_alu instid0(VALU_DEP_1) | instskip(SKIP_2) | instid1(VALU_DEP_1)
	v_add_f32_e32 v29, v29, v30
	s_waitcnt_depctr 0xfff
	v_mul_f32_e32 v33, v32, v27
	v_mul_f32_e32 v34, v31, v33
	s_delay_alu instid0(VALU_DEP_1) | instskip(NEXT) | instid1(VALU_DEP_1)
	v_fma_f32 v30, v33, v31, -v34
	v_fmac_f32_e32 v30, v33, v29
	s_delay_alu instid0(VALU_DEP_1) | instskip(NEXT) | instid1(VALU_DEP_1)
	v_add_f32_e32 v35, v34, v30
	v_sub_f32_e32 v36, v32, v35
	s_delay_alu instid0(VALU_DEP_1) | instskip(SKIP_1) | instid1(VALU_DEP_2)
	v_sub_f32_e32 v32, v32, v36
	v_dual_add_f32 v25, v25, v28 :: v_dual_sub_f32 v28, v35, v34
	v_sub_f32_e32 v32, v32, v35
	s_delay_alu instid0(VALU_DEP_1) | instskip(NEXT) | instid1(VALU_DEP_1)
	v_dual_sub_f32 v28, v28, v30 :: v_dual_add_f32 v25, v25, v32
	v_add_f32_e32 v25, v28, v25
	s_delay_alu instid0(VALU_DEP_1) | instskip(NEXT) | instid1(VALU_DEP_1)
	v_add_f32_e32 v28, v36, v25
	v_mul_f32_e32 v30, v27, v28
	s_delay_alu instid0(VALU_DEP_1) | instskip(NEXT) | instid1(VALU_DEP_1)
	v_dual_sub_f32 v35, v36, v28 :: v_dual_mul_f32 v32, v31, v30
	v_add_f32_e32 v25, v25, v35
	s_delay_alu instid0(VALU_DEP_2) | instskip(NEXT) | instid1(VALU_DEP_1)
	v_fma_f32 v31, v30, v31, -v32
	v_fmac_f32_e32 v31, v30, v29
	s_delay_alu instid0(VALU_DEP_1) | instskip(NEXT) | instid1(VALU_DEP_1)
	v_add_f32_e32 v29, v32, v31
	v_sub_f32_e32 v34, v28, v29
	s_delay_alu instid0(VALU_DEP_1) | instskip(NEXT) | instid1(VALU_DEP_1)
	v_sub_f32_e32 v28, v28, v34
	v_sub_f32_e32 v28, v28, v29
	s_delay_alu instid0(VALU_DEP_1) | instskip(SKIP_2) | instid1(VALU_DEP_1)
	v_add_f32_e32 v25, v25, v28
	v_add_f32_e32 v28, v33, v30
	v_sub_f32_e32 v32, v29, v32
	v_sub_f32_e32 v29, v32, v31
	s_delay_alu instid0(VALU_DEP_1) | instskip(NEXT) | instid1(VALU_DEP_4)
	v_add_f32_e32 v25, v29, v25
	v_sub_f32_e32 v29, v28, v33
	s_delay_alu instid0(VALU_DEP_2) | instskip(NEXT) | instid1(VALU_DEP_2)
	v_add_f32_e32 v25, v34, v25
	v_sub_f32_e32 v29, v30, v29
	s_delay_alu instid0(VALU_DEP_2) | instskip(NEXT) | instid1(VALU_DEP_1)
	v_mul_f32_e32 v25, v27, v25
	v_add_f32_e32 v25, v29, v25
	s_delay_alu instid0(VALU_DEP_1) | instskip(NEXT) | instid1(VALU_DEP_1)
	v_add_f32_e32 v27, v28, v25
	v_mul_f32_e32 v29, v27, v27
	s_delay_alu instid0(VALU_DEP_1) | instskip(SKIP_1) | instid1(VALU_DEP_2)
	v_fmaak_f32 v30, s54, v29, 0x3ecc95a3
	v_mul_f32_e32 v31, v27, v29
	v_fmaak_f32 v29, v29, v30, 0x3f2aaada
	v_ldexp_f32 v30, v27, 1
	s_delay_alu instid0(VALU_DEP_2) | instskip(SKIP_1) | instid1(VALU_DEP_2)
	v_mul_f32_e32 v29, v31, v29
	v_sub_f32_e32 v27, v27, v28
	v_dual_mul_f32 v31, 0x3f317218, v24 :: v_dual_add_f32 v28, v30, v29
	s_delay_alu instid0(VALU_DEP_2) | instskip(NEXT) | instid1(VALU_DEP_2)
	v_sub_f32_e32 v25, v25, v27
	v_sub_f32_e32 v27, v28, v30
	s_delay_alu instid0(VALU_DEP_3) | instskip(NEXT) | instid1(VALU_DEP_3)
	v_fma_f32 v30, 0x3f317218, v24, -v31
	v_ldexp_f32 v25, v25, 1
	s_delay_alu instid0(VALU_DEP_2) | instskip(NEXT) | instid1(VALU_DEP_1)
	v_dual_sub_f32 v27, v29, v27 :: v_dual_fmac_f32 v30, 0xb102e308, v24
	v_dual_add_f32 v24, v25, v27 :: v_dual_add_f32 v25, v31, v30
	s_delay_alu instid0(VALU_DEP_1) | instskip(NEXT) | instid1(VALU_DEP_1)
	v_add_f32_e32 v27, v28, v24
	v_dual_add_f32 v29, v25, v27 :: v_dual_sub_f32 v28, v27, v28
	s_delay_alu instid0(VALU_DEP_1) | instskip(NEXT) | instid1(VALU_DEP_2)
	v_sub_f32_e32 v32, v29, v25
	v_dual_sub_f32 v31, v25, v31 :: v_dual_sub_f32 v24, v24, v28
	s_delay_alu instid0(VALU_DEP_1) | instskip(SKIP_1) | instid1(VALU_DEP_2)
	v_dual_sub_f32 v33, v29, v32 :: v_dual_sub_f32 v30, v30, v31
	v_sub_f32_e32 v27, v27, v32
	v_dual_sub_f32 v25, v25, v33 :: v_dual_add_f32 v28, v30, v24
	s_delay_alu instid0(VALU_DEP_1) | instskip(NEXT) | instid1(VALU_DEP_2)
	v_add_f32_e32 v25, v27, v25
	v_sub_f32_e32 v27, v28, v30
	s_delay_alu instid0(VALU_DEP_2) | instskip(NEXT) | instid1(VALU_DEP_2)
	v_add_f32_e32 v25, v28, v25
	v_sub_f32_e32 v28, v28, v27
	s_delay_alu instid0(VALU_DEP_2) | instskip(NEXT) | instid1(VALU_DEP_1)
	v_dual_sub_f32 v24, v24, v27 :: v_dual_add_f32 v31, v29, v25
	v_dual_sub_f32 v28, v30, v28 :: v_dual_sub_f32 v27, v31, v29
	s_delay_alu instid0(VALU_DEP_1) | instskip(NEXT) | instid1(VALU_DEP_1)
	v_dual_add_f32 v24, v24, v28 :: v_dual_sub_f32 v25, v25, v27
	v_add_f32_e32 v24, v24, v25
	s_delay_alu instid0(VALU_DEP_1) | instskip(NEXT) | instid1(VALU_DEP_1)
	v_add_f32_e32 v24, v31, v24
	v_cndmask_b32_e32 v77, v24, v26, vcc_lo
.LBB89_26:                              ;   in Loop: Header=BB89_12 Depth=1
	s_or_b32 exec_lo, exec_lo, s16
	v_lshrrev_b32_e32 v24, 16, v13
	s_delay_alu instid0(VALU_DEP_1) | instskip(NEXT) | instid1(VALU_DEP_1)
	v_cvt_f32_f16_e32 v24, v24
	v_add_f32_e32 v78, s57, v24
	s_delay_alu instid0(VALU_DEP_1) | instskip(SKIP_1) | instid1(SALU_CYCLE_1)
	v_cmp_ge_f32_e32 vcc_lo, 0x41a00000, v78
	s_and_b32 s14, s67, vcc_lo
	s_and_saveexec_b32 s16, s14
	s_cbranch_execz .LBB89_28
; %bb.27:                               ;   in Loop: Header=BB89_12 Depth=1
	v_mul_f32_e32 v24, 0x3fb8aa3b, v78
	v_cmp_ngt_f32_e32 vcc_lo, 0xc2ce8ed0, v78
	s_delay_alu instid0(VALU_DEP_2) | instskip(SKIP_1) | instid1(VALU_DEP_2)
	v_rndne_f32_e32 v25, v24
	v_fma_f32 v26, 0x3fb8aa3b, v78, -v24
	v_sub_f32_e32 v24, v24, v25
	s_delay_alu instid0(VALU_DEP_2) | instskip(SKIP_1) | instid1(VALU_DEP_2)
	v_fmac_f32_e32 v26, 0x32a5705f, v78
	v_cvt_i32_f32_e32 v25, v25
	v_add_f32_e32 v24, v24, v26
	s_delay_alu instid0(VALU_DEP_1) | instskip(SKIP_2) | instid1(VALU_DEP_1)
	v_exp_f32_e32 v24, v24
	s_waitcnt_depctr 0xfff
	v_ldexp_f32 v24, v24, v25
	v_cndmask_b32_e32 v24, 0, v24, vcc_lo
	v_cmp_nlt_f32_e32 vcc_lo, 0x42b17218, v78
	s_delay_alu instid0(VALU_DEP_2) | instskip(NEXT) | instid1(VALU_DEP_1)
	v_cndmask_b32_e32 v26, 0x7f800000, v24, vcc_lo
	v_add_f32_e32 v27, 1.0, v26
	s_delay_alu instid0(VALU_DEP_1) | instskip(NEXT) | instid1(VALU_DEP_1)
	v_cvt_f64_f32_e32 v[24:25], v27
	v_frexp_exp_i32_f64_e32 v24, v[24:25]
	v_frexp_mant_f32_e32 v25, v27
	s_delay_alu instid0(VALU_DEP_1) | instskip(SKIP_1) | instid1(VALU_DEP_1)
	v_cmp_gt_f32_e32 vcc_lo, 0x3f2aaaab, v25
	v_add_f32_e32 v25, -1.0, v27
	v_sub_f32_e32 v29, v25, v27
	v_sub_f32_e32 v25, v26, v25
	s_delay_alu instid0(VALU_DEP_2) | instskip(NEXT) | instid1(VALU_DEP_1)
	v_add_f32_e32 v29, 1.0, v29
	v_add_f32_e32 v25, v25, v29
	v_cmp_gt_f32_e64 s14, 0x33800000, v26
	v_subrev_co_ci_u32_e32 v24, vcc_lo, 0, v24, vcc_lo
	v_cmp_eq_f32_e32 vcc_lo, 0x7f800000, v26
	s_delay_alu instid0(VALU_DEP_2) | instskip(SKIP_2) | instid1(VALU_DEP_2)
	v_sub_nc_u32_e32 v28, 0, v24
	v_cvt_f32_i32_e32 v24, v24
	s_or_b32 vcc_lo, s14, vcc_lo
	v_ldexp_f32 v27, v27, v28
	v_ldexp_f32 v25, v25, v28
	s_delay_alu instid0(VALU_DEP_2) | instskip(NEXT) | instid1(VALU_DEP_1)
	v_add_f32_e32 v30, 1.0, v27
	v_dual_add_f32 v28, -1.0, v27 :: v_dual_add_f32 v29, -1.0, v30
	s_delay_alu instid0(VALU_DEP_1) | instskip(NEXT) | instid1(VALU_DEP_2)
	v_add_f32_e32 v31, 1.0, v28
	v_sub_f32_e32 v29, v27, v29
	s_delay_alu instid0(VALU_DEP_2) | instskip(NEXT) | instid1(VALU_DEP_2)
	v_sub_f32_e32 v27, v27, v31
	v_add_f32_e32 v29, v25, v29
	s_delay_alu instid0(VALU_DEP_2) | instskip(NEXT) | instid1(VALU_DEP_1)
	v_add_f32_e32 v25, v25, v27
	v_add_f32_e32 v32, v28, v25
	s_delay_alu instid0(VALU_DEP_1) | instskip(NEXT) | instid1(VALU_DEP_1)
	v_dual_add_f32 v31, v30, v29 :: v_dual_sub_f32 v28, v28, v32
	v_rcp_f32_e32 v27, v31
	v_sub_f32_e32 v30, v30, v31
	s_delay_alu instid0(VALU_DEP_1) | instskip(SKIP_2) | instid1(VALU_DEP_1)
	v_add_f32_e32 v29, v29, v30
	s_waitcnt_depctr 0xfff
	v_mul_f32_e32 v33, v32, v27
	v_mul_f32_e32 v34, v31, v33
	s_delay_alu instid0(VALU_DEP_1) | instskip(NEXT) | instid1(VALU_DEP_1)
	v_fma_f32 v30, v33, v31, -v34
	v_fmac_f32_e32 v30, v33, v29
	s_delay_alu instid0(VALU_DEP_1) | instskip(NEXT) | instid1(VALU_DEP_1)
	v_add_f32_e32 v35, v34, v30
	v_sub_f32_e32 v36, v32, v35
	s_delay_alu instid0(VALU_DEP_1) | instskip(SKIP_1) | instid1(VALU_DEP_2)
	v_sub_f32_e32 v32, v32, v36
	v_dual_add_f32 v25, v25, v28 :: v_dual_sub_f32 v28, v35, v34
	v_sub_f32_e32 v32, v32, v35
	s_delay_alu instid0(VALU_DEP_1) | instskip(NEXT) | instid1(VALU_DEP_1)
	v_dual_sub_f32 v28, v28, v30 :: v_dual_add_f32 v25, v25, v32
	v_add_f32_e32 v25, v28, v25
	s_delay_alu instid0(VALU_DEP_1) | instskip(NEXT) | instid1(VALU_DEP_1)
	v_add_f32_e32 v28, v36, v25
	v_mul_f32_e32 v30, v27, v28
	s_delay_alu instid0(VALU_DEP_1) | instskip(NEXT) | instid1(VALU_DEP_1)
	v_dual_sub_f32 v35, v36, v28 :: v_dual_mul_f32 v32, v31, v30
	v_add_f32_e32 v25, v25, v35
	s_delay_alu instid0(VALU_DEP_2) | instskip(NEXT) | instid1(VALU_DEP_1)
	v_fma_f32 v31, v30, v31, -v32
	v_fmac_f32_e32 v31, v30, v29
	s_delay_alu instid0(VALU_DEP_1) | instskip(NEXT) | instid1(VALU_DEP_1)
	v_add_f32_e32 v29, v32, v31
	v_sub_f32_e32 v34, v28, v29
	s_delay_alu instid0(VALU_DEP_1) | instskip(NEXT) | instid1(VALU_DEP_1)
	v_sub_f32_e32 v28, v28, v34
	v_sub_f32_e32 v28, v28, v29
	s_delay_alu instid0(VALU_DEP_1) | instskip(SKIP_2) | instid1(VALU_DEP_1)
	v_add_f32_e32 v25, v25, v28
	v_add_f32_e32 v28, v33, v30
	v_sub_f32_e32 v32, v29, v32
	v_sub_f32_e32 v29, v32, v31
	s_delay_alu instid0(VALU_DEP_1) | instskip(NEXT) | instid1(VALU_DEP_4)
	v_add_f32_e32 v25, v29, v25
	v_sub_f32_e32 v29, v28, v33
	s_delay_alu instid0(VALU_DEP_2) | instskip(NEXT) | instid1(VALU_DEP_2)
	v_add_f32_e32 v25, v34, v25
	v_sub_f32_e32 v29, v30, v29
	s_delay_alu instid0(VALU_DEP_2) | instskip(NEXT) | instid1(VALU_DEP_1)
	v_mul_f32_e32 v25, v27, v25
	v_add_f32_e32 v25, v29, v25
	s_delay_alu instid0(VALU_DEP_1) | instskip(NEXT) | instid1(VALU_DEP_1)
	v_add_f32_e32 v27, v28, v25
	v_mul_f32_e32 v29, v27, v27
	s_delay_alu instid0(VALU_DEP_1) | instskip(SKIP_1) | instid1(VALU_DEP_2)
	v_fmaak_f32 v30, s54, v29, 0x3ecc95a3
	v_mul_f32_e32 v31, v27, v29
	v_fmaak_f32 v29, v29, v30, 0x3f2aaada
	v_ldexp_f32 v30, v27, 1
	s_delay_alu instid0(VALU_DEP_2) | instskip(SKIP_1) | instid1(VALU_DEP_2)
	v_mul_f32_e32 v29, v31, v29
	v_sub_f32_e32 v27, v27, v28
	v_dual_mul_f32 v31, 0x3f317218, v24 :: v_dual_add_f32 v28, v30, v29
	s_delay_alu instid0(VALU_DEP_2) | instskip(NEXT) | instid1(VALU_DEP_2)
	v_sub_f32_e32 v25, v25, v27
	v_sub_f32_e32 v27, v28, v30
	s_delay_alu instid0(VALU_DEP_3) | instskip(NEXT) | instid1(VALU_DEP_3)
	v_fma_f32 v30, 0x3f317218, v24, -v31
	v_ldexp_f32 v25, v25, 1
	s_delay_alu instid0(VALU_DEP_2) | instskip(NEXT) | instid1(VALU_DEP_1)
	v_dual_sub_f32 v27, v29, v27 :: v_dual_fmac_f32 v30, 0xb102e308, v24
	v_dual_add_f32 v24, v25, v27 :: v_dual_add_f32 v25, v31, v30
	s_delay_alu instid0(VALU_DEP_1) | instskip(NEXT) | instid1(VALU_DEP_1)
	v_add_f32_e32 v27, v28, v24
	v_dual_add_f32 v29, v25, v27 :: v_dual_sub_f32 v28, v27, v28
	s_delay_alu instid0(VALU_DEP_1) | instskip(NEXT) | instid1(VALU_DEP_2)
	v_sub_f32_e32 v32, v29, v25
	v_dual_sub_f32 v31, v25, v31 :: v_dual_sub_f32 v24, v24, v28
	s_delay_alu instid0(VALU_DEP_1) | instskip(SKIP_1) | instid1(VALU_DEP_2)
	v_dual_sub_f32 v33, v29, v32 :: v_dual_sub_f32 v30, v30, v31
	v_sub_f32_e32 v27, v27, v32
	v_dual_sub_f32 v25, v25, v33 :: v_dual_add_f32 v28, v30, v24
	s_delay_alu instid0(VALU_DEP_1) | instskip(NEXT) | instid1(VALU_DEP_2)
	v_add_f32_e32 v25, v27, v25
	v_sub_f32_e32 v27, v28, v30
	s_delay_alu instid0(VALU_DEP_2) | instskip(NEXT) | instid1(VALU_DEP_2)
	v_add_f32_e32 v25, v28, v25
	v_sub_f32_e32 v28, v28, v27
	s_delay_alu instid0(VALU_DEP_2) | instskip(NEXT) | instid1(VALU_DEP_1)
	v_dual_sub_f32 v24, v24, v27 :: v_dual_add_f32 v31, v29, v25
	v_dual_sub_f32 v28, v30, v28 :: v_dual_sub_f32 v27, v31, v29
	s_delay_alu instid0(VALU_DEP_1) | instskip(NEXT) | instid1(VALU_DEP_1)
	v_dual_add_f32 v24, v24, v28 :: v_dual_sub_f32 v25, v25, v27
	v_add_f32_e32 v24, v24, v25
	s_delay_alu instid0(VALU_DEP_1) | instskip(NEXT) | instid1(VALU_DEP_1)
	v_add_f32_e32 v24, v31, v24
	v_cndmask_b32_e32 v78, v24, v26, vcc_lo
.LBB89_28:                              ;   in Loop: Header=BB89_12 Depth=1
	s_or_b32 exec_lo, exec_lo, s16
	v_cvt_f32_f16_e32 v24, v14
	s_delay_alu instid0(VALU_DEP_1) | instskip(NEXT) | instid1(VALU_DEP_1)
	v_add_f32_e32 v79, s57, v24
	v_cmp_ge_f32_e32 vcc_lo, 0x41a00000, v79
	s_and_b32 s14, s67, vcc_lo
	s_delay_alu instid0(SALU_CYCLE_1)
	s_and_saveexec_b32 s16, s14
	s_cbranch_execz .LBB89_30
; %bb.29:                               ;   in Loop: Header=BB89_12 Depth=1
	v_mul_f32_e32 v24, 0x3fb8aa3b, v79
	v_cmp_ngt_f32_e32 vcc_lo, 0xc2ce8ed0, v79
	s_delay_alu instid0(VALU_DEP_2) | instskip(SKIP_1) | instid1(VALU_DEP_2)
	v_rndne_f32_e32 v25, v24
	v_fma_f32 v26, 0x3fb8aa3b, v79, -v24
	v_sub_f32_e32 v24, v24, v25
	s_delay_alu instid0(VALU_DEP_2) | instskip(SKIP_1) | instid1(VALU_DEP_2)
	v_fmac_f32_e32 v26, 0x32a5705f, v79
	v_cvt_i32_f32_e32 v25, v25
	v_add_f32_e32 v24, v24, v26
	s_delay_alu instid0(VALU_DEP_1) | instskip(SKIP_2) | instid1(VALU_DEP_1)
	v_exp_f32_e32 v24, v24
	s_waitcnt_depctr 0xfff
	v_ldexp_f32 v24, v24, v25
	v_cndmask_b32_e32 v24, 0, v24, vcc_lo
	v_cmp_nlt_f32_e32 vcc_lo, 0x42b17218, v79
	s_delay_alu instid0(VALU_DEP_2) | instskip(NEXT) | instid1(VALU_DEP_1)
	v_cndmask_b32_e32 v26, 0x7f800000, v24, vcc_lo
	v_add_f32_e32 v27, 1.0, v26
	s_delay_alu instid0(VALU_DEP_1) | instskip(NEXT) | instid1(VALU_DEP_1)
	v_cvt_f64_f32_e32 v[24:25], v27
	v_frexp_exp_i32_f64_e32 v24, v[24:25]
	v_frexp_mant_f32_e32 v25, v27
	s_delay_alu instid0(VALU_DEP_1) | instskip(SKIP_1) | instid1(VALU_DEP_1)
	v_cmp_gt_f32_e32 vcc_lo, 0x3f2aaaab, v25
	v_add_f32_e32 v25, -1.0, v27
	v_sub_f32_e32 v29, v25, v27
	v_sub_f32_e32 v25, v26, v25
	s_delay_alu instid0(VALU_DEP_2) | instskip(NEXT) | instid1(VALU_DEP_1)
	v_add_f32_e32 v29, 1.0, v29
	v_add_f32_e32 v25, v25, v29
	v_cmp_gt_f32_e64 s14, 0x33800000, v26
	v_subrev_co_ci_u32_e32 v24, vcc_lo, 0, v24, vcc_lo
	v_cmp_eq_f32_e32 vcc_lo, 0x7f800000, v26
	s_delay_alu instid0(VALU_DEP_2) | instskip(SKIP_2) | instid1(VALU_DEP_2)
	v_sub_nc_u32_e32 v28, 0, v24
	v_cvt_f32_i32_e32 v24, v24
	s_or_b32 vcc_lo, s14, vcc_lo
	v_ldexp_f32 v27, v27, v28
	v_ldexp_f32 v25, v25, v28
	s_delay_alu instid0(VALU_DEP_2) | instskip(NEXT) | instid1(VALU_DEP_1)
	v_add_f32_e32 v30, 1.0, v27
	v_dual_add_f32 v28, -1.0, v27 :: v_dual_add_f32 v29, -1.0, v30
	s_delay_alu instid0(VALU_DEP_1) | instskip(NEXT) | instid1(VALU_DEP_2)
	v_add_f32_e32 v31, 1.0, v28
	v_sub_f32_e32 v29, v27, v29
	s_delay_alu instid0(VALU_DEP_2) | instskip(NEXT) | instid1(VALU_DEP_2)
	v_sub_f32_e32 v27, v27, v31
	v_add_f32_e32 v29, v25, v29
	s_delay_alu instid0(VALU_DEP_2) | instskip(NEXT) | instid1(VALU_DEP_1)
	v_add_f32_e32 v25, v25, v27
	v_add_f32_e32 v32, v28, v25
	s_delay_alu instid0(VALU_DEP_1) | instskip(NEXT) | instid1(VALU_DEP_1)
	v_dual_add_f32 v31, v30, v29 :: v_dual_sub_f32 v28, v28, v32
	v_rcp_f32_e32 v27, v31
	v_sub_f32_e32 v30, v30, v31
	s_delay_alu instid0(VALU_DEP_1) | instskip(SKIP_2) | instid1(VALU_DEP_1)
	v_add_f32_e32 v29, v29, v30
	s_waitcnt_depctr 0xfff
	v_mul_f32_e32 v33, v32, v27
	v_mul_f32_e32 v34, v31, v33
	s_delay_alu instid0(VALU_DEP_1) | instskip(NEXT) | instid1(VALU_DEP_1)
	v_fma_f32 v30, v33, v31, -v34
	v_fmac_f32_e32 v30, v33, v29
	s_delay_alu instid0(VALU_DEP_1) | instskip(NEXT) | instid1(VALU_DEP_1)
	v_add_f32_e32 v35, v34, v30
	v_sub_f32_e32 v36, v32, v35
	s_delay_alu instid0(VALU_DEP_1) | instskip(SKIP_1) | instid1(VALU_DEP_2)
	v_sub_f32_e32 v32, v32, v36
	v_dual_add_f32 v25, v25, v28 :: v_dual_sub_f32 v28, v35, v34
	v_sub_f32_e32 v32, v32, v35
	s_delay_alu instid0(VALU_DEP_1) | instskip(NEXT) | instid1(VALU_DEP_1)
	v_dual_sub_f32 v28, v28, v30 :: v_dual_add_f32 v25, v25, v32
	v_add_f32_e32 v25, v28, v25
	s_delay_alu instid0(VALU_DEP_1) | instskip(NEXT) | instid1(VALU_DEP_1)
	v_add_f32_e32 v28, v36, v25
	v_mul_f32_e32 v30, v27, v28
	s_delay_alu instid0(VALU_DEP_1) | instskip(NEXT) | instid1(VALU_DEP_1)
	v_dual_sub_f32 v35, v36, v28 :: v_dual_mul_f32 v32, v31, v30
	v_add_f32_e32 v25, v25, v35
	s_delay_alu instid0(VALU_DEP_2) | instskip(NEXT) | instid1(VALU_DEP_1)
	v_fma_f32 v31, v30, v31, -v32
	v_fmac_f32_e32 v31, v30, v29
	s_delay_alu instid0(VALU_DEP_1) | instskip(NEXT) | instid1(VALU_DEP_1)
	v_add_f32_e32 v29, v32, v31
	v_sub_f32_e32 v34, v28, v29
	s_delay_alu instid0(VALU_DEP_1) | instskip(NEXT) | instid1(VALU_DEP_1)
	v_sub_f32_e32 v28, v28, v34
	v_sub_f32_e32 v28, v28, v29
	s_delay_alu instid0(VALU_DEP_1) | instskip(SKIP_2) | instid1(VALU_DEP_1)
	v_add_f32_e32 v25, v25, v28
	v_add_f32_e32 v28, v33, v30
	v_sub_f32_e32 v32, v29, v32
	v_sub_f32_e32 v29, v32, v31
	s_delay_alu instid0(VALU_DEP_1) | instskip(NEXT) | instid1(VALU_DEP_4)
	v_add_f32_e32 v25, v29, v25
	v_sub_f32_e32 v29, v28, v33
	s_delay_alu instid0(VALU_DEP_2) | instskip(NEXT) | instid1(VALU_DEP_2)
	v_add_f32_e32 v25, v34, v25
	v_sub_f32_e32 v29, v30, v29
	s_delay_alu instid0(VALU_DEP_2) | instskip(NEXT) | instid1(VALU_DEP_1)
	v_mul_f32_e32 v25, v27, v25
	v_add_f32_e32 v25, v29, v25
	s_delay_alu instid0(VALU_DEP_1) | instskip(NEXT) | instid1(VALU_DEP_1)
	v_add_f32_e32 v27, v28, v25
	v_mul_f32_e32 v29, v27, v27
	s_delay_alu instid0(VALU_DEP_1) | instskip(SKIP_1) | instid1(VALU_DEP_2)
	v_fmaak_f32 v30, s54, v29, 0x3ecc95a3
	v_mul_f32_e32 v31, v27, v29
	v_fmaak_f32 v29, v29, v30, 0x3f2aaada
	v_ldexp_f32 v30, v27, 1
	s_delay_alu instid0(VALU_DEP_2) | instskip(SKIP_1) | instid1(VALU_DEP_2)
	v_mul_f32_e32 v29, v31, v29
	v_sub_f32_e32 v27, v27, v28
	v_dual_mul_f32 v31, 0x3f317218, v24 :: v_dual_add_f32 v28, v30, v29
	s_delay_alu instid0(VALU_DEP_2) | instskip(NEXT) | instid1(VALU_DEP_2)
	v_sub_f32_e32 v25, v25, v27
	v_sub_f32_e32 v27, v28, v30
	s_delay_alu instid0(VALU_DEP_3) | instskip(NEXT) | instid1(VALU_DEP_3)
	v_fma_f32 v30, 0x3f317218, v24, -v31
	v_ldexp_f32 v25, v25, 1
	s_delay_alu instid0(VALU_DEP_2) | instskip(NEXT) | instid1(VALU_DEP_1)
	v_dual_sub_f32 v27, v29, v27 :: v_dual_fmac_f32 v30, 0xb102e308, v24
	v_dual_add_f32 v24, v25, v27 :: v_dual_add_f32 v25, v31, v30
	s_delay_alu instid0(VALU_DEP_1) | instskip(NEXT) | instid1(VALU_DEP_1)
	v_add_f32_e32 v27, v28, v24
	v_dual_add_f32 v29, v25, v27 :: v_dual_sub_f32 v28, v27, v28
	s_delay_alu instid0(VALU_DEP_1) | instskip(NEXT) | instid1(VALU_DEP_2)
	v_sub_f32_e32 v32, v29, v25
	v_dual_sub_f32 v31, v25, v31 :: v_dual_sub_f32 v24, v24, v28
	s_delay_alu instid0(VALU_DEP_1) | instskip(SKIP_1) | instid1(VALU_DEP_2)
	v_dual_sub_f32 v33, v29, v32 :: v_dual_sub_f32 v30, v30, v31
	v_sub_f32_e32 v27, v27, v32
	v_dual_sub_f32 v25, v25, v33 :: v_dual_add_f32 v28, v30, v24
	s_delay_alu instid0(VALU_DEP_1) | instskip(NEXT) | instid1(VALU_DEP_2)
	v_add_f32_e32 v25, v27, v25
	v_sub_f32_e32 v27, v28, v30
	s_delay_alu instid0(VALU_DEP_2) | instskip(NEXT) | instid1(VALU_DEP_2)
	v_add_f32_e32 v25, v28, v25
	v_sub_f32_e32 v28, v28, v27
	s_delay_alu instid0(VALU_DEP_2) | instskip(NEXT) | instid1(VALU_DEP_1)
	v_dual_sub_f32 v24, v24, v27 :: v_dual_add_f32 v31, v29, v25
	v_dual_sub_f32 v28, v30, v28 :: v_dual_sub_f32 v27, v31, v29
	s_delay_alu instid0(VALU_DEP_1) | instskip(NEXT) | instid1(VALU_DEP_1)
	v_dual_add_f32 v24, v24, v28 :: v_dual_sub_f32 v25, v25, v27
	v_add_f32_e32 v24, v24, v25
	s_delay_alu instid0(VALU_DEP_1) | instskip(NEXT) | instid1(VALU_DEP_1)
	v_add_f32_e32 v24, v31, v24
	v_cndmask_b32_e32 v79, v24, v26, vcc_lo
.LBB89_30:                              ;   in Loop: Header=BB89_12 Depth=1
	s_or_b32 exec_lo, exec_lo, s16
	v_lshrrev_b32_e32 v24, 16, v14
	s_delay_alu instid0(VALU_DEP_1) | instskip(NEXT) | instid1(VALU_DEP_1)
	v_cvt_f32_f16_e32 v24, v24
	v_add_f32_e32 v80, s57, v24
	s_delay_alu instid0(VALU_DEP_1) | instskip(SKIP_1) | instid1(SALU_CYCLE_1)
	v_cmp_ge_f32_e32 vcc_lo, 0x41a00000, v80
	s_and_b32 s14, s67, vcc_lo
	s_and_saveexec_b32 s16, s14
	s_cbranch_execz .LBB89_32
; %bb.31:                               ;   in Loop: Header=BB89_12 Depth=1
	v_mul_f32_e32 v24, 0x3fb8aa3b, v80
	v_cmp_ngt_f32_e32 vcc_lo, 0xc2ce8ed0, v80
	s_delay_alu instid0(VALU_DEP_2) | instskip(SKIP_1) | instid1(VALU_DEP_2)
	v_rndne_f32_e32 v25, v24
	v_fma_f32 v26, 0x3fb8aa3b, v80, -v24
	v_sub_f32_e32 v24, v24, v25
	s_delay_alu instid0(VALU_DEP_2) | instskip(SKIP_1) | instid1(VALU_DEP_2)
	v_fmac_f32_e32 v26, 0x32a5705f, v80
	v_cvt_i32_f32_e32 v25, v25
	v_add_f32_e32 v24, v24, v26
	s_delay_alu instid0(VALU_DEP_1) | instskip(SKIP_2) | instid1(VALU_DEP_1)
	v_exp_f32_e32 v24, v24
	s_waitcnt_depctr 0xfff
	v_ldexp_f32 v24, v24, v25
	v_cndmask_b32_e32 v24, 0, v24, vcc_lo
	v_cmp_nlt_f32_e32 vcc_lo, 0x42b17218, v80
	s_delay_alu instid0(VALU_DEP_2) | instskip(NEXT) | instid1(VALU_DEP_1)
	v_cndmask_b32_e32 v26, 0x7f800000, v24, vcc_lo
	v_add_f32_e32 v27, 1.0, v26
	s_delay_alu instid0(VALU_DEP_1) | instskip(NEXT) | instid1(VALU_DEP_1)
	v_cvt_f64_f32_e32 v[24:25], v27
	v_frexp_exp_i32_f64_e32 v24, v[24:25]
	v_frexp_mant_f32_e32 v25, v27
	s_delay_alu instid0(VALU_DEP_1) | instskip(SKIP_1) | instid1(VALU_DEP_1)
	v_cmp_gt_f32_e32 vcc_lo, 0x3f2aaaab, v25
	v_add_f32_e32 v25, -1.0, v27
	v_sub_f32_e32 v29, v25, v27
	v_sub_f32_e32 v25, v26, v25
	s_delay_alu instid0(VALU_DEP_2) | instskip(NEXT) | instid1(VALU_DEP_1)
	v_add_f32_e32 v29, 1.0, v29
	v_add_f32_e32 v25, v25, v29
	v_cmp_gt_f32_e64 s14, 0x33800000, v26
	v_subrev_co_ci_u32_e32 v24, vcc_lo, 0, v24, vcc_lo
	v_cmp_eq_f32_e32 vcc_lo, 0x7f800000, v26
	s_delay_alu instid0(VALU_DEP_2) | instskip(SKIP_2) | instid1(VALU_DEP_2)
	v_sub_nc_u32_e32 v28, 0, v24
	v_cvt_f32_i32_e32 v24, v24
	s_or_b32 vcc_lo, s14, vcc_lo
	v_ldexp_f32 v27, v27, v28
	v_ldexp_f32 v25, v25, v28
	s_delay_alu instid0(VALU_DEP_2) | instskip(NEXT) | instid1(VALU_DEP_1)
	v_add_f32_e32 v30, 1.0, v27
	v_dual_add_f32 v28, -1.0, v27 :: v_dual_add_f32 v29, -1.0, v30
	s_delay_alu instid0(VALU_DEP_1) | instskip(NEXT) | instid1(VALU_DEP_2)
	v_add_f32_e32 v31, 1.0, v28
	v_sub_f32_e32 v29, v27, v29
	s_delay_alu instid0(VALU_DEP_2) | instskip(NEXT) | instid1(VALU_DEP_2)
	v_sub_f32_e32 v27, v27, v31
	v_add_f32_e32 v29, v25, v29
	s_delay_alu instid0(VALU_DEP_2) | instskip(NEXT) | instid1(VALU_DEP_1)
	v_add_f32_e32 v25, v25, v27
	v_add_f32_e32 v32, v28, v25
	s_delay_alu instid0(VALU_DEP_1) | instskip(NEXT) | instid1(VALU_DEP_1)
	v_dual_add_f32 v31, v30, v29 :: v_dual_sub_f32 v28, v28, v32
	v_rcp_f32_e32 v27, v31
	v_sub_f32_e32 v30, v30, v31
	s_delay_alu instid0(VALU_DEP_1) | instskip(SKIP_2) | instid1(VALU_DEP_1)
	v_add_f32_e32 v29, v29, v30
	s_waitcnt_depctr 0xfff
	v_mul_f32_e32 v33, v32, v27
	v_mul_f32_e32 v34, v31, v33
	s_delay_alu instid0(VALU_DEP_1) | instskip(NEXT) | instid1(VALU_DEP_1)
	v_fma_f32 v30, v33, v31, -v34
	v_fmac_f32_e32 v30, v33, v29
	s_delay_alu instid0(VALU_DEP_1) | instskip(NEXT) | instid1(VALU_DEP_1)
	v_add_f32_e32 v35, v34, v30
	v_sub_f32_e32 v36, v32, v35
	s_delay_alu instid0(VALU_DEP_1) | instskip(SKIP_1) | instid1(VALU_DEP_2)
	v_sub_f32_e32 v32, v32, v36
	v_dual_add_f32 v25, v25, v28 :: v_dual_sub_f32 v28, v35, v34
	v_sub_f32_e32 v32, v32, v35
	s_delay_alu instid0(VALU_DEP_1) | instskip(NEXT) | instid1(VALU_DEP_1)
	v_dual_sub_f32 v28, v28, v30 :: v_dual_add_f32 v25, v25, v32
	v_add_f32_e32 v25, v28, v25
	s_delay_alu instid0(VALU_DEP_1) | instskip(NEXT) | instid1(VALU_DEP_1)
	v_add_f32_e32 v28, v36, v25
	v_mul_f32_e32 v30, v27, v28
	s_delay_alu instid0(VALU_DEP_1) | instskip(NEXT) | instid1(VALU_DEP_1)
	v_dual_sub_f32 v35, v36, v28 :: v_dual_mul_f32 v32, v31, v30
	v_add_f32_e32 v25, v25, v35
	s_delay_alu instid0(VALU_DEP_2) | instskip(NEXT) | instid1(VALU_DEP_1)
	v_fma_f32 v31, v30, v31, -v32
	v_fmac_f32_e32 v31, v30, v29
	s_delay_alu instid0(VALU_DEP_1) | instskip(NEXT) | instid1(VALU_DEP_1)
	v_add_f32_e32 v29, v32, v31
	v_sub_f32_e32 v34, v28, v29
	s_delay_alu instid0(VALU_DEP_1) | instskip(NEXT) | instid1(VALU_DEP_1)
	v_sub_f32_e32 v28, v28, v34
	v_sub_f32_e32 v28, v28, v29
	s_delay_alu instid0(VALU_DEP_1) | instskip(SKIP_2) | instid1(VALU_DEP_1)
	v_add_f32_e32 v25, v25, v28
	v_add_f32_e32 v28, v33, v30
	v_sub_f32_e32 v32, v29, v32
	v_sub_f32_e32 v29, v32, v31
	s_delay_alu instid0(VALU_DEP_1) | instskip(NEXT) | instid1(VALU_DEP_4)
	v_add_f32_e32 v25, v29, v25
	v_sub_f32_e32 v29, v28, v33
	s_delay_alu instid0(VALU_DEP_2) | instskip(NEXT) | instid1(VALU_DEP_2)
	v_add_f32_e32 v25, v34, v25
	v_sub_f32_e32 v29, v30, v29
	s_delay_alu instid0(VALU_DEP_2) | instskip(NEXT) | instid1(VALU_DEP_1)
	v_mul_f32_e32 v25, v27, v25
	v_add_f32_e32 v25, v29, v25
	s_delay_alu instid0(VALU_DEP_1) | instskip(NEXT) | instid1(VALU_DEP_1)
	v_add_f32_e32 v27, v28, v25
	v_mul_f32_e32 v29, v27, v27
	s_delay_alu instid0(VALU_DEP_1) | instskip(SKIP_1) | instid1(VALU_DEP_2)
	v_fmaak_f32 v30, s54, v29, 0x3ecc95a3
	v_mul_f32_e32 v31, v27, v29
	v_fmaak_f32 v29, v29, v30, 0x3f2aaada
	v_ldexp_f32 v30, v27, 1
	s_delay_alu instid0(VALU_DEP_2) | instskip(SKIP_1) | instid1(VALU_DEP_2)
	v_mul_f32_e32 v29, v31, v29
	v_sub_f32_e32 v27, v27, v28
	v_dual_mul_f32 v31, 0x3f317218, v24 :: v_dual_add_f32 v28, v30, v29
	s_delay_alu instid0(VALU_DEP_2) | instskip(NEXT) | instid1(VALU_DEP_2)
	v_sub_f32_e32 v25, v25, v27
	v_sub_f32_e32 v27, v28, v30
	s_delay_alu instid0(VALU_DEP_3) | instskip(NEXT) | instid1(VALU_DEP_3)
	v_fma_f32 v30, 0x3f317218, v24, -v31
	v_ldexp_f32 v25, v25, 1
	s_delay_alu instid0(VALU_DEP_2) | instskip(NEXT) | instid1(VALU_DEP_1)
	v_dual_sub_f32 v27, v29, v27 :: v_dual_fmac_f32 v30, 0xb102e308, v24
	v_dual_add_f32 v24, v25, v27 :: v_dual_add_f32 v25, v31, v30
	s_delay_alu instid0(VALU_DEP_1) | instskip(NEXT) | instid1(VALU_DEP_1)
	v_add_f32_e32 v27, v28, v24
	v_dual_add_f32 v29, v25, v27 :: v_dual_sub_f32 v28, v27, v28
	s_delay_alu instid0(VALU_DEP_1) | instskip(NEXT) | instid1(VALU_DEP_2)
	v_sub_f32_e32 v32, v29, v25
	v_dual_sub_f32 v31, v25, v31 :: v_dual_sub_f32 v24, v24, v28
	s_delay_alu instid0(VALU_DEP_1) | instskip(SKIP_1) | instid1(VALU_DEP_2)
	v_dual_sub_f32 v33, v29, v32 :: v_dual_sub_f32 v30, v30, v31
	v_sub_f32_e32 v27, v27, v32
	v_dual_sub_f32 v25, v25, v33 :: v_dual_add_f32 v28, v30, v24
	s_delay_alu instid0(VALU_DEP_1) | instskip(NEXT) | instid1(VALU_DEP_2)
	v_add_f32_e32 v25, v27, v25
	v_sub_f32_e32 v27, v28, v30
	s_delay_alu instid0(VALU_DEP_2) | instskip(NEXT) | instid1(VALU_DEP_2)
	v_add_f32_e32 v25, v28, v25
	v_sub_f32_e32 v28, v28, v27
	s_delay_alu instid0(VALU_DEP_2) | instskip(NEXT) | instid1(VALU_DEP_1)
	v_dual_sub_f32 v24, v24, v27 :: v_dual_add_f32 v31, v29, v25
	v_dual_sub_f32 v28, v30, v28 :: v_dual_sub_f32 v27, v31, v29
	s_delay_alu instid0(VALU_DEP_1) | instskip(NEXT) | instid1(VALU_DEP_1)
	v_dual_add_f32 v24, v24, v28 :: v_dual_sub_f32 v25, v25, v27
	v_add_f32_e32 v24, v24, v25
	s_delay_alu instid0(VALU_DEP_1) | instskip(NEXT) | instid1(VALU_DEP_1)
	v_add_f32_e32 v24, v31, v24
	v_cndmask_b32_e32 v80, v24, v26, vcc_lo
.LBB89_32:                              ;   in Loop: Header=BB89_12 Depth=1
	s_or_b32 exec_lo, exec_lo, s16
	v_cvt_f32_f16_e32 v24, v15
	s_delay_alu instid0(VALU_DEP_1) | instskip(NEXT) | instid1(VALU_DEP_1)
	v_add_f32_e32 v81, s57, v24
	v_cmp_ge_f32_e32 vcc_lo, 0x41a00000, v81
	s_and_b32 s14, s67, vcc_lo
	s_delay_alu instid0(SALU_CYCLE_1)
	s_and_saveexec_b32 s16, s14
	s_cbranch_execz .LBB89_34
; %bb.33:                               ;   in Loop: Header=BB89_12 Depth=1
	v_mul_f32_e32 v24, 0x3fb8aa3b, v81
	v_cmp_ngt_f32_e32 vcc_lo, 0xc2ce8ed0, v81
	s_delay_alu instid0(VALU_DEP_2) | instskip(SKIP_1) | instid1(VALU_DEP_2)
	v_rndne_f32_e32 v25, v24
	v_fma_f32 v26, 0x3fb8aa3b, v81, -v24
	v_sub_f32_e32 v24, v24, v25
	s_delay_alu instid0(VALU_DEP_2) | instskip(SKIP_1) | instid1(VALU_DEP_2)
	v_fmac_f32_e32 v26, 0x32a5705f, v81
	v_cvt_i32_f32_e32 v25, v25
	v_add_f32_e32 v24, v24, v26
	s_delay_alu instid0(VALU_DEP_1) | instskip(SKIP_2) | instid1(VALU_DEP_1)
	v_exp_f32_e32 v24, v24
	s_waitcnt_depctr 0xfff
	v_ldexp_f32 v24, v24, v25
	v_cndmask_b32_e32 v24, 0, v24, vcc_lo
	v_cmp_nlt_f32_e32 vcc_lo, 0x42b17218, v81
	s_delay_alu instid0(VALU_DEP_2) | instskip(NEXT) | instid1(VALU_DEP_1)
	v_cndmask_b32_e32 v26, 0x7f800000, v24, vcc_lo
	v_add_f32_e32 v27, 1.0, v26
	s_delay_alu instid0(VALU_DEP_1) | instskip(NEXT) | instid1(VALU_DEP_1)
	v_cvt_f64_f32_e32 v[24:25], v27
	v_frexp_exp_i32_f64_e32 v24, v[24:25]
	v_frexp_mant_f32_e32 v25, v27
	s_delay_alu instid0(VALU_DEP_1) | instskip(SKIP_1) | instid1(VALU_DEP_1)
	v_cmp_gt_f32_e32 vcc_lo, 0x3f2aaaab, v25
	v_add_f32_e32 v25, -1.0, v27
	v_sub_f32_e32 v29, v25, v27
	v_sub_f32_e32 v25, v26, v25
	s_delay_alu instid0(VALU_DEP_2) | instskip(NEXT) | instid1(VALU_DEP_1)
	v_add_f32_e32 v29, 1.0, v29
	v_add_f32_e32 v25, v25, v29
	v_cmp_gt_f32_e64 s14, 0x33800000, v26
	v_subrev_co_ci_u32_e32 v24, vcc_lo, 0, v24, vcc_lo
	v_cmp_eq_f32_e32 vcc_lo, 0x7f800000, v26
	s_delay_alu instid0(VALU_DEP_2) | instskip(SKIP_2) | instid1(VALU_DEP_2)
	v_sub_nc_u32_e32 v28, 0, v24
	v_cvt_f32_i32_e32 v24, v24
	s_or_b32 vcc_lo, s14, vcc_lo
	v_ldexp_f32 v27, v27, v28
	v_ldexp_f32 v25, v25, v28
	s_delay_alu instid0(VALU_DEP_2) | instskip(NEXT) | instid1(VALU_DEP_1)
	v_add_f32_e32 v30, 1.0, v27
	v_dual_add_f32 v28, -1.0, v27 :: v_dual_add_f32 v29, -1.0, v30
	s_delay_alu instid0(VALU_DEP_1) | instskip(NEXT) | instid1(VALU_DEP_2)
	v_add_f32_e32 v31, 1.0, v28
	v_sub_f32_e32 v29, v27, v29
	s_delay_alu instid0(VALU_DEP_2) | instskip(NEXT) | instid1(VALU_DEP_2)
	v_sub_f32_e32 v27, v27, v31
	v_add_f32_e32 v29, v25, v29
	s_delay_alu instid0(VALU_DEP_2) | instskip(NEXT) | instid1(VALU_DEP_1)
	v_add_f32_e32 v25, v25, v27
	v_add_f32_e32 v32, v28, v25
	s_delay_alu instid0(VALU_DEP_1) | instskip(NEXT) | instid1(VALU_DEP_1)
	v_dual_add_f32 v31, v30, v29 :: v_dual_sub_f32 v28, v28, v32
	v_rcp_f32_e32 v27, v31
	v_sub_f32_e32 v30, v30, v31
	s_delay_alu instid0(VALU_DEP_1) | instskip(SKIP_2) | instid1(VALU_DEP_1)
	v_add_f32_e32 v29, v29, v30
	s_waitcnt_depctr 0xfff
	v_mul_f32_e32 v33, v32, v27
	v_mul_f32_e32 v34, v31, v33
	s_delay_alu instid0(VALU_DEP_1) | instskip(NEXT) | instid1(VALU_DEP_1)
	v_fma_f32 v30, v33, v31, -v34
	v_fmac_f32_e32 v30, v33, v29
	s_delay_alu instid0(VALU_DEP_1) | instskip(NEXT) | instid1(VALU_DEP_1)
	v_add_f32_e32 v35, v34, v30
	v_sub_f32_e32 v36, v32, v35
	s_delay_alu instid0(VALU_DEP_1) | instskip(SKIP_1) | instid1(VALU_DEP_2)
	v_sub_f32_e32 v32, v32, v36
	v_dual_add_f32 v25, v25, v28 :: v_dual_sub_f32 v28, v35, v34
	v_sub_f32_e32 v32, v32, v35
	s_delay_alu instid0(VALU_DEP_1) | instskip(NEXT) | instid1(VALU_DEP_1)
	v_dual_sub_f32 v28, v28, v30 :: v_dual_add_f32 v25, v25, v32
	v_add_f32_e32 v25, v28, v25
	s_delay_alu instid0(VALU_DEP_1) | instskip(NEXT) | instid1(VALU_DEP_1)
	v_add_f32_e32 v28, v36, v25
	v_mul_f32_e32 v30, v27, v28
	s_delay_alu instid0(VALU_DEP_1) | instskip(NEXT) | instid1(VALU_DEP_1)
	v_dual_sub_f32 v35, v36, v28 :: v_dual_mul_f32 v32, v31, v30
	v_add_f32_e32 v25, v25, v35
	s_delay_alu instid0(VALU_DEP_2) | instskip(NEXT) | instid1(VALU_DEP_1)
	v_fma_f32 v31, v30, v31, -v32
	v_fmac_f32_e32 v31, v30, v29
	s_delay_alu instid0(VALU_DEP_1) | instskip(NEXT) | instid1(VALU_DEP_1)
	v_add_f32_e32 v29, v32, v31
	v_sub_f32_e32 v34, v28, v29
	s_delay_alu instid0(VALU_DEP_1) | instskip(NEXT) | instid1(VALU_DEP_1)
	v_sub_f32_e32 v28, v28, v34
	v_sub_f32_e32 v28, v28, v29
	s_delay_alu instid0(VALU_DEP_1) | instskip(SKIP_2) | instid1(VALU_DEP_1)
	v_add_f32_e32 v25, v25, v28
	v_add_f32_e32 v28, v33, v30
	v_sub_f32_e32 v32, v29, v32
	v_sub_f32_e32 v29, v32, v31
	s_delay_alu instid0(VALU_DEP_1) | instskip(NEXT) | instid1(VALU_DEP_4)
	v_add_f32_e32 v25, v29, v25
	v_sub_f32_e32 v29, v28, v33
	s_delay_alu instid0(VALU_DEP_2) | instskip(NEXT) | instid1(VALU_DEP_2)
	v_add_f32_e32 v25, v34, v25
	v_sub_f32_e32 v29, v30, v29
	s_delay_alu instid0(VALU_DEP_2) | instskip(NEXT) | instid1(VALU_DEP_1)
	v_mul_f32_e32 v25, v27, v25
	v_add_f32_e32 v25, v29, v25
	s_delay_alu instid0(VALU_DEP_1) | instskip(NEXT) | instid1(VALU_DEP_1)
	v_add_f32_e32 v27, v28, v25
	v_mul_f32_e32 v29, v27, v27
	s_delay_alu instid0(VALU_DEP_1) | instskip(SKIP_1) | instid1(VALU_DEP_2)
	v_fmaak_f32 v30, s54, v29, 0x3ecc95a3
	v_mul_f32_e32 v31, v27, v29
	v_fmaak_f32 v29, v29, v30, 0x3f2aaada
	v_ldexp_f32 v30, v27, 1
	s_delay_alu instid0(VALU_DEP_2) | instskip(SKIP_1) | instid1(VALU_DEP_2)
	v_mul_f32_e32 v29, v31, v29
	v_sub_f32_e32 v27, v27, v28
	v_dual_mul_f32 v31, 0x3f317218, v24 :: v_dual_add_f32 v28, v30, v29
	s_delay_alu instid0(VALU_DEP_2) | instskip(NEXT) | instid1(VALU_DEP_2)
	v_sub_f32_e32 v25, v25, v27
	v_sub_f32_e32 v27, v28, v30
	s_delay_alu instid0(VALU_DEP_3) | instskip(NEXT) | instid1(VALU_DEP_3)
	v_fma_f32 v30, 0x3f317218, v24, -v31
	v_ldexp_f32 v25, v25, 1
	s_delay_alu instid0(VALU_DEP_2) | instskip(NEXT) | instid1(VALU_DEP_1)
	v_dual_sub_f32 v27, v29, v27 :: v_dual_fmac_f32 v30, 0xb102e308, v24
	v_dual_add_f32 v24, v25, v27 :: v_dual_add_f32 v25, v31, v30
	s_delay_alu instid0(VALU_DEP_1) | instskip(NEXT) | instid1(VALU_DEP_1)
	v_add_f32_e32 v27, v28, v24
	v_dual_add_f32 v29, v25, v27 :: v_dual_sub_f32 v28, v27, v28
	s_delay_alu instid0(VALU_DEP_1) | instskip(NEXT) | instid1(VALU_DEP_2)
	v_sub_f32_e32 v32, v29, v25
	v_dual_sub_f32 v31, v25, v31 :: v_dual_sub_f32 v24, v24, v28
	s_delay_alu instid0(VALU_DEP_1) | instskip(SKIP_1) | instid1(VALU_DEP_2)
	v_dual_sub_f32 v33, v29, v32 :: v_dual_sub_f32 v30, v30, v31
	v_sub_f32_e32 v27, v27, v32
	v_dual_sub_f32 v25, v25, v33 :: v_dual_add_f32 v28, v30, v24
	s_delay_alu instid0(VALU_DEP_1) | instskip(NEXT) | instid1(VALU_DEP_2)
	v_add_f32_e32 v25, v27, v25
	v_sub_f32_e32 v27, v28, v30
	s_delay_alu instid0(VALU_DEP_2) | instskip(NEXT) | instid1(VALU_DEP_2)
	v_add_f32_e32 v25, v28, v25
	v_sub_f32_e32 v28, v28, v27
	s_delay_alu instid0(VALU_DEP_2) | instskip(NEXT) | instid1(VALU_DEP_1)
	v_dual_sub_f32 v24, v24, v27 :: v_dual_add_f32 v31, v29, v25
	v_dual_sub_f32 v28, v30, v28 :: v_dual_sub_f32 v27, v31, v29
	s_delay_alu instid0(VALU_DEP_1) | instskip(NEXT) | instid1(VALU_DEP_1)
	v_dual_add_f32 v24, v24, v28 :: v_dual_sub_f32 v25, v25, v27
	v_add_f32_e32 v24, v24, v25
	s_delay_alu instid0(VALU_DEP_1) | instskip(NEXT) | instid1(VALU_DEP_1)
	v_add_f32_e32 v24, v31, v24
	v_cndmask_b32_e32 v81, v24, v26, vcc_lo
.LBB89_34:                              ;   in Loop: Header=BB89_12 Depth=1
	s_or_b32 exec_lo, exec_lo, s16
	v_lshrrev_b32_e32 v24, 16, v15
	s_delay_alu instid0(VALU_DEP_1) | instskip(NEXT) | instid1(VALU_DEP_1)
	v_cvt_f32_f16_e32 v24, v24
	v_add_f32_e32 v82, s57, v24
	s_delay_alu instid0(VALU_DEP_1) | instskip(SKIP_1) | instid1(SALU_CYCLE_1)
	v_cmp_ge_f32_e32 vcc_lo, 0x41a00000, v82
	s_and_b32 s14, s67, vcc_lo
	s_and_saveexec_b32 s16, s14
	s_cbranch_execz .LBB89_36
; %bb.35:                               ;   in Loop: Header=BB89_12 Depth=1
	v_mul_f32_e32 v24, 0x3fb8aa3b, v82
	v_cmp_ngt_f32_e32 vcc_lo, 0xc2ce8ed0, v82
	s_delay_alu instid0(VALU_DEP_2) | instskip(SKIP_1) | instid1(VALU_DEP_2)
	v_rndne_f32_e32 v25, v24
	v_fma_f32 v26, 0x3fb8aa3b, v82, -v24
	v_sub_f32_e32 v24, v24, v25
	s_delay_alu instid0(VALU_DEP_2) | instskip(SKIP_1) | instid1(VALU_DEP_2)
	v_fmac_f32_e32 v26, 0x32a5705f, v82
	v_cvt_i32_f32_e32 v25, v25
	v_add_f32_e32 v24, v24, v26
	s_delay_alu instid0(VALU_DEP_1) | instskip(SKIP_2) | instid1(VALU_DEP_1)
	v_exp_f32_e32 v24, v24
	s_waitcnt_depctr 0xfff
	v_ldexp_f32 v24, v24, v25
	v_cndmask_b32_e32 v24, 0, v24, vcc_lo
	v_cmp_nlt_f32_e32 vcc_lo, 0x42b17218, v82
	s_delay_alu instid0(VALU_DEP_2) | instskip(NEXT) | instid1(VALU_DEP_1)
	v_cndmask_b32_e32 v26, 0x7f800000, v24, vcc_lo
	v_add_f32_e32 v27, 1.0, v26
	s_delay_alu instid0(VALU_DEP_1) | instskip(NEXT) | instid1(VALU_DEP_1)
	v_cvt_f64_f32_e32 v[24:25], v27
	v_frexp_exp_i32_f64_e32 v24, v[24:25]
	v_frexp_mant_f32_e32 v25, v27
	s_delay_alu instid0(VALU_DEP_1) | instskip(SKIP_1) | instid1(VALU_DEP_1)
	v_cmp_gt_f32_e32 vcc_lo, 0x3f2aaaab, v25
	v_add_f32_e32 v25, -1.0, v27
	v_sub_f32_e32 v29, v25, v27
	v_sub_f32_e32 v25, v26, v25
	s_delay_alu instid0(VALU_DEP_2) | instskip(NEXT) | instid1(VALU_DEP_1)
	v_add_f32_e32 v29, 1.0, v29
	v_add_f32_e32 v25, v25, v29
	v_cmp_gt_f32_e64 s14, 0x33800000, v26
	v_subrev_co_ci_u32_e32 v24, vcc_lo, 0, v24, vcc_lo
	v_cmp_eq_f32_e32 vcc_lo, 0x7f800000, v26
	s_delay_alu instid0(VALU_DEP_2) | instskip(SKIP_2) | instid1(VALU_DEP_2)
	v_sub_nc_u32_e32 v28, 0, v24
	v_cvt_f32_i32_e32 v24, v24
	s_or_b32 vcc_lo, s14, vcc_lo
	v_ldexp_f32 v27, v27, v28
	v_ldexp_f32 v25, v25, v28
	s_delay_alu instid0(VALU_DEP_2) | instskip(NEXT) | instid1(VALU_DEP_1)
	v_add_f32_e32 v30, 1.0, v27
	v_dual_add_f32 v28, -1.0, v27 :: v_dual_add_f32 v29, -1.0, v30
	s_delay_alu instid0(VALU_DEP_1) | instskip(NEXT) | instid1(VALU_DEP_2)
	v_add_f32_e32 v31, 1.0, v28
	v_sub_f32_e32 v29, v27, v29
	s_delay_alu instid0(VALU_DEP_2) | instskip(NEXT) | instid1(VALU_DEP_2)
	v_sub_f32_e32 v27, v27, v31
	v_add_f32_e32 v29, v25, v29
	s_delay_alu instid0(VALU_DEP_2) | instskip(NEXT) | instid1(VALU_DEP_1)
	v_add_f32_e32 v25, v25, v27
	v_add_f32_e32 v32, v28, v25
	s_delay_alu instid0(VALU_DEP_1) | instskip(NEXT) | instid1(VALU_DEP_1)
	v_dual_add_f32 v31, v30, v29 :: v_dual_sub_f32 v28, v28, v32
	v_rcp_f32_e32 v27, v31
	v_sub_f32_e32 v30, v30, v31
	s_delay_alu instid0(VALU_DEP_1) | instskip(SKIP_2) | instid1(VALU_DEP_1)
	v_add_f32_e32 v29, v29, v30
	s_waitcnt_depctr 0xfff
	v_mul_f32_e32 v33, v32, v27
	v_mul_f32_e32 v34, v31, v33
	s_delay_alu instid0(VALU_DEP_1) | instskip(NEXT) | instid1(VALU_DEP_1)
	v_fma_f32 v30, v33, v31, -v34
	v_fmac_f32_e32 v30, v33, v29
	s_delay_alu instid0(VALU_DEP_1) | instskip(NEXT) | instid1(VALU_DEP_1)
	v_add_f32_e32 v35, v34, v30
	v_sub_f32_e32 v36, v32, v35
	s_delay_alu instid0(VALU_DEP_1) | instskip(SKIP_1) | instid1(VALU_DEP_2)
	v_sub_f32_e32 v32, v32, v36
	v_dual_add_f32 v25, v25, v28 :: v_dual_sub_f32 v28, v35, v34
	v_sub_f32_e32 v32, v32, v35
	s_delay_alu instid0(VALU_DEP_1) | instskip(NEXT) | instid1(VALU_DEP_1)
	v_dual_sub_f32 v28, v28, v30 :: v_dual_add_f32 v25, v25, v32
	v_add_f32_e32 v25, v28, v25
	s_delay_alu instid0(VALU_DEP_1) | instskip(NEXT) | instid1(VALU_DEP_1)
	v_add_f32_e32 v28, v36, v25
	v_mul_f32_e32 v30, v27, v28
	s_delay_alu instid0(VALU_DEP_1) | instskip(NEXT) | instid1(VALU_DEP_1)
	v_dual_sub_f32 v35, v36, v28 :: v_dual_mul_f32 v32, v31, v30
	v_add_f32_e32 v25, v25, v35
	s_delay_alu instid0(VALU_DEP_2) | instskip(NEXT) | instid1(VALU_DEP_1)
	v_fma_f32 v31, v30, v31, -v32
	v_fmac_f32_e32 v31, v30, v29
	s_delay_alu instid0(VALU_DEP_1) | instskip(NEXT) | instid1(VALU_DEP_1)
	v_add_f32_e32 v29, v32, v31
	v_sub_f32_e32 v34, v28, v29
	s_delay_alu instid0(VALU_DEP_1) | instskip(NEXT) | instid1(VALU_DEP_1)
	v_sub_f32_e32 v28, v28, v34
	v_sub_f32_e32 v28, v28, v29
	s_delay_alu instid0(VALU_DEP_1) | instskip(SKIP_2) | instid1(VALU_DEP_1)
	v_add_f32_e32 v25, v25, v28
	v_add_f32_e32 v28, v33, v30
	v_sub_f32_e32 v32, v29, v32
	v_sub_f32_e32 v29, v32, v31
	s_delay_alu instid0(VALU_DEP_1) | instskip(NEXT) | instid1(VALU_DEP_4)
	v_add_f32_e32 v25, v29, v25
	v_sub_f32_e32 v29, v28, v33
	s_delay_alu instid0(VALU_DEP_2) | instskip(NEXT) | instid1(VALU_DEP_2)
	v_add_f32_e32 v25, v34, v25
	v_sub_f32_e32 v29, v30, v29
	s_delay_alu instid0(VALU_DEP_2) | instskip(NEXT) | instid1(VALU_DEP_1)
	v_mul_f32_e32 v25, v27, v25
	v_add_f32_e32 v25, v29, v25
	s_delay_alu instid0(VALU_DEP_1) | instskip(NEXT) | instid1(VALU_DEP_1)
	v_add_f32_e32 v27, v28, v25
	v_mul_f32_e32 v29, v27, v27
	s_delay_alu instid0(VALU_DEP_1) | instskip(SKIP_1) | instid1(VALU_DEP_2)
	v_fmaak_f32 v30, s54, v29, 0x3ecc95a3
	v_mul_f32_e32 v31, v27, v29
	v_fmaak_f32 v29, v29, v30, 0x3f2aaada
	v_ldexp_f32 v30, v27, 1
	s_delay_alu instid0(VALU_DEP_2) | instskip(SKIP_1) | instid1(VALU_DEP_2)
	v_mul_f32_e32 v29, v31, v29
	v_sub_f32_e32 v27, v27, v28
	v_dual_mul_f32 v31, 0x3f317218, v24 :: v_dual_add_f32 v28, v30, v29
	s_delay_alu instid0(VALU_DEP_2) | instskip(NEXT) | instid1(VALU_DEP_2)
	v_sub_f32_e32 v25, v25, v27
	v_sub_f32_e32 v27, v28, v30
	s_delay_alu instid0(VALU_DEP_3) | instskip(NEXT) | instid1(VALU_DEP_3)
	v_fma_f32 v30, 0x3f317218, v24, -v31
	v_ldexp_f32 v25, v25, 1
	s_delay_alu instid0(VALU_DEP_2) | instskip(NEXT) | instid1(VALU_DEP_1)
	v_dual_sub_f32 v27, v29, v27 :: v_dual_fmac_f32 v30, 0xb102e308, v24
	v_dual_add_f32 v24, v25, v27 :: v_dual_add_f32 v25, v31, v30
	s_delay_alu instid0(VALU_DEP_1) | instskip(NEXT) | instid1(VALU_DEP_1)
	v_add_f32_e32 v27, v28, v24
	v_dual_add_f32 v29, v25, v27 :: v_dual_sub_f32 v28, v27, v28
	s_delay_alu instid0(VALU_DEP_1) | instskip(NEXT) | instid1(VALU_DEP_2)
	v_sub_f32_e32 v32, v29, v25
	v_dual_sub_f32 v31, v25, v31 :: v_dual_sub_f32 v24, v24, v28
	s_delay_alu instid0(VALU_DEP_1) | instskip(SKIP_1) | instid1(VALU_DEP_2)
	v_dual_sub_f32 v33, v29, v32 :: v_dual_sub_f32 v30, v30, v31
	v_sub_f32_e32 v27, v27, v32
	v_dual_sub_f32 v25, v25, v33 :: v_dual_add_f32 v28, v30, v24
	s_delay_alu instid0(VALU_DEP_1) | instskip(NEXT) | instid1(VALU_DEP_2)
	v_add_f32_e32 v25, v27, v25
	v_sub_f32_e32 v27, v28, v30
	s_delay_alu instid0(VALU_DEP_2) | instskip(NEXT) | instid1(VALU_DEP_2)
	v_add_f32_e32 v25, v28, v25
	v_sub_f32_e32 v28, v28, v27
	s_delay_alu instid0(VALU_DEP_2) | instskip(NEXT) | instid1(VALU_DEP_1)
	v_dual_sub_f32 v24, v24, v27 :: v_dual_add_f32 v31, v29, v25
	v_dual_sub_f32 v28, v30, v28 :: v_dual_sub_f32 v27, v31, v29
	s_delay_alu instid0(VALU_DEP_1) | instskip(NEXT) | instid1(VALU_DEP_1)
	v_dual_add_f32 v24, v24, v28 :: v_dual_sub_f32 v25, v25, v27
	v_add_f32_e32 v24, v24, v25
	s_delay_alu instid0(VALU_DEP_1) | instskip(NEXT) | instid1(VALU_DEP_1)
	v_add_f32_e32 v24, v31, v24
	v_cndmask_b32_e32 v82, v24, v26, vcc_lo
.LBB89_36:                              ;   in Loop: Header=BB89_12 Depth=1
	s_or_b32 exec_lo, exec_lo, s16
	s_waitcnt lgkmcnt(0)
	v_cvt_f32_f16_e32 v24, v8
	s_delay_alu instid0(VALU_DEP_1) | instskip(NEXT) | instid1(VALU_DEP_1)
	v_add_f32_e32 v83, s57, v24
	v_cmp_ge_f32_e32 vcc_lo, 0x41a00000, v83
	s_and_b32 s14, s67, vcc_lo
	s_delay_alu instid0(SALU_CYCLE_1)
	s_and_saveexec_b32 s16, s14
	s_cbranch_execz .LBB89_38
; %bb.37:                               ;   in Loop: Header=BB89_12 Depth=1
	v_mul_f32_e32 v24, 0x3fb8aa3b, v83
	v_cmp_ngt_f32_e32 vcc_lo, 0xc2ce8ed0, v83
	s_delay_alu instid0(VALU_DEP_2) | instskip(SKIP_1) | instid1(VALU_DEP_2)
	v_rndne_f32_e32 v25, v24
	v_fma_f32 v26, 0x3fb8aa3b, v83, -v24
	v_sub_f32_e32 v24, v24, v25
	s_delay_alu instid0(VALU_DEP_2) | instskip(SKIP_1) | instid1(VALU_DEP_2)
	v_fmac_f32_e32 v26, 0x32a5705f, v83
	v_cvt_i32_f32_e32 v25, v25
	v_add_f32_e32 v24, v24, v26
	s_delay_alu instid0(VALU_DEP_1) | instskip(SKIP_2) | instid1(VALU_DEP_1)
	v_exp_f32_e32 v24, v24
	s_waitcnt_depctr 0xfff
	v_ldexp_f32 v24, v24, v25
	v_cndmask_b32_e32 v24, 0, v24, vcc_lo
	v_cmp_nlt_f32_e32 vcc_lo, 0x42b17218, v83
	s_delay_alu instid0(VALU_DEP_2) | instskip(NEXT) | instid1(VALU_DEP_1)
	v_cndmask_b32_e32 v26, 0x7f800000, v24, vcc_lo
	v_add_f32_e32 v27, 1.0, v26
	s_delay_alu instid0(VALU_DEP_1) | instskip(NEXT) | instid1(VALU_DEP_1)
	v_cvt_f64_f32_e32 v[24:25], v27
	v_frexp_exp_i32_f64_e32 v24, v[24:25]
	v_frexp_mant_f32_e32 v25, v27
	s_delay_alu instid0(VALU_DEP_1) | instskip(SKIP_1) | instid1(VALU_DEP_1)
	v_cmp_gt_f32_e32 vcc_lo, 0x3f2aaaab, v25
	v_add_f32_e32 v25, -1.0, v27
	v_sub_f32_e32 v29, v25, v27
	v_sub_f32_e32 v25, v26, v25
	s_delay_alu instid0(VALU_DEP_2) | instskip(NEXT) | instid1(VALU_DEP_1)
	v_add_f32_e32 v29, 1.0, v29
	v_add_f32_e32 v25, v25, v29
	v_cmp_gt_f32_e64 s14, 0x33800000, v26
	v_subrev_co_ci_u32_e32 v24, vcc_lo, 0, v24, vcc_lo
	v_cmp_eq_f32_e32 vcc_lo, 0x7f800000, v26
	s_delay_alu instid0(VALU_DEP_2) | instskip(SKIP_2) | instid1(VALU_DEP_2)
	v_sub_nc_u32_e32 v28, 0, v24
	v_cvt_f32_i32_e32 v24, v24
	s_or_b32 vcc_lo, s14, vcc_lo
	v_ldexp_f32 v27, v27, v28
	v_ldexp_f32 v25, v25, v28
	s_delay_alu instid0(VALU_DEP_2) | instskip(NEXT) | instid1(VALU_DEP_1)
	v_add_f32_e32 v30, 1.0, v27
	v_dual_add_f32 v28, -1.0, v27 :: v_dual_add_f32 v29, -1.0, v30
	s_delay_alu instid0(VALU_DEP_1) | instskip(NEXT) | instid1(VALU_DEP_2)
	v_add_f32_e32 v31, 1.0, v28
	v_sub_f32_e32 v29, v27, v29
	s_delay_alu instid0(VALU_DEP_2) | instskip(NEXT) | instid1(VALU_DEP_2)
	v_sub_f32_e32 v27, v27, v31
	v_add_f32_e32 v29, v25, v29
	s_delay_alu instid0(VALU_DEP_2) | instskip(NEXT) | instid1(VALU_DEP_1)
	v_add_f32_e32 v25, v25, v27
	v_add_f32_e32 v32, v28, v25
	s_delay_alu instid0(VALU_DEP_1) | instskip(NEXT) | instid1(VALU_DEP_1)
	v_dual_add_f32 v31, v30, v29 :: v_dual_sub_f32 v28, v28, v32
	v_rcp_f32_e32 v27, v31
	v_sub_f32_e32 v30, v30, v31
	s_delay_alu instid0(VALU_DEP_1) | instskip(SKIP_2) | instid1(VALU_DEP_1)
	v_add_f32_e32 v29, v29, v30
	s_waitcnt_depctr 0xfff
	v_mul_f32_e32 v33, v32, v27
	v_mul_f32_e32 v34, v31, v33
	s_delay_alu instid0(VALU_DEP_1) | instskip(NEXT) | instid1(VALU_DEP_1)
	v_fma_f32 v30, v33, v31, -v34
	v_fmac_f32_e32 v30, v33, v29
	s_delay_alu instid0(VALU_DEP_1) | instskip(NEXT) | instid1(VALU_DEP_1)
	v_add_f32_e32 v35, v34, v30
	v_sub_f32_e32 v36, v32, v35
	s_delay_alu instid0(VALU_DEP_1) | instskip(SKIP_1) | instid1(VALU_DEP_2)
	v_sub_f32_e32 v32, v32, v36
	v_dual_add_f32 v25, v25, v28 :: v_dual_sub_f32 v28, v35, v34
	v_sub_f32_e32 v32, v32, v35
	s_delay_alu instid0(VALU_DEP_1) | instskip(NEXT) | instid1(VALU_DEP_1)
	v_dual_sub_f32 v28, v28, v30 :: v_dual_add_f32 v25, v25, v32
	v_add_f32_e32 v25, v28, v25
	s_delay_alu instid0(VALU_DEP_1) | instskip(NEXT) | instid1(VALU_DEP_1)
	v_add_f32_e32 v28, v36, v25
	v_mul_f32_e32 v30, v27, v28
	s_delay_alu instid0(VALU_DEP_1) | instskip(NEXT) | instid1(VALU_DEP_1)
	v_dual_sub_f32 v35, v36, v28 :: v_dual_mul_f32 v32, v31, v30
	v_add_f32_e32 v25, v25, v35
	s_delay_alu instid0(VALU_DEP_2) | instskip(NEXT) | instid1(VALU_DEP_1)
	v_fma_f32 v31, v30, v31, -v32
	v_fmac_f32_e32 v31, v30, v29
	s_delay_alu instid0(VALU_DEP_1) | instskip(NEXT) | instid1(VALU_DEP_1)
	v_add_f32_e32 v29, v32, v31
	v_sub_f32_e32 v34, v28, v29
	s_delay_alu instid0(VALU_DEP_1) | instskip(NEXT) | instid1(VALU_DEP_1)
	v_sub_f32_e32 v28, v28, v34
	v_sub_f32_e32 v28, v28, v29
	s_delay_alu instid0(VALU_DEP_1) | instskip(SKIP_2) | instid1(VALU_DEP_1)
	v_add_f32_e32 v25, v25, v28
	v_add_f32_e32 v28, v33, v30
	v_sub_f32_e32 v32, v29, v32
	v_sub_f32_e32 v29, v32, v31
	s_delay_alu instid0(VALU_DEP_1) | instskip(NEXT) | instid1(VALU_DEP_4)
	v_add_f32_e32 v25, v29, v25
	v_sub_f32_e32 v29, v28, v33
	s_delay_alu instid0(VALU_DEP_2) | instskip(NEXT) | instid1(VALU_DEP_2)
	v_add_f32_e32 v25, v34, v25
	v_sub_f32_e32 v29, v30, v29
	s_delay_alu instid0(VALU_DEP_2) | instskip(NEXT) | instid1(VALU_DEP_1)
	v_mul_f32_e32 v25, v27, v25
	v_add_f32_e32 v25, v29, v25
	s_delay_alu instid0(VALU_DEP_1) | instskip(NEXT) | instid1(VALU_DEP_1)
	v_add_f32_e32 v27, v28, v25
	v_mul_f32_e32 v29, v27, v27
	s_delay_alu instid0(VALU_DEP_1) | instskip(SKIP_1) | instid1(VALU_DEP_2)
	v_fmaak_f32 v30, s54, v29, 0x3ecc95a3
	v_mul_f32_e32 v31, v27, v29
	v_fmaak_f32 v29, v29, v30, 0x3f2aaada
	v_ldexp_f32 v30, v27, 1
	s_delay_alu instid0(VALU_DEP_2) | instskip(SKIP_1) | instid1(VALU_DEP_2)
	v_mul_f32_e32 v29, v31, v29
	v_sub_f32_e32 v27, v27, v28
	v_dual_mul_f32 v31, 0x3f317218, v24 :: v_dual_add_f32 v28, v30, v29
	s_delay_alu instid0(VALU_DEP_2) | instskip(NEXT) | instid1(VALU_DEP_2)
	v_sub_f32_e32 v25, v25, v27
	v_sub_f32_e32 v27, v28, v30
	s_delay_alu instid0(VALU_DEP_3) | instskip(NEXT) | instid1(VALU_DEP_3)
	v_fma_f32 v30, 0x3f317218, v24, -v31
	v_ldexp_f32 v25, v25, 1
	s_delay_alu instid0(VALU_DEP_2) | instskip(NEXT) | instid1(VALU_DEP_1)
	v_dual_sub_f32 v27, v29, v27 :: v_dual_fmac_f32 v30, 0xb102e308, v24
	v_dual_add_f32 v24, v25, v27 :: v_dual_add_f32 v25, v31, v30
	s_delay_alu instid0(VALU_DEP_1) | instskip(NEXT) | instid1(VALU_DEP_1)
	v_add_f32_e32 v27, v28, v24
	v_dual_add_f32 v29, v25, v27 :: v_dual_sub_f32 v28, v27, v28
	s_delay_alu instid0(VALU_DEP_1) | instskip(NEXT) | instid1(VALU_DEP_2)
	v_sub_f32_e32 v32, v29, v25
	v_dual_sub_f32 v31, v25, v31 :: v_dual_sub_f32 v24, v24, v28
	s_delay_alu instid0(VALU_DEP_1) | instskip(SKIP_1) | instid1(VALU_DEP_2)
	v_dual_sub_f32 v33, v29, v32 :: v_dual_sub_f32 v30, v30, v31
	v_sub_f32_e32 v27, v27, v32
	v_dual_sub_f32 v25, v25, v33 :: v_dual_add_f32 v28, v30, v24
	s_delay_alu instid0(VALU_DEP_1) | instskip(NEXT) | instid1(VALU_DEP_2)
	v_add_f32_e32 v25, v27, v25
	v_sub_f32_e32 v27, v28, v30
	s_delay_alu instid0(VALU_DEP_2) | instskip(NEXT) | instid1(VALU_DEP_2)
	v_add_f32_e32 v25, v28, v25
	v_sub_f32_e32 v28, v28, v27
	s_delay_alu instid0(VALU_DEP_2) | instskip(NEXT) | instid1(VALU_DEP_1)
	v_dual_sub_f32 v24, v24, v27 :: v_dual_add_f32 v31, v29, v25
	v_dual_sub_f32 v28, v30, v28 :: v_dual_sub_f32 v27, v31, v29
	s_delay_alu instid0(VALU_DEP_1) | instskip(NEXT) | instid1(VALU_DEP_1)
	v_dual_add_f32 v24, v24, v28 :: v_dual_sub_f32 v25, v25, v27
	v_add_f32_e32 v24, v24, v25
	s_delay_alu instid0(VALU_DEP_1) | instskip(NEXT) | instid1(VALU_DEP_1)
	v_add_f32_e32 v24, v31, v24
	v_cndmask_b32_e32 v83, v24, v26, vcc_lo
.LBB89_38:                              ;   in Loop: Header=BB89_12 Depth=1
	s_or_b32 exec_lo, exec_lo, s16
	v_lshrrev_b32_e32 v24, 16, v8
	s_delay_alu instid0(VALU_DEP_1) | instskip(NEXT) | instid1(VALU_DEP_1)
	v_cvt_f32_f16_e32 v24, v24
	v_add_f32_e32 v84, s57, v24
	s_delay_alu instid0(VALU_DEP_1) | instskip(SKIP_1) | instid1(SALU_CYCLE_1)
	v_cmp_ge_f32_e32 vcc_lo, 0x41a00000, v84
	s_and_b32 s14, s67, vcc_lo
	s_and_saveexec_b32 s16, s14
	s_cbranch_execz .LBB89_40
; %bb.39:                               ;   in Loop: Header=BB89_12 Depth=1
	v_mul_f32_e32 v24, 0x3fb8aa3b, v84
	v_cmp_ngt_f32_e32 vcc_lo, 0xc2ce8ed0, v84
	s_delay_alu instid0(VALU_DEP_2) | instskip(SKIP_1) | instid1(VALU_DEP_2)
	v_rndne_f32_e32 v25, v24
	v_fma_f32 v26, 0x3fb8aa3b, v84, -v24
	v_sub_f32_e32 v24, v24, v25
	s_delay_alu instid0(VALU_DEP_2) | instskip(SKIP_1) | instid1(VALU_DEP_2)
	v_fmac_f32_e32 v26, 0x32a5705f, v84
	v_cvt_i32_f32_e32 v25, v25
	v_add_f32_e32 v24, v24, v26
	s_delay_alu instid0(VALU_DEP_1) | instskip(SKIP_2) | instid1(VALU_DEP_1)
	v_exp_f32_e32 v24, v24
	s_waitcnt_depctr 0xfff
	v_ldexp_f32 v24, v24, v25
	v_cndmask_b32_e32 v24, 0, v24, vcc_lo
	v_cmp_nlt_f32_e32 vcc_lo, 0x42b17218, v84
	s_delay_alu instid0(VALU_DEP_2) | instskip(NEXT) | instid1(VALU_DEP_1)
	v_cndmask_b32_e32 v26, 0x7f800000, v24, vcc_lo
	v_add_f32_e32 v27, 1.0, v26
	s_delay_alu instid0(VALU_DEP_1) | instskip(NEXT) | instid1(VALU_DEP_1)
	v_cvt_f64_f32_e32 v[24:25], v27
	v_frexp_exp_i32_f64_e32 v24, v[24:25]
	v_frexp_mant_f32_e32 v25, v27
	s_delay_alu instid0(VALU_DEP_1) | instskip(SKIP_1) | instid1(VALU_DEP_1)
	v_cmp_gt_f32_e32 vcc_lo, 0x3f2aaaab, v25
	v_add_f32_e32 v25, -1.0, v27
	v_sub_f32_e32 v29, v25, v27
	v_sub_f32_e32 v25, v26, v25
	s_delay_alu instid0(VALU_DEP_2) | instskip(NEXT) | instid1(VALU_DEP_1)
	v_add_f32_e32 v29, 1.0, v29
	v_add_f32_e32 v25, v25, v29
	v_cmp_gt_f32_e64 s14, 0x33800000, v26
	v_subrev_co_ci_u32_e32 v24, vcc_lo, 0, v24, vcc_lo
	v_cmp_eq_f32_e32 vcc_lo, 0x7f800000, v26
	s_delay_alu instid0(VALU_DEP_2) | instskip(SKIP_2) | instid1(VALU_DEP_2)
	v_sub_nc_u32_e32 v28, 0, v24
	v_cvt_f32_i32_e32 v24, v24
	s_or_b32 vcc_lo, s14, vcc_lo
	v_ldexp_f32 v27, v27, v28
	v_ldexp_f32 v25, v25, v28
	s_delay_alu instid0(VALU_DEP_2) | instskip(NEXT) | instid1(VALU_DEP_1)
	v_add_f32_e32 v30, 1.0, v27
	v_dual_add_f32 v28, -1.0, v27 :: v_dual_add_f32 v29, -1.0, v30
	s_delay_alu instid0(VALU_DEP_1) | instskip(NEXT) | instid1(VALU_DEP_2)
	v_add_f32_e32 v31, 1.0, v28
	v_sub_f32_e32 v29, v27, v29
	s_delay_alu instid0(VALU_DEP_2) | instskip(NEXT) | instid1(VALU_DEP_2)
	v_sub_f32_e32 v27, v27, v31
	v_add_f32_e32 v29, v25, v29
	s_delay_alu instid0(VALU_DEP_2) | instskip(NEXT) | instid1(VALU_DEP_1)
	v_add_f32_e32 v25, v25, v27
	v_add_f32_e32 v32, v28, v25
	s_delay_alu instid0(VALU_DEP_1) | instskip(NEXT) | instid1(VALU_DEP_1)
	v_dual_add_f32 v31, v30, v29 :: v_dual_sub_f32 v28, v28, v32
	v_rcp_f32_e32 v27, v31
	v_sub_f32_e32 v30, v30, v31
	s_delay_alu instid0(VALU_DEP_1) | instskip(SKIP_2) | instid1(VALU_DEP_1)
	v_add_f32_e32 v29, v29, v30
	s_waitcnt_depctr 0xfff
	v_mul_f32_e32 v33, v32, v27
	v_mul_f32_e32 v34, v31, v33
	s_delay_alu instid0(VALU_DEP_1) | instskip(NEXT) | instid1(VALU_DEP_1)
	v_fma_f32 v30, v33, v31, -v34
	v_fmac_f32_e32 v30, v33, v29
	s_delay_alu instid0(VALU_DEP_1) | instskip(NEXT) | instid1(VALU_DEP_1)
	v_add_f32_e32 v35, v34, v30
	v_sub_f32_e32 v36, v32, v35
	s_delay_alu instid0(VALU_DEP_1) | instskip(SKIP_1) | instid1(VALU_DEP_2)
	v_sub_f32_e32 v32, v32, v36
	v_dual_add_f32 v25, v25, v28 :: v_dual_sub_f32 v28, v35, v34
	v_sub_f32_e32 v32, v32, v35
	s_delay_alu instid0(VALU_DEP_1) | instskip(NEXT) | instid1(VALU_DEP_1)
	v_dual_sub_f32 v28, v28, v30 :: v_dual_add_f32 v25, v25, v32
	v_add_f32_e32 v25, v28, v25
	s_delay_alu instid0(VALU_DEP_1) | instskip(NEXT) | instid1(VALU_DEP_1)
	v_add_f32_e32 v28, v36, v25
	v_mul_f32_e32 v30, v27, v28
	s_delay_alu instid0(VALU_DEP_1) | instskip(NEXT) | instid1(VALU_DEP_1)
	v_dual_sub_f32 v35, v36, v28 :: v_dual_mul_f32 v32, v31, v30
	v_add_f32_e32 v25, v25, v35
	s_delay_alu instid0(VALU_DEP_2) | instskip(NEXT) | instid1(VALU_DEP_1)
	v_fma_f32 v31, v30, v31, -v32
	v_fmac_f32_e32 v31, v30, v29
	s_delay_alu instid0(VALU_DEP_1) | instskip(NEXT) | instid1(VALU_DEP_1)
	v_add_f32_e32 v29, v32, v31
	v_sub_f32_e32 v34, v28, v29
	s_delay_alu instid0(VALU_DEP_1) | instskip(NEXT) | instid1(VALU_DEP_1)
	v_sub_f32_e32 v28, v28, v34
	v_sub_f32_e32 v28, v28, v29
	s_delay_alu instid0(VALU_DEP_1) | instskip(SKIP_2) | instid1(VALU_DEP_1)
	v_add_f32_e32 v25, v25, v28
	v_add_f32_e32 v28, v33, v30
	v_sub_f32_e32 v32, v29, v32
	v_sub_f32_e32 v29, v32, v31
	s_delay_alu instid0(VALU_DEP_1) | instskip(NEXT) | instid1(VALU_DEP_4)
	v_add_f32_e32 v25, v29, v25
	v_sub_f32_e32 v29, v28, v33
	s_delay_alu instid0(VALU_DEP_2) | instskip(NEXT) | instid1(VALU_DEP_2)
	v_add_f32_e32 v25, v34, v25
	v_sub_f32_e32 v29, v30, v29
	s_delay_alu instid0(VALU_DEP_2) | instskip(NEXT) | instid1(VALU_DEP_1)
	v_mul_f32_e32 v25, v27, v25
	v_add_f32_e32 v25, v29, v25
	s_delay_alu instid0(VALU_DEP_1) | instskip(NEXT) | instid1(VALU_DEP_1)
	v_add_f32_e32 v27, v28, v25
	v_mul_f32_e32 v29, v27, v27
	s_delay_alu instid0(VALU_DEP_1) | instskip(SKIP_1) | instid1(VALU_DEP_2)
	v_fmaak_f32 v30, s54, v29, 0x3ecc95a3
	v_mul_f32_e32 v31, v27, v29
	v_fmaak_f32 v29, v29, v30, 0x3f2aaada
	v_ldexp_f32 v30, v27, 1
	s_delay_alu instid0(VALU_DEP_2) | instskip(SKIP_1) | instid1(VALU_DEP_2)
	v_mul_f32_e32 v29, v31, v29
	v_sub_f32_e32 v27, v27, v28
	v_dual_mul_f32 v31, 0x3f317218, v24 :: v_dual_add_f32 v28, v30, v29
	s_delay_alu instid0(VALU_DEP_2) | instskip(NEXT) | instid1(VALU_DEP_2)
	v_sub_f32_e32 v25, v25, v27
	v_sub_f32_e32 v27, v28, v30
	s_delay_alu instid0(VALU_DEP_3) | instskip(NEXT) | instid1(VALU_DEP_3)
	v_fma_f32 v30, 0x3f317218, v24, -v31
	v_ldexp_f32 v25, v25, 1
	s_delay_alu instid0(VALU_DEP_2) | instskip(NEXT) | instid1(VALU_DEP_1)
	v_dual_sub_f32 v27, v29, v27 :: v_dual_fmac_f32 v30, 0xb102e308, v24
	v_dual_add_f32 v24, v25, v27 :: v_dual_add_f32 v25, v31, v30
	s_delay_alu instid0(VALU_DEP_1) | instskip(NEXT) | instid1(VALU_DEP_1)
	v_add_f32_e32 v27, v28, v24
	v_dual_add_f32 v29, v25, v27 :: v_dual_sub_f32 v28, v27, v28
	s_delay_alu instid0(VALU_DEP_1) | instskip(NEXT) | instid1(VALU_DEP_2)
	v_sub_f32_e32 v32, v29, v25
	v_dual_sub_f32 v31, v25, v31 :: v_dual_sub_f32 v24, v24, v28
	s_delay_alu instid0(VALU_DEP_1) | instskip(SKIP_1) | instid1(VALU_DEP_2)
	v_dual_sub_f32 v33, v29, v32 :: v_dual_sub_f32 v30, v30, v31
	v_sub_f32_e32 v27, v27, v32
	v_dual_sub_f32 v25, v25, v33 :: v_dual_add_f32 v28, v30, v24
	s_delay_alu instid0(VALU_DEP_1) | instskip(NEXT) | instid1(VALU_DEP_2)
	v_add_f32_e32 v25, v27, v25
	v_sub_f32_e32 v27, v28, v30
	s_delay_alu instid0(VALU_DEP_2) | instskip(NEXT) | instid1(VALU_DEP_2)
	v_add_f32_e32 v25, v28, v25
	v_sub_f32_e32 v28, v28, v27
	s_delay_alu instid0(VALU_DEP_2) | instskip(NEXT) | instid1(VALU_DEP_1)
	v_dual_sub_f32 v24, v24, v27 :: v_dual_add_f32 v31, v29, v25
	v_dual_sub_f32 v28, v30, v28 :: v_dual_sub_f32 v27, v31, v29
	s_delay_alu instid0(VALU_DEP_1) | instskip(NEXT) | instid1(VALU_DEP_1)
	v_dual_add_f32 v24, v24, v28 :: v_dual_sub_f32 v25, v25, v27
	v_add_f32_e32 v24, v24, v25
	s_delay_alu instid0(VALU_DEP_1) | instskip(NEXT) | instid1(VALU_DEP_1)
	v_add_f32_e32 v24, v31, v24
	v_cndmask_b32_e32 v84, v24, v26, vcc_lo
.LBB89_40:                              ;   in Loop: Header=BB89_12 Depth=1
	s_or_b32 exec_lo, exec_lo, s16
	v_cvt_f32_f16_e32 v24, v9
	s_delay_alu instid0(VALU_DEP_1) | instskip(NEXT) | instid1(VALU_DEP_1)
	v_add_f32_e32 v97, s57, v24
	v_cmp_ge_f32_e32 vcc_lo, 0x41a00000, v97
	s_and_b32 s14, s67, vcc_lo
	s_delay_alu instid0(SALU_CYCLE_1)
	s_and_saveexec_b32 s16, s14
	s_cbranch_execz .LBB89_42
; %bb.41:                               ;   in Loop: Header=BB89_12 Depth=1
	v_mul_f32_e32 v24, 0x3fb8aa3b, v97
	v_cmp_ngt_f32_e32 vcc_lo, 0xc2ce8ed0, v97
	s_delay_alu instid0(VALU_DEP_2) | instskip(SKIP_1) | instid1(VALU_DEP_2)
	v_rndne_f32_e32 v25, v24
	v_fma_f32 v26, 0x3fb8aa3b, v97, -v24
	v_sub_f32_e32 v24, v24, v25
	s_delay_alu instid0(VALU_DEP_2) | instskip(SKIP_1) | instid1(VALU_DEP_2)
	v_fmac_f32_e32 v26, 0x32a5705f, v97
	v_cvt_i32_f32_e32 v25, v25
	v_add_f32_e32 v24, v24, v26
	s_delay_alu instid0(VALU_DEP_1) | instskip(SKIP_2) | instid1(VALU_DEP_1)
	v_exp_f32_e32 v24, v24
	s_waitcnt_depctr 0xfff
	v_ldexp_f32 v24, v24, v25
	v_cndmask_b32_e32 v24, 0, v24, vcc_lo
	v_cmp_nlt_f32_e32 vcc_lo, 0x42b17218, v97
	s_delay_alu instid0(VALU_DEP_2) | instskip(NEXT) | instid1(VALU_DEP_1)
	v_cndmask_b32_e32 v26, 0x7f800000, v24, vcc_lo
	v_add_f32_e32 v27, 1.0, v26
	s_delay_alu instid0(VALU_DEP_1) | instskip(NEXT) | instid1(VALU_DEP_1)
	v_cvt_f64_f32_e32 v[24:25], v27
	v_frexp_exp_i32_f64_e32 v24, v[24:25]
	v_frexp_mant_f32_e32 v25, v27
	s_delay_alu instid0(VALU_DEP_1) | instskip(SKIP_1) | instid1(VALU_DEP_1)
	v_cmp_gt_f32_e32 vcc_lo, 0x3f2aaaab, v25
	v_add_f32_e32 v25, -1.0, v27
	v_sub_f32_e32 v29, v25, v27
	v_sub_f32_e32 v25, v26, v25
	s_delay_alu instid0(VALU_DEP_2) | instskip(NEXT) | instid1(VALU_DEP_1)
	v_add_f32_e32 v29, 1.0, v29
	v_add_f32_e32 v25, v25, v29
	v_cmp_gt_f32_e64 s14, 0x33800000, v26
	v_subrev_co_ci_u32_e32 v24, vcc_lo, 0, v24, vcc_lo
	v_cmp_eq_f32_e32 vcc_lo, 0x7f800000, v26
	s_delay_alu instid0(VALU_DEP_2) | instskip(SKIP_2) | instid1(VALU_DEP_2)
	v_sub_nc_u32_e32 v28, 0, v24
	v_cvt_f32_i32_e32 v24, v24
	s_or_b32 vcc_lo, s14, vcc_lo
	v_ldexp_f32 v27, v27, v28
	v_ldexp_f32 v25, v25, v28
	s_delay_alu instid0(VALU_DEP_2) | instskip(NEXT) | instid1(VALU_DEP_1)
	v_add_f32_e32 v30, 1.0, v27
	v_dual_add_f32 v28, -1.0, v27 :: v_dual_add_f32 v29, -1.0, v30
	s_delay_alu instid0(VALU_DEP_1) | instskip(NEXT) | instid1(VALU_DEP_2)
	v_add_f32_e32 v31, 1.0, v28
	v_sub_f32_e32 v29, v27, v29
	s_delay_alu instid0(VALU_DEP_2) | instskip(NEXT) | instid1(VALU_DEP_2)
	v_sub_f32_e32 v27, v27, v31
	v_add_f32_e32 v29, v25, v29
	s_delay_alu instid0(VALU_DEP_2) | instskip(NEXT) | instid1(VALU_DEP_1)
	v_add_f32_e32 v25, v25, v27
	v_add_f32_e32 v32, v28, v25
	s_delay_alu instid0(VALU_DEP_1) | instskip(NEXT) | instid1(VALU_DEP_1)
	v_dual_add_f32 v31, v30, v29 :: v_dual_sub_f32 v28, v28, v32
	v_rcp_f32_e32 v27, v31
	v_sub_f32_e32 v30, v30, v31
	s_delay_alu instid0(VALU_DEP_1) | instskip(SKIP_2) | instid1(VALU_DEP_1)
	v_add_f32_e32 v29, v29, v30
	s_waitcnt_depctr 0xfff
	v_mul_f32_e32 v33, v32, v27
	v_mul_f32_e32 v34, v31, v33
	s_delay_alu instid0(VALU_DEP_1) | instskip(NEXT) | instid1(VALU_DEP_1)
	v_fma_f32 v30, v33, v31, -v34
	v_fmac_f32_e32 v30, v33, v29
	s_delay_alu instid0(VALU_DEP_1) | instskip(NEXT) | instid1(VALU_DEP_1)
	v_add_f32_e32 v35, v34, v30
	v_sub_f32_e32 v36, v32, v35
	s_delay_alu instid0(VALU_DEP_1) | instskip(SKIP_1) | instid1(VALU_DEP_2)
	v_sub_f32_e32 v32, v32, v36
	v_dual_add_f32 v25, v25, v28 :: v_dual_sub_f32 v28, v35, v34
	v_sub_f32_e32 v32, v32, v35
	s_delay_alu instid0(VALU_DEP_1) | instskip(NEXT) | instid1(VALU_DEP_1)
	v_dual_sub_f32 v28, v28, v30 :: v_dual_add_f32 v25, v25, v32
	v_add_f32_e32 v25, v28, v25
	s_delay_alu instid0(VALU_DEP_1) | instskip(NEXT) | instid1(VALU_DEP_1)
	v_add_f32_e32 v28, v36, v25
	v_mul_f32_e32 v30, v27, v28
	s_delay_alu instid0(VALU_DEP_1) | instskip(NEXT) | instid1(VALU_DEP_1)
	v_dual_sub_f32 v35, v36, v28 :: v_dual_mul_f32 v32, v31, v30
	v_add_f32_e32 v25, v25, v35
	s_delay_alu instid0(VALU_DEP_2) | instskip(NEXT) | instid1(VALU_DEP_1)
	v_fma_f32 v31, v30, v31, -v32
	v_fmac_f32_e32 v31, v30, v29
	s_delay_alu instid0(VALU_DEP_1) | instskip(NEXT) | instid1(VALU_DEP_1)
	v_add_f32_e32 v29, v32, v31
	v_sub_f32_e32 v34, v28, v29
	s_delay_alu instid0(VALU_DEP_1) | instskip(NEXT) | instid1(VALU_DEP_1)
	v_sub_f32_e32 v28, v28, v34
	v_sub_f32_e32 v28, v28, v29
	s_delay_alu instid0(VALU_DEP_1) | instskip(SKIP_2) | instid1(VALU_DEP_1)
	v_add_f32_e32 v25, v25, v28
	v_add_f32_e32 v28, v33, v30
	v_sub_f32_e32 v32, v29, v32
	v_sub_f32_e32 v29, v32, v31
	s_delay_alu instid0(VALU_DEP_1) | instskip(NEXT) | instid1(VALU_DEP_4)
	v_add_f32_e32 v25, v29, v25
	v_sub_f32_e32 v29, v28, v33
	s_delay_alu instid0(VALU_DEP_2) | instskip(NEXT) | instid1(VALU_DEP_2)
	v_add_f32_e32 v25, v34, v25
	v_sub_f32_e32 v29, v30, v29
	s_delay_alu instid0(VALU_DEP_2) | instskip(NEXT) | instid1(VALU_DEP_1)
	v_mul_f32_e32 v25, v27, v25
	v_add_f32_e32 v25, v29, v25
	s_delay_alu instid0(VALU_DEP_1) | instskip(NEXT) | instid1(VALU_DEP_1)
	v_add_f32_e32 v27, v28, v25
	v_mul_f32_e32 v29, v27, v27
	s_delay_alu instid0(VALU_DEP_1) | instskip(SKIP_1) | instid1(VALU_DEP_2)
	v_fmaak_f32 v30, s54, v29, 0x3ecc95a3
	v_mul_f32_e32 v31, v27, v29
	v_fmaak_f32 v29, v29, v30, 0x3f2aaada
	v_ldexp_f32 v30, v27, 1
	s_delay_alu instid0(VALU_DEP_2) | instskip(SKIP_1) | instid1(VALU_DEP_2)
	v_mul_f32_e32 v29, v31, v29
	v_sub_f32_e32 v27, v27, v28
	v_dual_mul_f32 v31, 0x3f317218, v24 :: v_dual_add_f32 v28, v30, v29
	s_delay_alu instid0(VALU_DEP_2) | instskip(NEXT) | instid1(VALU_DEP_2)
	v_sub_f32_e32 v25, v25, v27
	v_sub_f32_e32 v27, v28, v30
	s_delay_alu instid0(VALU_DEP_3) | instskip(NEXT) | instid1(VALU_DEP_3)
	v_fma_f32 v30, 0x3f317218, v24, -v31
	v_ldexp_f32 v25, v25, 1
	s_delay_alu instid0(VALU_DEP_2) | instskip(NEXT) | instid1(VALU_DEP_1)
	v_dual_sub_f32 v27, v29, v27 :: v_dual_fmac_f32 v30, 0xb102e308, v24
	v_dual_add_f32 v24, v25, v27 :: v_dual_add_f32 v25, v31, v30
	s_delay_alu instid0(VALU_DEP_1) | instskip(NEXT) | instid1(VALU_DEP_1)
	v_add_f32_e32 v27, v28, v24
	v_dual_add_f32 v29, v25, v27 :: v_dual_sub_f32 v28, v27, v28
	s_delay_alu instid0(VALU_DEP_1) | instskip(NEXT) | instid1(VALU_DEP_2)
	v_sub_f32_e32 v32, v29, v25
	v_dual_sub_f32 v31, v25, v31 :: v_dual_sub_f32 v24, v24, v28
	s_delay_alu instid0(VALU_DEP_1) | instskip(SKIP_1) | instid1(VALU_DEP_2)
	v_dual_sub_f32 v33, v29, v32 :: v_dual_sub_f32 v30, v30, v31
	v_sub_f32_e32 v27, v27, v32
	v_dual_sub_f32 v25, v25, v33 :: v_dual_add_f32 v28, v30, v24
	s_delay_alu instid0(VALU_DEP_1) | instskip(NEXT) | instid1(VALU_DEP_2)
	v_add_f32_e32 v25, v27, v25
	v_sub_f32_e32 v27, v28, v30
	s_delay_alu instid0(VALU_DEP_2) | instskip(NEXT) | instid1(VALU_DEP_2)
	v_add_f32_e32 v25, v28, v25
	v_sub_f32_e32 v28, v28, v27
	s_delay_alu instid0(VALU_DEP_2) | instskip(NEXT) | instid1(VALU_DEP_1)
	v_dual_sub_f32 v24, v24, v27 :: v_dual_add_f32 v31, v29, v25
	v_dual_sub_f32 v28, v30, v28 :: v_dual_sub_f32 v27, v31, v29
	s_delay_alu instid0(VALU_DEP_1) | instskip(NEXT) | instid1(VALU_DEP_1)
	v_dual_add_f32 v24, v24, v28 :: v_dual_sub_f32 v25, v25, v27
	v_add_f32_e32 v24, v24, v25
	s_delay_alu instid0(VALU_DEP_1) | instskip(NEXT) | instid1(VALU_DEP_1)
	v_add_f32_e32 v24, v31, v24
	v_cndmask_b32_e32 v97, v24, v26, vcc_lo
.LBB89_42:                              ;   in Loop: Header=BB89_12 Depth=1
	s_or_b32 exec_lo, exec_lo, s16
	v_lshrrev_b32_e32 v24, 16, v9
	s_delay_alu instid0(VALU_DEP_1) | instskip(NEXT) | instid1(VALU_DEP_1)
	v_cvt_f32_f16_e32 v24, v24
	v_add_f32_e32 v99, s57, v24
	s_delay_alu instid0(VALU_DEP_1) | instskip(SKIP_1) | instid1(SALU_CYCLE_1)
	v_cmp_ge_f32_e32 vcc_lo, 0x41a00000, v99
	s_and_b32 s14, s67, vcc_lo
	s_and_saveexec_b32 s16, s14
	s_cbranch_execz .LBB89_44
; %bb.43:                               ;   in Loop: Header=BB89_12 Depth=1
	v_mul_f32_e32 v24, 0x3fb8aa3b, v99
	v_cmp_ngt_f32_e32 vcc_lo, 0xc2ce8ed0, v99
	s_delay_alu instid0(VALU_DEP_2) | instskip(SKIP_1) | instid1(VALU_DEP_2)
	v_rndne_f32_e32 v25, v24
	v_fma_f32 v26, 0x3fb8aa3b, v99, -v24
	v_sub_f32_e32 v24, v24, v25
	s_delay_alu instid0(VALU_DEP_2) | instskip(SKIP_1) | instid1(VALU_DEP_2)
	v_fmac_f32_e32 v26, 0x32a5705f, v99
	v_cvt_i32_f32_e32 v25, v25
	v_add_f32_e32 v24, v24, v26
	s_delay_alu instid0(VALU_DEP_1) | instskip(SKIP_2) | instid1(VALU_DEP_1)
	v_exp_f32_e32 v24, v24
	s_waitcnt_depctr 0xfff
	v_ldexp_f32 v24, v24, v25
	v_cndmask_b32_e32 v24, 0, v24, vcc_lo
	v_cmp_nlt_f32_e32 vcc_lo, 0x42b17218, v99
	s_delay_alu instid0(VALU_DEP_2) | instskip(NEXT) | instid1(VALU_DEP_1)
	v_cndmask_b32_e32 v26, 0x7f800000, v24, vcc_lo
	v_add_f32_e32 v27, 1.0, v26
	s_delay_alu instid0(VALU_DEP_1) | instskip(NEXT) | instid1(VALU_DEP_1)
	v_cvt_f64_f32_e32 v[24:25], v27
	v_frexp_exp_i32_f64_e32 v24, v[24:25]
	v_frexp_mant_f32_e32 v25, v27
	s_delay_alu instid0(VALU_DEP_1) | instskip(SKIP_1) | instid1(VALU_DEP_1)
	v_cmp_gt_f32_e32 vcc_lo, 0x3f2aaaab, v25
	v_add_f32_e32 v25, -1.0, v27
	v_sub_f32_e32 v29, v25, v27
	v_sub_f32_e32 v25, v26, v25
	s_delay_alu instid0(VALU_DEP_2) | instskip(NEXT) | instid1(VALU_DEP_1)
	v_add_f32_e32 v29, 1.0, v29
	v_add_f32_e32 v25, v25, v29
	v_cmp_gt_f32_e64 s14, 0x33800000, v26
	v_subrev_co_ci_u32_e32 v24, vcc_lo, 0, v24, vcc_lo
	v_cmp_eq_f32_e32 vcc_lo, 0x7f800000, v26
	s_delay_alu instid0(VALU_DEP_2) | instskip(SKIP_2) | instid1(VALU_DEP_2)
	v_sub_nc_u32_e32 v28, 0, v24
	v_cvt_f32_i32_e32 v24, v24
	s_or_b32 vcc_lo, s14, vcc_lo
	v_ldexp_f32 v27, v27, v28
	v_ldexp_f32 v25, v25, v28
	s_delay_alu instid0(VALU_DEP_2) | instskip(NEXT) | instid1(VALU_DEP_1)
	v_add_f32_e32 v30, 1.0, v27
	v_dual_add_f32 v28, -1.0, v27 :: v_dual_add_f32 v29, -1.0, v30
	s_delay_alu instid0(VALU_DEP_1) | instskip(NEXT) | instid1(VALU_DEP_2)
	v_add_f32_e32 v31, 1.0, v28
	v_sub_f32_e32 v29, v27, v29
	s_delay_alu instid0(VALU_DEP_2) | instskip(NEXT) | instid1(VALU_DEP_2)
	v_sub_f32_e32 v27, v27, v31
	v_add_f32_e32 v29, v25, v29
	s_delay_alu instid0(VALU_DEP_2) | instskip(NEXT) | instid1(VALU_DEP_1)
	v_add_f32_e32 v25, v25, v27
	v_add_f32_e32 v32, v28, v25
	s_delay_alu instid0(VALU_DEP_1) | instskip(NEXT) | instid1(VALU_DEP_1)
	v_dual_add_f32 v31, v30, v29 :: v_dual_sub_f32 v28, v28, v32
	v_rcp_f32_e32 v27, v31
	v_sub_f32_e32 v30, v30, v31
	s_delay_alu instid0(VALU_DEP_1) | instskip(SKIP_2) | instid1(VALU_DEP_1)
	v_add_f32_e32 v29, v29, v30
	s_waitcnt_depctr 0xfff
	v_mul_f32_e32 v33, v32, v27
	v_mul_f32_e32 v34, v31, v33
	s_delay_alu instid0(VALU_DEP_1) | instskip(NEXT) | instid1(VALU_DEP_1)
	v_fma_f32 v30, v33, v31, -v34
	v_fmac_f32_e32 v30, v33, v29
	s_delay_alu instid0(VALU_DEP_1) | instskip(NEXT) | instid1(VALU_DEP_1)
	v_add_f32_e32 v35, v34, v30
	v_sub_f32_e32 v36, v32, v35
	s_delay_alu instid0(VALU_DEP_1) | instskip(SKIP_1) | instid1(VALU_DEP_2)
	v_sub_f32_e32 v32, v32, v36
	v_dual_add_f32 v25, v25, v28 :: v_dual_sub_f32 v28, v35, v34
	v_sub_f32_e32 v32, v32, v35
	s_delay_alu instid0(VALU_DEP_1) | instskip(NEXT) | instid1(VALU_DEP_1)
	v_dual_sub_f32 v28, v28, v30 :: v_dual_add_f32 v25, v25, v32
	v_add_f32_e32 v25, v28, v25
	s_delay_alu instid0(VALU_DEP_1) | instskip(NEXT) | instid1(VALU_DEP_1)
	v_add_f32_e32 v28, v36, v25
	v_mul_f32_e32 v30, v27, v28
	s_delay_alu instid0(VALU_DEP_1) | instskip(NEXT) | instid1(VALU_DEP_1)
	v_dual_sub_f32 v35, v36, v28 :: v_dual_mul_f32 v32, v31, v30
	v_add_f32_e32 v25, v25, v35
	s_delay_alu instid0(VALU_DEP_2) | instskip(NEXT) | instid1(VALU_DEP_1)
	v_fma_f32 v31, v30, v31, -v32
	v_fmac_f32_e32 v31, v30, v29
	s_delay_alu instid0(VALU_DEP_1) | instskip(NEXT) | instid1(VALU_DEP_1)
	v_add_f32_e32 v29, v32, v31
	v_sub_f32_e32 v34, v28, v29
	s_delay_alu instid0(VALU_DEP_1) | instskip(NEXT) | instid1(VALU_DEP_1)
	v_sub_f32_e32 v28, v28, v34
	v_sub_f32_e32 v28, v28, v29
	s_delay_alu instid0(VALU_DEP_1) | instskip(SKIP_2) | instid1(VALU_DEP_1)
	v_add_f32_e32 v25, v25, v28
	v_add_f32_e32 v28, v33, v30
	v_sub_f32_e32 v32, v29, v32
	v_sub_f32_e32 v29, v32, v31
	s_delay_alu instid0(VALU_DEP_1) | instskip(NEXT) | instid1(VALU_DEP_4)
	v_add_f32_e32 v25, v29, v25
	v_sub_f32_e32 v29, v28, v33
	s_delay_alu instid0(VALU_DEP_2) | instskip(NEXT) | instid1(VALU_DEP_2)
	v_add_f32_e32 v25, v34, v25
	v_sub_f32_e32 v29, v30, v29
	s_delay_alu instid0(VALU_DEP_2) | instskip(NEXT) | instid1(VALU_DEP_1)
	v_mul_f32_e32 v25, v27, v25
	v_add_f32_e32 v25, v29, v25
	s_delay_alu instid0(VALU_DEP_1) | instskip(NEXT) | instid1(VALU_DEP_1)
	v_add_f32_e32 v27, v28, v25
	v_mul_f32_e32 v29, v27, v27
	s_delay_alu instid0(VALU_DEP_1) | instskip(SKIP_1) | instid1(VALU_DEP_2)
	v_fmaak_f32 v30, s54, v29, 0x3ecc95a3
	v_mul_f32_e32 v31, v27, v29
	v_fmaak_f32 v29, v29, v30, 0x3f2aaada
	v_ldexp_f32 v30, v27, 1
	s_delay_alu instid0(VALU_DEP_2) | instskip(SKIP_1) | instid1(VALU_DEP_2)
	v_mul_f32_e32 v29, v31, v29
	v_sub_f32_e32 v27, v27, v28
	v_dual_mul_f32 v31, 0x3f317218, v24 :: v_dual_add_f32 v28, v30, v29
	s_delay_alu instid0(VALU_DEP_2) | instskip(NEXT) | instid1(VALU_DEP_2)
	v_sub_f32_e32 v25, v25, v27
	v_sub_f32_e32 v27, v28, v30
	s_delay_alu instid0(VALU_DEP_3) | instskip(NEXT) | instid1(VALU_DEP_3)
	v_fma_f32 v30, 0x3f317218, v24, -v31
	v_ldexp_f32 v25, v25, 1
	s_delay_alu instid0(VALU_DEP_2) | instskip(NEXT) | instid1(VALU_DEP_1)
	v_dual_sub_f32 v27, v29, v27 :: v_dual_fmac_f32 v30, 0xb102e308, v24
	v_dual_add_f32 v24, v25, v27 :: v_dual_add_f32 v25, v31, v30
	s_delay_alu instid0(VALU_DEP_1) | instskip(NEXT) | instid1(VALU_DEP_1)
	v_add_f32_e32 v27, v28, v24
	v_dual_add_f32 v29, v25, v27 :: v_dual_sub_f32 v28, v27, v28
	s_delay_alu instid0(VALU_DEP_1) | instskip(NEXT) | instid1(VALU_DEP_2)
	v_sub_f32_e32 v32, v29, v25
	v_dual_sub_f32 v31, v25, v31 :: v_dual_sub_f32 v24, v24, v28
	s_delay_alu instid0(VALU_DEP_1) | instskip(SKIP_1) | instid1(VALU_DEP_2)
	v_dual_sub_f32 v33, v29, v32 :: v_dual_sub_f32 v30, v30, v31
	v_sub_f32_e32 v27, v27, v32
	v_dual_sub_f32 v25, v25, v33 :: v_dual_add_f32 v28, v30, v24
	s_delay_alu instid0(VALU_DEP_1) | instskip(NEXT) | instid1(VALU_DEP_2)
	v_add_f32_e32 v25, v27, v25
	v_sub_f32_e32 v27, v28, v30
	s_delay_alu instid0(VALU_DEP_2) | instskip(NEXT) | instid1(VALU_DEP_2)
	v_add_f32_e32 v25, v28, v25
	v_sub_f32_e32 v28, v28, v27
	s_delay_alu instid0(VALU_DEP_2) | instskip(NEXT) | instid1(VALU_DEP_1)
	v_dual_sub_f32 v24, v24, v27 :: v_dual_add_f32 v31, v29, v25
	v_dual_sub_f32 v28, v30, v28 :: v_dual_sub_f32 v27, v31, v29
	s_delay_alu instid0(VALU_DEP_1) | instskip(NEXT) | instid1(VALU_DEP_1)
	v_dual_add_f32 v24, v24, v28 :: v_dual_sub_f32 v25, v25, v27
	v_add_f32_e32 v24, v24, v25
	s_delay_alu instid0(VALU_DEP_1) | instskip(NEXT) | instid1(VALU_DEP_1)
	v_add_f32_e32 v24, v31, v24
	v_cndmask_b32_e32 v99, v24, v26, vcc_lo
.LBB89_44:                              ;   in Loop: Header=BB89_12 Depth=1
	s_or_b32 exec_lo, exec_lo, s16
	v_cvt_f32_f16_e32 v24, v10
	s_delay_alu instid0(VALU_DEP_1) | instskip(NEXT) | instid1(VALU_DEP_1)
	v_add_f32_e32 v102, s57, v24
	v_cmp_ge_f32_e32 vcc_lo, 0x41a00000, v102
	s_and_b32 s14, s67, vcc_lo
	s_delay_alu instid0(SALU_CYCLE_1)
	s_and_saveexec_b32 s16, s14
	s_cbranch_execz .LBB89_46
; %bb.45:                               ;   in Loop: Header=BB89_12 Depth=1
	v_mul_f32_e32 v24, 0x3fb8aa3b, v102
	v_cmp_ngt_f32_e32 vcc_lo, 0xc2ce8ed0, v102
	s_delay_alu instid0(VALU_DEP_2) | instskip(SKIP_1) | instid1(VALU_DEP_2)
	v_rndne_f32_e32 v25, v24
	v_fma_f32 v26, 0x3fb8aa3b, v102, -v24
	v_sub_f32_e32 v24, v24, v25
	s_delay_alu instid0(VALU_DEP_2) | instskip(SKIP_1) | instid1(VALU_DEP_2)
	v_fmac_f32_e32 v26, 0x32a5705f, v102
	v_cvt_i32_f32_e32 v25, v25
	v_add_f32_e32 v24, v24, v26
	s_delay_alu instid0(VALU_DEP_1) | instskip(SKIP_2) | instid1(VALU_DEP_1)
	v_exp_f32_e32 v24, v24
	s_waitcnt_depctr 0xfff
	v_ldexp_f32 v24, v24, v25
	v_cndmask_b32_e32 v24, 0, v24, vcc_lo
	v_cmp_nlt_f32_e32 vcc_lo, 0x42b17218, v102
	s_delay_alu instid0(VALU_DEP_2) | instskip(NEXT) | instid1(VALU_DEP_1)
	v_cndmask_b32_e32 v26, 0x7f800000, v24, vcc_lo
	v_add_f32_e32 v27, 1.0, v26
	s_delay_alu instid0(VALU_DEP_1) | instskip(NEXT) | instid1(VALU_DEP_1)
	v_cvt_f64_f32_e32 v[24:25], v27
	v_frexp_exp_i32_f64_e32 v24, v[24:25]
	v_frexp_mant_f32_e32 v25, v27
	s_delay_alu instid0(VALU_DEP_1) | instskip(SKIP_1) | instid1(VALU_DEP_1)
	v_cmp_gt_f32_e32 vcc_lo, 0x3f2aaaab, v25
	v_add_f32_e32 v25, -1.0, v27
	v_sub_f32_e32 v29, v25, v27
	v_sub_f32_e32 v25, v26, v25
	s_delay_alu instid0(VALU_DEP_2) | instskip(NEXT) | instid1(VALU_DEP_1)
	v_add_f32_e32 v29, 1.0, v29
	v_add_f32_e32 v25, v25, v29
	v_cmp_gt_f32_e64 s14, 0x33800000, v26
	v_subrev_co_ci_u32_e32 v24, vcc_lo, 0, v24, vcc_lo
	v_cmp_eq_f32_e32 vcc_lo, 0x7f800000, v26
	s_delay_alu instid0(VALU_DEP_2) | instskip(SKIP_2) | instid1(VALU_DEP_2)
	v_sub_nc_u32_e32 v28, 0, v24
	v_cvt_f32_i32_e32 v24, v24
	s_or_b32 vcc_lo, s14, vcc_lo
	v_ldexp_f32 v27, v27, v28
	v_ldexp_f32 v25, v25, v28
	s_delay_alu instid0(VALU_DEP_2) | instskip(NEXT) | instid1(VALU_DEP_1)
	v_add_f32_e32 v30, 1.0, v27
	v_dual_add_f32 v28, -1.0, v27 :: v_dual_add_f32 v29, -1.0, v30
	s_delay_alu instid0(VALU_DEP_1) | instskip(NEXT) | instid1(VALU_DEP_2)
	v_add_f32_e32 v31, 1.0, v28
	v_sub_f32_e32 v29, v27, v29
	s_delay_alu instid0(VALU_DEP_2) | instskip(NEXT) | instid1(VALU_DEP_2)
	v_sub_f32_e32 v27, v27, v31
	v_add_f32_e32 v29, v25, v29
	s_delay_alu instid0(VALU_DEP_2) | instskip(NEXT) | instid1(VALU_DEP_1)
	v_add_f32_e32 v25, v25, v27
	v_add_f32_e32 v32, v28, v25
	s_delay_alu instid0(VALU_DEP_1) | instskip(NEXT) | instid1(VALU_DEP_1)
	v_dual_add_f32 v31, v30, v29 :: v_dual_sub_f32 v28, v28, v32
	v_rcp_f32_e32 v27, v31
	v_sub_f32_e32 v30, v30, v31
	s_delay_alu instid0(VALU_DEP_1) | instskip(SKIP_2) | instid1(VALU_DEP_1)
	v_add_f32_e32 v29, v29, v30
	s_waitcnt_depctr 0xfff
	v_mul_f32_e32 v33, v32, v27
	v_mul_f32_e32 v34, v31, v33
	s_delay_alu instid0(VALU_DEP_1) | instskip(NEXT) | instid1(VALU_DEP_1)
	v_fma_f32 v30, v33, v31, -v34
	v_fmac_f32_e32 v30, v33, v29
	s_delay_alu instid0(VALU_DEP_1) | instskip(NEXT) | instid1(VALU_DEP_1)
	v_add_f32_e32 v35, v34, v30
	v_sub_f32_e32 v36, v32, v35
	s_delay_alu instid0(VALU_DEP_1) | instskip(SKIP_1) | instid1(VALU_DEP_2)
	v_sub_f32_e32 v32, v32, v36
	v_dual_add_f32 v25, v25, v28 :: v_dual_sub_f32 v28, v35, v34
	v_sub_f32_e32 v32, v32, v35
	s_delay_alu instid0(VALU_DEP_1) | instskip(NEXT) | instid1(VALU_DEP_1)
	v_dual_sub_f32 v28, v28, v30 :: v_dual_add_f32 v25, v25, v32
	v_add_f32_e32 v25, v28, v25
	s_delay_alu instid0(VALU_DEP_1) | instskip(NEXT) | instid1(VALU_DEP_1)
	v_add_f32_e32 v28, v36, v25
	v_mul_f32_e32 v30, v27, v28
	s_delay_alu instid0(VALU_DEP_1) | instskip(NEXT) | instid1(VALU_DEP_1)
	v_dual_sub_f32 v35, v36, v28 :: v_dual_mul_f32 v32, v31, v30
	v_add_f32_e32 v25, v25, v35
	s_delay_alu instid0(VALU_DEP_2) | instskip(NEXT) | instid1(VALU_DEP_1)
	v_fma_f32 v31, v30, v31, -v32
	v_fmac_f32_e32 v31, v30, v29
	s_delay_alu instid0(VALU_DEP_1) | instskip(NEXT) | instid1(VALU_DEP_1)
	v_add_f32_e32 v29, v32, v31
	v_sub_f32_e32 v34, v28, v29
	s_delay_alu instid0(VALU_DEP_1) | instskip(NEXT) | instid1(VALU_DEP_1)
	v_sub_f32_e32 v28, v28, v34
	v_sub_f32_e32 v28, v28, v29
	s_delay_alu instid0(VALU_DEP_1) | instskip(SKIP_2) | instid1(VALU_DEP_1)
	v_add_f32_e32 v25, v25, v28
	v_add_f32_e32 v28, v33, v30
	v_sub_f32_e32 v32, v29, v32
	v_sub_f32_e32 v29, v32, v31
	s_delay_alu instid0(VALU_DEP_1) | instskip(NEXT) | instid1(VALU_DEP_4)
	v_add_f32_e32 v25, v29, v25
	v_sub_f32_e32 v29, v28, v33
	s_delay_alu instid0(VALU_DEP_2) | instskip(NEXT) | instid1(VALU_DEP_2)
	v_add_f32_e32 v25, v34, v25
	v_sub_f32_e32 v29, v30, v29
	s_delay_alu instid0(VALU_DEP_2) | instskip(NEXT) | instid1(VALU_DEP_1)
	v_mul_f32_e32 v25, v27, v25
	v_add_f32_e32 v25, v29, v25
	s_delay_alu instid0(VALU_DEP_1) | instskip(NEXT) | instid1(VALU_DEP_1)
	v_add_f32_e32 v27, v28, v25
	v_mul_f32_e32 v29, v27, v27
	s_delay_alu instid0(VALU_DEP_1) | instskip(SKIP_1) | instid1(VALU_DEP_2)
	v_fmaak_f32 v30, s54, v29, 0x3ecc95a3
	v_mul_f32_e32 v31, v27, v29
	v_fmaak_f32 v29, v29, v30, 0x3f2aaada
	v_ldexp_f32 v30, v27, 1
	s_delay_alu instid0(VALU_DEP_2) | instskip(SKIP_1) | instid1(VALU_DEP_2)
	v_mul_f32_e32 v29, v31, v29
	v_sub_f32_e32 v27, v27, v28
	v_dual_mul_f32 v31, 0x3f317218, v24 :: v_dual_add_f32 v28, v30, v29
	s_delay_alu instid0(VALU_DEP_2) | instskip(NEXT) | instid1(VALU_DEP_2)
	v_sub_f32_e32 v25, v25, v27
	v_sub_f32_e32 v27, v28, v30
	s_delay_alu instid0(VALU_DEP_3) | instskip(NEXT) | instid1(VALU_DEP_3)
	v_fma_f32 v30, 0x3f317218, v24, -v31
	v_ldexp_f32 v25, v25, 1
	s_delay_alu instid0(VALU_DEP_2) | instskip(NEXT) | instid1(VALU_DEP_1)
	v_dual_sub_f32 v27, v29, v27 :: v_dual_fmac_f32 v30, 0xb102e308, v24
	v_dual_add_f32 v24, v25, v27 :: v_dual_add_f32 v25, v31, v30
	s_delay_alu instid0(VALU_DEP_1) | instskip(NEXT) | instid1(VALU_DEP_1)
	v_add_f32_e32 v27, v28, v24
	v_dual_add_f32 v29, v25, v27 :: v_dual_sub_f32 v28, v27, v28
	s_delay_alu instid0(VALU_DEP_1) | instskip(NEXT) | instid1(VALU_DEP_2)
	v_sub_f32_e32 v32, v29, v25
	v_dual_sub_f32 v31, v25, v31 :: v_dual_sub_f32 v24, v24, v28
	s_delay_alu instid0(VALU_DEP_1) | instskip(SKIP_1) | instid1(VALU_DEP_2)
	v_dual_sub_f32 v33, v29, v32 :: v_dual_sub_f32 v30, v30, v31
	v_sub_f32_e32 v27, v27, v32
	v_dual_sub_f32 v25, v25, v33 :: v_dual_add_f32 v28, v30, v24
	s_delay_alu instid0(VALU_DEP_1) | instskip(NEXT) | instid1(VALU_DEP_2)
	v_add_f32_e32 v25, v27, v25
	v_sub_f32_e32 v27, v28, v30
	s_delay_alu instid0(VALU_DEP_2) | instskip(NEXT) | instid1(VALU_DEP_2)
	v_add_f32_e32 v25, v28, v25
	v_sub_f32_e32 v28, v28, v27
	s_delay_alu instid0(VALU_DEP_2) | instskip(NEXT) | instid1(VALU_DEP_1)
	v_dual_sub_f32 v24, v24, v27 :: v_dual_add_f32 v31, v29, v25
	v_dual_sub_f32 v28, v30, v28 :: v_dual_sub_f32 v27, v31, v29
	s_delay_alu instid0(VALU_DEP_1) | instskip(NEXT) | instid1(VALU_DEP_1)
	v_dual_add_f32 v24, v24, v28 :: v_dual_sub_f32 v25, v25, v27
	v_add_f32_e32 v24, v24, v25
	s_delay_alu instid0(VALU_DEP_1) | instskip(NEXT) | instid1(VALU_DEP_1)
	v_add_f32_e32 v24, v31, v24
	v_cndmask_b32_e32 v102, v24, v26, vcc_lo
.LBB89_46:                              ;   in Loop: Header=BB89_12 Depth=1
	s_or_b32 exec_lo, exec_lo, s16
	v_lshrrev_b32_e32 v24, 16, v10
	s_delay_alu instid0(VALU_DEP_1) | instskip(NEXT) | instid1(VALU_DEP_1)
	v_cvt_f32_f16_e32 v24, v24
	v_add_f32_e32 v104, s57, v24
	s_delay_alu instid0(VALU_DEP_1) | instskip(SKIP_1) | instid1(SALU_CYCLE_1)
	v_cmp_ge_f32_e32 vcc_lo, 0x41a00000, v104
	s_and_b32 s14, s67, vcc_lo
	s_and_saveexec_b32 s16, s14
	s_cbranch_execz .LBB89_48
; %bb.47:                               ;   in Loop: Header=BB89_12 Depth=1
	v_mul_f32_e32 v24, 0x3fb8aa3b, v104
	v_cmp_ngt_f32_e32 vcc_lo, 0xc2ce8ed0, v104
	s_delay_alu instid0(VALU_DEP_2) | instskip(SKIP_1) | instid1(VALU_DEP_2)
	v_rndne_f32_e32 v25, v24
	v_fma_f32 v26, 0x3fb8aa3b, v104, -v24
	v_sub_f32_e32 v24, v24, v25
	s_delay_alu instid0(VALU_DEP_2) | instskip(SKIP_1) | instid1(VALU_DEP_2)
	v_fmac_f32_e32 v26, 0x32a5705f, v104
	v_cvt_i32_f32_e32 v25, v25
	v_add_f32_e32 v24, v24, v26
	s_delay_alu instid0(VALU_DEP_1) | instskip(SKIP_2) | instid1(VALU_DEP_1)
	v_exp_f32_e32 v24, v24
	s_waitcnt_depctr 0xfff
	v_ldexp_f32 v24, v24, v25
	v_cndmask_b32_e32 v24, 0, v24, vcc_lo
	v_cmp_nlt_f32_e32 vcc_lo, 0x42b17218, v104
	s_delay_alu instid0(VALU_DEP_2) | instskip(NEXT) | instid1(VALU_DEP_1)
	v_cndmask_b32_e32 v26, 0x7f800000, v24, vcc_lo
	v_add_f32_e32 v27, 1.0, v26
	s_delay_alu instid0(VALU_DEP_1) | instskip(NEXT) | instid1(VALU_DEP_1)
	v_cvt_f64_f32_e32 v[24:25], v27
	v_frexp_exp_i32_f64_e32 v24, v[24:25]
	v_frexp_mant_f32_e32 v25, v27
	s_delay_alu instid0(VALU_DEP_1) | instskip(SKIP_1) | instid1(VALU_DEP_1)
	v_cmp_gt_f32_e32 vcc_lo, 0x3f2aaaab, v25
	v_add_f32_e32 v25, -1.0, v27
	v_sub_f32_e32 v29, v25, v27
	v_sub_f32_e32 v25, v26, v25
	s_delay_alu instid0(VALU_DEP_2) | instskip(NEXT) | instid1(VALU_DEP_1)
	v_add_f32_e32 v29, 1.0, v29
	v_add_f32_e32 v25, v25, v29
	v_cmp_gt_f32_e64 s14, 0x33800000, v26
	v_subrev_co_ci_u32_e32 v24, vcc_lo, 0, v24, vcc_lo
	v_cmp_eq_f32_e32 vcc_lo, 0x7f800000, v26
	s_delay_alu instid0(VALU_DEP_2) | instskip(SKIP_2) | instid1(VALU_DEP_2)
	v_sub_nc_u32_e32 v28, 0, v24
	v_cvt_f32_i32_e32 v24, v24
	s_or_b32 vcc_lo, s14, vcc_lo
	v_ldexp_f32 v27, v27, v28
	v_ldexp_f32 v25, v25, v28
	s_delay_alu instid0(VALU_DEP_2) | instskip(NEXT) | instid1(VALU_DEP_1)
	v_add_f32_e32 v30, 1.0, v27
	v_dual_add_f32 v28, -1.0, v27 :: v_dual_add_f32 v29, -1.0, v30
	s_delay_alu instid0(VALU_DEP_1) | instskip(NEXT) | instid1(VALU_DEP_2)
	v_add_f32_e32 v31, 1.0, v28
	v_sub_f32_e32 v29, v27, v29
	s_delay_alu instid0(VALU_DEP_2) | instskip(NEXT) | instid1(VALU_DEP_2)
	v_sub_f32_e32 v27, v27, v31
	v_add_f32_e32 v29, v25, v29
	s_delay_alu instid0(VALU_DEP_2) | instskip(NEXT) | instid1(VALU_DEP_1)
	v_add_f32_e32 v25, v25, v27
	v_add_f32_e32 v32, v28, v25
	s_delay_alu instid0(VALU_DEP_1) | instskip(NEXT) | instid1(VALU_DEP_1)
	v_dual_add_f32 v31, v30, v29 :: v_dual_sub_f32 v28, v28, v32
	v_rcp_f32_e32 v27, v31
	v_sub_f32_e32 v30, v30, v31
	s_delay_alu instid0(VALU_DEP_1) | instskip(SKIP_2) | instid1(VALU_DEP_1)
	v_add_f32_e32 v29, v29, v30
	s_waitcnt_depctr 0xfff
	v_mul_f32_e32 v33, v32, v27
	v_mul_f32_e32 v34, v31, v33
	s_delay_alu instid0(VALU_DEP_1) | instskip(NEXT) | instid1(VALU_DEP_1)
	v_fma_f32 v30, v33, v31, -v34
	v_fmac_f32_e32 v30, v33, v29
	s_delay_alu instid0(VALU_DEP_1) | instskip(NEXT) | instid1(VALU_DEP_1)
	v_add_f32_e32 v35, v34, v30
	v_sub_f32_e32 v36, v32, v35
	s_delay_alu instid0(VALU_DEP_1) | instskip(SKIP_1) | instid1(VALU_DEP_2)
	v_sub_f32_e32 v32, v32, v36
	v_dual_add_f32 v25, v25, v28 :: v_dual_sub_f32 v28, v35, v34
	v_sub_f32_e32 v32, v32, v35
	s_delay_alu instid0(VALU_DEP_1) | instskip(NEXT) | instid1(VALU_DEP_1)
	v_dual_sub_f32 v28, v28, v30 :: v_dual_add_f32 v25, v25, v32
	v_add_f32_e32 v25, v28, v25
	s_delay_alu instid0(VALU_DEP_1) | instskip(NEXT) | instid1(VALU_DEP_1)
	v_add_f32_e32 v28, v36, v25
	v_mul_f32_e32 v30, v27, v28
	s_delay_alu instid0(VALU_DEP_1) | instskip(NEXT) | instid1(VALU_DEP_1)
	v_dual_sub_f32 v35, v36, v28 :: v_dual_mul_f32 v32, v31, v30
	v_add_f32_e32 v25, v25, v35
	s_delay_alu instid0(VALU_DEP_2) | instskip(NEXT) | instid1(VALU_DEP_1)
	v_fma_f32 v31, v30, v31, -v32
	v_fmac_f32_e32 v31, v30, v29
	s_delay_alu instid0(VALU_DEP_1) | instskip(NEXT) | instid1(VALU_DEP_1)
	v_add_f32_e32 v29, v32, v31
	v_sub_f32_e32 v34, v28, v29
	s_delay_alu instid0(VALU_DEP_1) | instskip(NEXT) | instid1(VALU_DEP_1)
	v_sub_f32_e32 v28, v28, v34
	v_sub_f32_e32 v28, v28, v29
	s_delay_alu instid0(VALU_DEP_1) | instskip(SKIP_2) | instid1(VALU_DEP_1)
	v_add_f32_e32 v25, v25, v28
	v_add_f32_e32 v28, v33, v30
	v_sub_f32_e32 v32, v29, v32
	v_sub_f32_e32 v29, v32, v31
	s_delay_alu instid0(VALU_DEP_1) | instskip(NEXT) | instid1(VALU_DEP_4)
	v_add_f32_e32 v25, v29, v25
	v_sub_f32_e32 v29, v28, v33
	s_delay_alu instid0(VALU_DEP_2) | instskip(NEXT) | instid1(VALU_DEP_2)
	v_add_f32_e32 v25, v34, v25
	v_sub_f32_e32 v29, v30, v29
	s_delay_alu instid0(VALU_DEP_2) | instskip(NEXT) | instid1(VALU_DEP_1)
	v_mul_f32_e32 v25, v27, v25
	v_add_f32_e32 v25, v29, v25
	s_delay_alu instid0(VALU_DEP_1) | instskip(NEXT) | instid1(VALU_DEP_1)
	v_add_f32_e32 v27, v28, v25
	v_mul_f32_e32 v29, v27, v27
	s_delay_alu instid0(VALU_DEP_1) | instskip(SKIP_1) | instid1(VALU_DEP_2)
	v_fmaak_f32 v30, s54, v29, 0x3ecc95a3
	v_mul_f32_e32 v31, v27, v29
	v_fmaak_f32 v29, v29, v30, 0x3f2aaada
	v_ldexp_f32 v30, v27, 1
	s_delay_alu instid0(VALU_DEP_2) | instskip(SKIP_1) | instid1(VALU_DEP_2)
	v_mul_f32_e32 v29, v31, v29
	v_sub_f32_e32 v27, v27, v28
	v_dual_mul_f32 v31, 0x3f317218, v24 :: v_dual_add_f32 v28, v30, v29
	s_delay_alu instid0(VALU_DEP_2) | instskip(NEXT) | instid1(VALU_DEP_2)
	v_sub_f32_e32 v25, v25, v27
	v_sub_f32_e32 v27, v28, v30
	s_delay_alu instid0(VALU_DEP_3) | instskip(NEXT) | instid1(VALU_DEP_3)
	v_fma_f32 v30, 0x3f317218, v24, -v31
	v_ldexp_f32 v25, v25, 1
	s_delay_alu instid0(VALU_DEP_2) | instskip(NEXT) | instid1(VALU_DEP_1)
	v_dual_sub_f32 v27, v29, v27 :: v_dual_fmac_f32 v30, 0xb102e308, v24
	v_dual_add_f32 v24, v25, v27 :: v_dual_add_f32 v25, v31, v30
	s_delay_alu instid0(VALU_DEP_1) | instskip(NEXT) | instid1(VALU_DEP_1)
	v_add_f32_e32 v27, v28, v24
	v_dual_add_f32 v29, v25, v27 :: v_dual_sub_f32 v28, v27, v28
	s_delay_alu instid0(VALU_DEP_1) | instskip(NEXT) | instid1(VALU_DEP_2)
	v_sub_f32_e32 v32, v29, v25
	v_dual_sub_f32 v31, v25, v31 :: v_dual_sub_f32 v24, v24, v28
	s_delay_alu instid0(VALU_DEP_1) | instskip(SKIP_1) | instid1(VALU_DEP_2)
	v_dual_sub_f32 v33, v29, v32 :: v_dual_sub_f32 v30, v30, v31
	v_sub_f32_e32 v27, v27, v32
	v_dual_sub_f32 v25, v25, v33 :: v_dual_add_f32 v28, v30, v24
	s_delay_alu instid0(VALU_DEP_1) | instskip(NEXT) | instid1(VALU_DEP_2)
	v_add_f32_e32 v25, v27, v25
	v_sub_f32_e32 v27, v28, v30
	s_delay_alu instid0(VALU_DEP_2) | instskip(NEXT) | instid1(VALU_DEP_2)
	v_add_f32_e32 v25, v28, v25
	v_sub_f32_e32 v28, v28, v27
	s_delay_alu instid0(VALU_DEP_2) | instskip(NEXT) | instid1(VALU_DEP_1)
	v_dual_sub_f32 v24, v24, v27 :: v_dual_add_f32 v31, v29, v25
	v_dual_sub_f32 v28, v30, v28 :: v_dual_sub_f32 v27, v31, v29
	s_delay_alu instid0(VALU_DEP_1) | instskip(NEXT) | instid1(VALU_DEP_1)
	v_dual_add_f32 v24, v24, v28 :: v_dual_sub_f32 v25, v25, v27
	v_add_f32_e32 v24, v24, v25
	s_delay_alu instid0(VALU_DEP_1) | instskip(NEXT) | instid1(VALU_DEP_1)
	v_add_f32_e32 v24, v31, v24
	v_cndmask_b32_e32 v104, v24, v26, vcc_lo
.LBB89_48:                              ;   in Loop: Header=BB89_12 Depth=1
	s_or_b32 exec_lo, exec_lo, s16
	v_cvt_f32_f16_e32 v24, v11
	s_delay_alu instid0(VALU_DEP_1) | instskip(NEXT) | instid1(VALU_DEP_1)
	v_add_f32_e32 v105, s57, v24
	v_cmp_ge_f32_e32 vcc_lo, 0x41a00000, v105
	s_and_b32 s14, s67, vcc_lo
	s_delay_alu instid0(SALU_CYCLE_1)
	s_and_saveexec_b32 s16, s14
	s_cbranch_execz .LBB89_50
; %bb.49:                               ;   in Loop: Header=BB89_12 Depth=1
	v_mul_f32_e32 v24, 0x3fb8aa3b, v105
	v_cmp_ngt_f32_e32 vcc_lo, 0xc2ce8ed0, v105
	s_delay_alu instid0(VALU_DEP_2) | instskip(SKIP_1) | instid1(VALU_DEP_2)
	v_rndne_f32_e32 v25, v24
	v_fma_f32 v26, 0x3fb8aa3b, v105, -v24
	v_sub_f32_e32 v24, v24, v25
	s_delay_alu instid0(VALU_DEP_2) | instskip(SKIP_1) | instid1(VALU_DEP_2)
	v_fmac_f32_e32 v26, 0x32a5705f, v105
	v_cvt_i32_f32_e32 v25, v25
	v_add_f32_e32 v24, v24, v26
	s_delay_alu instid0(VALU_DEP_1) | instskip(SKIP_2) | instid1(VALU_DEP_1)
	v_exp_f32_e32 v24, v24
	s_waitcnt_depctr 0xfff
	v_ldexp_f32 v24, v24, v25
	v_cndmask_b32_e32 v24, 0, v24, vcc_lo
	v_cmp_nlt_f32_e32 vcc_lo, 0x42b17218, v105
	s_delay_alu instid0(VALU_DEP_2) | instskip(NEXT) | instid1(VALU_DEP_1)
	v_cndmask_b32_e32 v26, 0x7f800000, v24, vcc_lo
	v_add_f32_e32 v27, 1.0, v26
	s_delay_alu instid0(VALU_DEP_1) | instskip(NEXT) | instid1(VALU_DEP_1)
	v_cvt_f64_f32_e32 v[24:25], v27
	v_frexp_exp_i32_f64_e32 v24, v[24:25]
	v_frexp_mant_f32_e32 v25, v27
	s_delay_alu instid0(VALU_DEP_1) | instskip(SKIP_1) | instid1(VALU_DEP_1)
	v_cmp_gt_f32_e32 vcc_lo, 0x3f2aaaab, v25
	v_add_f32_e32 v25, -1.0, v27
	v_sub_f32_e32 v29, v25, v27
	v_sub_f32_e32 v25, v26, v25
	s_delay_alu instid0(VALU_DEP_2) | instskip(NEXT) | instid1(VALU_DEP_1)
	v_add_f32_e32 v29, 1.0, v29
	v_add_f32_e32 v25, v25, v29
	v_cmp_gt_f32_e64 s14, 0x33800000, v26
	v_subrev_co_ci_u32_e32 v24, vcc_lo, 0, v24, vcc_lo
	v_cmp_eq_f32_e32 vcc_lo, 0x7f800000, v26
	s_delay_alu instid0(VALU_DEP_2) | instskip(SKIP_2) | instid1(VALU_DEP_2)
	v_sub_nc_u32_e32 v28, 0, v24
	v_cvt_f32_i32_e32 v24, v24
	s_or_b32 vcc_lo, s14, vcc_lo
	v_ldexp_f32 v27, v27, v28
	v_ldexp_f32 v25, v25, v28
	s_delay_alu instid0(VALU_DEP_2) | instskip(NEXT) | instid1(VALU_DEP_1)
	v_add_f32_e32 v30, 1.0, v27
	v_dual_add_f32 v28, -1.0, v27 :: v_dual_add_f32 v29, -1.0, v30
	s_delay_alu instid0(VALU_DEP_1) | instskip(NEXT) | instid1(VALU_DEP_2)
	v_add_f32_e32 v31, 1.0, v28
	v_sub_f32_e32 v29, v27, v29
	s_delay_alu instid0(VALU_DEP_2) | instskip(NEXT) | instid1(VALU_DEP_2)
	v_sub_f32_e32 v27, v27, v31
	v_add_f32_e32 v29, v25, v29
	s_delay_alu instid0(VALU_DEP_2) | instskip(NEXT) | instid1(VALU_DEP_1)
	v_add_f32_e32 v25, v25, v27
	v_add_f32_e32 v32, v28, v25
	s_delay_alu instid0(VALU_DEP_1) | instskip(NEXT) | instid1(VALU_DEP_1)
	v_dual_add_f32 v31, v30, v29 :: v_dual_sub_f32 v28, v28, v32
	v_rcp_f32_e32 v27, v31
	v_sub_f32_e32 v30, v30, v31
	s_delay_alu instid0(VALU_DEP_1) | instskip(SKIP_2) | instid1(VALU_DEP_1)
	v_add_f32_e32 v29, v29, v30
	s_waitcnt_depctr 0xfff
	v_mul_f32_e32 v33, v32, v27
	v_mul_f32_e32 v34, v31, v33
	s_delay_alu instid0(VALU_DEP_1) | instskip(NEXT) | instid1(VALU_DEP_1)
	v_fma_f32 v30, v33, v31, -v34
	v_fmac_f32_e32 v30, v33, v29
	s_delay_alu instid0(VALU_DEP_1) | instskip(NEXT) | instid1(VALU_DEP_1)
	v_add_f32_e32 v35, v34, v30
	v_sub_f32_e32 v36, v32, v35
	s_delay_alu instid0(VALU_DEP_1) | instskip(SKIP_1) | instid1(VALU_DEP_2)
	v_sub_f32_e32 v32, v32, v36
	v_dual_add_f32 v25, v25, v28 :: v_dual_sub_f32 v28, v35, v34
	v_sub_f32_e32 v32, v32, v35
	s_delay_alu instid0(VALU_DEP_1) | instskip(NEXT) | instid1(VALU_DEP_1)
	v_dual_sub_f32 v28, v28, v30 :: v_dual_add_f32 v25, v25, v32
	v_add_f32_e32 v25, v28, v25
	s_delay_alu instid0(VALU_DEP_1) | instskip(NEXT) | instid1(VALU_DEP_1)
	v_add_f32_e32 v28, v36, v25
	v_mul_f32_e32 v30, v27, v28
	s_delay_alu instid0(VALU_DEP_1) | instskip(NEXT) | instid1(VALU_DEP_1)
	v_dual_sub_f32 v35, v36, v28 :: v_dual_mul_f32 v32, v31, v30
	v_add_f32_e32 v25, v25, v35
	s_delay_alu instid0(VALU_DEP_2) | instskip(NEXT) | instid1(VALU_DEP_1)
	v_fma_f32 v31, v30, v31, -v32
	v_fmac_f32_e32 v31, v30, v29
	s_delay_alu instid0(VALU_DEP_1) | instskip(NEXT) | instid1(VALU_DEP_1)
	v_add_f32_e32 v29, v32, v31
	v_sub_f32_e32 v34, v28, v29
	s_delay_alu instid0(VALU_DEP_1) | instskip(NEXT) | instid1(VALU_DEP_1)
	v_sub_f32_e32 v28, v28, v34
	v_sub_f32_e32 v28, v28, v29
	s_delay_alu instid0(VALU_DEP_1) | instskip(SKIP_2) | instid1(VALU_DEP_1)
	v_add_f32_e32 v25, v25, v28
	v_add_f32_e32 v28, v33, v30
	v_sub_f32_e32 v32, v29, v32
	v_sub_f32_e32 v29, v32, v31
	s_delay_alu instid0(VALU_DEP_1) | instskip(NEXT) | instid1(VALU_DEP_4)
	v_add_f32_e32 v25, v29, v25
	v_sub_f32_e32 v29, v28, v33
	s_delay_alu instid0(VALU_DEP_2) | instskip(NEXT) | instid1(VALU_DEP_2)
	v_add_f32_e32 v25, v34, v25
	v_sub_f32_e32 v29, v30, v29
	s_delay_alu instid0(VALU_DEP_2) | instskip(NEXT) | instid1(VALU_DEP_1)
	v_mul_f32_e32 v25, v27, v25
	v_add_f32_e32 v25, v29, v25
	s_delay_alu instid0(VALU_DEP_1) | instskip(NEXT) | instid1(VALU_DEP_1)
	v_add_f32_e32 v27, v28, v25
	v_mul_f32_e32 v29, v27, v27
	s_delay_alu instid0(VALU_DEP_1) | instskip(SKIP_1) | instid1(VALU_DEP_2)
	v_fmaak_f32 v30, s54, v29, 0x3ecc95a3
	v_mul_f32_e32 v31, v27, v29
	v_fmaak_f32 v29, v29, v30, 0x3f2aaada
	v_ldexp_f32 v30, v27, 1
	s_delay_alu instid0(VALU_DEP_2) | instskip(SKIP_1) | instid1(VALU_DEP_2)
	v_mul_f32_e32 v29, v31, v29
	v_sub_f32_e32 v27, v27, v28
	v_dual_mul_f32 v31, 0x3f317218, v24 :: v_dual_add_f32 v28, v30, v29
	s_delay_alu instid0(VALU_DEP_2) | instskip(NEXT) | instid1(VALU_DEP_2)
	v_sub_f32_e32 v25, v25, v27
	v_sub_f32_e32 v27, v28, v30
	s_delay_alu instid0(VALU_DEP_3) | instskip(NEXT) | instid1(VALU_DEP_3)
	v_fma_f32 v30, 0x3f317218, v24, -v31
	v_ldexp_f32 v25, v25, 1
	s_delay_alu instid0(VALU_DEP_2) | instskip(NEXT) | instid1(VALU_DEP_1)
	v_dual_sub_f32 v27, v29, v27 :: v_dual_fmac_f32 v30, 0xb102e308, v24
	v_dual_add_f32 v24, v25, v27 :: v_dual_add_f32 v25, v31, v30
	s_delay_alu instid0(VALU_DEP_1) | instskip(NEXT) | instid1(VALU_DEP_1)
	v_add_f32_e32 v27, v28, v24
	v_dual_add_f32 v29, v25, v27 :: v_dual_sub_f32 v28, v27, v28
	s_delay_alu instid0(VALU_DEP_1) | instskip(NEXT) | instid1(VALU_DEP_2)
	v_sub_f32_e32 v32, v29, v25
	v_dual_sub_f32 v31, v25, v31 :: v_dual_sub_f32 v24, v24, v28
	s_delay_alu instid0(VALU_DEP_1) | instskip(SKIP_1) | instid1(VALU_DEP_2)
	v_dual_sub_f32 v33, v29, v32 :: v_dual_sub_f32 v30, v30, v31
	v_sub_f32_e32 v27, v27, v32
	v_dual_sub_f32 v25, v25, v33 :: v_dual_add_f32 v28, v30, v24
	s_delay_alu instid0(VALU_DEP_1) | instskip(NEXT) | instid1(VALU_DEP_2)
	v_add_f32_e32 v25, v27, v25
	v_sub_f32_e32 v27, v28, v30
	s_delay_alu instid0(VALU_DEP_2) | instskip(NEXT) | instid1(VALU_DEP_2)
	v_add_f32_e32 v25, v28, v25
	v_sub_f32_e32 v28, v28, v27
	s_delay_alu instid0(VALU_DEP_2) | instskip(NEXT) | instid1(VALU_DEP_1)
	v_dual_sub_f32 v24, v24, v27 :: v_dual_add_f32 v31, v29, v25
	v_dual_sub_f32 v28, v30, v28 :: v_dual_sub_f32 v27, v31, v29
	s_delay_alu instid0(VALU_DEP_1) | instskip(NEXT) | instid1(VALU_DEP_1)
	v_dual_add_f32 v24, v24, v28 :: v_dual_sub_f32 v25, v25, v27
	v_add_f32_e32 v24, v24, v25
	s_delay_alu instid0(VALU_DEP_1) | instskip(NEXT) | instid1(VALU_DEP_1)
	v_add_f32_e32 v24, v31, v24
	v_cndmask_b32_e32 v105, v24, v26, vcc_lo
.LBB89_50:                              ;   in Loop: Header=BB89_12 Depth=1
	s_or_b32 exec_lo, exec_lo, s16
	v_lshrrev_b32_e32 v24, 16, v11
	s_delay_alu instid0(VALU_DEP_1) | instskip(NEXT) | instid1(VALU_DEP_1)
	v_cvt_f32_f16_e32 v24, v24
	v_add_f32_e32 v106, s57, v24
	s_delay_alu instid0(VALU_DEP_1) | instskip(SKIP_1) | instid1(SALU_CYCLE_1)
	v_cmp_ge_f32_e32 vcc_lo, 0x41a00000, v106
	s_and_b32 s14, s67, vcc_lo
	s_and_saveexec_b32 s16, s14
	s_cbranch_execz .LBB89_52
; %bb.51:                               ;   in Loop: Header=BB89_12 Depth=1
	v_mul_f32_e32 v24, 0x3fb8aa3b, v106
	v_cmp_ngt_f32_e32 vcc_lo, 0xc2ce8ed0, v106
	s_delay_alu instid0(VALU_DEP_2) | instskip(SKIP_1) | instid1(VALU_DEP_2)
	v_rndne_f32_e32 v25, v24
	v_fma_f32 v26, 0x3fb8aa3b, v106, -v24
	v_sub_f32_e32 v24, v24, v25
	s_delay_alu instid0(VALU_DEP_2) | instskip(SKIP_1) | instid1(VALU_DEP_2)
	v_fmac_f32_e32 v26, 0x32a5705f, v106
	v_cvt_i32_f32_e32 v25, v25
	v_add_f32_e32 v24, v24, v26
	s_delay_alu instid0(VALU_DEP_1) | instskip(SKIP_2) | instid1(VALU_DEP_1)
	v_exp_f32_e32 v24, v24
	s_waitcnt_depctr 0xfff
	v_ldexp_f32 v24, v24, v25
	v_cndmask_b32_e32 v24, 0, v24, vcc_lo
	v_cmp_nlt_f32_e32 vcc_lo, 0x42b17218, v106
	s_delay_alu instid0(VALU_DEP_2) | instskip(NEXT) | instid1(VALU_DEP_1)
	v_cndmask_b32_e32 v26, 0x7f800000, v24, vcc_lo
	v_add_f32_e32 v27, 1.0, v26
	s_delay_alu instid0(VALU_DEP_1) | instskip(NEXT) | instid1(VALU_DEP_1)
	v_cvt_f64_f32_e32 v[24:25], v27
	v_frexp_exp_i32_f64_e32 v24, v[24:25]
	v_frexp_mant_f32_e32 v25, v27
	s_delay_alu instid0(VALU_DEP_1) | instskip(SKIP_1) | instid1(VALU_DEP_1)
	v_cmp_gt_f32_e32 vcc_lo, 0x3f2aaaab, v25
	v_add_f32_e32 v25, -1.0, v27
	v_sub_f32_e32 v29, v25, v27
	v_sub_f32_e32 v25, v26, v25
	s_delay_alu instid0(VALU_DEP_2) | instskip(NEXT) | instid1(VALU_DEP_1)
	v_add_f32_e32 v29, 1.0, v29
	v_add_f32_e32 v25, v25, v29
	v_cmp_gt_f32_e64 s14, 0x33800000, v26
	v_subrev_co_ci_u32_e32 v24, vcc_lo, 0, v24, vcc_lo
	v_cmp_eq_f32_e32 vcc_lo, 0x7f800000, v26
	s_delay_alu instid0(VALU_DEP_2) | instskip(SKIP_2) | instid1(VALU_DEP_2)
	v_sub_nc_u32_e32 v28, 0, v24
	v_cvt_f32_i32_e32 v24, v24
	s_or_b32 vcc_lo, s14, vcc_lo
	v_ldexp_f32 v27, v27, v28
	v_ldexp_f32 v25, v25, v28
	s_delay_alu instid0(VALU_DEP_2) | instskip(NEXT) | instid1(VALU_DEP_1)
	v_add_f32_e32 v30, 1.0, v27
	v_dual_add_f32 v28, -1.0, v27 :: v_dual_add_f32 v29, -1.0, v30
	s_delay_alu instid0(VALU_DEP_1) | instskip(NEXT) | instid1(VALU_DEP_2)
	v_add_f32_e32 v31, 1.0, v28
	v_sub_f32_e32 v29, v27, v29
	s_delay_alu instid0(VALU_DEP_2) | instskip(NEXT) | instid1(VALU_DEP_2)
	v_sub_f32_e32 v27, v27, v31
	v_add_f32_e32 v29, v25, v29
	s_delay_alu instid0(VALU_DEP_2) | instskip(NEXT) | instid1(VALU_DEP_1)
	v_add_f32_e32 v25, v25, v27
	v_add_f32_e32 v32, v28, v25
	s_delay_alu instid0(VALU_DEP_1) | instskip(NEXT) | instid1(VALU_DEP_1)
	v_dual_add_f32 v31, v30, v29 :: v_dual_sub_f32 v28, v28, v32
	v_rcp_f32_e32 v27, v31
	v_sub_f32_e32 v30, v30, v31
	s_delay_alu instid0(VALU_DEP_1) | instskip(SKIP_2) | instid1(VALU_DEP_1)
	v_add_f32_e32 v29, v29, v30
	s_waitcnt_depctr 0xfff
	v_mul_f32_e32 v33, v32, v27
	v_mul_f32_e32 v34, v31, v33
	s_delay_alu instid0(VALU_DEP_1) | instskip(NEXT) | instid1(VALU_DEP_1)
	v_fma_f32 v30, v33, v31, -v34
	v_fmac_f32_e32 v30, v33, v29
	s_delay_alu instid0(VALU_DEP_1) | instskip(NEXT) | instid1(VALU_DEP_1)
	v_add_f32_e32 v35, v34, v30
	v_sub_f32_e32 v36, v32, v35
	s_delay_alu instid0(VALU_DEP_1) | instskip(SKIP_1) | instid1(VALU_DEP_2)
	v_sub_f32_e32 v32, v32, v36
	v_dual_add_f32 v25, v25, v28 :: v_dual_sub_f32 v28, v35, v34
	v_sub_f32_e32 v32, v32, v35
	s_delay_alu instid0(VALU_DEP_1) | instskip(NEXT) | instid1(VALU_DEP_1)
	v_dual_sub_f32 v28, v28, v30 :: v_dual_add_f32 v25, v25, v32
	v_add_f32_e32 v25, v28, v25
	s_delay_alu instid0(VALU_DEP_1) | instskip(NEXT) | instid1(VALU_DEP_1)
	v_add_f32_e32 v28, v36, v25
	v_mul_f32_e32 v30, v27, v28
	s_delay_alu instid0(VALU_DEP_1) | instskip(NEXT) | instid1(VALU_DEP_1)
	v_dual_sub_f32 v35, v36, v28 :: v_dual_mul_f32 v32, v31, v30
	v_add_f32_e32 v25, v25, v35
	s_delay_alu instid0(VALU_DEP_2) | instskip(NEXT) | instid1(VALU_DEP_1)
	v_fma_f32 v31, v30, v31, -v32
	v_fmac_f32_e32 v31, v30, v29
	s_delay_alu instid0(VALU_DEP_1) | instskip(NEXT) | instid1(VALU_DEP_1)
	v_add_f32_e32 v29, v32, v31
	v_sub_f32_e32 v34, v28, v29
	s_delay_alu instid0(VALU_DEP_1) | instskip(NEXT) | instid1(VALU_DEP_1)
	v_sub_f32_e32 v28, v28, v34
	v_sub_f32_e32 v28, v28, v29
	s_delay_alu instid0(VALU_DEP_1) | instskip(SKIP_2) | instid1(VALU_DEP_1)
	v_add_f32_e32 v25, v25, v28
	v_add_f32_e32 v28, v33, v30
	v_sub_f32_e32 v32, v29, v32
	v_sub_f32_e32 v29, v32, v31
	s_delay_alu instid0(VALU_DEP_1) | instskip(NEXT) | instid1(VALU_DEP_4)
	v_add_f32_e32 v25, v29, v25
	v_sub_f32_e32 v29, v28, v33
	s_delay_alu instid0(VALU_DEP_2) | instskip(NEXT) | instid1(VALU_DEP_2)
	v_add_f32_e32 v25, v34, v25
	v_sub_f32_e32 v29, v30, v29
	s_delay_alu instid0(VALU_DEP_2) | instskip(NEXT) | instid1(VALU_DEP_1)
	v_mul_f32_e32 v25, v27, v25
	v_add_f32_e32 v25, v29, v25
	s_delay_alu instid0(VALU_DEP_1) | instskip(NEXT) | instid1(VALU_DEP_1)
	v_add_f32_e32 v27, v28, v25
	v_mul_f32_e32 v29, v27, v27
	s_delay_alu instid0(VALU_DEP_1) | instskip(SKIP_1) | instid1(VALU_DEP_2)
	v_fmaak_f32 v30, s54, v29, 0x3ecc95a3
	v_mul_f32_e32 v31, v27, v29
	v_fmaak_f32 v29, v29, v30, 0x3f2aaada
	v_ldexp_f32 v30, v27, 1
	s_delay_alu instid0(VALU_DEP_2) | instskip(SKIP_1) | instid1(VALU_DEP_2)
	v_mul_f32_e32 v29, v31, v29
	v_sub_f32_e32 v27, v27, v28
	v_dual_mul_f32 v31, 0x3f317218, v24 :: v_dual_add_f32 v28, v30, v29
	s_delay_alu instid0(VALU_DEP_2) | instskip(NEXT) | instid1(VALU_DEP_2)
	v_sub_f32_e32 v25, v25, v27
	v_sub_f32_e32 v27, v28, v30
	s_delay_alu instid0(VALU_DEP_3) | instskip(NEXT) | instid1(VALU_DEP_3)
	v_fma_f32 v30, 0x3f317218, v24, -v31
	v_ldexp_f32 v25, v25, 1
	s_delay_alu instid0(VALU_DEP_2) | instskip(NEXT) | instid1(VALU_DEP_1)
	v_dual_sub_f32 v27, v29, v27 :: v_dual_fmac_f32 v30, 0xb102e308, v24
	v_dual_add_f32 v24, v25, v27 :: v_dual_add_f32 v25, v31, v30
	s_delay_alu instid0(VALU_DEP_1) | instskip(NEXT) | instid1(VALU_DEP_1)
	v_add_f32_e32 v27, v28, v24
	v_dual_add_f32 v29, v25, v27 :: v_dual_sub_f32 v28, v27, v28
	s_delay_alu instid0(VALU_DEP_1) | instskip(NEXT) | instid1(VALU_DEP_2)
	v_sub_f32_e32 v32, v29, v25
	v_dual_sub_f32 v31, v25, v31 :: v_dual_sub_f32 v24, v24, v28
	s_delay_alu instid0(VALU_DEP_1) | instskip(SKIP_1) | instid1(VALU_DEP_2)
	v_dual_sub_f32 v33, v29, v32 :: v_dual_sub_f32 v30, v30, v31
	v_sub_f32_e32 v27, v27, v32
	v_dual_sub_f32 v25, v25, v33 :: v_dual_add_f32 v28, v30, v24
	s_delay_alu instid0(VALU_DEP_1) | instskip(NEXT) | instid1(VALU_DEP_2)
	v_add_f32_e32 v25, v27, v25
	v_sub_f32_e32 v27, v28, v30
	s_delay_alu instid0(VALU_DEP_2) | instskip(NEXT) | instid1(VALU_DEP_2)
	v_add_f32_e32 v25, v28, v25
	v_sub_f32_e32 v28, v28, v27
	s_delay_alu instid0(VALU_DEP_2) | instskip(NEXT) | instid1(VALU_DEP_1)
	v_dual_sub_f32 v24, v24, v27 :: v_dual_add_f32 v31, v29, v25
	v_dual_sub_f32 v28, v30, v28 :: v_dual_sub_f32 v27, v31, v29
	s_delay_alu instid0(VALU_DEP_1) | instskip(NEXT) | instid1(VALU_DEP_1)
	v_dual_add_f32 v24, v24, v28 :: v_dual_sub_f32 v25, v25, v27
	v_add_f32_e32 v24, v24, v25
	s_delay_alu instid0(VALU_DEP_1) | instskip(NEXT) | instid1(VALU_DEP_1)
	v_add_f32_e32 v24, v31, v24
	v_cndmask_b32_e32 v106, v24, v26, vcc_lo
.LBB89_52:                              ;   in Loop: Header=BB89_12 Depth=1
	s_or_b32 exec_lo, exec_lo, s16
	v_lshrrev_b32_e32 v26, 16, v18
	v_lshrrev_b32_e32 v28, 16, v19
	;; [unrolled: 1-line block ×8, first 2 shown]
	v_cvt_f32_f16_e32 v24, v19
	v_cvt_f32_f16_e32 v25, v18
	;; [unrolled: 1-line block ×16, first 2 shown]
	v_dual_mul_f32 v87, s58, v24 :: v_dual_mul_f32 v86, s58, v27
	v_dual_mul_f32 v85, s58, v26 :: v_dual_mul_f32 v90, s58, v28
	;; [unrolled: 1-line block ×7, first 2 shown]
	v_mul_f32_e32 v103, s58, v39
	v_mul_f32_e32 v94, s58, v31
	s_lshl_b32 s38, s74, 11
	s_and_b32 vcc_lo, exec_lo, s68
	s_barrier
	buffer_gl0_inv
	s_cbranch_vccz .LBB89_86
; %bb.53:                               ;   in Loop: Header=BB89_12 Depth=1
	v_dual_mul_f32 v107, v106, v31 :: v_dual_mul_f32 v112, v105, v24
	v_add_co_u32 v31, s14, s49, v73
	s_delay_alu instid0(VALU_DEP_1) | instskip(SKIP_1) | instid1(VALU_DEP_1)
	v_add_co_ci_u32_e64 v40, null, s50, 0, s14
	v_add_co_u32 v41, s14, s37, v73
	v_add_co_ci_u32_e64 v111, null, s62, 0, s14
	s_delay_alu instid0(VALU_DEP_4) | instskip(NEXT) | instid1(VALU_DEP_4)
	v_add_co_u32 v108, vcc_lo, v31, v74
	v_add_co_ci_u32_e32 v109, vcc_lo, 0, v40, vcc_lo
	s_delay_alu instid0(VALU_DEP_4)
	v_add_co_u32 v110, vcc_lo, v41, v74
	s_sub_i32 s26, s34, s38
	v_add_co_ci_u32_e32 v111, vcc_lo, 0, v111, vcc_lo
	v_cmp_gt_u32_e32 vcc_lo, s26, v48
	s_cmp_lg_u32 s74, 0
	v_cmp_gt_u32_e64 s17, s26, v59
	s_cselect_b32 s39, -1, 0
	s_cmp_eq_u32 s74, s70
	v_cmp_gt_u32_e64 s18, s26, v60
	s_cselect_b32 s75, -1, 0
	s_or_b32 s14, s69, vcc_lo
	v_cmp_gt_u32_e32 vcc_lo, s26, v58
	v_cmp_gt_u32_e64 s19, s26, v61
	v_cmp_gt_u32_e64 s20, s26, v62
	;; [unrolled: 1-line block ×4, first 2 shown]
	s_or_b32 s16, s69, vcc_lo
	v_cmp_gt_u32_e32 vcc_lo, s26, v63
	v_cmp_gt_u32_e64 s24, s26, v66
	v_cmp_gt_u32_e64 s25, s26, v67
	;; [unrolled: 1-line block ×4, first 2 shown]
	s_or_b32 s21, s69, vcc_lo
	v_cmp_gt_u32_e32 vcc_lo, s26, v68
	v_cmp_gt_u32_e64 s29, s26, v71
	v_cmp_gt_u32_e64 s30, s26, v72
	v_dual_mul_f32 v113, v104, v26 :: v_dual_mul_f32 v114, v102, v25
	v_dual_mul_f32 v115, v99, v27 :: v_dual_mul_f32 v116, v97, v28
	;; [unrolled: 1-line block ×7, first 2 shown]
	s_mov_b32 s52, 0
	s_or_b32 s17, s69, s17
	s_or_b32 s18, s69, s18
	;; [unrolled: 1-line block ×8, first 2 shown]
	s_or_b32 s26, s69, vcc_lo
	s_or_b32 s27, s69, s27
	s_or_b32 s28, s69, s28
	;; [unrolled: 1-line block ×4, first 2 shown]
	s_mov_b32 s40, s52
	s_mov_b32 s42, s52
	s_mov_b32 s46, s52
	s_mov_b32 s76, s35
	s_mov_b32 s77, s71
	s_branch .LBB89_55
.LBB89_54:                              ;   in Loop: Header=BB89_55 Depth=2
	s_or_b32 exec_lo, exec_lo, s31
	v_cndmask_b32_e64 v33, v156, v35, s15
	v_cndmask_b32_e64 v34, v155, v34, s15
	s_add_i32 s76, s76, -1
	s_add_i32 s77, s77, 8
	s_add_i32 s46, s46, s63
	v_fma_f32 v33, v33, v127, v39
	v_mul_f32_e32 v34, v34, v127
	s_add_i32 s42, s42, s36
	s_add_i32 s40, s40, s48
	;; [unrolled: 1-line block ×3, first 2 shown]
	v_cndmask_b32_e64 v33, v33, v39, s13
	v_cndmask_b32_e64 v34, v34, v127, s13
	s_cmp_eq_u32 s76, 0
	s_waitcnt lgkmcnt(0)
	s_delay_alu instid0(VALU_DEP_1) | instskip(NEXT) | instid1(VALU_DEP_1)
	v_fmac_f32_e32 v33, v32, v34
	v_fmac_f32_e32 v36, v33, v129
	s_delay_alu instid0(VALU_DEP_1) | instskip(NEXT) | instid1(VALU_DEP_1)
	v_fmac_f32_e32 v37, v36, v131
	v_fmac_f32_e32 v38, v37, v133
	v_fma_mix_f32 v103, v33, v28, v103 op_sel_hi:[0,1,0]
	s_delay_alu instid0(VALU_DEP_2) | instskip(SKIP_1) | instid1(VALU_DEP_2)
	v_fmac_f32_e32 v128, v38, v135
	v_fma_mix_f32 v96, v38, v29, v96 op_sel:[0,1,0] op_sel_hi:[0,1,0]
	v_fmac_f32_e32 v130, v128, v136
	v_fma_mix_f32 v100, v128, v30, v100 op_sel_hi:[0,1,0]
	s_delay_alu instid0(VALU_DEP_2) | instskip(SKIP_1) | instid1(VALU_DEP_2)
	v_fmac_f32_e32 v132, v130, v138
	v_fma_mix_f32 v101, v37, v29, v101 op_sel_hi:[0,1,0]
	v_fmac_f32_e32 v134, v132, v141
	v_fma_mix_f32 v98, v132, v31, v98 op_sel_hi:[0,1,0]
	s_delay_alu instid0(VALU_DEP_2) | instskip(SKIP_1) | instid1(VALU_DEP_2)
	v_fmac_f32_e32 v137, v134, v142
	v_fma_mix_f32 v95, v36, v28, v95 op_sel:[0,1,0] op_sel_hi:[0,1,0]
	v_fmac_f32_e32 v139, v137, v143
	v_fma_mix_f32 v92, v130, v30, v92 op_sel:[0,1,0] op_sel_hi:[0,1,0]
	v_fma_mix_f32 v93, v137, v24, v93 op_sel_hi:[0,1,0]
	s_delay_alu instid0(VALU_DEP_3) | instskip(SKIP_1) | instid1(VALU_DEP_2)
	v_fmac_f32_e32 v140, v139, v144
	v_fma_mix_f32 v88, v139, v24, v88 op_sel:[0,1,0] op_sel_hi:[0,1,0]
	v_fmac_f32_e32 v145, v140, v151
	v_fma_mix_f32 v90, v140, v25, v90 op_sel_hi:[0,1,0]
	s_delay_alu instid0(VALU_DEP_2) | instskip(NEXT) | instid1(VALU_DEP_1)
	v_fmac_f32_e32 v146, v145, v148
	v_fmac_f32_e32 v147, v146, v150
	v_fma_mix_f32 v91, v134, v31, v91 op_sel:[0,1,0] op_sel_hi:[0,1,0]
	v_fma_mix_f32 v89, v146, v26, v89 op_sel_hi:[0,1,0]
	s_delay_alu instid0(VALU_DEP_3) | instskip(SKIP_1) | instid1(VALU_DEP_2)
	v_fmac_f32_e32 v149, v147, v153
	v_fma_mix_f32 v85, v147, v26, v85 op_sel:[0,1,0] op_sel_hi:[0,1,0]
	v_fmac_f32_e32 v152, v149, v154
	v_fma_mix_f32 v86, v145, v25, v86 op_sel:[0,1,0] op_sel_hi:[0,1,0]
	v_fma_mix_f32 v87, v149, v27, v87 op_sel_hi:[0,1,0]
	s_delay_alu instid0(VALU_DEP_3)
	v_fma_mix_f32 v94, v152, v27, v94 op_sel:[0,1,0] op_sel_hi:[0,1,0]
	s_cbranch_scc1 .LBB89_86
.LBB89_55:                              ;   Parent Loop BB89_12 Depth=1
                                        ; =>  This Inner Loop Header: Depth=2
	s_lshl_b64 s[78:79], s[52:53], 2
	s_mov_b32 s41, s53
	s_add_u32 s78, s60, s78
	s_addc_u32 s79, s61, s79
	s_lshl_b64 s[80:81], s[40:41], 1
	s_mov_b32 s43, s53
	v_add_co_u32 v28, vcc_lo, v108, s80
	v_add_co_ci_u32_e32 v29, vcc_lo, s81, v109, vcc_lo
	s_lshl_b64 s[80:81], s[42:43], 1
	s_clause 0x1
	global_load_b128 v[24:27], v[28:29], off
	global_load_b128 v[28:31], v[28:29], off offset:512
	v_add_co_u32 v32, vcc_lo, v110, s80
	v_add_co_ci_u32_e32 v33, vcc_lo, s81, v111, vcc_lo
	global_load_b32 v127, v42, s[78:79]
	s_and_not1_b32 vcc_lo, exec_lo, s39
	s_waitcnt vmcnt(2)
	ds_store_b128 v43, v[24:27]
	s_waitcnt vmcnt(1)
	ds_store_b128 v44, v[28:31] offset:512
	; wave barrier
	s_clause 0x1
	global_load_b128 v[24:27], v[32:33], off
	global_load_b128 v[28:31], v[32:33], off offset:512
	ds_load_b128 v[36:39], v45
	ds_load_b128 v[32:35], v45 offset:16
	s_waitcnt vmcnt(1)
	ds_store_b128 v43, v[24:27] offset:4224
	s_waitcnt vmcnt(0)
	ds_store_b128 v46, v[28:31] offset:512
	; wave barrier
	ds_load_b128 v[28:31], v45 offset:4224
	ds_load_b128 v[24:27], v47 offset:16
	s_cbranch_vccnz .LBB89_57
; %bb.56:                               ;   in Loop: Header=BB89_55 Depth=2
	v_mov_b32_e32 v40, s77
	ds_load_b64 v[40:41], v40
	s_cbranch_execz .LBB89_58
	s_branch .LBB89_61
.LBB89_57:                              ;   in Loop: Header=BB89_55 Depth=2
                                        ; implicit-def: $vgpr40
.LBB89_58:                              ;   in Loop: Header=BB89_55 Depth=2
	s_waitcnt lgkmcnt(0)
	v_mov_b32_e32 v41, 0
	s_and_not1_b32 vcc_lo, exec_lo, s56
	s_cbranch_vccnz .LBB89_60
; %bb.59:                               ;   in Loop: Header=BB89_55 Depth=2
	s_mov_b32 s47, s53
	s_delay_alu instid0(SALU_CYCLE_1) | instskip(NEXT) | instid1(SALU_CYCLE_1)
	s_lshl_b64 s[78:79], s[46:47], 1
	s_add_u32 s78, s64, s78
	s_addc_u32 s79, s65, s79
	global_load_u16 v40, v42, s[78:79]
	s_waitcnt vmcnt(0)
	v_cvt_f32_f16_e32 v41, v40
.LBB89_60:                              ;   in Loop: Header=BB89_55 Depth=2
	v_mov_b32_e32 v40, 1.0
.LBB89_61:                              ;   in Loop: Header=BB89_55 Depth=2
	s_waitcnt lgkmcnt(5)
	v_lshrrev_b32_e32 v128, 16, v36
	v_cvt_f32_f16_e32 v36, v36
	v_mul_f32_e32 v149, 0x3fb8aa3b, v127
	v_lshrrev_b32_e32 v127, 16, v37
	v_lshrrev_b32_e32 v129, 16, v38
	v_cvt_f32_f16_e64 v132, v38
	v_mul_f32_e32 v36, v126, v36
	s_waitcnt lgkmcnt(4)
	v_lshrrev_b32_e32 v38, 16, v32
	v_cvt_f32_f16_e64 v130, v127
	v_lshrrev_b32_e32 v127, 16, v39
	v_cvt_f32_f16_e64 v137, v39
	v_cvt_f32_f16_e64 v134, v129
	v_cvt_f32_f16_e64 v139, v38
	v_lshrrev_b32_e32 v38, 16, v33
	v_cvt_f32_f16_e64 v138, v127
	v_mul_f32_e32 v127, v149, v76
	v_mul_f32_e32 v129, v149, v77
	v_cvt_f32_f16_e64 v128, v128
	v_cvt_f32_f16_e64 v145, v38
	v_lshrrev_b32_e32 v38, 16, v34
	v_cmp_gt_f32_e64 s31, 0xc2fc0000, v127
	v_cvt_f32_f16_e32 v37, v37
	v_mul_f32_e32 v136, v149, v80
	v_cvt_f32_f16_e32 v33, v33
	v_cvt_f32_f16_e64 v147, v38
	v_cndmask_b32_e64 v127, 0, 0x42800000, s31
	v_lshrrev_b32_e32 v38, 16, v35
	s_delay_alu instid0(VALU_DEP_4) | instskip(SKIP_1) | instid1(VALU_DEP_4)
	v_dual_mul_f32 v140, v149, v82 :: v_dual_mul_f32 v33, v116, v33
	v_cvt_f32_f16_e32 v32, v32
	v_fmac_f32_e32 v127, v149, v76
	s_delay_alu instid0(VALU_DEP_4) | instskip(NEXT) | instid1(VALU_DEP_4)
	v_cvt_f32_f16_e64 v152, v38
	v_cmp_gt_f32_e64 s33, 0xc2fc0000, v140
	v_cvt_f32_f16_e32 v35, v35
	v_mul_f32_e32 v134, v121, v134
	v_exp_f32_e32 v131, v127
	v_mul_f32_e32 v39, v149, v75
	v_mul_f32_e32 v127, v149, v78
	v_cndmask_b32_e64 v140, 0, 0x42800000, s33
	v_mul_f32_e32 v143, v149, v97
	v_cvt_f32_f16_e32 v34, v34
	v_cmp_gt_f32_e32 vcc_lo, 0xc2fc0000, v39
	v_mul_f32_e32 v150, v149, v102
	v_dual_fmac_f32 v140, v149, v82 :: v_dual_mul_f32 v37, v124, v37
	v_mul_f32_e32 v32, v118, v32
	v_cndmask_b32_e64 v39, 0, 0x42800000, vcc_lo
	v_cndmask_b32_e64 v38, 1.0, 0x1f800000, vcc_lo
	v_cmp_gt_f32_e32 vcc_lo, 0xc2fc0000, v129
	v_exp_f32_e32 v140, v140
	v_cndmask_b32_e64 v37, 0, v37, s17
	v_fmac_f32_e32 v39, v149, v75
	v_mul_f32_e32 v35, v112, v35
	v_cndmask_b32_e64 v129, 0, 0x42800000, vcc_lo
	v_mul_f32_e32 v34, v114, v34
	s_delay_alu instid0(VALU_DEP_4)
	v_exp_f32_e32 v39, v39
	s_waitcnt_depctr 0xfff
	v_dual_fmac_f32 v129, v149, v77 :: v_dual_mul_f32 v38, v39, v38
	v_cndmask_b32_e64 v39, 0, v36, s14
	v_cndmask_b32_e64 v36, 1.0, 0x1f800000, s31
	v_cmp_gt_f32_e64 s31, 0xc2fc0000, v127
	s_delay_alu instid0(VALU_DEP_4) | instskip(SKIP_1) | instid1(VALU_DEP_4)
	v_cndmask_b32_e64 v127, 1.0, v38, s14
	v_mul_f32_e32 v38, v125, v128
	v_mul_f32_e32 v128, v131, v36
	v_exp_f32_e32 v131, v129
	v_mul_f32_e32 v129, v149, v79
	v_cndmask_b32_e64 v133, 0, 0x42800000, s31
	v_cndmask_b32_e64 v36, 0, v38, s16
	v_cndmask_b32_e64 v38, 1.0, 0x1f800000, vcc_lo
	s_delay_alu instid0(VALU_DEP_4) | instskip(SKIP_3) | instid1(TRANS32_DEP_1)
	v_cmp_gt_f32_e32 vcc_lo, 0xc2fc0000, v129
	v_cndmask_b32_e64 v129, 1.0, v128, s16
	v_cndmask_b32_e64 v128, 1.0, 0x1f800000, s31
	v_cmp_gt_f32_e64 s31, 0xc2fc0000, v136
	v_mul_f32_e32 v38, v131, v38
	v_cndmask_b32_e64 v135, 0, 0x42800000, vcc_lo
	s_delay_alu instid0(VALU_DEP_3) | instskip(SKIP_1) | instid1(VALU_DEP_3)
	v_cndmask_b32_e64 v141, 1.0, 0x1f800000, s31
	v_fmac_f32_e32 v133, v149, v78
	v_fmac_f32_e32 v135, v149, v79
	v_cndmask_b32_e64 v131, 1.0, v38, s17
	v_mul_f32_e32 v38, v123, v130
	v_mul_f32_e32 v136, v149, v81
	v_exp_f32_e32 v133, v133
	v_exp_f32_e32 v130, v135
	v_cndmask_b32_e64 v135, 0, 0x42800000, s31
	v_cndmask_b32_e64 v38, 0, v38, s18
	s_delay_alu instid0(VALU_DEP_2) | instskip(SKIP_2) | instid1(VALU_DEP_1)
	v_fmac_f32_e32 v135, v149, v80
	s_waitcnt_depctr 0xfff
	v_mul_f32_e32 v128, v133, v128
	v_cndmask_b32_e64 v133, 1.0, v128, s18
	v_cndmask_b32_e64 v128, 1.0, 0x1f800000, vcc_lo
	v_cmp_gt_f32_e32 vcc_lo, 0xc2fc0000, v136
	s_delay_alu instid0(VALU_DEP_2) | instskip(SKIP_3) | instid1(VALU_DEP_3)
	v_mul_f32_e32 v130, v130, v128
	v_cndmask_b32_e64 v136, 0, 0x42800000, vcc_lo
	v_mul_f32_e32 v128, v122, v132
	v_exp_f32_e32 v132, v135
	v_cndmask_b32_e64 v135, 1.0, v130, s19
	s_delay_alu instid0(VALU_DEP_3) | instskip(SKIP_3) | instid1(VALU_DEP_4)
	v_fmac_f32_e32 v136, v149, v81
	v_cndmask_b32_e64 v130, 0, v134, s20
	v_cndmask_b32_e64 v134, 1.0, 0x1f800000, vcc_lo
	v_cndmask_b32_e64 v128, 0, v128, s19
	v_exp_f32_e32 v142, v136
	s_delay_alu instid0(TRANS32_DEP_2) | instskip(NEXT) | instid1(VALU_DEP_1)
	v_dual_mul_f32 v132, v132, v141 :: v_dual_mul_f32 v141, v149, v83
	v_cndmask_b32_e64 v136, 1.0, v132, s20
	v_mul_f32_e32 v132, v120, v137
	v_cndmask_b32_e64 v137, 1.0, 0x1f800000, s33
	s_delay_alu instid0(VALU_DEP_4)
	v_cmp_gt_f32_e32 vcc_lo, 0xc2fc0000, v141
	s_waitcnt_depctr 0xfff
	v_mul_f32_e32 v134, v142, v134
	v_mul_f32_e32 v141, v119, v138
	v_cmp_gt_f32_e64 s33, 0xc2fc0000, v143
	v_mul_f32_e32 v137, v140, v137
	v_cndmask_b32_e64 v142, 0, 0x42800000, vcc_lo
	v_mul_f32_e32 v140, v149, v84
	v_mul_f32_e32 v143, v149, v99
	v_cndmask_b32_e64 v138, 1.0, v134, s21
	v_cndmask_b32_e64 v134, 0, v141, s22
	v_fmac_f32_e32 v142, v149, v83
	v_cmp_gt_f32_e64 s31, 0xc2fc0000, v140
	v_cndmask_b32_e64 v141, 1.0, v137, s22
	v_cndmask_b32_e64 v144, 1.0, 0x1f800000, vcc_lo
	v_cmp_gt_f32_e32 vcc_lo, 0xc2fc0000, v143
	v_exp_f32_e32 v137, v142
	v_cndmask_b32_e64 v140, 0, 0x42800000, s31
	v_cndmask_b32_e64 v142, 0, 0x42800000, s33
	v_cndmask_b32_e64 v146, 1.0, 0x1f800000, s31
	v_cndmask_b32_e64 v143, 0, 0x42800000, vcc_lo
	v_mul_f32_e32 v151, v149, v104
	v_fmac_f32_e32 v140, v149, v84
	v_fmac_f32_e32 v142, v149, v97
	v_cndmask_b32_e64 v132, 0, v132, s21
	v_fmac_f32_e32 v143, v149, v99
	v_mul_f32_e32 v144, v137, v144
	v_exp_f32_e32 v140, v140
	v_cndmask_b32_e64 v137, 0, v32, s23
	v_exp_f32_e32 v32, v142
	v_exp_f32_e32 v148, v143
	v_cndmask_b32_e64 v142, 1.0, v144, s23
	v_cndmask_b32_e64 v144, 1.0, 0x1f800000, s33
	v_cmp_gt_f32_e64 s31, 0xc2fc0000, v151
	s_delay_alu instid0(TRANS32_DEP_3)
	v_mul_f32_e32 v140, v140, v146
	v_cndmask_b32_e64 v146, 1.0, 0x1f800000, vcc_lo
	s_delay_alu instid0(TRANS32_DEP_2) | instid1(VALU_DEP_4)
	v_mul_f32_e32 v32, v32, v144
	v_cmp_gt_f32_e32 vcc_lo, 0xc2fc0000, v150
	v_fma_f32 v150, v129, v39, v36
	v_cndmask_b32_e64 v143, 1.0, v140, s24
	v_cndmask_b32_e64 v140, 0, v33, s25
	v_cndmask_b32_e64 v144, 1.0, v32, s25
	v_dual_mul_f32 v32, v148, v146 :: v_dual_mul_f32 v33, v115, v145
	v_cndmask_b32_e64 v146, 0, 0x42800000, vcc_lo
	v_mul_f32_e32 v148, v129, v127
	s_delay_alu instid0(VALU_DEP_3) | instskip(NEXT) | instid1(VALU_DEP_4)
	v_cndmask_b32_e64 v151, 1.0, v32, s26
	v_cndmask_b32_e64 v145, 0, v33, s26
	s_delay_alu instid0(VALU_DEP_3) | instskip(SKIP_3) | instid1(VALU_DEP_4)
	v_dual_fmac_f32 v146, v149, v102 :: v_dual_mul_f32 v33, v148, v131
	v_fma_f32 v148, v150, v131, v37
	v_cndmask_b32_e64 v32, 1.0, 0x1f800000, vcc_lo
	v_cndmask_b32_e64 v150, 0, 0x42800000, s31
	v_exp_f32_e32 v146, v146
	v_mul_f32_e32 v33, v33, v133
	v_fma_f32 v148, v148, v133, v38
	s_delay_alu instid0(VALU_DEP_3) | instskip(NEXT) | instid1(VALU_DEP_3)
	v_fmac_f32_e32 v150, v149, v104
	v_mul_f32_e32 v33, v33, v135
	s_delay_alu instid0(VALU_DEP_3) | instskip(NEXT) | instid1(VALU_DEP_3)
	v_fma_f32 v148, v148, v135, v128
	v_exp_f32_e32 v150, v150
	s_delay_alu instid0(TRANS32_DEP_2) | instskip(NEXT) | instid1(VALU_DEP_3)
	v_mul_f32_e32 v32, v146, v32
	v_mul_f32_e32 v33, v33, v136
	s_delay_alu instid0(VALU_DEP_3)
	v_fma_f32 v153, v148, v136, v130
	v_cndmask_b32_e64 v146, 0, v34, s27
	v_cndmask_b32_e64 v34, 1.0, 0x1f800000, s31
	v_cndmask_b32_e64 v148, 1.0, v32, s27
	v_mul_f32_e32 v32, v33, v138
	v_fma_f32 v33, v153, v138, v132
	s_delay_alu instid0(TRANS32_DEP_1) | instid1(VALU_DEP_4)
	v_dual_mul_f32 v139, v117, v139 :: v_dual_mul_f32 v34, v150, v34
	s_delay_alu instid0(VALU_DEP_3) | instskip(NEXT) | instid1(VALU_DEP_3)
	v_mul_f32_e32 v32, v32, v141
	v_fma_f32 v33, v33, v141, v134
	s_delay_alu instid0(VALU_DEP_3) | instskip(NEXT) | instid1(VALU_DEP_3)
	v_cndmask_b32_e64 v139, 0, v139, s24
	v_mul_f32_e32 v32, v32, v142
	s_delay_alu instid0(VALU_DEP_3) | instskip(NEXT) | instid1(VALU_DEP_2)
	v_fma_f32 v33, v33, v142, v137
	v_mul_f32_e32 v32, v32, v143
	s_delay_alu instid0(VALU_DEP_2) | instskip(NEXT) | instid1(VALU_DEP_2)
	v_fma_f32 v33, v33, v143, v139
	v_dual_mul_f32 v32, v32, v144 :: v_dual_mul_f32 v153, v149, v105
	s_delay_alu instid0(VALU_DEP_2) | instskip(NEXT) | instid1(VALU_DEP_2)
	v_fma_f32 v33, v33, v144, v140
	v_mul_f32_e32 v32, v32, v151
	s_delay_alu instid0(VALU_DEP_3) | instskip(SKIP_1) | instid1(VALU_DEP_4)
	v_cmp_gt_f32_e32 vcc_lo, 0xc2fc0000, v153
	v_mul_f32_e32 v153, v149, v106
	v_fma_f32 v33, v33, v151, v145
	s_delay_alu instid0(VALU_DEP_4) | instskip(SKIP_1) | instid1(VALU_DEP_4)
	v_mul_f32_e32 v32, v32, v148
	v_cndmask_b32_e64 v150, 0, 0x42800000, vcc_lo
	v_cmp_gt_f32_e64 s31, 0xc2fc0000, v153
	s_delay_alu instid0(VALU_DEP_4) | instskip(NEXT) | instid1(VALU_DEP_3)
	v_fma_f32 v33, v33, v148, v146
	v_fmac_f32_e32 v150, v149, v105
	s_delay_alu instid0(VALU_DEP_3) | instskip(NEXT) | instid1(VALU_DEP_2)
	v_cndmask_b32_e64 v153, 0, 0x42800000, s31
	v_exp_f32_e32 v154, v150
	s_delay_alu instid0(VALU_DEP_1)
	v_fmac_f32_e32 v153, v149, v106
	v_cndmask_b32_e64 v150, 1.0, v34, s28
	v_cndmask_b32_e64 v34, 1.0, 0x1f800000, vcc_lo
	v_mul_f32_e32 v147, v113, v147
	v_cndmask_b32_e64 v149, 0, v35, s29
	v_exp_f32_e32 v155, v153
	v_cndmask_b32_e64 v35, 1.0, 0x1f800000, s31
	v_mul_f32_e32 v32, v32, v150
	s_delay_alu instid0(TRANS32_DEP_2) | instskip(SKIP_1) | instid1(VALU_DEP_2)
	v_mul_f32_e32 v34, v154, v34
	v_cndmask_b32_e64 v147, 0, v147, s28
	v_cndmask_b32_e64 v153, 1.0, v34, s29
	v_mul_f32_e32 v34, v107, v152
	s_delay_alu instid0(TRANS32_DEP_1) | instskip(NEXT) | instid1(VALU_DEP_4)
	v_mul_f32_e32 v35, v155, v35
	v_fma_f32 v33, v33, v150, v147
	s_delay_alu instid0(VALU_DEP_4) | instskip(NEXT) | instid1(VALU_DEP_4)
	v_mul_f32_e32 v32, v32, v153
	v_cndmask_b32_e64 v152, 0, v34, s30
	s_delay_alu instid0(VALU_DEP_4) | instskip(NEXT) | instid1(VALU_DEP_4)
	v_cndmask_b32_e64 v154, 1.0, v35, s30
	v_fma_f32 v33, v33, v153, v149
	s_delay_alu instid0(VALU_DEP_2) | instskip(NEXT) | instid1(VALU_DEP_2)
	v_mul_f32_e32 v32, v32, v154
	v_fma_f32 v33, v33, v154, v152
	s_delay_alu instid0(VALU_DEP_2) | instskip(NEXT) | instid1(VALU_DEP_2)
	v_mov_b32_dpp v35, v32 row_shr:1 row_mask:0xf bank_mask:0xf
	v_mov_b32_dpp v34, v33 row_shr:1 row_mask:0xf bank_mask:0xf
	s_and_saveexec_b32 s31, s2
; %bb.62:                               ;   in Loop: Header=BB89_55 Depth=2
	s_delay_alu instid0(VALU_DEP_2) | instskip(NEXT) | instid1(VALU_DEP_1)
	v_mul_f32_e32 v35, v32, v35
	v_dual_fmac_f32 v33, v32, v34 :: v_dual_mov_b32 v32, v35
; %bb.63:                               ;   in Loop: Header=BB89_55 Depth=2
	s_or_b32 exec_lo, exec_lo, s31
	s_delay_alu instid0(VALU_DEP_1) | instskip(NEXT) | instid1(VALU_DEP_2)
	v_mov_b32_dpp v34, v32 row_shr:2 row_mask:0xf bank_mask:0xf
	v_mov_b32_dpp v35, v33 row_shr:2 row_mask:0xf bank_mask:0xf
	s_and_saveexec_b32 s31, s3
; %bb.64:                               ;   in Loop: Header=BB89_55 Depth=2
	s_delay_alu instid0(VALU_DEP_1) | instskip(NEXT) | instid1(VALU_DEP_3)
	v_fmac_f32_e32 v33, v32, v35
	v_mul_f32_e32 v32, v32, v34
; %bb.65:                               ;   in Loop: Header=BB89_55 Depth=2
	s_or_b32 exec_lo, exec_lo, s31
	s_delay_alu instid0(VALU_DEP_1) | instskip(NEXT) | instid1(VALU_DEP_3)
	v_mov_b32_dpp v34, v32 row_shr:4 row_mask:0xf bank_mask:0xf
	v_mov_b32_dpp v35, v33 row_shr:4 row_mask:0xf bank_mask:0xf
	s_and_saveexec_b32 s31, s4
; %bb.66:                               ;   in Loop: Header=BB89_55 Depth=2
	s_delay_alu instid0(VALU_DEP_1) | instskip(NEXT) | instid1(VALU_DEP_3)
	v_fmac_f32_e32 v33, v32, v35
	v_mul_f32_e32 v32, v32, v34
; %bb.67:                               ;   in Loop: Header=BB89_55 Depth=2
	s_or_b32 exec_lo, exec_lo, s31
	s_delay_alu instid0(VALU_DEP_1) | instskip(NEXT) | instid1(VALU_DEP_3)
	v_mov_b32_dpp v34, v32 row_shr:8 row_mask:0xf bank_mask:0xf
	v_mov_b32_dpp v35, v33 row_shr:8 row_mask:0xf bank_mask:0xf
	s_and_saveexec_b32 s31, s5
; %bb.68:                               ;   in Loop: Header=BB89_55 Depth=2
	s_delay_alu instid0(VALU_DEP_1) | instskip(NEXT) | instid1(VALU_DEP_3)
	v_fmac_f32_e32 v33, v32, v35
	v_mul_f32_e32 v32, v32, v34
; %bb.69:                               ;   in Loop: Header=BB89_55 Depth=2
	s_or_b32 exec_lo, exec_lo, s31
	ds_swizzle_b32 v35, v32 offset:swizzle(BROADCAST,32,15)
	ds_swizzle_b32 v34, v33 offset:swizzle(BROADCAST,32,15)
	s_and_saveexec_b32 s31, s6
	s_cbranch_execz .LBB89_71
; %bb.70:                               ;   in Loop: Header=BB89_55 Depth=2
	s_waitcnt lgkmcnt(1)
	v_mul_f32_e32 v35, v32, v35
	s_waitcnt lgkmcnt(0)
	s_delay_alu instid0(VALU_DEP_1)
	v_dual_fmac_f32 v33, v32, v34 :: v_dual_mov_b32 v32, v35
.LBB89_71:                              ;   in Loop: Header=BB89_55 Depth=2
	s_or_b32 exec_lo, exec_lo, s31
	s_and_saveexec_b32 s31, s7
	s_cbranch_execz .LBB89_73
; %bb.72:                               ;   in Loop: Header=BB89_55 Depth=2
	ds_store_b64 v49, v[32:33] offset:8448
.LBB89_73:                              ;   in Loop: Header=BB89_55 Depth=2
	s_or_b32 exec_lo, exec_lo, s31
	s_waitcnt lgkmcnt(0)
	s_waitcnt_vscnt null, 0x0
	s_barrier
	buffer_gl0_inv
	s_and_saveexec_b32 s31, s8
	s_cbranch_execz .LBB89_77
; %bb.74:                               ;   in Loop: Header=BB89_55 Depth=2
	ds_load_b64 v[34:35], v50 offset:8448
	s_waitcnt lgkmcnt(0)
	v_mov_b32_dpp v157, v34 row_shr:1 row_mask:0xf bank_mask:0xf
	v_mov_b32_dpp v156, v35 row_shr:1 row_mask:0xf bank_mask:0xf
	v_mov_b32_e32 v155, v34
	s_and_saveexec_b32 s33, s9
; %bb.75:                               ;   in Loop: Header=BB89_55 Depth=2
	s_delay_alu instid0(VALU_DEP_3) | instskip(NEXT) | instid1(VALU_DEP_1)
	v_mul_f32_e32 v155, v34, v157
	v_dual_fmac_f32 v35, v34, v156 :: v_dual_mov_b32 v34, v155
; %bb.76:                               ;   in Loop: Header=BB89_55 Depth=2
	s_or_b32 exec_lo, exec_lo, s33
	v_mov_b32_dpp v155, v155 row_shr:2 row_mask:0xf bank_mask:0xf
	s_delay_alu instid0(VALU_DEP_2) | instskip(NEXT) | instid1(VALU_DEP_2)
	v_mov_b32_dpp v156, v35 row_shr:2 row_mask:0xf bank_mask:0xf
	v_mul_f32_e32 v155, v34, v155
	s_delay_alu instid0(VALU_DEP_2) | instskip(NEXT) | instid1(VALU_DEP_2)
	v_fma_f32 v156, v34, v156, v35
	v_cndmask_b32_e64 v34, v34, v155, s10
	s_delay_alu instid0(VALU_DEP_2)
	v_cndmask_b32_e64 v35, v35, v156, s10
	ds_store_b64 v50, v[34:35] offset:8448
.LBB89_77:                              ;   in Loop: Header=BB89_55 Depth=2
	s_or_b32 exec_lo, exec_lo, s31
	s_waitcnt lgkmcnt(0)
	s_barrier
	buffer_gl0_inv
                                        ; implicit-def: $vgpr35
	s_and_saveexec_b32 s31, s12
	s_cbranch_execz .LBB89_79
; %bb.78:                               ;   in Loop: Header=BB89_55 Depth=2
	ds_load_b64 v[34:35], v49 offset:8440
	s_waitcnt lgkmcnt(0)
	v_mul_f32_e32 v155, v32, v34
	s_delay_alu instid0(VALU_DEP_1)
	v_dual_fmac_f32 v33, v32, v35 :: v_dual_mov_b32 v32, v155
.LBB89_79:                              ;   in Loop: Header=BB89_55 Depth=2
	s_or_b32 exec_lo, exec_lo, s31
	ds_bpermute_b32 v155, v51, v32
	ds_bpermute_b32 v156, v51, v33
	s_and_saveexec_b32 s31, s11
	s_cbranch_execz .LBB89_83
; %bb.80:                               ;   in Loop: Header=BB89_55 Depth=2
	ds_load_b64 v[32:33], v42 offset:8472
	s_and_saveexec_b32 s33, s13
	s_cbranch_execz .LBB89_82
; %bb.81:                               ;   in Loop: Header=BB89_55 Depth=2
	ds_store_b64 v42, v[40:41] offset:8472
.LBB89_82:                              ;   in Loop: Header=BB89_55 Depth=2
	s_or_b32 exec_lo, exec_lo, s33
	s_waitcnt lgkmcnt(0)
	v_fmac_f32_e32 v33, v41, v32
	s_delay_alu instid0(VALU_DEP_1)
	v_dual_mul_f32 v40, v40, v32 :: v_dual_mov_b32 v41, v33
.LBB89_83:                              ;   in Loop: Header=BB89_55 Depth=2
	s_or_b32 exec_lo, exec_lo, s31
	s_waitcnt lgkmcnt(0)
	s_barrier
	buffer_gl0_inv
	ds_load_b32 v32, v42 offset:8476
	s_and_saveexec_b32 s31, s13
	s_cbranch_execz .LBB89_54
; %bb.84:                               ;   in Loop: Header=BB89_55 Depth=2
	v_mov_b32_e32 v33, s77
	s_and_not1_b32 vcc_lo, exec_lo, s75
	ds_store_b64 v33, v[40:41]
	s_cbranch_vccnz .LBB89_54
; %bb.85:                               ;   in Loop: Header=BB89_55 Depth=2
	s_mov_b32 s47, s53
	v_cvt_f16_f32_e32 v33, v41
	s_lshl_b64 s[78:79], s[46:47], 1
	s_delay_alu instid0(SALU_CYCLE_1)
	s_add_u32 s78, s64, s78
	s_addc_u32 s79, s65, s79
	global_store_b16 v42, v33, s[78:79]
	s_branch .LBB89_54
.LBB89_86:                              ;   in Loop: Header=BB89_12 Depth=1
	v_cvt_f16_f32_e32 v24, v103
	v_cvt_f16_f32_e32 v28, v95
	;; [unrolled: 1-line block ×16, first 2 shown]
	v_pack_b32_f16 v27, v27, v31
	v_pack_b32_f16 v26, v26, v30
	;; [unrolled: 1-line block ×8, first 2 shown]
	s_waitcnt_vscnt null, 0x0
	s_barrier
	buffer_gl0_inv
	ds_store_b128 v45, v[24:27]
	ds_store_b128 v45, v[28:31] offset:16
	; wave barrier
	ds_load_b128 v[24:27], v43
	ds_load_b128 v[28:31], v44 offset:512
	s_mov_b32 s39, s53
	s_delay_alu instid0(SALU_CYCLE_1) | instskip(NEXT) | instid1(SALU_CYCLE_1)
	s_lshl_b64 s[20:21], s[38:39], 1
	v_add_co_u32 v32, vcc_lo, v52, s20
	v_add_co_ci_u32_e32 v33, vcc_lo, s21, v53, vcc_lo
	s_waitcnt lgkmcnt(1)
	v_lshrrev_b32_e32 v36, 16, v27
	v_alignbit_b32 v35, v26, v25, 16
	v_alignbit_b32 v26, v27, v26, 16
	;; [unrolled: 1-line block ×3, first 2 shown]
	s_clause 0x3
	global_store_b16 v[32:33], v24, off
	global_store_b16 v[32:33], v36, off offset:14
	global_store_b32 v[32:33], v26, off offset:10
	global_store_b64 v[32:33], v[34:35], off offset:2
	v_add_co_u32 v24, vcc_lo, v54, s20
	v_add_co_ci_u32_e32 v25, vcc_lo, s21, v55, vcc_lo
	s_waitcnt lgkmcnt(0)
	global_store_b128 v[32:33], v[28:31], off offset:512
	s_waitcnt_vscnt null, 0x0
	s_barrier
	buffer_gl0_inv
	s_and_saveexec_b32 s14, s0
	s_cbranch_execz .LBB89_88
; %bb.87:                               ;   in Loop: Header=BB89_12 Depth=1
	global_load_b128 v[0:3], v[24:25], off
.LBB89_88:                              ;   in Loop: Header=BB89_12 Depth=1
	s_or_b32 exec_lo, exec_lo, s14
	s_and_saveexec_b32 s14, s1
	s_cbranch_execz .LBB89_11
; %bb.89:                               ;   in Loop: Header=BB89_12 Depth=1
	global_load_b128 v[4:7], v[24:25], off offset:512
	s_branch .LBB89_11
.LBB89_90:
	s_nop 0
	s_sendmsg sendmsg(MSG_DEALLOC_VGPRS)
	s_endpgm
	.section	.rodata,"a",@progbits
	.p2align	6, 0x0
	.amdhsa_kernel _Z25selective_scan_fwd_kernelI32Selective_Scan_fwd_kernel_traitsILi128ELi16ELi1ELb1ELb1ELb1ELb1ELb0EN3c104HalfEfS2_EEv13SSMParamsBase
		.amdhsa_group_segment_fixed_size 0
		.amdhsa_private_segment_fixed_size 0
		.amdhsa_kernarg_size 248
		.amdhsa_user_sgpr_count 14
		.amdhsa_user_sgpr_dispatch_ptr 0
		.amdhsa_user_sgpr_queue_ptr 0
		.amdhsa_user_sgpr_kernarg_segment_ptr 1
		.amdhsa_user_sgpr_dispatch_id 0
		.amdhsa_user_sgpr_private_segment_size 0
		.amdhsa_wavefront_size32 1
		.amdhsa_uses_dynamic_stack 0
		.amdhsa_enable_private_segment 0
		.amdhsa_system_sgpr_workgroup_id_x 1
		.amdhsa_system_sgpr_workgroup_id_y 1
		.amdhsa_system_sgpr_workgroup_id_z 0
		.amdhsa_system_sgpr_workgroup_info 0
		.amdhsa_system_vgpr_workitem_id 0
		.amdhsa_next_free_vgpr 158
		.amdhsa_next_free_sgpr 82
		.amdhsa_reserve_vcc 1
		.amdhsa_float_round_mode_32 0
		.amdhsa_float_round_mode_16_64 0
		.amdhsa_float_denorm_mode_32 3
		.amdhsa_float_denorm_mode_16_64 3
		.amdhsa_dx10_clamp 1
		.amdhsa_ieee_mode 1
		.amdhsa_fp16_overflow 0
		.amdhsa_workgroup_processor_mode 1
		.amdhsa_memory_ordered 1
		.amdhsa_forward_progress 0
		.amdhsa_shared_vgpr_count 0
		.amdhsa_exception_fp_ieee_invalid_op 0
		.amdhsa_exception_fp_denorm_src 0
		.amdhsa_exception_fp_ieee_div_zero 0
		.amdhsa_exception_fp_ieee_overflow 0
		.amdhsa_exception_fp_ieee_underflow 0
		.amdhsa_exception_fp_ieee_inexact 0
		.amdhsa_exception_int_div_zero 0
	.end_amdhsa_kernel
	.section	.text._Z25selective_scan_fwd_kernelI32Selective_Scan_fwd_kernel_traitsILi128ELi16ELi1ELb1ELb1ELb1ELb1ELb0EN3c104HalfEfS2_EEv13SSMParamsBase,"axG",@progbits,_Z25selective_scan_fwd_kernelI32Selective_Scan_fwd_kernel_traitsILi128ELi16ELi1ELb1ELb1ELb1ELb1ELb0EN3c104HalfEfS2_EEv13SSMParamsBase,comdat
.Lfunc_end89:
	.size	_Z25selective_scan_fwd_kernelI32Selective_Scan_fwd_kernel_traitsILi128ELi16ELi1ELb1ELb1ELb1ELb1ELb0EN3c104HalfEfS2_EEv13SSMParamsBase, .Lfunc_end89-_Z25selective_scan_fwd_kernelI32Selective_Scan_fwd_kernel_traitsILi128ELi16ELi1ELb1ELb1ELb1ELb1ELb0EN3c104HalfEfS2_EEv13SSMParamsBase
                                        ; -- End function
	.section	.AMDGPU.csdata,"",@progbits
; Kernel info:
; codeLenInByte = 21296
; NumSgprs: 84
; NumVgprs: 158
; ScratchSize: 0
; MemoryBound: 1
; FloatMode: 240
; IeeeMode: 1
; LDSByteSize: 0 bytes/workgroup (compile time only)
; SGPRBlocks: 10
; VGPRBlocks: 19
; NumSGPRsForWavesPerEU: 84
; NumVGPRsForWavesPerEU: 158
; Occupancy: 9
; WaveLimiterHint : 1
; COMPUTE_PGM_RSRC2:SCRATCH_EN: 0
; COMPUTE_PGM_RSRC2:USER_SGPR: 14
; COMPUTE_PGM_RSRC2:TRAP_HANDLER: 0
; COMPUTE_PGM_RSRC2:TGID_X_EN: 1
; COMPUTE_PGM_RSRC2:TGID_Y_EN: 1
; COMPUTE_PGM_RSRC2:TGID_Z_EN: 0
; COMPUTE_PGM_RSRC2:TIDIG_COMP_CNT: 0
	.section	.text._Z25selective_scan_fwd_kernelI32Selective_Scan_fwd_kernel_traitsILi128ELi16ELi1ELb1ELb1ELb1ELb0ELb1EN3c104HalfEfS2_EEv13SSMParamsBase,"axG",@progbits,_Z25selective_scan_fwd_kernelI32Selective_Scan_fwd_kernel_traitsILi128ELi16ELi1ELb1ELb1ELb1ELb0ELb1EN3c104HalfEfS2_EEv13SSMParamsBase,comdat
	.protected	_Z25selective_scan_fwd_kernelI32Selective_Scan_fwd_kernel_traitsILi128ELi16ELi1ELb1ELb1ELb1ELb0ELb1EN3c104HalfEfS2_EEv13SSMParamsBase ; -- Begin function _Z25selective_scan_fwd_kernelI32Selective_Scan_fwd_kernel_traitsILi128ELi16ELi1ELb1ELb1ELb1ELb0ELb1EN3c104HalfEfS2_EEv13SSMParamsBase
	.globl	_Z25selective_scan_fwd_kernelI32Selective_Scan_fwd_kernel_traitsILi128ELi16ELi1ELb1ELb1ELb1ELb0ELb1EN3c104HalfEfS2_EEv13SSMParamsBase
	.p2align	8
	.type	_Z25selective_scan_fwd_kernelI32Selective_Scan_fwd_kernel_traitsILi128ELi16ELi1ELb1ELb1ELb1ELb0ELb1EN3c104HalfEfS2_EEv13SSMParamsBase,@function
_Z25selective_scan_fwd_kernelI32Selective_Scan_fwd_kernel_traitsILi128ELi16ELi1ELb1ELb1ELb1ELb0ELb1EN3c104HalfEfS2_EEv13SSMParamsBase: ; @_Z25selective_scan_fwd_kernelI32Selective_Scan_fwd_kernel_traitsILi128ELi16ELi1ELb1ELb1ELb1ELb0ELb1EN3c104HalfEfS2_EEv13SSMParamsBase
; %bb.0:
	s_clause 0x2
	s_load_b32 s36, s[0:1], 0x18
	s_load_b128 s[4:7], s[0:1], 0xe0
	s_load_b64 s[10:11], s[0:1], 0xf0
	s_mov_b32 s12, s15
	s_ashr_i32 s15, s14, 31
	s_mov_b32 s66, 0
	s_lshl_b64 s[8:9], s[14:15], 2
	s_waitcnt lgkmcnt(0)
	s_abs_i32 s33, s36
	s_add_u32 s2, s4, s8
	v_cvt_f32_u32_e32 v1, s33
	s_addc_u32 s3, s5, s9
	s_cmp_eq_u64 s[10:11], 0
	s_delay_alu instid0(VALU_DEP_1) | instskip(SKIP_2) | instid1(VALU_DEP_1)
	v_rcp_iflag_f32_e32 v1, v1
	s_waitcnt_depctr 0xfff
	v_mul_f32_e32 v1, 0x4f7ffffe, v1
	v_cvt_u32_f32_e32 v1, v1
	s_delay_alu instid0(VALU_DEP_1)
	v_readfirstlane_b32 s37, v1
	s_cbranch_scc1 .LBB90_2
; %bb.1:
	v_mov_b32_e32 v1, 0
	s_add_u32 s4, s10, s14
	s_addc_u32 s5, s11, s15
	global_load_u8 v1, v1, s[4:5]
	s_waitcnt vmcnt(0)
	v_and_b32_e32 v1, 1, v1
	s_delay_alu instid0(VALU_DEP_1)
	v_cmp_eq_u32_e64 s66, 1, v1
.LBB90_2:
	s_load_b64 s[4:5], s[0:1], 0x20
	s_cmp_eq_u64 s[6:7], 0
	s_cbranch_scc1 .LBB90_4
; %bb.3:
	s_add_u32 s6, s6, s8
	s_addc_u32 s7, s7, s9
	s_load_b32 s14, s[6:7], 0x0
	s_waitcnt lgkmcnt(0)
	s_ashr_i32 s15, s14, 31
.LBB90_4:
	s_waitcnt lgkmcnt(0)
	s_cmp_eq_u64 s[4:5], s[14:15]
	s_cbranch_scc1 .LBB90_238
; %bb.5:
	s_load_b512 s[16:31], s[0:1], 0x88
	s_load_b64 s[34:35], s[2:3], 0x0
	s_mov_b32 s67, 0
	s_mov_b32 s68, 0
	s_waitcnt lgkmcnt(0)
	s_cmp_eq_u64 s[22:23], 0
	s_cbranch_scc1 .LBB90_7
; %bb.6:
	s_ashr_i32 s13, s12, 31
	s_delay_alu instid0(SALU_CYCLE_1) | instskip(NEXT) | instid1(SALU_CYCLE_1)
	s_lshl_b64 s[2:3], s[12:13], 2
	s_add_u32 s2, s22, s2
	s_addc_u32 s3, s23, s3
	s_load_b32 s68, s[2:3], 0x0
.LBB90_7:
	s_cmp_eq_u64 s[28:29], 0
	s_cbranch_scc1 .LBB90_9
; %bb.8:
	s_ashr_i32 s13, s12, 31
	s_delay_alu instid0(SALU_CYCLE_1) | instskip(NEXT) | instid1(SALU_CYCLE_1)
	s_lshl_b64 s[2:3], s[12:13], 2
	s_add_u32 s2, s28, s2
	s_addc_u32 s3, s29, s3
	s_load_b32 s67, s[2:3], 0x0
.LBB90_9:
	s_sub_i32 s69, s35, s34
	s_delay_alu instid0(SALU_CYCLE_1)
	s_cmp_lt_i32 s69, 1
	s_cbranch_scc1 .LBB90_238
; %bb.10:
	s_sub_i32 s2, 0, s33
	s_abs_i32 s5, s12
	s_mul_i32 s4, s2, s37
	s_clause 0x1
	s_load_b64 s[2:3], s[0:1], 0x5c
	s_load_b128 s[56:59], s[0:1], 0x4c
	s_mul_hi_u32 s4, s37, s4
	s_ashr_i32 s7, s36, 31
	s_add_i32 s37, s37, s4
	s_ashr_i32 s4, s12, 31
	s_mul_hi_u32 s6, s5, s37
	s_xor_b32 s7, s4, s7
	s_mul_i32 s8, s6, s33
	s_load_b256 s[48:55], s[0:1], 0x2c
	s_sub_i32 s4, s5, s8
	s_add_i32 s5, s6, 1
	s_sub_i32 s8, s4, s33
	s_cmp_ge_u32 s4, s33
	s_mov_b32 s65, 0
	s_cselect_b32 s5, s5, s6
	s_cselect_b32 s4, s8, s4
	s_add_i32 s6, s5, 1
	s_cmp_ge_u32 s4, s33
	s_load_b128 s[60:63], s[0:1], 0x7c
	s_cselect_b32 s4, s6, s5
	s_waitcnt lgkmcnt(0)
	s_mul_i32 s64, s34, s58
	s_xor_b32 s6, s4, s7
	s_lshl_b64 s[4:5], s[64:65], 1
	s_sub_i32 s6, s6, s7
	s_mul_i32 s64, s59, s12
	s_add_u32 s7, s24, s4
	s_addc_u32 s8, s25, s5
	s_lshl_b64 s[4:5], s[64:65], 1
	s_mul_i32 s64, s34, s2
	s_add_u32 s70, s7, s4
	s_addc_u32 s71, s8, s5
	s_lshl_b64 s[4:5], s[64:65], 1
	;; [unrolled: 4-line block ×3, first 2 shown]
	v_dual_mov_b32 v21, 0 :: v_dual_lshlrev_b32 v18, 4, v0
	s_add_u32 s72, s4, s2
	s_mul_i32 s64, s48, s12
	s_addc_u32 s48, s5, s3
	s_load_b64 s[4:5], s[0:1], 0xc8
	s_lshl_b64 s[2:3], s[64:65], 2
	v_mbcnt_lo_u32_b32 v19, -1, 0
	v_and_b32_e32 v1, 0x600, v18
	s_mul_i32 s64, s34, s50
	s_add_u32 s73, s16, s2
	s_addc_u32 s63, s17, s3
	s_lshl_b64 s[2:3], s[64:65], 1
	s_mul_i32 s64, s6, s53
	s_clause 0x2
	s_load_b64 s[16:17], s[0:1], 0x6c
	s_load_b32 s78, s[0:1], 0xc
	s_load_b32 s0, s[0:1], 0x28
	s_add_u32 s7, s18, s2
	v_or_b32_e32 v20, v19, v1
	s_addc_u32 s8, s19, s3
	s_lshl_b64 s[2:3], s[64:65], 1
	s_mul_i32 s64, s34, s54
	s_add_u32 s53, s7, s2
	s_addc_u32 s74, s8, s3
	s_lshl_b64 s[2:3], s[64:65], 1
	s_mul_i32 s64, s6, s57
	v_or_b32_e32 v24, 0x60, v20
	v_and_b32_e32 v14, 0x60, v0
	s_add_u32 s7, s20, s2
	s_addc_u32 s6, s21, s3
	s_lshl_b64 s[2:3], s[64:65], 1
	s_mul_i32 s64, s14, s60
	s_add_u32 s57, s7, s2
	s_addc_u32 s75, s6, s3
	s_lshl_b64 s[2:3], s[64:65], 1
	v_or_b32_e32 v26, 0xa0, v20
	v_or_b32_e32 v28, 0xe0, v20
	;; [unrolled: 1-line block ×5, first 2 shown]
	v_lshrrev_b32_e32 v2, 5, v24
	v_or_b32_e32 v36, 0x1e0, v20
	v_or_b32_e32 v16, v19, v14
	s_mul_i32 s64, s61, s12
	s_waitcnt lgkmcnt(0)
	s_add_u32 s4, s4, s2
	s_addc_u32 s5, s5, s3
	s_lshl_b64 s[2:3], s[64:65], 1
	v_or_b32_e32 v23, 64, v20
	s_add_u32 s76, s4, s2
	v_or_b32_e32 v25, 0x80, v20
	v_or_b32_e32 v27, 0xc0, v20
	v_or_b32_e32 v29, 0x100, v20
	v_or_b32_e32 v31, 0x140, v20
	v_or_b32_e32 v33, 0x180, v20
	v_or_b32_e32 v35, 0x1c0, v20
	v_and_b32_e32 v2, 50, v2
	v_lshrrev_b32_e32 v5, 5, v26
	v_lshrrev_b32_e32 v8, 5, v28
	;; [unrolled: 1-line block ×6, first 2 shown]
	v_lshrrev_b16 v50, 1, v16
	s_addc_u32 s77, s5, s3
	s_add_i32 s2, s69, 0x7ff
	v_lshrrev_b32_e32 v3, 5, v1
	s_lshr_b32 s79, s2, 11
	s_bitcmp1_b32 s0, 0
	v_lshrrev_b32_e32 v4, 5, v23
	v_lshrrev_b32_e32 v6, 5, v25
	v_add_lshl_u32 v2, v2, v20, 1
	v_and_b32_e32 v5, 52, v5
	v_lshrrev_b32_e32 v7, 5, v27
	v_and_b32_e32 v8, 54, v8
	v_lshrrev_b32_e32 v10, 5, v29
	;; [unrolled: 2-line block ×5, first 2 shown]
	v_and_b32_e32 v51, 62, v49
	v_lshlrev_b32_e32 v16, 4, v16
	v_and_b32_e32 v52, 62, v50
	s_cselect_b32 s80, -1, 0
	s_cmp_gt_i32 s78, 0
	v_add_lshl_u32 v3, v3, v20, 1
	s_cselect_b32 s81, -1, 0
	s_add_i32 s0, 0, 0x1080
	v_add_lshl_u32 v4, v4, v20, 1
	v_add_lshl_u32 v6, v6, v20, 1
	v_add_nc_u32_e32 v39, 0, v2
	v_add_lshl_u32 v5, v5, v20, 1
	v_add_lshl_u32 v7, v7, v20, 1
	;; [unrolled: 1-line block ×12, first 2 shown]
	v_add_nc_u32_e32 v55, s0, v2
	v_and_b32_e32 v2, 15, v19
	s_and_b32 s1, s69, 0x7ff
	v_add_nc_u32_e32 v51, 0, v67
	v_add_nc_u32_e32 v53, s0, v3
	;; [unrolled: 1-line block ×15, first 2 shown]
	s_cmp_eq_u32 s1, 0
	v_add_nc_u32_e32 v68, s0, v16
	v_cmp_ne_u32_e64 s0, 0, v2
	v_cmp_lt_u32_e64 s1, 1, v2
	v_cmp_lt_u32_e64 s2, 3, v2
	;; [unrolled: 1-line block ×3, first 2 shown]
	v_add_nc_u32_e32 v2, -1, v19
	v_add_nc_u32_e32 v37, 0, v3
	v_lshrrev_b32_e32 v3, 2, v0
	v_add_nc_u32_e32 v41, 0, v5
	v_or_b32_e32 v5, 31, v14
	v_cmp_gt_i32_e32 vcc_lo, 0, v2
	s_mul_i32 s64, s34, s16
	v_and_b32_e32 v3, 24, v3
	s_cselect_b32 s82, -1, 0
	s_lshl_b64 s[14:15], s[64:65], 1
	v_cndmask_b32_e32 v2, v2, v19, vcc_lo
	s_add_i32 s83, s79, -1
	s_mul_i32 s64, s17, s12
	v_cmp_eq_u32_e64 s5, v5, v0
	v_cmp_gt_u32_e64 s6, 4, v0
	v_lshl_add_u32 v70, v0, 3, 0
	v_cmp_gt_u32_e64 s9, 32, v0
	v_cmp_lt_u32_e64 s10, 31, v0
	v_cmp_eq_u32_e64 s11, 0, v0
	s_add_u32 s14, s30, s14
	v_lshlrev_b32_e32 v0, 1, v19
	s_addc_u32 s15, s31, s15
	s_lshl_b64 s[12:13], s[64:65], 1
	v_add_nc_u32_e32 v69, 0, v3
	v_and_b32_e32 v3, 3, v19
	s_add_u32 s12, s14, s12
	v_lshlrev_b32_e32 v71, 2, v2
	s_addc_u32 s13, s15, s13
	v_lshlrev_b32_e32 v2, 1, v1
	v_add_co_u32 v0, s12, s12, v0
	v_add_nc_u32_e32 v38, 0, v4
	v_and_b32_e32 v4, 16, v19
	v_cmp_ne_u32_e64 s7, 0, v3
	v_cmp_lt_u32_e64 s8, 1, v3
	v_add_co_ci_u32_e64 v3, null, s13, 0, s12
	v_add_co_u32 v72, vcc_lo, v0, v2
	v_or_b32_e32 v22, 32, v20
	v_add_nc_u32_e32 v40, 0, v6
	v_add_nc_u32_e32 v42, 0, v7
	;; [unrolled: 1-line block ×11, first 2 shown]
	v_cmp_ne_u32_e64 s4, 0, v4
	v_cmp_eq_u32_e64 s12, 0, v19
	v_add_co_ci_u32_e32 v73, vcc_lo, 0, v3, vcc_lo
	v_or_b32_e32 v74, 1, v18
	v_or_b32_e32 v75, 2, v18
	;; [unrolled: 1-line block ×15, first 2 shown]
	v_lshlrev_b32_e32 v89, 1, v1
	s_mov_b32 s84, 0x3e9b6dac
	s_add_i32 s85, 0, 0x2120
	s_mov_b32 s86, 0
	s_branch .LBB90_12
.LBB90_11:                              ;   in Loop: Header=BB90_12 Depth=1
	s_or_b32 exec_lo, exec_lo, s13
	s_add_u32 s72, s72, 0x1000
	s_addc_u32 s48, s48, 0
	s_add_u32 s70, s70, 0x1000
	s_addc_u32 s71, s71, 0
	;; [unrolled: 2-line block ×4, first 2 shown]
	s_add_i32 s86, s86, 1
	s_delay_alu instid0(SALU_CYCLE_1)
	s_cmp_eq_u32 s86, s79
	s_cbranch_scc1 .LBB90_238
.LBB90_12:                              ; =>This Loop Header: Depth=1
                                        ;     Child Loop BB90_109 Depth 2
	s_waitcnt lgkmcnt(14)
	v_lshlrev_b32_e32 v16, 1, v19
	s_lshl_b32 s50, s86, 11
	s_waitcnt lgkmcnt(0)
	v_mov_b32_e32 v2, 0
	s_sub_i32 s41, s69, s50
	v_add_co_u32 v0, s13, s70, v16
	s_delay_alu instid0(VALU_DEP_1) | instskip(SKIP_1) | instid1(VALU_DEP_3)
	v_add_co_ci_u32_e64 v1, null, s71, 0, s13
	v_cmp_gt_u32_e64 s13, s41, v20
	v_add_co_u32 v0, vcc_lo, v0, v89
	s_delay_alu instid0(VALU_DEP_3)
	v_add_co_ci_u32_e32 v1, vcc_lo, 0, v1, vcc_lo
	s_waitcnt_vscnt null, 0x0
	s_barrier
	buffer_gl0_inv
	s_and_saveexec_b32 s14, s13
	s_cbranch_execz .LBB90_14
; %bb.13:                               ;   in Loop: Header=BB90_12 Depth=1
	global_load_u16 v2, v[0:1], off
.LBB90_14:                              ;   in Loop: Header=BB90_12 Depth=1
	s_or_b32 exec_lo, exec_lo, s14
	v_cmp_gt_u32_e64 s14, s41, v22
	v_dual_mov_b32 v3, 0 :: v_dual_mov_b32 v4, 0
	s_delay_alu instid0(VALU_DEP_2)
	s_and_saveexec_b32 s15, s14
	s_cbranch_execz .LBB90_16
; %bb.15:                               ;   in Loop: Header=BB90_12 Depth=1
	global_load_u16 v4, v[0:1], off offset:64
.LBB90_16:                              ;   in Loop: Header=BB90_12 Depth=1
	s_or_b32 exec_lo, exec_lo, s15
	v_cmp_gt_u32_e64 s15, s41, v23
	s_delay_alu instid0(VALU_DEP_1)
	s_and_saveexec_b32 s16, s15
	s_cbranch_execz .LBB90_18
; %bb.17:                               ;   in Loop: Header=BB90_12 Depth=1
	global_load_u16 v3, v[0:1], off offset:128
.LBB90_18:                              ;   in Loop: Header=BB90_12 Depth=1
	s_or_b32 exec_lo, exec_lo, s16
	v_cmp_gt_u32_e64 s16, s41, v24
	v_dual_mov_b32 v5, 0 :: v_dual_mov_b32 v6, 0
	s_delay_alu instid0(VALU_DEP_2)
	s_and_saveexec_b32 s17, s16
	s_cbranch_execz .LBB90_20
; %bb.19:                               ;   in Loop: Header=BB90_12 Depth=1
	global_load_u16 v6, v[0:1], off offset:192
.LBB90_20:                              ;   in Loop: Header=BB90_12 Depth=1
	s_or_b32 exec_lo, exec_lo, s17
	v_cmp_gt_u32_e64 s17, s41, v25
	s_delay_alu instid0(VALU_DEP_1)
	s_and_saveexec_b32 s18, s17
	s_cbranch_execz .LBB90_22
; %bb.21:                               ;   in Loop: Header=BB90_12 Depth=1
	global_load_u16 v5, v[0:1], off offset:256
.LBB90_22:                              ;   in Loop: Header=BB90_12 Depth=1
	;; [unrolled: 17-line block ×3, first 2 shown]
	s_or_b32 exec_lo, exec_lo, s20
	v_cmp_gt_u32_e64 s20, s41, v28
	v_mov_b32_e32 v9, 0
	v_mov_b32_e32 v11, 0
	s_delay_alu instid0(VALU_DEP_3)
	s_and_saveexec_b32 s21, s20
	s_cbranch_execz .LBB90_28
; %bb.27:                               ;   in Loop: Header=BB90_12 Depth=1
	global_load_u16 v11, v[0:1], off offset:448
.LBB90_28:                              ;   in Loop: Header=BB90_12 Depth=1
	s_or_b32 exec_lo, exec_lo, s21
	v_cmp_gt_u32_e64 s21, s41, v29
	s_delay_alu instid0(VALU_DEP_1)
	s_and_saveexec_b32 s22, s21
	s_cbranch_execz .LBB90_30
; %bb.29:                               ;   in Loop: Header=BB90_12 Depth=1
	global_load_u16 v9, v[0:1], off offset:512
.LBB90_30:                              ;   in Loop: Header=BB90_12 Depth=1
	s_or_b32 exec_lo, exec_lo, s22
	v_cmp_gt_u32_e64 s22, s41, v30
	v_dual_mov_b32 v12, 0 :: v_dual_mov_b32 v13, 0
	s_delay_alu instid0(VALU_DEP_2)
	s_and_saveexec_b32 s23, s22
	s_cbranch_execz .LBB90_32
; %bb.31:                               ;   in Loop: Header=BB90_12 Depth=1
	global_load_u16 v13, v[0:1], off offset:576
.LBB90_32:                              ;   in Loop: Header=BB90_12 Depth=1
	s_or_b32 exec_lo, exec_lo, s23
	v_cmp_gt_u32_e64 s23, s41, v31
	s_delay_alu instid0(VALU_DEP_1)
	s_and_saveexec_b32 s24, s23
	s_cbranch_execz .LBB90_34
; %bb.33:                               ;   in Loop: Header=BB90_12 Depth=1
	global_load_u16 v12, v[0:1], off offset:640
.LBB90_34:                              ;   in Loop: Header=BB90_12 Depth=1
	s_or_b32 exec_lo, exec_lo, s24
	v_cmp_gt_u32_e64 s24, s41, v32
	v_dual_mov_b32 v14, 0 :: v_dual_mov_b32 v15, 0
	s_delay_alu instid0(VALU_DEP_2)
	;; [unrolled: 17-line block ×4, first 2 shown]
	s_and_saveexec_b32 s29, s28
	s_cbranch_execz .LBB90_44
; %bb.43:                               ;   in Loop: Header=BB90_12 Depth=1
	global_load_u16 v91, v[0:1], off offset:960
.LBB90_44:                              ;   in Loop: Header=BB90_12 Depth=1
	s_or_b32 exec_lo, exec_lo, s29
	s_waitcnt vmcnt(0)
	ds_store_b16 v37, v2
	ds_store_b16 v37, v4 offset:64
	ds_store_b16 v38, v3 offset:128
	;; [unrolled: 1-line block ×15, first 2 shown]
	; wave barrier
	ds_load_b128 v[0:3], v52
	ds_load_b128 v[4:7], v52 offset:16
	v_add_co_u32 v8, s29, s72, v16
	s_delay_alu instid0(VALU_DEP_1) | instskip(SKIP_1) | instid1(VALU_DEP_2)
	v_add_co_ci_u32_e64 v9, null, s48, 0, s29
	s_waitcnt lgkmcnt(0)
	v_add_co_u32 v8, vcc_lo, v8, v89
	s_delay_alu instid0(VALU_DEP_2)
	v_add_co_ci_u32_e32 v9, vcc_lo, 0, v9, vcc_lo
	s_barrier
	buffer_gl0_inv
	s_and_saveexec_b32 s29, s13
	s_cbranch_execz .LBB90_46
; %bb.45:                               ;   in Loop: Header=BB90_12 Depth=1
	global_load_u16 v10, v[8:9], off
.LBB90_46:                              ;   in Loop: Header=BB90_12 Depth=1
	s_or_b32 exec_lo, exec_lo, s29
	v_dual_mov_b32 v11, 0 :: v_dual_mov_b32 v12, 0
	s_and_saveexec_b32 s29, s14
	s_cbranch_execz .LBB90_48
; %bb.47:                               ;   in Loop: Header=BB90_12 Depth=1
	global_load_u16 v12, v[8:9], off offset:64
.LBB90_48:                              ;   in Loop: Header=BB90_12 Depth=1
	s_or_b32 exec_lo, exec_lo, s29
	s_and_saveexec_b32 s29, s15
	s_cbranch_execz .LBB90_50
; %bb.49:                               ;   in Loop: Header=BB90_12 Depth=1
	global_load_u16 v11, v[8:9], off offset:128
.LBB90_50:                              ;   in Loop: Header=BB90_12 Depth=1
	s_or_b32 exec_lo, exec_lo, s29
	v_dual_mov_b32 v13, 0 :: v_dual_mov_b32 v14, 0
	s_and_saveexec_b32 s29, s16
	s_cbranch_execz .LBB90_52
; %bb.51:                               ;   in Loop: Header=BB90_12 Depth=1
	global_load_u16 v14, v[8:9], off offset:192
.LBB90_52:                              ;   in Loop: Header=BB90_12 Depth=1
	s_or_b32 exec_lo, exec_lo, s29
	s_and_saveexec_b32 s29, s17
	s_cbranch_execz .LBB90_54
; %bb.53:                               ;   in Loop: Header=BB90_12 Depth=1
	global_load_u16 v13, v[8:9], off offset:256
.LBB90_54:                              ;   in Loop: Header=BB90_12 Depth=1
	s_or_b32 exec_lo, exec_lo, s29
	v_mov_b32_e32 v15, 0
	v_mov_b32_e32 v17, 0
	s_and_saveexec_b32 s29, s18
	s_cbranch_execz .LBB90_56
; %bb.55:                               ;   in Loop: Header=BB90_12 Depth=1
	global_load_u16 v17, v[8:9], off offset:320
.LBB90_56:                              ;   in Loop: Header=BB90_12 Depth=1
	s_or_b32 exec_lo, exec_lo, s29
	s_and_saveexec_b32 s29, s19
	s_cbranch_execz .LBB90_58
; %bb.57:                               ;   in Loop: Header=BB90_12 Depth=1
	global_load_u16 v15, v[8:9], off offset:384
.LBB90_58:                              ;   in Loop: Header=BB90_12 Depth=1
	s_or_b32 exec_lo, exec_lo, s29
	v_dual_mov_b32 v90, 0 :: v_dual_mov_b32 v91, 0
	s_and_saveexec_b32 s29, s20
	s_cbranch_execz .LBB90_60
; %bb.59:                               ;   in Loop: Header=BB90_12 Depth=1
	global_load_u16 v91, v[8:9], off offset:448
.LBB90_60:                              ;   in Loop: Header=BB90_12 Depth=1
	s_or_b32 exec_lo, exec_lo, s29
	s_and_saveexec_b32 s29, s21
	s_cbranch_execz .LBB90_62
; %bb.61:                               ;   in Loop: Header=BB90_12 Depth=1
	global_load_u16 v90, v[8:9], off offset:512
.LBB90_62:                              ;   in Loop: Header=BB90_12 Depth=1
	s_or_b32 exec_lo, exec_lo, s29
	v_dual_mov_b32 v92, 0 :: v_dual_mov_b32 v93, 0
	;; [unrolled: 13-line block ×4, first 2 shown]
	s_and_saveexec_b32 s29, s26
	s_cbranch_execnz .LBB90_220
; %bb.71:                               ;   in Loop: Header=BB90_12 Depth=1
	s_or_b32 exec_lo, exec_lo, s29
	s_and_saveexec_b32 s29, s27
	s_cbranch_execnz .LBB90_221
.LBB90_72:                              ;   in Loop: Header=BB90_12 Depth=1
	s_or_b32 exec_lo, exec_lo, s29
	v_mov_b32_e32 v98, 0
	s_and_saveexec_b32 s29, s28
	s_cbranch_execz .LBB90_74
.LBB90_73:                              ;   in Loop: Header=BB90_12 Depth=1
	global_load_u16 v98, v[8:9], off offset:960
.LBB90_74:                              ;   in Loop: Header=BB90_12 Depth=1
	s_or_b32 exec_lo, exec_lo, s29
	s_waitcnt vmcnt(0)
	ds_store_b16 v37, v10
	ds_store_b16 v37, v12 offset:64
	ds_store_b16 v38, v11 offset:128
	;; [unrolled: 1-line block ×15, first 2 shown]
	; wave barrier
	ds_load_b128 v[12:15], v52
	ds_load_b128 v[8:11], v52 offset:16
	s_waitcnt lgkmcnt(1)
	v_cvt_f32_f16_e32 v17, v12
	s_delay_alu instid0(VALU_DEP_1) | instskip(NEXT) | instid1(VALU_DEP_1)
	v_add_f32_e32 v90, s67, v17
	v_cmp_ge_f32_e32 vcc_lo, 0x41a00000, v90
	s_and_b32 s29, s80, vcc_lo
	s_delay_alu instid0(SALU_CYCLE_1)
	s_and_saveexec_b32 s30, s29
	s_cbranch_execz .LBB90_76
; %bb.75:                               ;   in Loop: Header=BB90_12 Depth=1
	v_mul_f32_e32 v17, 0x3fb8aa3b, v90
	v_cmp_ngt_f32_e32 vcc_lo, 0xc2ce8ed0, v90
	s_delay_alu instid0(VALU_DEP_2) | instskip(SKIP_1) | instid1(VALU_DEP_1)
	v_rndne_f32_e32 v91, v17
	v_fma_f32 v92, 0x3fb8aa3b, v90, -v17
	v_dual_sub_f32 v17, v17, v91 :: v_dual_fmac_f32 v92, 0x32a5705f, v90
	v_cvt_i32_f32_e32 v91, v91
	s_delay_alu instid0(VALU_DEP_2) | instskip(NEXT) | instid1(VALU_DEP_1)
	v_add_f32_e32 v17, v17, v92
	v_exp_f32_e32 v17, v17
	s_waitcnt_depctr 0xfff
	v_ldexp_f32 v17, v17, v91
	s_delay_alu instid0(VALU_DEP_1) | instskip(SKIP_1) | instid1(VALU_DEP_2)
	v_cndmask_b32_e32 v17, 0, v17, vcc_lo
	v_cmp_nlt_f32_e32 vcc_lo, 0x42b17218, v90
	v_cndmask_b32_e32 v17, 0x7f800000, v17, vcc_lo
	s_delay_alu instid0(VALU_DEP_1) | instskip(NEXT) | instid1(VALU_DEP_1)
	v_add_f32_e32 v92, 1.0, v17
	v_cvt_f64_f32_e32 v[90:91], v92
	s_delay_alu instid0(VALU_DEP_1) | instskip(SKIP_1) | instid1(VALU_DEP_1)
	v_frexp_exp_i32_f64_e32 v90, v[90:91]
	v_frexp_mant_f32_e32 v91, v92
	v_cmp_gt_f32_e32 vcc_lo, 0x3f2aaaab, v91
	v_add_f32_e32 v91, -1.0, v92
	s_delay_alu instid0(VALU_DEP_1) | instskip(NEXT) | instid1(VALU_DEP_1)
	v_dual_sub_f32 v94, v91, v92 :: v_dual_sub_f32 v91, v17, v91
	v_add_f32_e32 v94, 1.0, v94
	v_subrev_co_ci_u32_e32 v90, vcc_lo, 0, v90, vcc_lo
	s_delay_alu instid0(VALU_DEP_1) | instskip(SKIP_1) | instid1(VALU_DEP_2)
	v_sub_nc_u32_e32 v93, 0, v90
	v_cvt_f32_i32_e32 v90, v90
	v_ldexp_f32 v92, v92, v93
	v_add_f32_e32 v91, v91, v94
	s_delay_alu instid0(VALU_DEP_1) | instskip(NEXT) | instid1(VALU_DEP_3)
	v_ldexp_f32 v91, v91, v93
	v_add_f32_e32 v95, 1.0, v92
	s_delay_alu instid0(VALU_DEP_1) | instskip(NEXT) | instid1(VALU_DEP_1)
	v_add_f32_e32 v94, -1.0, v95
	v_sub_f32_e32 v94, v92, v94
	v_cmp_eq_f32_e32 vcc_lo, 0x7f800000, v17
	v_cmp_gt_f32_e64 s29, 0x33800000, v17
	s_delay_alu instid0(VALU_DEP_3) | instskip(NEXT) | instid1(VALU_DEP_2)
	v_dual_add_f32 v94, v91, v94 :: v_dual_add_f32 v93, -1.0, v92
	s_or_b32 vcc_lo, s29, vcc_lo
	s_delay_alu instid0(VALU_DEP_1) | instskip(NEXT) | instid1(VALU_DEP_1)
	v_add_f32_e32 v96, 1.0, v93
	v_sub_f32_e32 v92, v92, v96
	s_delay_alu instid0(VALU_DEP_3) | instskip(NEXT) | instid1(VALU_DEP_1)
	v_add_f32_e32 v96, v95, v94
	v_sub_f32_e32 v95, v95, v96
	s_delay_alu instid0(VALU_DEP_3) | instskip(SKIP_1) | instid1(VALU_DEP_2)
	v_add_f32_e32 v91, v91, v92
	v_rcp_f32_e32 v92, v96
	v_add_f32_e32 v94, v94, v95
	s_delay_alu instid0(VALU_DEP_2) | instskip(NEXT) | instid1(VALU_DEP_1)
	v_add_f32_e32 v97, v93, v91
	v_sub_f32_e32 v93, v93, v97
	s_waitcnt_depctr 0xfff
	v_dual_mul_f32 v98, v97, v92 :: v_dual_add_f32 v91, v91, v93
	s_delay_alu instid0(VALU_DEP_1) | instskip(NEXT) | instid1(VALU_DEP_1)
	v_mul_f32_e32 v99, v96, v98
	v_fma_f32 v95, v98, v96, -v99
	s_delay_alu instid0(VALU_DEP_1) | instskip(NEXT) | instid1(VALU_DEP_1)
	v_fmac_f32_e32 v95, v98, v94
	v_add_f32_e32 v100, v99, v95
	s_delay_alu instid0(VALU_DEP_1) | instskip(NEXT) | instid1(VALU_DEP_1)
	v_sub_f32_e32 v101, v97, v100
	v_sub_f32_e32 v97, v97, v101
	;; [unrolled: 1-line block ×3, first 2 shown]
	s_delay_alu instid0(VALU_DEP_2) | instskip(NEXT) | instid1(VALU_DEP_2)
	v_sub_f32_e32 v97, v97, v100
	v_sub_f32_e32 v93, v93, v95
	s_delay_alu instid0(VALU_DEP_2) | instskip(NEXT) | instid1(VALU_DEP_1)
	v_add_f32_e32 v91, v91, v97
	v_add_f32_e32 v91, v93, v91
	s_delay_alu instid0(VALU_DEP_1) | instskip(NEXT) | instid1(VALU_DEP_1)
	v_add_f32_e32 v93, v101, v91
	v_mul_f32_e32 v95, v92, v93
	s_delay_alu instid0(VALU_DEP_1) | instskip(NEXT) | instid1(VALU_DEP_1)
	v_dual_sub_f32 v100, v101, v93 :: v_dual_mul_f32 v97, v96, v95
	v_add_f32_e32 v91, v91, v100
	s_delay_alu instid0(VALU_DEP_2) | instskip(NEXT) | instid1(VALU_DEP_1)
	v_fma_f32 v96, v95, v96, -v97
	v_fmac_f32_e32 v96, v95, v94
	s_delay_alu instid0(VALU_DEP_1) | instskip(NEXT) | instid1(VALU_DEP_1)
	v_add_f32_e32 v94, v97, v96
	v_sub_f32_e32 v99, v93, v94
	v_sub_f32_e32 v97, v94, v97
	s_delay_alu instid0(VALU_DEP_2) | instskip(NEXT) | instid1(VALU_DEP_1)
	v_sub_f32_e32 v93, v93, v99
	v_sub_f32_e32 v93, v93, v94
	s_delay_alu instid0(VALU_DEP_1) | instskip(SKIP_1) | instid1(VALU_DEP_1)
	v_dual_sub_f32 v94, v97, v96 :: v_dual_add_f32 v91, v91, v93
	v_add_f32_e32 v93, v98, v95
	v_dual_add_f32 v91, v94, v91 :: v_dual_sub_f32 v94, v93, v98
	s_delay_alu instid0(VALU_DEP_1) | instskip(NEXT) | instid1(VALU_DEP_1)
	v_add_f32_e32 v91, v99, v91
	v_dual_sub_f32 v94, v95, v94 :: v_dual_mul_f32 v91, v92, v91
	s_delay_alu instid0(VALU_DEP_1) | instskip(NEXT) | instid1(VALU_DEP_1)
	v_add_f32_e32 v91, v94, v91
	v_add_f32_e32 v92, v93, v91
	s_delay_alu instid0(VALU_DEP_1) | instskip(NEXT) | instid1(VALU_DEP_1)
	v_mul_f32_e32 v94, v92, v92
	v_fmaak_f32 v95, s84, v94, 0x3ecc95a3
	v_mul_f32_e32 v96, v92, v94
	s_delay_alu instid0(VALU_DEP_2) | instskip(SKIP_2) | instid1(VALU_DEP_3)
	v_fmaak_f32 v94, v94, v95, 0x3f2aaada
	v_ldexp_f32 v95, v92, 1
	v_sub_f32_e32 v92, v92, v93
	v_mul_f32_e32 v94, v96, v94
	s_delay_alu instid0(VALU_DEP_2) | instskip(NEXT) | instid1(VALU_DEP_2)
	v_dual_mul_f32 v96, 0x3f317218, v90 :: v_dual_sub_f32 v91, v91, v92
	v_add_f32_e32 v93, v95, v94
	s_delay_alu instid0(VALU_DEP_2) | instskip(NEXT) | instid1(VALU_DEP_2)
	v_ldexp_f32 v91, v91, 1
	v_sub_f32_e32 v92, v93, v95
	s_delay_alu instid0(VALU_DEP_4) | instskip(NEXT) | instid1(VALU_DEP_1)
	v_fma_f32 v95, 0x3f317218, v90, -v96
	v_dual_sub_f32 v92, v94, v92 :: v_dual_fmac_f32 v95, 0xb102e308, v90
	s_delay_alu instid0(VALU_DEP_1) | instskip(NEXT) | instid1(VALU_DEP_1)
	v_dual_add_f32 v90, v91, v92 :: v_dual_add_f32 v91, v96, v95
	v_add_f32_e32 v92, v93, v90
	s_delay_alu instid0(VALU_DEP_2) | instskip(NEXT) | instid1(VALU_DEP_2)
	v_sub_f32_e32 v96, v91, v96
	v_dual_add_f32 v94, v91, v92 :: v_dual_sub_f32 v93, v92, v93
	s_delay_alu instid0(VALU_DEP_2) | instskip(NEXT) | instid1(VALU_DEP_2)
	v_sub_f32_e32 v95, v95, v96
	v_sub_f32_e32 v97, v94, v91
	s_delay_alu instid0(VALU_DEP_3) | instskip(NEXT) | instid1(VALU_DEP_2)
	v_sub_f32_e32 v90, v90, v93
	v_sub_f32_e32 v98, v94, v97
	s_delay_alu instid0(VALU_DEP_2) | instskip(NEXT) | instid1(VALU_DEP_2)
	v_dual_sub_f32 v92, v92, v97 :: v_dual_add_f32 v93, v95, v90
	v_sub_f32_e32 v91, v91, v98
	s_delay_alu instid0(VALU_DEP_1) | instskip(NEXT) | instid1(VALU_DEP_3)
	v_add_f32_e32 v91, v92, v91
	v_sub_f32_e32 v92, v93, v95
	s_delay_alu instid0(VALU_DEP_2) | instskip(NEXT) | instid1(VALU_DEP_2)
	v_add_f32_e32 v91, v93, v91
	v_sub_f32_e32 v93, v93, v92
	v_sub_f32_e32 v90, v90, v92
	s_delay_alu instid0(VALU_DEP_2) | instskip(NEXT) | instid1(VALU_DEP_1)
	v_dual_add_f32 v96, v94, v91 :: v_dual_sub_f32 v93, v95, v93
	v_sub_f32_e32 v92, v96, v94
	s_delay_alu instid0(VALU_DEP_1) | instskip(NEXT) | instid1(VALU_DEP_1)
	v_dual_add_f32 v90, v90, v93 :: v_dual_sub_f32 v91, v91, v92
	v_add_f32_e32 v90, v90, v91
	s_delay_alu instid0(VALU_DEP_1) | instskip(NEXT) | instid1(VALU_DEP_1)
	v_add_f32_e32 v90, v96, v90
	v_cndmask_b32_e32 v90, v90, v17, vcc_lo
.LBB90_76:                              ;   in Loop: Header=BB90_12 Depth=1
	s_or_b32 exec_lo, exec_lo, s30
	v_lshrrev_b32_e32 v12, 16, v12
	s_delay_alu instid0(VALU_DEP_1) | instskip(NEXT) | instid1(VALU_DEP_1)
	v_cvt_f32_f16_e32 v12, v12
	v_add_f32_e32 v91, s67, v12
	s_delay_alu instid0(VALU_DEP_1) | instskip(SKIP_1) | instid1(SALU_CYCLE_1)
	v_cmp_ge_f32_e32 vcc_lo, 0x41a00000, v91
	s_and_b32 s29, s80, vcc_lo
	s_and_saveexec_b32 s30, s29
	s_cbranch_execz .LBB90_78
; %bb.77:                               ;   in Loop: Header=BB90_12 Depth=1
	v_mul_f32_e32 v12, 0x3fb8aa3b, v91
	v_cmp_ngt_f32_e32 vcc_lo, 0xc2ce8ed0, v91
	s_delay_alu instid0(VALU_DEP_2) | instskip(SKIP_1) | instid1(VALU_DEP_2)
	v_rndne_f32_e32 v17, v12
	v_fma_f32 v92, 0x3fb8aa3b, v91, -v12
	v_sub_f32_e32 v12, v12, v17
	s_delay_alu instid0(VALU_DEP_2) | instskip(SKIP_1) | instid1(VALU_DEP_2)
	v_fmac_f32_e32 v92, 0x32a5705f, v91
	v_cvt_i32_f32_e32 v17, v17
	v_add_f32_e32 v12, v12, v92
	s_delay_alu instid0(VALU_DEP_1) | instskip(SKIP_2) | instid1(VALU_DEP_1)
	v_exp_f32_e32 v12, v12
	s_waitcnt_depctr 0xfff
	v_ldexp_f32 v12, v12, v17
	v_cndmask_b32_e32 v12, 0, v12, vcc_lo
	v_cmp_nlt_f32_e32 vcc_lo, 0x42b17218, v91
	s_delay_alu instid0(VALU_DEP_2) | instskip(NEXT) | instid1(VALU_DEP_1)
	v_cndmask_b32_e32 v12, 0x7f800000, v12, vcc_lo
	v_add_f32_e32 v17, 1.0, v12
	s_delay_alu instid0(VALU_DEP_1) | instskip(NEXT) | instid1(VALU_DEP_1)
	v_cvt_f64_f32_e32 v[91:92], v17
	v_frexp_exp_i32_f64_e32 v91, v[91:92]
	v_frexp_mant_f32_e32 v92, v17
	s_delay_alu instid0(VALU_DEP_1) | instskip(SKIP_1) | instid1(VALU_DEP_1)
	v_cmp_gt_f32_e32 vcc_lo, 0x3f2aaaab, v92
	v_add_f32_e32 v92, -1.0, v17
	v_sub_f32_e32 v94, v92, v17
	v_sub_f32_e32 v92, v12, v92
	s_delay_alu instid0(VALU_DEP_2) | instskip(NEXT) | instid1(VALU_DEP_1)
	v_add_f32_e32 v94, 1.0, v94
	v_add_f32_e32 v92, v92, v94
	v_subrev_co_ci_u32_e32 v91, vcc_lo, 0, v91, vcc_lo
	s_delay_alu instid0(VALU_DEP_1) | instskip(SKIP_1) | instid1(VALU_DEP_2)
	v_sub_nc_u32_e32 v93, 0, v91
	v_cvt_f32_i32_e32 v91, v91
	v_ldexp_f32 v17, v17, v93
	v_ldexp_f32 v92, v92, v93
	s_delay_alu instid0(VALU_DEP_2) | instskip(NEXT) | instid1(VALU_DEP_1)
	v_add_f32_e32 v95, 1.0, v17
	v_dual_add_f32 v93, -1.0, v17 :: v_dual_add_f32 v94, -1.0, v95
	s_delay_alu instid0(VALU_DEP_1) | instskip(NEXT) | instid1(VALU_DEP_2)
	v_add_f32_e32 v96, 1.0, v93
	v_sub_f32_e32 v94, v17, v94
	s_delay_alu instid0(VALU_DEP_2) | instskip(NEXT) | instid1(VALU_DEP_1)
	v_sub_f32_e32 v17, v17, v96
	v_add_f32_e32 v17, v92, v17
	s_delay_alu instid0(VALU_DEP_1) | instskip(SKIP_2) | instid1(VALU_DEP_3)
	v_add_f32_e32 v97, v93, v17
	v_cmp_eq_f32_e32 vcc_lo, 0x7f800000, v12
	v_cmp_gt_f32_e64 s29, 0x33800000, v12
	v_dual_sub_f32 v93, v93, v97 :: v_dual_add_f32 v94, v92, v94
	s_delay_alu instid0(VALU_DEP_2) | instskip(NEXT) | instid1(VALU_DEP_1)
	s_or_b32 vcc_lo, s29, vcc_lo
	v_dual_add_f32 v17, v17, v93 :: v_dual_add_f32 v96, v95, v94
	s_delay_alu instid0(VALU_DEP_1) | instskip(SKIP_1) | instid1(VALU_DEP_1)
	v_rcp_f32_e32 v92, v96
	v_sub_f32_e32 v95, v95, v96
	v_add_f32_e32 v94, v94, v95
	s_waitcnt_depctr 0xfff
	v_mul_f32_e32 v98, v97, v92
	s_delay_alu instid0(VALU_DEP_1) | instskip(NEXT) | instid1(VALU_DEP_1)
	v_mul_f32_e32 v99, v96, v98
	v_fma_f32 v95, v98, v96, -v99
	s_delay_alu instid0(VALU_DEP_1) | instskip(NEXT) | instid1(VALU_DEP_1)
	v_fmac_f32_e32 v95, v98, v94
	v_add_f32_e32 v100, v99, v95
	s_delay_alu instid0(VALU_DEP_1) | instskip(SKIP_1) | instid1(VALU_DEP_2)
	v_sub_f32_e32 v101, v97, v100
	v_sub_f32_e32 v93, v100, v99
	;; [unrolled: 1-line block ×3, first 2 shown]
	s_delay_alu instid0(VALU_DEP_2) | instskip(NEXT) | instid1(VALU_DEP_2)
	v_sub_f32_e32 v93, v93, v95
	v_sub_f32_e32 v97, v97, v100
	s_delay_alu instid0(VALU_DEP_1) | instskip(NEXT) | instid1(VALU_DEP_1)
	v_add_f32_e32 v17, v17, v97
	v_add_f32_e32 v17, v93, v17
	s_delay_alu instid0(VALU_DEP_1) | instskip(NEXT) | instid1(VALU_DEP_1)
	v_add_f32_e32 v93, v101, v17
	v_mul_f32_e32 v95, v92, v93
	s_delay_alu instid0(VALU_DEP_1) | instskip(NEXT) | instid1(VALU_DEP_1)
	v_mul_f32_e32 v97, v96, v95
	v_fma_f32 v96, v95, v96, -v97
	s_delay_alu instid0(VALU_DEP_1) | instskip(SKIP_1) | instid1(VALU_DEP_2)
	v_fmac_f32_e32 v96, v95, v94
	v_sub_f32_e32 v100, v101, v93
	v_add_f32_e32 v94, v97, v96
	s_delay_alu instid0(VALU_DEP_2) | instskip(NEXT) | instid1(VALU_DEP_2)
	v_add_f32_e32 v17, v17, v100
	v_sub_f32_e32 v99, v93, v94
	s_delay_alu instid0(VALU_DEP_1) | instskip(NEXT) | instid1(VALU_DEP_1)
	v_sub_f32_e32 v93, v93, v99
	v_sub_f32_e32 v93, v93, v94
	s_delay_alu instid0(VALU_DEP_1) | instskip(SKIP_2) | instid1(VALU_DEP_1)
	v_add_f32_e32 v17, v17, v93
	v_add_f32_e32 v93, v98, v95
	v_sub_f32_e32 v97, v94, v97
	v_sub_f32_e32 v94, v97, v96
	s_delay_alu instid0(VALU_DEP_1) | instskip(NEXT) | instid1(VALU_DEP_1)
	v_dual_add_f32 v17, v94, v17 :: v_dual_sub_f32 v94, v93, v98
	v_add_f32_e32 v17, v99, v17
	s_delay_alu instid0(VALU_DEP_1) | instskip(NEXT) | instid1(VALU_DEP_1)
	v_dual_sub_f32 v94, v95, v94 :: v_dual_mul_f32 v17, v92, v17
	v_add_f32_e32 v17, v94, v17
	s_delay_alu instid0(VALU_DEP_1) | instskip(NEXT) | instid1(VALU_DEP_1)
	v_add_f32_e32 v92, v93, v17
	v_mul_f32_e32 v94, v92, v92
	s_delay_alu instid0(VALU_DEP_1) | instskip(SKIP_1) | instid1(VALU_DEP_2)
	v_fmaak_f32 v95, s84, v94, 0x3ecc95a3
	v_mul_f32_e32 v96, v92, v94
	v_fmaak_f32 v94, v94, v95, 0x3f2aaada
	v_ldexp_f32 v95, v92, 1
	s_delay_alu instid0(VALU_DEP_2) | instskip(SKIP_1) | instid1(VALU_DEP_2)
	v_mul_f32_e32 v94, v96, v94
	v_sub_f32_e32 v92, v92, v93
	v_dual_mul_f32 v96, 0x3f317218, v91 :: v_dual_add_f32 v93, v95, v94
	s_delay_alu instid0(VALU_DEP_2) | instskip(NEXT) | instid1(VALU_DEP_2)
	v_sub_f32_e32 v17, v17, v92
	v_sub_f32_e32 v92, v93, v95
	s_delay_alu instid0(VALU_DEP_3) | instskip(NEXT) | instid1(VALU_DEP_3)
	v_fma_f32 v95, 0x3f317218, v91, -v96
	v_ldexp_f32 v17, v17, 1
	s_delay_alu instid0(VALU_DEP_2) | instskip(NEXT) | instid1(VALU_DEP_1)
	v_dual_sub_f32 v92, v94, v92 :: v_dual_fmac_f32 v95, 0xb102e308, v91
	v_add_f32_e32 v17, v17, v92
	s_delay_alu instid0(VALU_DEP_1) | instskip(NEXT) | instid1(VALU_DEP_1)
	v_dual_add_f32 v91, v96, v95 :: v_dual_add_f32 v92, v93, v17
	v_sub_f32_e32 v96, v91, v96
	s_delay_alu instid0(VALU_DEP_2) | instskip(NEXT) | instid1(VALU_DEP_2)
	v_dual_add_f32 v94, v91, v92 :: v_dual_sub_f32 v93, v92, v93
	v_sub_f32_e32 v95, v95, v96
	s_delay_alu instid0(VALU_DEP_2) | instskip(NEXT) | instid1(VALU_DEP_1)
	v_sub_f32_e32 v97, v94, v91
	v_sub_f32_e32 v98, v94, v97
	;; [unrolled: 1-line block ×4, first 2 shown]
	s_delay_alu instid0(VALU_DEP_1) | instskip(NEXT) | instid1(VALU_DEP_4)
	v_add_f32_e32 v93, v95, v17
	v_sub_f32_e32 v91, v91, v98
	s_delay_alu instid0(VALU_DEP_1) | instskip(NEXT) | instid1(VALU_DEP_3)
	v_add_f32_e32 v91, v92, v91
	v_sub_f32_e32 v92, v93, v95
	s_delay_alu instid0(VALU_DEP_2) | instskip(NEXT) | instid1(VALU_DEP_2)
	v_add_f32_e32 v91, v93, v91
	v_sub_f32_e32 v93, v93, v92
	s_delay_alu instid0(VALU_DEP_2) | instskip(NEXT) | instid1(VALU_DEP_1)
	v_dual_sub_f32 v17, v17, v92 :: v_dual_add_f32 v96, v94, v91
	v_dual_sub_f32 v92, v96, v94 :: v_dual_sub_f32 v93, v95, v93
	s_delay_alu instid0(VALU_DEP_1) | instskip(NEXT) | instid1(VALU_DEP_2)
	v_sub_f32_e32 v91, v91, v92
	v_add_f32_e32 v17, v17, v93
	s_delay_alu instid0(VALU_DEP_1) | instskip(NEXT) | instid1(VALU_DEP_1)
	v_add_f32_e32 v17, v17, v91
	v_add_f32_e32 v17, v96, v17
	s_delay_alu instid0(VALU_DEP_1)
	v_cndmask_b32_e32 v91, v17, v12, vcc_lo
.LBB90_78:                              ;   in Loop: Header=BB90_12 Depth=1
	s_or_b32 exec_lo, exec_lo, s30
	v_cvt_f32_f16_e32 v12, v13
	s_delay_alu instid0(VALU_DEP_1) | instskip(NEXT) | instid1(VALU_DEP_1)
	v_add_f32_e32 v92, s67, v12
	v_cmp_ge_f32_e32 vcc_lo, 0x41a00000, v92
	s_and_b32 s29, s80, vcc_lo
	s_delay_alu instid0(SALU_CYCLE_1)
	s_and_saveexec_b32 s30, s29
	s_cbranch_execz .LBB90_80
; %bb.79:                               ;   in Loop: Header=BB90_12 Depth=1
	v_mul_f32_e32 v12, 0x3fb8aa3b, v92
	v_cmp_ngt_f32_e32 vcc_lo, 0xc2ce8ed0, v92
	s_delay_alu instid0(VALU_DEP_2) | instskip(SKIP_1) | instid1(VALU_DEP_1)
	v_rndne_f32_e32 v17, v12
	v_fma_f32 v93, 0x3fb8aa3b, v92, -v12
	v_dual_sub_f32 v12, v12, v17 :: v_dual_fmac_f32 v93, 0x32a5705f, v92
	v_cvt_i32_f32_e32 v17, v17
	s_delay_alu instid0(VALU_DEP_2) | instskip(NEXT) | instid1(VALU_DEP_1)
	v_add_f32_e32 v12, v12, v93
	v_exp_f32_e32 v12, v12
	s_waitcnt_depctr 0xfff
	v_ldexp_f32 v12, v12, v17
	s_delay_alu instid0(VALU_DEP_1) | instskip(SKIP_1) | instid1(VALU_DEP_2)
	v_cndmask_b32_e32 v12, 0, v12, vcc_lo
	v_cmp_nlt_f32_e32 vcc_lo, 0x42b17218, v92
	v_cndmask_b32_e32 v12, 0x7f800000, v12, vcc_lo
	s_delay_alu instid0(VALU_DEP_1) | instskip(NEXT) | instid1(VALU_DEP_1)
	v_add_f32_e32 v17, 1.0, v12
	v_cvt_f64_f32_e32 v[92:93], v17
	s_delay_alu instid0(VALU_DEP_1) | instskip(SKIP_1) | instid1(VALU_DEP_1)
	v_frexp_exp_i32_f64_e32 v92, v[92:93]
	v_frexp_mant_f32_e32 v93, v17
	v_cmp_gt_f32_e32 vcc_lo, 0x3f2aaaab, v93
	v_add_f32_e32 v93, -1.0, v17
	s_delay_alu instid0(VALU_DEP_1) | instskip(SKIP_1) | instid1(VALU_DEP_2)
	v_sub_f32_e32 v95, v93, v17
	v_sub_f32_e32 v93, v12, v93
	v_add_f32_e32 v95, 1.0, v95
	s_delay_alu instid0(VALU_DEP_1) | instskip(SKIP_3) | instid1(VALU_DEP_2)
	v_add_f32_e32 v93, v93, v95
	v_cmp_gt_f32_e64 s29, 0x33800000, v12
	v_subrev_co_ci_u32_e32 v92, vcc_lo, 0, v92, vcc_lo
	v_cmp_eq_f32_e32 vcc_lo, 0x7f800000, v12
	v_sub_nc_u32_e32 v94, 0, v92
	v_cvt_f32_i32_e32 v92, v92
	s_or_b32 vcc_lo, s29, vcc_lo
	s_delay_alu instid0(VALU_DEP_2) | instskip(SKIP_1) | instid1(VALU_DEP_2)
	v_ldexp_f32 v17, v17, v94
	v_ldexp_f32 v93, v93, v94
	v_add_f32_e32 v96, 1.0, v17
	s_delay_alu instid0(VALU_DEP_1) | instskip(NEXT) | instid1(VALU_DEP_1)
	v_dual_add_f32 v94, -1.0, v17 :: v_dual_add_f32 v95, -1.0, v96
	v_add_f32_e32 v97, 1.0, v94
	s_delay_alu instid0(VALU_DEP_2) | instskip(NEXT) | instid1(VALU_DEP_2)
	v_sub_f32_e32 v95, v17, v95
	v_sub_f32_e32 v17, v17, v97
	s_delay_alu instid0(VALU_DEP_1) | instskip(NEXT) | instid1(VALU_DEP_1)
	v_add_f32_e32 v17, v93, v17
	v_dual_add_f32 v98, v94, v17 :: v_dual_add_f32 v95, v93, v95
	s_delay_alu instid0(VALU_DEP_1) | instskip(NEXT) | instid1(VALU_DEP_1)
	v_dual_sub_f32 v94, v94, v98 :: v_dual_add_f32 v97, v96, v95
	v_rcp_f32_e32 v93, v97
	v_sub_f32_e32 v96, v96, v97
	s_delay_alu instid0(VALU_DEP_1) | instskip(SKIP_2) | instid1(VALU_DEP_1)
	v_add_f32_e32 v95, v95, v96
	s_waitcnt_depctr 0xfff
	v_mul_f32_e32 v99, v98, v93
	v_mul_f32_e32 v100, v97, v99
	s_delay_alu instid0(VALU_DEP_1) | instskip(NEXT) | instid1(VALU_DEP_1)
	v_fma_f32 v96, v99, v97, -v100
	v_fmac_f32_e32 v96, v99, v95
	s_delay_alu instid0(VALU_DEP_1) | instskip(NEXT) | instid1(VALU_DEP_1)
	v_add_f32_e32 v101, v100, v96
	v_sub_f32_e32 v102, v98, v101
	s_delay_alu instid0(VALU_DEP_1) | instskip(SKIP_2) | instid1(VALU_DEP_3)
	v_sub_f32_e32 v98, v98, v102
	v_add_f32_e32 v17, v17, v94
	v_sub_f32_e32 v94, v101, v100
	v_sub_f32_e32 v98, v98, v101
	s_delay_alu instid0(VALU_DEP_1) | instskip(NEXT) | instid1(VALU_DEP_1)
	v_dual_sub_f32 v94, v94, v96 :: v_dual_add_f32 v17, v17, v98
	v_add_f32_e32 v17, v94, v17
	s_delay_alu instid0(VALU_DEP_1) | instskip(NEXT) | instid1(VALU_DEP_1)
	v_add_f32_e32 v94, v102, v17
	v_mul_f32_e32 v96, v93, v94
	s_delay_alu instid0(VALU_DEP_1) | instskip(NEXT) | instid1(VALU_DEP_1)
	v_dual_sub_f32 v101, v102, v94 :: v_dual_mul_f32 v98, v97, v96
	v_add_f32_e32 v17, v17, v101
	s_delay_alu instid0(VALU_DEP_2) | instskip(NEXT) | instid1(VALU_DEP_1)
	v_fma_f32 v97, v96, v97, -v98
	v_fmac_f32_e32 v97, v96, v95
	s_delay_alu instid0(VALU_DEP_1) | instskip(NEXT) | instid1(VALU_DEP_1)
	v_add_f32_e32 v95, v98, v97
	v_sub_f32_e32 v100, v94, v95
	s_delay_alu instid0(VALU_DEP_1) | instskip(NEXT) | instid1(VALU_DEP_1)
	v_sub_f32_e32 v94, v94, v100
	v_sub_f32_e32 v94, v94, v95
	s_delay_alu instid0(VALU_DEP_1) | instskip(SKIP_1) | instid1(VALU_DEP_1)
	v_dual_add_f32 v17, v17, v94 :: v_dual_add_f32 v94, v99, v96
	v_sub_f32_e32 v98, v95, v98
	v_sub_f32_e32 v95, v98, v97
	s_delay_alu instid0(VALU_DEP_1) | instskip(NEXT) | instid1(VALU_DEP_4)
	v_add_f32_e32 v17, v95, v17
	v_sub_f32_e32 v95, v94, v99
	s_delay_alu instid0(VALU_DEP_2) | instskip(NEXT) | instid1(VALU_DEP_2)
	v_add_f32_e32 v17, v100, v17
	v_sub_f32_e32 v95, v96, v95
	s_delay_alu instid0(VALU_DEP_2) | instskip(NEXT) | instid1(VALU_DEP_1)
	v_mul_f32_e32 v17, v93, v17
	v_add_f32_e32 v17, v95, v17
	s_delay_alu instid0(VALU_DEP_1) | instskip(NEXT) | instid1(VALU_DEP_1)
	v_add_f32_e32 v93, v94, v17
	v_mul_f32_e32 v95, v93, v93
	s_delay_alu instid0(VALU_DEP_1) | instskip(SKIP_1) | instid1(VALU_DEP_2)
	v_fmaak_f32 v96, s84, v95, 0x3ecc95a3
	v_mul_f32_e32 v97, v93, v95
	v_fmaak_f32 v95, v95, v96, 0x3f2aaada
	v_ldexp_f32 v96, v93, 1
	v_sub_f32_e32 v93, v93, v94
	s_delay_alu instid0(VALU_DEP_3) | instskip(SKIP_1) | instid1(VALU_DEP_2)
	v_mul_f32_e32 v95, v97, v95
	v_mul_f32_e32 v97, 0x3f317218, v92
	v_dual_sub_f32 v17, v17, v93 :: v_dual_add_f32 v94, v96, v95
	s_delay_alu instid0(VALU_DEP_1) | instskip(NEXT) | instid1(VALU_DEP_2)
	v_ldexp_f32 v17, v17, 1
	v_sub_f32_e32 v93, v94, v96
	s_delay_alu instid0(VALU_DEP_4) | instskip(NEXT) | instid1(VALU_DEP_1)
	v_fma_f32 v96, 0x3f317218, v92, -v97
	v_dual_sub_f32 v93, v95, v93 :: v_dual_fmac_f32 v96, 0xb102e308, v92
	s_delay_alu instid0(VALU_DEP_1) | instskip(NEXT) | instid1(VALU_DEP_1)
	v_add_f32_e32 v17, v17, v93
	v_dual_add_f32 v92, v97, v96 :: v_dual_add_f32 v93, v94, v17
	s_delay_alu instid0(VALU_DEP_1) | instskip(NEXT) | instid1(VALU_DEP_2)
	v_sub_f32_e32 v97, v92, v97
	v_dual_add_f32 v95, v92, v93 :: v_dual_sub_f32 v94, v93, v94
	s_delay_alu instid0(VALU_DEP_2) | instskip(NEXT) | instid1(VALU_DEP_2)
	v_sub_f32_e32 v96, v96, v97
	v_dual_sub_f32 v98, v95, v92 :: v_dual_sub_f32 v17, v17, v94
	s_delay_alu instid0(VALU_DEP_1) | instskip(NEXT) | instid1(VALU_DEP_2)
	v_sub_f32_e32 v99, v95, v98
	v_dual_sub_f32 v93, v93, v98 :: v_dual_add_f32 v94, v96, v17
	s_delay_alu instid0(VALU_DEP_2) | instskip(NEXT) | instid1(VALU_DEP_1)
	v_sub_f32_e32 v92, v92, v99
	v_add_f32_e32 v92, v93, v92
	s_delay_alu instid0(VALU_DEP_3) | instskip(NEXT) | instid1(VALU_DEP_2)
	v_sub_f32_e32 v93, v94, v96
	v_add_f32_e32 v92, v94, v92
	s_delay_alu instid0(VALU_DEP_2) | instskip(SKIP_1) | instid1(VALU_DEP_2)
	v_sub_f32_e32 v94, v94, v93
	v_sub_f32_e32 v17, v17, v93
	v_dual_add_f32 v97, v95, v92 :: v_dual_sub_f32 v94, v96, v94
	s_delay_alu instid0(VALU_DEP_1) | instskip(NEXT) | instid1(VALU_DEP_1)
	v_sub_f32_e32 v93, v97, v95
	v_dual_add_f32 v17, v17, v94 :: v_dual_sub_f32 v92, v92, v93
	s_delay_alu instid0(VALU_DEP_1) | instskip(NEXT) | instid1(VALU_DEP_1)
	v_add_f32_e32 v17, v17, v92
	v_add_f32_e32 v17, v97, v17
	s_delay_alu instid0(VALU_DEP_1)
	v_cndmask_b32_e32 v92, v17, v12, vcc_lo
.LBB90_80:                              ;   in Loop: Header=BB90_12 Depth=1
	s_or_b32 exec_lo, exec_lo, s30
	v_lshrrev_b32_e32 v12, 16, v13
	s_delay_alu instid0(VALU_DEP_1) | instskip(NEXT) | instid1(VALU_DEP_1)
	v_cvt_f32_f16_e32 v12, v12
	v_add_f32_e32 v93, s67, v12
	s_delay_alu instid0(VALU_DEP_1) | instskip(SKIP_1) | instid1(SALU_CYCLE_1)
	v_cmp_ge_f32_e32 vcc_lo, 0x41a00000, v93
	s_and_b32 s29, s80, vcc_lo
	s_and_saveexec_b32 s30, s29
	s_cbranch_execz .LBB90_82
; %bb.81:                               ;   in Loop: Header=BB90_12 Depth=1
	v_mul_f32_e32 v12, 0x3fb8aa3b, v93
	v_cmp_ngt_f32_e32 vcc_lo, 0xc2ce8ed0, v93
	s_delay_alu instid0(VALU_DEP_2) | instskip(SKIP_1) | instid1(VALU_DEP_2)
	v_rndne_f32_e32 v13, v12
	v_fma_f32 v17, 0x3fb8aa3b, v93, -v12
	v_sub_f32_e32 v12, v12, v13
	s_delay_alu instid0(VALU_DEP_2) | instskip(SKIP_1) | instid1(VALU_DEP_2)
	v_fmac_f32_e32 v17, 0x32a5705f, v93
	v_cvt_i32_f32_e32 v13, v13
	v_add_f32_e32 v12, v12, v17
	s_delay_alu instid0(VALU_DEP_1) | instskip(SKIP_2) | instid1(VALU_DEP_1)
	v_exp_f32_e32 v12, v12
	s_waitcnt_depctr 0xfff
	v_ldexp_f32 v12, v12, v13
	v_cndmask_b32_e32 v12, 0, v12, vcc_lo
	v_cmp_nlt_f32_e32 vcc_lo, 0x42b17218, v93
	s_delay_alu instid0(VALU_DEP_2) | instskip(NEXT) | instid1(VALU_DEP_1)
	v_cndmask_b32_e32 v17, 0x7f800000, v12, vcc_lo
	v_add_f32_e32 v93, 1.0, v17
	s_delay_alu instid0(VALU_DEP_1) | instskip(NEXT) | instid1(VALU_DEP_1)
	v_cvt_f64_f32_e32 v[12:13], v93
	v_frexp_exp_i32_f64_e32 v12, v[12:13]
	v_frexp_mant_f32_e32 v13, v93
	s_delay_alu instid0(VALU_DEP_1) | instskip(SKIP_1) | instid1(VALU_DEP_1)
	v_cmp_gt_f32_e32 vcc_lo, 0x3f2aaaab, v13
	v_add_f32_e32 v13, -1.0, v93
	v_sub_f32_e32 v95, v13, v93
	s_delay_alu instid0(VALU_DEP_1) | instskip(SKIP_1) | instid1(VALU_DEP_1)
	v_add_f32_e32 v95, 1.0, v95
	v_subrev_co_ci_u32_e32 v12, vcc_lo, 0, v12, vcc_lo
	v_sub_nc_u32_e32 v94, 0, v12
	v_cvt_f32_i32_e32 v12, v12
	s_delay_alu instid0(VALU_DEP_2) | instskip(NEXT) | instid1(VALU_DEP_1)
	v_ldexp_f32 v93, v93, v94
	v_add_f32_e32 v96, 1.0, v93
	v_sub_f32_e32 v13, v17, v13
	v_cmp_eq_f32_e32 vcc_lo, 0x7f800000, v17
	v_cmp_gt_f32_e64 s29, 0x33800000, v17
	s_delay_alu instid0(VALU_DEP_3) | instskip(SKIP_1) | instid1(VALU_DEP_3)
	v_add_f32_e32 v13, v13, v95
	v_add_f32_e32 v95, -1.0, v96
	s_or_b32 vcc_lo, s29, vcc_lo
	s_delay_alu instid0(VALU_DEP_2) | instskip(NEXT) | instid1(VALU_DEP_2)
	v_ldexp_f32 v13, v13, v94
	v_dual_add_f32 v94, -1.0, v93 :: v_dual_sub_f32 v95, v93, v95
	s_delay_alu instid0(VALU_DEP_1) | instskip(NEXT) | instid1(VALU_DEP_2)
	v_add_f32_e32 v97, 1.0, v94
	v_add_f32_e32 v95, v13, v95
	s_delay_alu instid0(VALU_DEP_2) | instskip(NEXT) | instid1(VALU_DEP_1)
	v_sub_f32_e32 v93, v93, v97
	v_add_f32_e32 v13, v13, v93
	s_delay_alu instid0(VALU_DEP_1) | instskip(NEXT) | instid1(VALU_DEP_1)
	v_dual_add_f32 v98, v94, v13 :: v_dual_add_f32 v97, v96, v95
	v_sub_f32_e32 v94, v94, v98
	s_delay_alu instid0(VALU_DEP_2) | instskip(NEXT) | instid1(VALU_DEP_1)
	v_rcp_f32_e32 v93, v97
	v_dual_sub_f32 v96, v96, v97 :: v_dual_add_f32 v13, v13, v94
	s_delay_alu instid0(VALU_DEP_1) | instskip(SKIP_2) | instid1(VALU_DEP_1)
	v_add_f32_e32 v95, v95, v96
	s_waitcnt_depctr 0xfff
	v_mul_f32_e32 v99, v98, v93
	v_mul_f32_e32 v100, v97, v99
	s_delay_alu instid0(VALU_DEP_1) | instskip(NEXT) | instid1(VALU_DEP_1)
	v_fma_f32 v96, v99, v97, -v100
	v_fmac_f32_e32 v96, v99, v95
	s_delay_alu instid0(VALU_DEP_1) | instskip(NEXT) | instid1(VALU_DEP_1)
	v_add_f32_e32 v101, v100, v96
	v_sub_f32_e32 v102, v98, v101
	v_sub_f32_e32 v94, v101, v100
	s_delay_alu instid0(VALU_DEP_2) | instskip(NEXT) | instid1(VALU_DEP_2)
	v_sub_f32_e32 v98, v98, v102
	v_sub_f32_e32 v94, v94, v96
	s_delay_alu instid0(VALU_DEP_2) | instskip(NEXT) | instid1(VALU_DEP_1)
	v_sub_f32_e32 v98, v98, v101
	v_add_f32_e32 v13, v13, v98
	s_delay_alu instid0(VALU_DEP_1) | instskip(NEXT) | instid1(VALU_DEP_1)
	v_add_f32_e32 v13, v94, v13
	v_add_f32_e32 v94, v102, v13
	s_delay_alu instid0(VALU_DEP_1) | instskip(NEXT) | instid1(VALU_DEP_1)
	v_mul_f32_e32 v96, v93, v94
	v_dual_sub_f32 v101, v102, v94 :: v_dual_mul_f32 v98, v97, v96
	s_delay_alu instid0(VALU_DEP_1) | instskip(NEXT) | instid1(VALU_DEP_1)
	v_fma_f32 v97, v96, v97, -v98
	v_fmac_f32_e32 v97, v96, v95
	s_delay_alu instid0(VALU_DEP_1) | instskip(NEXT) | instid1(VALU_DEP_1)
	v_add_f32_e32 v95, v98, v97
	v_dual_add_f32 v13, v13, v101 :: v_dual_sub_f32 v100, v94, v95
	s_delay_alu instid0(VALU_DEP_1) | instskip(NEXT) | instid1(VALU_DEP_1)
	v_sub_f32_e32 v94, v94, v100
	v_sub_f32_e32 v94, v94, v95
	s_delay_alu instid0(VALU_DEP_1) | instskip(SKIP_1) | instid1(VALU_DEP_1)
	v_dual_add_f32 v13, v13, v94 :: v_dual_add_f32 v94, v99, v96
	v_sub_f32_e32 v98, v95, v98
	v_sub_f32_e32 v95, v98, v97
	s_delay_alu instid0(VALU_DEP_1) | instskip(NEXT) | instid1(VALU_DEP_4)
	v_add_f32_e32 v13, v95, v13
	v_sub_f32_e32 v95, v94, v99
	s_delay_alu instid0(VALU_DEP_2) | instskip(NEXT) | instid1(VALU_DEP_2)
	v_add_f32_e32 v13, v100, v13
	v_sub_f32_e32 v95, v96, v95
	s_delay_alu instid0(VALU_DEP_2) | instskip(NEXT) | instid1(VALU_DEP_1)
	v_mul_f32_e32 v13, v93, v13
	v_add_f32_e32 v13, v95, v13
	s_delay_alu instid0(VALU_DEP_1) | instskip(NEXT) | instid1(VALU_DEP_1)
	v_add_f32_e32 v93, v94, v13
	v_mul_f32_e32 v95, v93, v93
	s_delay_alu instid0(VALU_DEP_1) | instskip(SKIP_1) | instid1(VALU_DEP_2)
	v_fmaak_f32 v96, s84, v95, 0x3ecc95a3
	v_mul_f32_e32 v97, v93, v95
	v_fmaak_f32 v95, v95, v96, 0x3f2aaada
	v_ldexp_f32 v96, v93, 1
	v_sub_f32_e32 v93, v93, v94
	s_delay_alu instid0(VALU_DEP_3) | instskip(SKIP_1) | instid1(VALU_DEP_2)
	v_mul_f32_e32 v95, v97, v95
	v_mul_f32_e32 v97, 0x3f317218, v12
	v_dual_sub_f32 v13, v13, v93 :: v_dual_add_f32 v94, v96, v95
	s_delay_alu instid0(VALU_DEP_1) | instskip(NEXT) | instid1(VALU_DEP_2)
	v_ldexp_f32 v13, v13, 1
	v_sub_f32_e32 v93, v94, v96
	s_delay_alu instid0(VALU_DEP_4) | instskip(NEXT) | instid1(VALU_DEP_1)
	v_fma_f32 v96, 0x3f317218, v12, -v97
	v_dual_sub_f32 v93, v95, v93 :: v_dual_fmac_f32 v96, 0xb102e308, v12
	s_delay_alu instid0(VALU_DEP_1) | instskip(NEXT) | instid1(VALU_DEP_2)
	v_add_f32_e32 v12, v13, v93
	v_add_f32_e32 v13, v97, v96
	s_delay_alu instid0(VALU_DEP_2) | instskip(NEXT) | instid1(VALU_DEP_2)
	v_add_f32_e32 v93, v94, v12
	v_sub_f32_e32 v97, v13, v97
	s_delay_alu instid0(VALU_DEP_2) | instskip(SKIP_1) | instid1(VALU_DEP_3)
	v_add_f32_e32 v95, v13, v93
	v_sub_f32_e32 v94, v93, v94
	v_sub_f32_e32 v96, v96, v97
	s_delay_alu instid0(VALU_DEP_3) | instskip(NEXT) | instid1(VALU_DEP_3)
	v_sub_f32_e32 v98, v95, v13
	v_sub_f32_e32 v12, v12, v94
	s_delay_alu instid0(VALU_DEP_2) | instskip(NEXT) | instid1(VALU_DEP_2)
	v_sub_f32_e32 v99, v95, v98
	v_dual_sub_f32 v93, v93, v98 :: v_dual_add_f32 v94, v96, v12
	s_delay_alu instid0(VALU_DEP_2) | instskip(NEXT) | instid1(VALU_DEP_1)
	v_sub_f32_e32 v13, v13, v99
	v_add_f32_e32 v13, v93, v13
	s_delay_alu instid0(VALU_DEP_3) | instskip(NEXT) | instid1(VALU_DEP_2)
	v_sub_f32_e32 v93, v94, v96
	v_add_f32_e32 v13, v94, v13
	s_delay_alu instid0(VALU_DEP_2) | instskip(SKIP_1) | instid1(VALU_DEP_1)
	v_sub_f32_e32 v12, v12, v93
	v_sub_f32_e32 v94, v94, v93
	v_dual_add_f32 v97, v95, v13 :: v_dual_sub_f32 v94, v96, v94
	s_delay_alu instid0(VALU_DEP_1) | instskip(NEXT) | instid1(VALU_DEP_1)
	v_dual_sub_f32 v93, v97, v95 :: v_dual_add_f32 v12, v12, v94
	v_sub_f32_e32 v13, v13, v93
	s_delay_alu instid0(VALU_DEP_1) | instskip(NEXT) | instid1(VALU_DEP_1)
	v_add_f32_e32 v12, v12, v13
	v_add_f32_e32 v12, v97, v12
	s_delay_alu instid0(VALU_DEP_1)
	v_cndmask_b32_e32 v93, v12, v17, vcc_lo
.LBB90_82:                              ;   in Loop: Header=BB90_12 Depth=1
	s_or_b32 exec_lo, exec_lo, s30
	v_cvt_f32_f16_e32 v12, v14
	s_delay_alu instid0(VALU_DEP_1) | instskip(NEXT) | instid1(VALU_DEP_1)
	v_add_f32_e32 v94, s67, v12
	v_cmp_ge_f32_e32 vcc_lo, 0x41a00000, v94
	s_and_b32 s29, s80, vcc_lo
	s_delay_alu instid0(SALU_CYCLE_1)
	s_and_saveexec_b32 s30, s29
	s_cbranch_execz .LBB90_84
; %bb.83:                               ;   in Loop: Header=BB90_12 Depth=1
	v_mul_f32_e32 v12, 0x3fb8aa3b, v94
	v_cmp_ngt_f32_e32 vcc_lo, 0xc2ce8ed0, v94
	s_delay_alu instid0(VALU_DEP_2) | instskip(SKIP_1) | instid1(VALU_DEP_1)
	v_rndne_f32_e32 v13, v12
	v_fma_f32 v17, 0x3fb8aa3b, v94, -v12
	v_dual_sub_f32 v12, v12, v13 :: v_dual_fmac_f32 v17, 0x32a5705f, v94
	v_cvt_i32_f32_e32 v13, v13
	s_delay_alu instid0(VALU_DEP_2) | instskip(NEXT) | instid1(VALU_DEP_1)
	v_add_f32_e32 v12, v12, v17
	v_exp_f32_e32 v12, v12
	s_waitcnt_depctr 0xfff
	v_ldexp_f32 v12, v12, v13
	s_delay_alu instid0(VALU_DEP_1) | instskip(SKIP_1) | instid1(VALU_DEP_2)
	v_cndmask_b32_e32 v12, 0, v12, vcc_lo
	v_cmp_nlt_f32_e32 vcc_lo, 0x42b17218, v94
	v_cndmask_b32_e32 v17, 0x7f800000, v12, vcc_lo
	s_delay_alu instid0(VALU_DEP_1) | instskip(NEXT) | instid1(VALU_DEP_1)
	v_add_f32_e32 v94, 1.0, v17
	v_cvt_f64_f32_e32 v[12:13], v94
	s_delay_alu instid0(VALU_DEP_1) | instskip(SKIP_1) | instid1(VALU_DEP_1)
	v_frexp_exp_i32_f64_e32 v12, v[12:13]
	v_frexp_mant_f32_e32 v13, v94
	v_cmp_gt_f32_e32 vcc_lo, 0x3f2aaaab, v13
	v_add_f32_e32 v13, -1.0, v94
	s_delay_alu instid0(VALU_DEP_1) | instskip(SKIP_2) | instid1(VALU_DEP_3)
	v_sub_f32_e32 v96, v13, v94
	v_sub_f32_e32 v13, v17, v13
	v_cmp_gt_f32_e64 s29, 0x33800000, v17
	v_add_f32_e32 v96, 1.0, v96
	s_delay_alu instid0(VALU_DEP_1) | instskip(SKIP_2) | instid1(VALU_DEP_2)
	v_add_f32_e32 v13, v13, v96
	v_subrev_co_ci_u32_e32 v12, vcc_lo, 0, v12, vcc_lo
	v_cmp_eq_f32_e32 vcc_lo, 0x7f800000, v17
	v_sub_nc_u32_e32 v95, 0, v12
	v_cvt_f32_i32_e32 v12, v12
	s_or_b32 vcc_lo, s29, vcc_lo
	s_delay_alu instid0(VALU_DEP_2) | instskip(SKIP_1) | instid1(VALU_DEP_2)
	v_ldexp_f32 v94, v94, v95
	v_ldexp_f32 v13, v13, v95
	v_add_f32_e32 v95, -1.0, v94
	s_delay_alu instid0(VALU_DEP_1) | instskip(NEXT) | instid1(VALU_DEP_1)
	v_dual_add_f32 v97, 1.0, v94 :: v_dual_add_f32 v98, 1.0, v95
	v_add_f32_e32 v96, -1.0, v97
	s_delay_alu instid0(VALU_DEP_1) | instskip(NEXT) | instid1(VALU_DEP_3)
	v_sub_f32_e32 v96, v94, v96
	v_sub_f32_e32 v94, v94, v98
	s_delay_alu instid0(VALU_DEP_2) | instskip(NEXT) | instid1(VALU_DEP_2)
	v_add_f32_e32 v96, v13, v96
	v_add_f32_e32 v13, v13, v94
	s_delay_alu instid0(VALU_DEP_1) | instskip(NEXT) | instid1(VALU_DEP_1)
	v_dual_add_f32 v99, v95, v13 :: v_dual_add_f32 v98, v97, v96
	v_sub_f32_e32 v95, v95, v99
	s_delay_alu instid0(VALU_DEP_2) | instskip(SKIP_1) | instid1(VALU_DEP_1)
	v_rcp_f32_e32 v94, v98
	v_sub_f32_e32 v97, v97, v98
	v_dual_add_f32 v13, v13, v95 :: v_dual_add_f32 v96, v96, v97
	s_waitcnt_depctr 0xfff
	v_mul_f32_e32 v100, v99, v94
	s_delay_alu instid0(VALU_DEP_1) | instskip(NEXT) | instid1(VALU_DEP_1)
	v_mul_f32_e32 v101, v98, v100
	v_fma_f32 v97, v100, v98, -v101
	s_delay_alu instid0(VALU_DEP_1) | instskip(NEXT) | instid1(VALU_DEP_1)
	v_fmac_f32_e32 v97, v100, v96
	v_add_f32_e32 v102, v101, v97
	s_delay_alu instid0(VALU_DEP_1) | instskip(SKIP_1) | instid1(VALU_DEP_2)
	v_sub_f32_e32 v103, v99, v102
	v_sub_f32_e32 v95, v102, v101
	v_sub_f32_e32 v99, v99, v103
	s_delay_alu instid0(VALU_DEP_2) | instskip(NEXT) | instid1(VALU_DEP_2)
	v_sub_f32_e32 v95, v95, v97
	v_sub_f32_e32 v99, v99, v102
	s_delay_alu instid0(VALU_DEP_1) | instskip(NEXT) | instid1(VALU_DEP_1)
	v_add_f32_e32 v13, v13, v99
	v_add_f32_e32 v13, v95, v13
	s_delay_alu instid0(VALU_DEP_1) | instskip(NEXT) | instid1(VALU_DEP_1)
	v_add_f32_e32 v95, v103, v13
	v_mul_f32_e32 v97, v94, v95
	s_delay_alu instid0(VALU_DEP_1) | instskip(NEXT) | instid1(VALU_DEP_1)
	v_dual_sub_f32 v102, v103, v95 :: v_dual_mul_f32 v99, v98, v97
	v_add_f32_e32 v13, v13, v102
	s_delay_alu instid0(VALU_DEP_2) | instskip(NEXT) | instid1(VALU_DEP_1)
	v_fma_f32 v98, v97, v98, -v99
	v_fmac_f32_e32 v98, v97, v96
	s_delay_alu instid0(VALU_DEP_1) | instskip(NEXT) | instid1(VALU_DEP_1)
	v_add_f32_e32 v96, v99, v98
	v_sub_f32_e32 v101, v95, v96
	s_delay_alu instid0(VALU_DEP_1) | instskip(NEXT) | instid1(VALU_DEP_1)
	v_sub_f32_e32 v95, v95, v101
	v_sub_f32_e32 v95, v95, v96
	s_delay_alu instid0(VALU_DEP_1) | instskip(SKIP_2) | instid1(VALU_DEP_1)
	v_add_f32_e32 v13, v13, v95
	v_add_f32_e32 v95, v100, v97
	v_sub_f32_e32 v99, v96, v99
	v_sub_f32_e32 v96, v99, v98
	s_delay_alu instid0(VALU_DEP_1) | instskip(NEXT) | instid1(VALU_DEP_1)
	v_dual_add_f32 v13, v96, v13 :: v_dual_sub_f32 v96, v95, v100
	v_add_f32_e32 v13, v101, v13
	s_delay_alu instid0(VALU_DEP_1) | instskip(NEXT) | instid1(VALU_DEP_1)
	v_dual_sub_f32 v96, v97, v96 :: v_dual_mul_f32 v13, v94, v13
	v_add_f32_e32 v13, v96, v13
	s_delay_alu instid0(VALU_DEP_1) | instskip(NEXT) | instid1(VALU_DEP_1)
	v_add_f32_e32 v94, v95, v13
	v_mul_f32_e32 v96, v94, v94
	s_delay_alu instid0(VALU_DEP_1) | instskip(SKIP_1) | instid1(VALU_DEP_2)
	v_fmaak_f32 v97, s84, v96, 0x3ecc95a3
	v_mul_f32_e32 v98, v94, v96
	v_fmaak_f32 v96, v96, v97, 0x3f2aaada
	v_ldexp_f32 v97, v94, 1
	v_sub_f32_e32 v94, v94, v95
	s_delay_alu instid0(VALU_DEP_3) | instskip(NEXT) | instid1(VALU_DEP_2)
	v_mul_f32_e32 v96, v98, v96
	v_dual_mul_f32 v98, 0x3f317218, v12 :: v_dual_sub_f32 v13, v13, v94
	s_delay_alu instid0(VALU_DEP_2) | instskip(NEXT) | instid1(VALU_DEP_2)
	v_add_f32_e32 v95, v97, v96
	v_ldexp_f32 v13, v13, 1
	s_delay_alu instid0(VALU_DEP_2) | instskip(NEXT) | instid1(VALU_DEP_4)
	v_sub_f32_e32 v94, v95, v97
	v_fma_f32 v97, 0x3f317218, v12, -v98
	s_delay_alu instid0(VALU_DEP_1) | instskip(NEXT) | instid1(VALU_DEP_1)
	v_dual_sub_f32 v94, v96, v94 :: v_dual_fmac_f32 v97, 0xb102e308, v12
	v_add_f32_e32 v12, v13, v94
	s_delay_alu instid0(VALU_DEP_1) | instskip(NEXT) | instid1(VALU_DEP_1)
	v_add_f32_e32 v94, v95, v12
	v_sub_f32_e32 v95, v94, v95
	s_delay_alu instid0(VALU_DEP_1) | instskip(NEXT) | instid1(VALU_DEP_1)
	v_dual_sub_f32 v12, v12, v95 :: v_dual_add_f32 v13, v98, v97
	v_add_f32_e32 v96, v13, v94
	s_delay_alu instid0(VALU_DEP_1) | instskip(NEXT) | instid1(VALU_DEP_1)
	v_dual_sub_f32 v98, v13, v98 :: v_dual_sub_f32 v99, v96, v13
	v_dual_sub_f32 v97, v97, v98 :: v_dual_sub_f32 v100, v96, v99
	s_delay_alu instid0(VALU_DEP_1) | instskip(NEXT) | instid1(VALU_DEP_2)
	v_dual_sub_f32 v94, v94, v99 :: v_dual_add_f32 v95, v97, v12
	v_sub_f32_e32 v13, v13, v100
	s_delay_alu instid0(VALU_DEP_1) | instskip(NEXT) | instid1(VALU_DEP_3)
	v_add_f32_e32 v13, v94, v13
	v_sub_f32_e32 v94, v95, v97
	s_delay_alu instid0(VALU_DEP_2) | instskip(NEXT) | instid1(VALU_DEP_2)
	v_add_f32_e32 v13, v95, v13
	v_sub_f32_e32 v95, v95, v94
	v_sub_f32_e32 v12, v12, v94
	s_delay_alu instid0(VALU_DEP_2) | instskip(NEXT) | instid1(VALU_DEP_1)
	v_dual_add_f32 v98, v96, v13 :: v_dual_sub_f32 v95, v97, v95
	v_sub_f32_e32 v94, v98, v96
	s_delay_alu instid0(VALU_DEP_1) | instskip(NEXT) | instid1(VALU_DEP_1)
	v_dual_add_f32 v12, v12, v95 :: v_dual_sub_f32 v13, v13, v94
	v_add_f32_e32 v12, v12, v13
	s_delay_alu instid0(VALU_DEP_1) | instskip(NEXT) | instid1(VALU_DEP_1)
	v_add_f32_e32 v12, v98, v12
	v_cndmask_b32_e32 v94, v12, v17, vcc_lo
.LBB90_84:                              ;   in Loop: Header=BB90_12 Depth=1
	s_or_b32 exec_lo, exec_lo, s30
	v_lshrrev_b32_e32 v12, 16, v14
	s_delay_alu instid0(VALU_DEP_1) | instskip(NEXT) | instid1(VALU_DEP_1)
	v_cvt_f32_f16_e32 v12, v12
	v_add_f32_e32 v95, s67, v12
	s_delay_alu instid0(VALU_DEP_1) | instskip(SKIP_1) | instid1(SALU_CYCLE_1)
	v_cmp_ge_f32_e32 vcc_lo, 0x41a00000, v95
	s_and_b32 s29, s80, vcc_lo
	s_and_saveexec_b32 s30, s29
	s_cbranch_execz .LBB90_86
; %bb.85:                               ;   in Loop: Header=BB90_12 Depth=1
	v_mul_f32_e32 v12, 0x3fb8aa3b, v95
	v_cmp_ngt_f32_e32 vcc_lo, 0xc2ce8ed0, v95
	s_delay_alu instid0(VALU_DEP_2) | instskip(SKIP_1) | instid1(VALU_DEP_2)
	v_rndne_f32_e32 v13, v12
	v_fma_f32 v14, 0x3fb8aa3b, v95, -v12
	v_sub_f32_e32 v12, v12, v13
	s_delay_alu instid0(VALU_DEP_2) | instskip(SKIP_1) | instid1(VALU_DEP_2)
	v_fmac_f32_e32 v14, 0x32a5705f, v95
	v_cvt_i32_f32_e32 v13, v13
	v_add_f32_e32 v12, v12, v14
	s_delay_alu instid0(VALU_DEP_1) | instskip(SKIP_2) | instid1(VALU_DEP_1)
	v_exp_f32_e32 v12, v12
	s_waitcnt_depctr 0xfff
	v_ldexp_f32 v12, v12, v13
	v_cndmask_b32_e32 v12, 0, v12, vcc_lo
	v_cmp_nlt_f32_e32 vcc_lo, 0x42b17218, v95
	s_delay_alu instid0(VALU_DEP_2) | instskip(NEXT) | instid1(VALU_DEP_1)
	v_cndmask_b32_e32 v14, 0x7f800000, v12, vcc_lo
	v_add_f32_e32 v17, 1.0, v14
	s_delay_alu instid0(VALU_DEP_1) | instskip(NEXT) | instid1(VALU_DEP_1)
	v_cvt_f64_f32_e32 v[12:13], v17
	v_frexp_exp_i32_f64_e32 v12, v[12:13]
	v_frexp_mant_f32_e32 v13, v17
	s_delay_alu instid0(VALU_DEP_1) | instskip(SKIP_1) | instid1(VALU_DEP_1)
	v_cmp_gt_f32_e32 vcc_lo, 0x3f2aaaab, v13
	v_add_f32_e32 v13, -1.0, v17
	v_sub_f32_e32 v96, v13, v17
	v_sub_f32_e32 v13, v14, v13
	v_subrev_co_ci_u32_e32 v12, vcc_lo, 0, v12, vcc_lo
	s_delay_alu instid0(VALU_DEP_1) | instskip(SKIP_1) | instid1(VALU_DEP_2)
	v_sub_nc_u32_e32 v95, 0, v12
	v_cvt_f32_i32_e32 v12, v12
	v_ldexp_f32 v17, v17, v95
	s_delay_alu instid0(VALU_DEP_1) | instskip(NEXT) | instid1(VALU_DEP_1)
	v_dual_add_f32 v96, 1.0, v96 :: v_dual_add_f32 v97, 1.0, v17
	v_dual_add_f32 v13, v13, v96 :: v_dual_add_f32 v96, -1.0, v97
	s_delay_alu instid0(VALU_DEP_1) | instskip(SKIP_4) | instid1(VALU_DEP_4)
	v_ldexp_f32 v13, v13, v95
	v_add_f32_e32 v95, -1.0, v17
	v_cmp_eq_f32_e32 vcc_lo, 0x7f800000, v14
	v_cmp_gt_f32_e64 s29, 0x33800000, v14
	v_sub_f32_e32 v96, v17, v96
	v_add_f32_e32 v98, 1.0, v95
	s_delay_alu instid0(VALU_DEP_3) | instskip(NEXT) | instid1(VALU_DEP_2)
	s_or_b32 vcc_lo, s29, vcc_lo
	v_add_f32_e32 v96, v13, v96
	s_delay_alu instid0(VALU_DEP_2) | instskip(NEXT) | instid1(VALU_DEP_1)
	v_sub_f32_e32 v17, v17, v98
	v_add_f32_e32 v13, v13, v17
	s_delay_alu instid0(VALU_DEP_1) | instskip(NEXT) | instid1(VALU_DEP_1)
	v_dual_add_f32 v99, v95, v13 :: v_dual_add_f32 v98, v97, v96
	v_sub_f32_e32 v95, v95, v99
	s_delay_alu instid0(VALU_DEP_2) | instskip(SKIP_1) | instid1(VALU_DEP_1)
	v_rcp_f32_e32 v17, v98
	v_sub_f32_e32 v97, v97, v98
	v_dual_add_f32 v13, v13, v95 :: v_dual_add_f32 v96, v96, v97
	s_waitcnt_depctr 0xfff
	v_mul_f32_e32 v100, v99, v17
	s_delay_alu instid0(VALU_DEP_1) | instskip(NEXT) | instid1(VALU_DEP_1)
	v_mul_f32_e32 v101, v98, v100
	v_fma_f32 v97, v100, v98, -v101
	s_delay_alu instid0(VALU_DEP_1) | instskip(NEXT) | instid1(VALU_DEP_1)
	v_fmac_f32_e32 v97, v100, v96
	v_add_f32_e32 v102, v101, v97
	s_delay_alu instid0(VALU_DEP_1) | instskip(NEXT) | instid1(VALU_DEP_1)
	v_sub_f32_e32 v103, v99, v102
	v_sub_f32_e32 v99, v99, v103
	;; [unrolled: 1-line block ×3, first 2 shown]
	s_delay_alu instid0(VALU_DEP_2) | instskip(NEXT) | instid1(VALU_DEP_2)
	v_sub_f32_e32 v99, v99, v102
	v_sub_f32_e32 v95, v95, v97
	s_delay_alu instid0(VALU_DEP_2) | instskip(NEXT) | instid1(VALU_DEP_1)
	v_add_f32_e32 v13, v13, v99
	v_add_f32_e32 v13, v95, v13
	s_delay_alu instid0(VALU_DEP_1) | instskip(NEXT) | instid1(VALU_DEP_1)
	v_add_f32_e32 v95, v103, v13
	v_mul_f32_e32 v97, v17, v95
	s_delay_alu instid0(VALU_DEP_1) | instskip(NEXT) | instid1(VALU_DEP_1)
	v_dual_sub_f32 v102, v103, v95 :: v_dual_mul_f32 v99, v98, v97
	v_add_f32_e32 v13, v13, v102
	s_delay_alu instid0(VALU_DEP_2) | instskip(NEXT) | instid1(VALU_DEP_1)
	v_fma_f32 v98, v97, v98, -v99
	v_fmac_f32_e32 v98, v97, v96
	s_delay_alu instid0(VALU_DEP_1) | instskip(NEXT) | instid1(VALU_DEP_1)
	v_add_f32_e32 v96, v99, v98
	v_sub_f32_e32 v101, v95, v96
	v_sub_f32_e32 v99, v96, v99
	s_delay_alu instid0(VALU_DEP_2) | instskip(NEXT) | instid1(VALU_DEP_1)
	v_sub_f32_e32 v95, v95, v101
	v_sub_f32_e32 v95, v95, v96
	s_delay_alu instid0(VALU_DEP_1) | instskip(SKIP_1) | instid1(VALU_DEP_1)
	v_dual_sub_f32 v96, v99, v98 :: v_dual_add_f32 v13, v13, v95
	v_add_f32_e32 v95, v100, v97
	v_dual_add_f32 v13, v96, v13 :: v_dual_sub_f32 v96, v95, v100
	s_delay_alu instid0(VALU_DEP_1) | instskip(NEXT) | instid1(VALU_DEP_2)
	v_add_f32_e32 v13, v101, v13
	v_sub_f32_e32 v96, v97, v96
	s_delay_alu instid0(VALU_DEP_2) | instskip(NEXT) | instid1(VALU_DEP_1)
	v_mul_f32_e32 v13, v17, v13
	v_add_f32_e32 v13, v96, v13
	s_delay_alu instid0(VALU_DEP_1) | instskip(NEXT) | instid1(VALU_DEP_1)
	v_add_f32_e32 v17, v95, v13
	v_mul_f32_e32 v96, v17, v17
	s_delay_alu instid0(VALU_DEP_1) | instskip(SKIP_1) | instid1(VALU_DEP_2)
	v_fmaak_f32 v97, s84, v96, 0x3ecc95a3
	v_mul_f32_e32 v98, v17, v96
	v_fmaak_f32 v96, v96, v97, 0x3f2aaada
	v_ldexp_f32 v97, v17, 1
	s_delay_alu instid0(VALU_DEP_2) | instskip(NEXT) | instid1(VALU_DEP_1)
	v_dual_sub_f32 v17, v17, v95 :: v_dual_mul_f32 v96, v98, v96
	v_dual_mul_f32 v98, 0x3f317218, v12 :: v_dual_sub_f32 v13, v13, v17
	s_delay_alu instid0(VALU_DEP_2) | instskip(NEXT) | instid1(VALU_DEP_2)
	v_add_f32_e32 v95, v97, v96
	v_ldexp_f32 v13, v13, 1
	s_delay_alu instid0(VALU_DEP_2) | instskip(NEXT) | instid1(VALU_DEP_4)
	v_sub_f32_e32 v17, v95, v97
	v_fma_f32 v97, 0x3f317218, v12, -v98
	s_delay_alu instid0(VALU_DEP_2) | instskip(NEXT) | instid1(VALU_DEP_1)
	v_sub_f32_e32 v17, v96, v17
	v_dual_fmac_f32 v97, 0xb102e308, v12 :: v_dual_add_f32 v12, v13, v17
	s_delay_alu instid0(VALU_DEP_1) | instskip(NEXT) | instid1(VALU_DEP_1)
	v_add_f32_e32 v13, v98, v97
	v_dual_add_f32 v17, v95, v12 :: v_dual_sub_f32 v98, v13, v98
	s_delay_alu instid0(VALU_DEP_1) | instskip(SKIP_1) | instid1(VALU_DEP_3)
	v_add_f32_e32 v96, v13, v17
	v_sub_f32_e32 v95, v17, v95
	v_sub_f32_e32 v97, v97, v98
	s_delay_alu instid0(VALU_DEP_3) | instskip(NEXT) | instid1(VALU_DEP_3)
	v_sub_f32_e32 v99, v96, v13
	v_sub_f32_e32 v12, v12, v95
	s_delay_alu instid0(VALU_DEP_2) | instskip(SKIP_1) | instid1(VALU_DEP_3)
	v_sub_f32_e32 v100, v96, v99
	v_sub_f32_e32 v17, v17, v99
	v_add_f32_e32 v95, v97, v12
	s_delay_alu instid0(VALU_DEP_3) | instskip(NEXT) | instid1(VALU_DEP_1)
	v_sub_f32_e32 v13, v13, v100
	v_add_f32_e32 v13, v17, v13
	s_delay_alu instid0(VALU_DEP_3) | instskip(NEXT) | instid1(VALU_DEP_2)
	v_sub_f32_e32 v17, v95, v97
	v_add_f32_e32 v13, v95, v13
	s_delay_alu instid0(VALU_DEP_2) | instskip(SKIP_1) | instid1(VALU_DEP_2)
	v_sub_f32_e32 v95, v95, v17
	v_sub_f32_e32 v12, v12, v17
	v_dual_add_f32 v98, v96, v13 :: v_dual_sub_f32 v95, v97, v95
	s_delay_alu instid0(VALU_DEP_1) | instskip(NEXT) | instid1(VALU_DEP_1)
	v_dual_sub_f32 v17, v98, v96 :: v_dual_add_f32 v12, v12, v95
	v_sub_f32_e32 v13, v13, v17
	s_delay_alu instid0(VALU_DEP_1) | instskip(NEXT) | instid1(VALU_DEP_1)
	v_add_f32_e32 v12, v12, v13
	v_add_f32_e32 v12, v98, v12
	s_delay_alu instid0(VALU_DEP_1)
	v_cndmask_b32_e32 v95, v12, v14, vcc_lo
.LBB90_86:                              ;   in Loop: Header=BB90_12 Depth=1
	s_or_b32 exec_lo, exec_lo, s30
	v_cvt_f32_f16_e32 v12, v15
	s_delay_alu instid0(VALU_DEP_1) | instskip(NEXT) | instid1(VALU_DEP_1)
	v_add_f32_e32 v96, s67, v12
	v_cmp_ge_f32_e32 vcc_lo, 0x41a00000, v96
	s_and_b32 s29, s80, vcc_lo
	s_delay_alu instid0(SALU_CYCLE_1)
	s_and_saveexec_b32 s30, s29
	s_cbranch_execz .LBB90_88
; %bb.87:                               ;   in Loop: Header=BB90_12 Depth=1
	v_mul_f32_e32 v12, 0x3fb8aa3b, v96
	v_cmp_ngt_f32_e32 vcc_lo, 0xc2ce8ed0, v96
	s_delay_alu instid0(VALU_DEP_2) | instskip(SKIP_1) | instid1(VALU_DEP_2)
	v_rndne_f32_e32 v13, v12
	v_fma_f32 v14, 0x3fb8aa3b, v96, -v12
	v_sub_f32_e32 v12, v12, v13
	s_delay_alu instid0(VALU_DEP_2) | instskip(SKIP_1) | instid1(VALU_DEP_2)
	v_fmac_f32_e32 v14, 0x32a5705f, v96
	v_cvt_i32_f32_e32 v13, v13
	v_add_f32_e32 v12, v12, v14
	s_delay_alu instid0(VALU_DEP_1) | instskip(SKIP_2) | instid1(VALU_DEP_1)
	v_exp_f32_e32 v12, v12
	s_waitcnt_depctr 0xfff
	v_ldexp_f32 v12, v12, v13
	v_cndmask_b32_e32 v12, 0, v12, vcc_lo
	v_cmp_nlt_f32_e32 vcc_lo, 0x42b17218, v96
	s_delay_alu instid0(VALU_DEP_2) | instskip(NEXT) | instid1(VALU_DEP_1)
	v_cndmask_b32_e32 v14, 0x7f800000, v12, vcc_lo
	v_add_f32_e32 v17, 1.0, v14
	s_delay_alu instid0(VALU_DEP_1) | instskip(NEXT) | instid1(VALU_DEP_1)
	v_cvt_f64_f32_e32 v[12:13], v17
	v_frexp_exp_i32_f64_e32 v12, v[12:13]
	v_frexp_mant_f32_e32 v13, v17
	s_delay_alu instid0(VALU_DEP_1) | instskip(SKIP_1) | instid1(VALU_DEP_1)
	v_cmp_gt_f32_e32 vcc_lo, 0x3f2aaaab, v13
	v_add_f32_e32 v13, -1.0, v17
	v_sub_f32_e32 v97, v13, v17
	s_delay_alu instid0(VALU_DEP_1) | instskip(SKIP_2) | instid1(VALU_DEP_2)
	v_add_f32_e32 v97, 1.0, v97
	v_sub_f32_e32 v13, v14, v13
	v_cmp_gt_f32_e64 s29, 0x33800000, v14
	v_add_f32_e32 v13, v13, v97
	v_subrev_co_ci_u32_e32 v12, vcc_lo, 0, v12, vcc_lo
	v_cmp_eq_f32_e32 vcc_lo, 0x7f800000, v14
	s_delay_alu instid0(VALU_DEP_2) | instskip(SKIP_2) | instid1(VALU_DEP_2)
	v_sub_nc_u32_e32 v96, 0, v12
	v_cvt_f32_i32_e32 v12, v12
	s_or_b32 vcc_lo, s29, vcc_lo
	v_ldexp_f32 v17, v17, v96
	v_ldexp_f32 v13, v13, v96
	s_delay_alu instid0(VALU_DEP_2) | instskip(NEXT) | instid1(VALU_DEP_1)
	v_add_f32_e32 v96, -1.0, v17
	v_dual_add_f32 v98, 1.0, v17 :: v_dual_add_f32 v99, 1.0, v96
	s_delay_alu instid0(VALU_DEP_1) | instskip(NEXT) | instid1(VALU_DEP_1)
	v_add_f32_e32 v97, -1.0, v98
	v_sub_f32_e32 v97, v17, v97
	s_delay_alu instid0(VALU_DEP_3) | instskip(NEXT) | instid1(VALU_DEP_2)
	v_sub_f32_e32 v17, v17, v99
	v_add_f32_e32 v97, v13, v97
	s_delay_alu instid0(VALU_DEP_2) | instskip(NEXT) | instid1(VALU_DEP_1)
	v_add_f32_e32 v13, v13, v17
	v_add_f32_e32 v100, v96, v13
	s_delay_alu instid0(VALU_DEP_1) | instskip(NEXT) | instid1(VALU_DEP_1)
	v_dual_sub_f32 v96, v96, v100 :: v_dual_add_f32 v99, v98, v97
	v_add_f32_e32 v13, v13, v96
	s_delay_alu instid0(VALU_DEP_2) | instskip(SKIP_1) | instid1(VALU_DEP_1)
	v_rcp_f32_e32 v17, v99
	v_sub_f32_e32 v98, v98, v99
	v_add_f32_e32 v97, v97, v98
	s_waitcnt_depctr 0xfff
	v_mul_f32_e32 v101, v100, v17
	s_delay_alu instid0(VALU_DEP_1) | instskip(NEXT) | instid1(VALU_DEP_1)
	v_mul_f32_e32 v102, v99, v101
	v_fma_f32 v98, v101, v99, -v102
	s_delay_alu instid0(VALU_DEP_1) | instskip(NEXT) | instid1(VALU_DEP_1)
	v_fmac_f32_e32 v98, v101, v97
	v_add_f32_e32 v103, v102, v98
	s_delay_alu instid0(VALU_DEP_1) | instskip(SKIP_1) | instid1(VALU_DEP_2)
	v_sub_f32_e32 v104, v100, v103
	v_sub_f32_e32 v96, v103, v102
	;; [unrolled: 1-line block ×3, first 2 shown]
	s_delay_alu instid0(VALU_DEP_1) | instskip(NEXT) | instid1(VALU_DEP_1)
	v_sub_f32_e32 v100, v100, v103
	v_dual_sub_f32 v96, v96, v98 :: v_dual_add_f32 v13, v13, v100
	s_delay_alu instid0(VALU_DEP_1) | instskip(NEXT) | instid1(VALU_DEP_1)
	v_add_f32_e32 v13, v96, v13
	v_add_f32_e32 v96, v104, v13
	s_delay_alu instid0(VALU_DEP_1) | instskip(NEXT) | instid1(VALU_DEP_1)
	v_mul_f32_e32 v98, v17, v96
	v_dual_sub_f32 v103, v104, v96 :: v_dual_mul_f32 v100, v99, v98
	s_delay_alu instid0(VALU_DEP_1) | instskip(NEXT) | instid1(VALU_DEP_2)
	v_add_f32_e32 v13, v13, v103
	v_fma_f32 v99, v98, v99, -v100
	s_delay_alu instid0(VALU_DEP_1) | instskip(NEXT) | instid1(VALU_DEP_1)
	v_fmac_f32_e32 v99, v98, v97
	v_add_f32_e32 v97, v100, v99
	s_delay_alu instid0(VALU_DEP_1) | instskip(NEXT) | instid1(VALU_DEP_1)
	v_sub_f32_e32 v102, v96, v97
	v_sub_f32_e32 v96, v96, v102
	s_delay_alu instid0(VALU_DEP_1) | instskip(NEXT) | instid1(VALU_DEP_1)
	v_sub_f32_e32 v96, v96, v97
	v_add_f32_e32 v13, v13, v96
	v_add_f32_e32 v96, v101, v98
	v_sub_f32_e32 v100, v97, v100
	s_delay_alu instid0(VALU_DEP_1) | instskip(NEXT) | instid1(VALU_DEP_1)
	v_sub_f32_e32 v97, v100, v99
	v_add_f32_e32 v13, v97, v13
	s_delay_alu instid0(VALU_DEP_4) | instskip(NEXT) | instid1(VALU_DEP_2)
	v_sub_f32_e32 v97, v96, v101
	v_add_f32_e32 v13, v102, v13
	s_delay_alu instid0(VALU_DEP_2) | instskip(NEXT) | instid1(VALU_DEP_2)
	v_sub_f32_e32 v97, v98, v97
	v_mul_f32_e32 v13, v17, v13
	s_delay_alu instid0(VALU_DEP_1) | instskip(NEXT) | instid1(VALU_DEP_1)
	v_add_f32_e32 v13, v97, v13
	v_add_f32_e32 v17, v96, v13
	s_delay_alu instid0(VALU_DEP_1) | instskip(NEXT) | instid1(VALU_DEP_1)
	v_mul_f32_e32 v97, v17, v17
	v_fmaak_f32 v98, s84, v97, 0x3ecc95a3
	v_mul_f32_e32 v99, v17, v97
	s_delay_alu instid0(VALU_DEP_2) | instskip(SKIP_1) | instid1(VALU_DEP_2)
	v_fmaak_f32 v97, v97, v98, 0x3f2aaada
	v_ldexp_f32 v98, v17, 1
	v_mul_f32_e32 v97, v99, v97
	s_delay_alu instid0(VALU_DEP_1) | instskip(NEXT) | instid1(VALU_DEP_1)
	v_dual_sub_f32 v17, v17, v96 :: v_dual_add_f32 v96, v98, v97
	v_sub_f32_e32 v13, v13, v17
	s_delay_alu instid0(VALU_DEP_2) | instskip(NEXT) | instid1(VALU_DEP_2)
	v_sub_f32_e32 v17, v96, v98
	v_ldexp_f32 v13, v13, 1
	s_delay_alu instid0(VALU_DEP_2) | instskip(SKIP_1) | instid1(VALU_DEP_1)
	v_sub_f32_e32 v17, v97, v17
	v_mul_f32_e32 v99, 0x3f317218, v12
	v_fma_f32 v98, 0x3f317218, v12, -v99
	s_delay_alu instid0(VALU_DEP_1) | instskip(NEXT) | instid1(VALU_DEP_1)
	v_fmac_f32_e32 v98, 0xb102e308, v12
	v_dual_add_f32 v12, v13, v17 :: v_dual_add_f32 v13, v99, v98
	s_delay_alu instid0(VALU_DEP_1) | instskip(NEXT) | instid1(VALU_DEP_1)
	v_add_f32_e32 v17, v96, v12
	v_add_f32_e32 v97, v13, v17
	v_sub_f32_e32 v96, v17, v96
	s_delay_alu instid0(VALU_DEP_2) | instskip(NEXT) | instid1(VALU_DEP_2)
	v_sub_f32_e32 v100, v97, v13
	v_dual_sub_f32 v12, v12, v96 :: v_dual_sub_f32 v99, v13, v99
	s_delay_alu instid0(VALU_DEP_2) | instskip(NEXT) | instid1(VALU_DEP_2)
	v_sub_f32_e32 v101, v97, v100
	v_dual_sub_f32 v17, v17, v100 :: v_dual_sub_f32 v98, v98, v99
	s_delay_alu instid0(VALU_DEP_1) | instskip(NEXT) | instid1(VALU_DEP_1)
	v_dual_sub_f32 v13, v13, v101 :: v_dual_add_f32 v96, v98, v12
	v_add_f32_e32 v13, v17, v13
	s_delay_alu instid0(VALU_DEP_2) | instskip(NEXT) | instid1(VALU_DEP_2)
	v_sub_f32_e32 v17, v96, v98
	v_add_f32_e32 v13, v96, v13
	s_delay_alu instid0(VALU_DEP_2) | instskip(SKIP_1) | instid1(VALU_DEP_2)
	v_sub_f32_e32 v96, v96, v17
	v_sub_f32_e32 v12, v12, v17
	v_dual_add_f32 v99, v97, v13 :: v_dual_sub_f32 v96, v98, v96
	s_delay_alu instid0(VALU_DEP_1) | instskip(NEXT) | instid1(VALU_DEP_1)
	v_dual_sub_f32 v17, v99, v97 :: v_dual_add_f32 v12, v12, v96
	v_sub_f32_e32 v13, v13, v17
	s_delay_alu instid0(VALU_DEP_1) | instskip(NEXT) | instid1(VALU_DEP_1)
	v_add_f32_e32 v12, v12, v13
	v_add_f32_e32 v12, v99, v12
	s_delay_alu instid0(VALU_DEP_1)
	v_cndmask_b32_e32 v96, v12, v14, vcc_lo
.LBB90_88:                              ;   in Loop: Header=BB90_12 Depth=1
	s_or_b32 exec_lo, exec_lo, s30
	v_lshrrev_b32_e32 v12, 16, v15
	s_delay_alu instid0(VALU_DEP_1) | instskip(NEXT) | instid1(VALU_DEP_1)
	v_cvt_f32_f16_e32 v12, v12
	v_add_f32_e32 v97, s67, v12
	s_delay_alu instid0(VALU_DEP_1) | instskip(SKIP_1) | instid1(SALU_CYCLE_1)
	v_cmp_ge_f32_e32 vcc_lo, 0x41a00000, v97
	s_and_b32 s29, s80, vcc_lo
	s_and_saveexec_b32 s30, s29
	s_cbranch_execz .LBB90_90
; %bb.89:                               ;   in Loop: Header=BB90_12 Depth=1
	v_mul_f32_e32 v12, 0x3fb8aa3b, v97
	v_cmp_ngt_f32_e32 vcc_lo, 0xc2ce8ed0, v97
	s_delay_alu instid0(VALU_DEP_2) | instskip(SKIP_1) | instid1(VALU_DEP_2)
	v_rndne_f32_e32 v13, v12
	v_fma_f32 v14, 0x3fb8aa3b, v97, -v12
	v_sub_f32_e32 v12, v12, v13
	s_delay_alu instid0(VALU_DEP_2) | instskip(SKIP_1) | instid1(VALU_DEP_2)
	v_fmac_f32_e32 v14, 0x32a5705f, v97
	v_cvt_i32_f32_e32 v13, v13
	v_add_f32_e32 v12, v12, v14
	s_delay_alu instid0(VALU_DEP_1) | instskip(SKIP_2) | instid1(VALU_DEP_1)
	v_exp_f32_e32 v12, v12
	s_waitcnt_depctr 0xfff
	v_ldexp_f32 v12, v12, v13
	v_cndmask_b32_e32 v12, 0, v12, vcc_lo
	v_cmp_nlt_f32_e32 vcc_lo, 0x42b17218, v97
	s_delay_alu instid0(VALU_DEP_2) | instskip(NEXT) | instid1(VALU_DEP_1)
	v_cndmask_b32_e32 v14, 0x7f800000, v12, vcc_lo
	v_add_f32_e32 v15, 1.0, v14
	s_delay_alu instid0(VALU_DEP_1) | instskip(NEXT) | instid1(VALU_DEP_1)
	v_cvt_f64_f32_e32 v[12:13], v15
	v_frexp_exp_i32_f64_e32 v12, v[12:13]
	v_frexp_mant_f32_e32 v13, v15
	s_delay_alu instid0(VALU_DEP_1) | instskip(SKIP_1) | instid1(VALU_DEP_1)
	v_cmp_gt_f32_e32 vcc_lo, 0x3f2aaaab, v13
	v_add_f32_e32 v13, -1.0, v15
	v_sub_f32_e32 v97, v13, v15
	v_sub_f32_e32 v13, v14, v13
	s_delay_alu instid0(VALU_DEP_2) | instskip(NEXT) | instid1(VALU_DEP_1)
	v_add_f32_e32 v97, 1.0, v97
	v_add_f32_e32 v13, v13, v97
	v_cmp_gt_f32_e64 s29, 0x33800000, v14
	v_subrev_co_ci_u32_e32 v12, vcc_lo, 0, v12, vcc_lo
	v_cmp_eq_f32_e32 vcc_lo, 0x7f800000, v14
	s_delay_alu instid0(VALU_DEP_2) | instskip(SKIP_2) | instid1(VALU_DEP_2)
	v_sub_nc_u32_e32 v17, 0, v12
	v_cvt_f32_i32_e32 v12, v12
	s_or_b32 vcc_lo, s29, vcc_lo
	v_ldexp_f32 v15, v15, v17
	v_ldexp_f32 v13, v13, v17
	s_delay_alu instid0(VALU_DEP_2) | instskip(SKIP_1) | instid1(VALU_DEP_2)
	v_add_f32_e32 v98, 1.0, v15
	v_add_f32_e32 v17, -1.0, v15
	v_add_f32_e32 v97, -1.0, v98
	s_delay_alu instid0(VALU_DEP_2) | instskip(NEXT) | instid1(VALU_DEP_2)
	v_add_f32_e32 v99, 1.0, v17
	v_sub_f32_e32 v97, v15, v97
	s_delay_alu instid0(VALU_DEP_2) | instskip(NEXT) | instid1(VALU_DEP_2)
	v_sub_f32_e32 v15, v15, v99
	v_add_f32_e32 v97, v13, v97
	s_delay_alu instid0(VALU_DEP_2) | instskip(NEXT) | instid1(VALU_DEP_1)
	v_add_f32_e32 v13, v13, v15
	v_add_f32_e32 v100, v17, v13
	s_delay_alu instid0(VALU_DEP_3) | instskip(NEXT) | instid1(VALU_DEP_1)
	v_add_f32_e32 v99, v98, v97
	v_rcp_f32_e32 v15, v99
	v_sub_f32_e32 v98, v98, v99
	s_delay_alu instid0(VALU_DEP_1) | instskip(SKIP_2) | instid1(VALU_DEP_1)
	v_add_f32_e32 v97, v97, v98
	s_waitcnt_depctr 0xfff
	v_mul_f32_e32 v101, v100, v15
	v_dual_mul_f32 v102, v99, v101 :: v_dual_sub_f32 v17, v17, v100
	s_delay_alu instid0(VALU_DEP_1) | instskip(NEXT) | instid1(VALU_DEP_2)
	v_fma_f32 v98, v101, v99, -v102
	v_add_f32_e32 v13, v13, v17
	s_delay_alu instid0(VALU_DEP_2) | instskip(NEXT) | instid1(VALU_DEP_1)
	v_fmac_f32_e32 v98, v101, v97
	v_add_f32_e32 v103, v102, v98
	s_delay_alu instid0(VALU_DEP_1) | instskip(NEXT) | instid1(VALU_DEP_1)
	v_dual_sub_f32 v104, v100, v103 :: v_dual_sub_f32 v17, v103, v102
	v_dual_sub_f32 v100, v100, v104 :: v_dual_sub_f32 v17, v17, v98
	s_delay_alu instid0(VALU_DEP_1) | instskip(NEXT) | instid1(VALU_DEP_1)
	v_sub_f32_e32 v100, v100, v103
	v_add_f32_e32 v13, v13, v100
	s_delay_alu instid0(VALU_DEP_1) | instskip(NEXT) | instid1(VALU_DEP_1)
	v_add_f32_e32 v13, v17, v13
	v_add_f32_e32 v17, v104, v13
	s_delay_alu instid0(VALU_DEP_1) | instskip(NEXT) | instid1(VALU_DEP_1)
	v_mul_f32_e32 v98, v15, v17
	v_dual_sub_f32 v103, v104, v17 :: v_dual_mul_f32 v100, v99, v98
	s_delay_alu instid0(VALU_DEP_1) | instskip(NEXT) | instid1(VALU_DEP_2)
	v_add_f32_e32 v13, v13, v103
	v_fma_f32 v99, v98, v99, -v100
	s_delay_alu instid0(VALU_DEP_1) | instskip(NEXT) | instid1(VALU_DEP_1)
	v_fmac_f32_e32 v99, v98, v97
	v_add_f32_e32 v97, v100, v99
	s_delay_alu instid0(VALU_DEP_1) | instskip(SKIP_1) | instid1(VALU_DEP_2)
	v_sub_f32_e32 v102, v17, v97
	v_sub_f32_e32 v100, v97, v100
	;; [unrolled: 1-line block ×3, first 2 shown]
	s_delay_alu instid0(VALU_DEP_1) | instskip(NEXT) | instid1(VALU_DEP_3)
	v_sub_f32_e32 v17, v17, v97
	v_sub_f32_e32 v97, v100, v99
	s_delay_alu instid0(VALU_DEP_2) | instskip(SKIP_1) | instid1(VALU_DEP_2)
	v_add_f32_e32 v13, v13, v17
	v_add_f32_e32 v17, v101, v98
	;; [unrolled: 1-line block ×3, first 2 shown]
	s_delay_alu instid0(VALU_DEP_2) | instskip(NEXT) | instid1(VALU_DEP_2)
	v_sub_f32_e32 v97, v17, v101
	v_add_f32_e32 v13, v102, v13
	s_delay_alu instid0(VALU_DEP_2) | instskip(NEXT) | instid1(VALU_DEP_2)
	v_sub_f32_e32 v97, v98, v97
	v_mul_f32_e32 v13, v15, v13
	s_delay_alu instid0(VALU_DEP_1) | instskip(NEXT) | instid1(VALU_DEP_1)
	v_add_f32_e32 v13, v97, v13
	v_add_f32_e32 v15, v17, v13
	s_delay_alu instid0(VALU_DEP_1) | instskip(NEXT) | instid1(VALU_DEP_1)
	v_mul_f32_e32 v97, v15, v15
	v_fmaak_f32 v98, s84, v97, 0x3ecc95a3
	v_mul_f32_e32 v99, v15, v97
	s_delay_alu instid0(VALU_DEP_2) | instskip(SKIP_2) | instid1(VALU_DEP_3)
	v_fmaak_f32 v97, v97, v98, 0x3f2aaada
	v_ldexp_f32 v98, v15, 1
	v_sub_f32_e32 v15, v15, v17
	v_mul_f32_e32 v97, v99, v97
	v_mul_f32_e32 v99, 0x3f317218, v12
	s_delay_alu instid0(VALU_DEP_3) | instskip(NEXT) | instid1(VALU_DEP_3)
	v_sub_f32_e32 v13, v13, v15
	v_add_f32_e32 v17, v98, v97
	s_delay_alu instid0(VALU_DEP_2) | instskip(NEXT) | instid1(VALU_DEP_2)
	v_ldexp_f32 v13, v13, 1
	v_sub_f32_e32 v15, v17, v98
	v_fma_f32 v98, 0x3f317218, v12, -v99
	s_delay_alu instid0(VALU_DEP_1) | instskip(NEXT) | instid1(VALU_DEP_1)
	v_dual_sub_f32 v15, v97, v15 :: v_dual_fmac_f32 v98, 0xb102e308, v12
	v_dual_add_f32 v12, v13, v15 :: v_dual_add_f32 v13, v99, v98
	s_delay_alu instid0(VALU_DEP_1) | instskip(NEXT) | instid1(VALU_DEP_1)
	v_add_f32_e32 v15, v17, v12
	v_add_f32_e32 v97, v13, v15
	v_sub_f32_e32 v17, v15, v17
	s_delay_alu instid0(VALU_DEP_2) | instskip(NEXT) | instid1(VALU_DEP_2)
	v_sub_f32_e32 v100, v97, v13
	v_dual_sub_f32 v99, v13, v99 :: v_dual_sub_f32 v12, v12, v17
	s_delay_alu instid0(VALU_DEP_1) | instskip(SKIP_1) | instid1(VALU_DEP_2)
	v_dual_sub_f32 v101, v97, v100 :: v_dual_sub_f32 v98, v98, v99
	v_sub_f32_e32 v15, v15, v100
	v_sub_f32_e32 v13, v13, v101
	s_delay_alu instid0(VALU_DEP_3) | instskip(NEXT) | instid1(VALU_DEP_2)
	v_add_f32_e32 v17, v98, v12
	v_add_f32_e32 v13, v15, v13
	s_delay_alu instid0(VALU_DEP_2) | instskip(NEXT) | instid1(VALU_DEP_2)
	v_sub_f32_e32 v15, v17, v98
	v_add_f32_e32 v13, v17, v13
	s_delay_alu instid0(VALU_DEP_2) | instskip(NEXT) | instid1(VALU_DEP_2)
	v_sub_f32_e32 v17, v17, v15
	v_dual_sub_f32 v12, v12, v15 :: v_dual_add_f32 v99, v97, v13
	s_delay_alu instid0(VALU_DEP_2) | instskip(NEXT) | instid1(VALU_DEP_2)
	v_sub_f32_e32 v17, v98, v17
	v_sub_f32_e32 v15, v99, v97
	s_delay_alu instid0(VALU_DEP_1) | instskip(NEXT) | instid1(VALU_DEP_1)
	v_dual_add_f32 v12, v12, v17 :: v_dual_sub_f32 v13, v13, v15
	v_add_f32_e32 v12, v12, v13
	s_delay_alu instid0(VALU_DEP_1) | instskip(NEXT) | instid1(VALU_DEP_1)
	v_add_f32_e32 v12, v99, v12
	v_cndmask_b32_e32 v97, v12, v14, vcc_lo
.LBB90_90:                              ;   in Loop: Header=BB90_12 Depth=1
	s_or_b32 exec_lo, exec_lo, s30
	s_waitcnt lgkmcnt(0)
	v_cvt_f32_f16_e32 v12, v8
	s_delay_alu instid0(VALU_DEP_1) | instskip(NEXT) | instid1(VALU_DEP_1)
	v_add_f32_e32 v98, s67, v12
	v_cmp_ge_f32_e32 vcc_lo, 0x41a00000, v98
	s_and_b32 s29, s80, vcc_lo
	s_delay_alu instid0(SALU_CYCLE_1)
	s_and_saveexec_b32 s30, s29
	s_cbranch_execz .LBB90_92
; %bb.91:                               ;   in Loop: Header=BB90_12 Depth=1
	v_mul_f32_e32 v12, 0x3fb8aa3b, v98
	v_cmp_ngt_f32_e32 vcc_lo, 0xc2ce8ed0, v98
	s_delay_alu instid0(VALU_DEP_2) | instskip(SKIP_1) | instid1(VALU_DEP_2)
	v_rndne_f32_e32 v13, v12
	v_fma_f32 v14, 0x3fb8aa3b, v98, -v12
	v_sub_f32_e32 v12, v12, v13
	s_delay_alu instid0(VALU_DEP_2) | instskip(SKIP_1) | instid1(VALU_DEP_2)
	v_fmac_f32_e32 v14, 0x32a5705f, v98
	v_cvt_i32_f32_e32 v13, v13
	v_add_f32_e32 v12, v12, v14
	s_delay_alu instid0(VALU_DEP_1) | instskip(SKIP_2) | instid1(VALU_DEP_1)
	v_exp_f32_e32 v12, v12
	s_waitcnt_depctr 0xfff
	v_ldexp_f32 v12, v12, v13
	v_cndmask_b32_e32 v12, 0, v12, vcc_lo
	v_cmp_nlt_f32_e32 vcc_lo, 0x42b17218, v98
	s_delay_alu instid0(VALU_DEP_2) | instskip(NEXT) | instid1(VALU_DEP_1)
	v_cndmask_b32_e32 v14, 0x7f800000, v12, vcc_lo
	v_add_f32_e32 v15, 1.0, v14
	s_delay_alu instid0(VALU_DEP_1) | instskip(NEXT) | instid1(VALU_DEP_1)
	v_cvt_f64_f32_e32 v[12:13], v15
	v_frexp_exp_i32_f64_e32 v12, v[12:13]
	v_frexp_mant_f32_e32 v13, v15
	s_delay_alu instid0(VALU_DEP_1) | instskip(SKIP_1) | instid1(VALU_DEP_1)
	v_cmp_gt_f32_e32 vcc_lo, 0x3f2aaaab, v13
	v_add_f32_e32 v13, -1.0, v15
	v_dual_sub_f32 v98, v13, v15 :: v_dual_sub_f32 v13, v14, v13
	s_delay_alu instid0(VALU_DEP_1) | instskip(NEXT) | instid1(VALU_DEP_1)
	v_add_f32_e32 v98, 1.0, v98
	v_add_f32_e32 v13, v13, v98
	v_subrev_co_ci_u32_e32 v12, vcc_lo, 0, v12, vcc_lo
	s_delay_alu instid0(VALU_DEP_1) | instskip(SKIP_1) | instid1(VALU_DEP_2)
	v_sub_nc_u32_e32 v17, 0, v12
	v_cvt_f32_i32_e32 v12, v12
	v_ldexp_f32 v15, v15, v17
	v_ldexp_f32 v13, v13, v17
	s_delay_alu instid0(VALU_DEP_2) | instskip(SKIP_3) | instid1(VALU_DEP_4)
	v_add_f32_e32 v99, 1.0, v15
	v_add_f32_e32 v17, -1.0, v15
	v_cmp_eq_f32_e32 vcc_lo, 0x7f800000, v14
	v_cmp_gt_f32_e64 s29, 0x33800000, v14
	v_add_f32_e32 v98, -1.0, v99
	s_delay_alu instid0(VALU_DEP_4) | instskip(NEXT) | instid1(VALU_DEP_3)
	v_add_f32_e32 v100, 1.0, v17
	s_or_b32 vcc_lo, s29, vcc_lo
	s_delay_alu instid0(VALU_DEP_2) | instskip(NEXT) | instid1(VALU_DEP_1)
	v_sub_f32_e32 v98, v15, v98
	v_dual_sub_f32 v15, v15, v100 :: v_dual_add_f32 v98, v13, v98
	s_delay_alu instid0(VALU_DEP_1) | instskip(NEXT) | instid1(VALU_DEP_1)
	v_add_f32_e32 v13, v13, v15
	v_dual_add_f32 v101, v17, v13 :: v_dual_add_f32 v100, v99, v98
	s_delay_alu instid0(VALU_DEP_1) | instskip(NEXT) | instid1(VALU_DEP_2)
	v_sub_f32_e32 v17, v17, v101
	v_rcp_f32_e32 v15, v100
	v_sub_f32_e32 v99, v99, v100
	s_delay_alu instid0(VALU_DEP_1) | instskip(SKIP_2) | instid1(VALU_DEP_1)
	v_dual_add_f32 v98, v98, v99 :: v_dual_add_f32 v13, v13, v17
	s_waitcnt_depctr 0xfff
	v_mul_f32_e32 v102, v101, v15
	v_mul_f32_e32 v103, v100, v102
	s_delay_alu instid0(VALU_DEP_1) | instskip(NEXT) | instid1(VALU_DEP_1)
	v_fma_f32 v99, v102, v100, -v103
	v_fmac_f32_e32 v99, v102, v98
	s_delay_alu instid0(VALU_DEP_1) | instskip(NEXT) | instid1(VALU_DEP_1)
	v_add_f32_e32 v104, v103, v99
	v_sub_f32_e32 v105, v101, v104
	s_delay_alu instid0(VALU_DEP_1) | instskip(SKIP_1) | instid1(VALU_DEP_2)
	v_sub_f32_e32 v101, v101, v105
	v_sub_f32_e32 v17, v104, v103
	;; [unrolled: 1-line block ×3, first 2 shown]
	s_delay_alu instid0(VALU_DEP_2) | instskip(NEXT) | instid1(VALU_DEP_2)
	v_sub_f32_e32 v17, v17, v99
	v_add_f32_e32 v13, v13, v101
	s_delay_alu instid0(VALU_DEP_1) | instskip(NEXT) | instid1(VALU_DEP_1)
	v_add_f32_e32 v13, v17, v13
	v_add_f32_e32 v17, v105, v13
	s_delay_alu instid0(VALU_DEP_1) | instskip(NEXT) | instid1(VALU_DEP_1)
	v_mul_f32_e32 v99, v15, v17
	v_dual_sub_f32 v104, v105, v17 :: v_dual_mul_f32 v101, v100, v99
	s_delay_alu instid0(VALU_DEP_1) | instskip(NEXT) | instid1(VALU_DEP_2)
	v_add_f32_e32 v13, v13, v104
	v_fma_f32 v100, v99, v100, -v101
	s_delay_alu instid0(VALU_DEP_1) | instskip(NEXT) | instid1(VALU_DEP_1)
	v_fmac_f32_e32 v100, v99, v98
	v_add_f32_e32 v98, v101, v100
	s_delay_alu instid0(VALU_DEP_1) | instskip(NEXT) | instid1(VALU_DEP_1)
	v_sub_f32_e32 v103, v17, v98
	v_sub_f32_e32 v17, v17, v103
	s_delay_alu instid0(VALU_DEP_1) | instskip(NEXT) | instid1(VALU_DEP_1)
	v_sub_f32_e32 v17, v17, v98
	v_add_f32_e32 v13, v13, v17
	v_add_f32_e32 v17, v102, v99
	v_sub_f32_e32 v101, v98, v101
	s_delay_alu instid0(VALU_DEP_1) | instskip(NEXT) | instid1(VALU_DEP_1)
	v_sub_f32_e32 v98, v101, v100
	v_dual_add_f32 v13, v98, v13 :: v_dual_sub_f32 v98, v17, v102
	s_delay_alu instid0(VALU_DEP_1) | instskip(NEXT) | instid1(VALU_DEP_2)
	v_add_f32_e32 v13, v103, v13
	v_sub_f32_e32 v98, v99, v98
	s_delay_alu instid0(VALU_DEP_2) | instskip(NEXT) | instid1(VALU_DEP_1)
	v_mul_f32_e32 v13, v15, v13
	v_add_f32_e32 v13, v98, v13
	s_delay_alu instid0(VALU_DEP_1) | instskip(NEXT) | instid1(VALU_DEP_1)
	v_add_f32_e32 v15, v17, v13
	v_mul_f32_e32 v98, v15, v15
	s_delay_alu instid0(VALU_DEP_1) | instskip(SKIP_1) | instid1(VALU_DEP_2)
	v_fmaak_f32 v99, s84, v98, 0x3ecc95a3
	v_mul_f32_e32 v100, v15, v98
	v_fmaak_f32 v98, v98, v99, 0x3f2aaada
	v_ldexp_f32 v99, v15, 1
	s_delay_alu instid0(VALU_DEP_2) | instskip(NEXT) | instid1(VALU_DEP_1)
	v_dual_sub_f32 v15, v15, v17 :: v_dual_mul_f32 v98, v100, v98
	v_dual_mul_f32 v100, 0x3f317218, v12 :: v_dual_sub_f32 v13, v13, v15
	s_delay_alu instid0(VALU_DEP_2) | instskip(NEXT) | instid1(VALU_DEP_2)
	v_add_f32_e32 v17, v99, v98
	v_ldexp_f32 v13, v13, 1
	s_delay_alu instid0(VALU_DEP_2) | instskip(NEXT) | instid1(VALU_DEP_4)
	v_sub_f32_e32 v15, v17, v99
	v_fma_f32 v99, 0x3f317218, v12, -v100
	s_delay_alu instid0(VALU_DEP_2) | instskip(NEXT) | instid1(VALU_DEP_1)
	v_sub_f32_e32 v15, v98, v15
	v_dual_fmac_f32 v99, 0xb102e308, v12 :: v_dual_add_f32 v12, v13, v15
	s_delay_alu instid0(VALU_DEP_1) | instskip(NEXT) | instid1(VALU_DEP_2)
	v_add_f32_e32 v13, v100, v99
	v_add_f32_e32 v15, v17, v12
	s_delay_alu instid0(VALU_DEP_2) | instskip(NEXT) | instid1(VALU_DEP_2)
	v_sub_f32_e32 v100, v13, v100
	v_dual_add_f32 v98, v13, v15 :: v_dual_sub_f32 v17, v15, v17
	s_delay_alu instid0(VALU_DEP_2) | instskip(NEXT) | instid1(VALU_DEP_2)
	v_sub_f32_e32 v99, v99, v100
	v_sub_f32_e32 v101, v98, v13
	s_delay_alu instid0(VALU_DEP_3) | instskip(NEXT) | instid1(VALU_DEP_2)
	v_sub_f32_e32 v12, v12, v17
	v_sub_f32_e32 v102, v98, v101
	;; [unrolled: 1-line block ×3, first 2 shown]
	s_delay_alu instid0(VALU_DEP_3) | instskip(NEXT) | instid1(VALU_DEP_3)
	v_add_f32_e32 v17, v99, v12
	v_sub_f32_e32 v13, v13, v102
	s_delay_alu instid0(VALU_DEP_1) | instskip(NEXT) | instid1(VALU_DEP_3)
	v_add_f32_e32 v13, v15, v13
	v_sub_f32_e32 v15, v17, v99
	s_delay_alu instid0(VALU_DEP_2) | instskip(NEXT) | instid1(VALU_DEP_2)
	v_add_f32_e32 v13, v17, v13
	v_sub_f32_e32 v17, v17, v15
	v_sub_f32_e32 v12, v12, v15
	s_delay_alu instid0(VALU_DEP_3) | instskip(NEXT) | instid1(VALU_DEP_3)
	v_add_f32_e32 v100, v98, v13
	v_sub_f32_e32 v17, v99, v17
	s_delay_alu instid0(VALU_DEP_2) | instskip(NEXT) | instid1(VALU_DEP_1)
	v_sub_f32_e32 v15, v100, v98
	v_dual_add_f32 v12, v12, v17 :: v_dual_sub_f32 v13, v13, v15
	s_delay_alu instid0(VALU_DEP_1) | instskip(NEXT) | instid1(VALU_DEP_1)
	v_add_f32_e32 v12, v12, v13
	v_add_f32_e32 v12, v100, v12
	s_delay_alu instid0(VALU_DEP_1)
	v_cndmask_b32_e32 v98, v12, v14, vcc_lo
.LBB90_92:                              ;   in Loop: Header=BB90_12 Depth=1
	s_or_b32 exec_lo, exec_lo, s30
	v_lshrrev_b32_e32 v8, 16, v8
	s_delay_alu instid0(VALU_DEP_1) | instskip(NEXT) | instid1(VALU_DEP_1)
	v_cvt_f32_f16_e32 v8, v8
	v_add_f32_e32 v99, s67, v8
	s_delay_alu instid0(VALU_DEP_1) | instskip(SKIP_1) | instid1(SALU_CYCLE_1)
	v_cmp_ge_f32_e32 vcc_lo, 0x41a00000, v99
	s_and_b32 s29, s80, vcc_lo
	s_and_saveexec_b32 s30, s29
	s_cbranch_execz .LBB90_94
; %bb.93:                               ;   in Loop: Header=BB90_12 Depth=1
	v_mul_f32_e32 v8, 0x3fb8aa3b, v99
	v_cmp_ngt_f32_e32 vcc_lo, 0xc2ce8ed0, v99
	s_delay_alu instid0(VALU_DEP_2) | instskip(SKIP_1) | instid1(VALU_DEP_1)
	v_rndne_f32_e32 v12, v8
	v_fma_f32 v13, 0x3fb8aa3b, v99, -v8
	v_dual_sub_f32 v8, v8, v12 :: v_dual_fmac_f32 v13, 0x32a5705f, v99
	v_cvt_i32_f32_e32 v12, v12
	s_delay_alu instid0(VALU_DEP_2) | instskip(NEXT) | instid1(VALU_DEP_1)
	v_add_f32_e32 v8, v8, v13
	v_exp_f32_e32 v8, v8
	s_waitcnt_depctr 0xfff
	v_ldexp_f32 v8, v8, v12
	s_delay_alu instid0(VALU_DEP_1) | instskip(SKIP_1) | instid1(VALU_DEP_2)
	v_cndmask_b32_e32 v8, 0, v8, vcc_lo
	v_cmp_nlt_f32_e32 vcc_lo, 0x42b17218, v99
	v_cndmask_b32_e32 v8, 0x7f800000, v8, vcc_lo
	s_delay_alu instid0(VALU_DEP_1) | instskip(NEXT) | instid1(VALU_DEP_1)
	v_add_f32_e32 v14, 1.0, v8
	v_cvt_f64_f32_e32 v[12:13], v14
	s_delay_alu instid0(VALU_DEP_1) | instskip(SKIP_1) | instid1(VALU_DEP_1)
	v_frexp_exp_i32_f64_e32 v12, v[12:13]
	v_frexp_mant_f32_e32 v13, v14
	v_cmp_gt_f32_e32 vcc_lo, 0x3f2aaaab, v13
	v_add_f32_e32 v13, -1.0, v14
	s_delay_alu instid0(VALU_DEP_1) | instskip(NEXT) | instid1(VALU_DEP_1)
	v_sub_f32_e32 v17, v13, v14
	v_add_f32_e32 v17, 1.0, v17
	v_subrev_co_ci_u32_e32 v12, vcc_lo, 0, v12, vcc_lo
	s_delay_alu instid0(VALU_DEP_1) | instskip(SKIP_1) | instid1(VALU_DEP_2)
	v_sub_nc_u32_e32 v15, 0, v12
	v_cvt_f32_i32_e32 v12, v12
	v_ldexp_f32 v14, v14, v15
	s_delay_alu instid0(VALU_DEP_1) | instskip(SKIP_3) | instid1(VALU_DEP_3)
	v_add_f32_e32 v99, 1.0, v14
	v_sub_f32_e32 v13, v8, v13
	v_cmp_eq_f32_e32 vcc_lo, 0x7f800000, v8
	v_cmp_gt_f32_e64 s29, 0x33800000, v8
	v_add_f32_e32 v13, v13, v17
	s_delay_alu instid0(VALU_DEP_2) | instskip(NEXT) | instid1(VALU_DEP_1)
	s_or_b32 vcc_lo, s29, vcc_lo
	v_ldexp_f32 v13, v13, v15
	v_add_f32_e32 v15, -1.0, v14
	s_delay_alu instid0(VALU_DEP_1) | instskip(SKIP_1) | instid1(VALU_DEP_1)
	v_add_f32_e32 v100, 1.0, v15
	v_add_f32_e32 v17, -1.0, v99
	v_sub_f32_e32 v17, v14, v17
	s_delay_alu instid0(VALU_DEP_1) | instskip(NEXT) | instid1(VALU_DEP_1)
	v_dual_sub_f32 v14, v14, v100 :: v_dual_add_f32 v17, v13, v17
	v_add_f32_e32 v100, v99, v17
	s_delay_alu instid0(VALU_DEP_1) | instskip(NEXT) | instid1(VALU_DEP_1)
	v_sub_f32_e32 v99, v99, v100
	v_add_f32_e32 v17, v17, v99
	s_delay_alu instid0(VALU_DEP_4) | instskip(SKIP_1) | instid1(VALU_DEP_1)
	v_add_f32_e32 v13, v13, v14
	v_rcp_f32_e32 v14, v100
	v_add_f32_e32 v101, v15, v13
	s_waitcnt_depctr 0xfff
	v_dual_sub_f32 v15, v15, v101 :: v_dual_mul_f32 v102, v101, v14
	s_delay_alu instid0(VALU_DEP_1) | instskip(NEXT) | instid1(VALU_DEP_2)
	v_add_f32_e32 v13, v13, v15
	v_mul_f32_e32 v103, v100, v102
	s_delay_alu instid0(VALU_DEP_1) | instskip(NEXT) | instid1(VALU_DEP_1)
	v_fma_f32 v99, v102, v100, -v103
	v_fmac_f32_e32 v99, v102, v17
	s_delay_alu instid0(VALU_DEP_1) | instskip(NEXT) | instid1(VALU_DEP_1)
	v_add_f32_e32 v104, v103, v99
	v_sub_f32_e32 v105, v101, v104
	v_sub_f32_e32 v15, v104, v103
	s_delay_alu instid0(VALU_DEP_2) | instskip(NEXT) | instid1(VALU_DEP_2)
	v_sub_f32_e32 v101, v101, v105
	v_sub_f32_e32 v15, v15, v99
	s_delay_alu instid0(VALU_DEP_2) | instskip(NEXT) | instid1(VALU_DEP_1)
	v_sub_f32_e32 v101, v101, v104
	v_add_f32_e32 v13, v13, v101
	s_delay_alu instid0(VALU_DEP_1) | instskip(NEXT) | instid1(VALU_DEP_1)
	v_add_f32_e32 v13, v15, v13
	v_add_f32_e32 v15, v105, v13
	s_delay_alu instid0(VALU_DEP_1) | instskip(SKIP_1) | instid1(VALU_DEP_2)
	v_mul_f32_e32 v99, v14, v15
	v_sub_f32_e32 v104, v105, v15
	v_mul_f32_e32 v101, v100, v99
	s_delay_alu instid0(VALU_DEP_2) | instskip(NEXT) | instid1(VALU_DEP_2)
	v_add_f32_e32 v13, v13, v104
	v_fma_f32 v100, v99, v100, -v101
	s_delay_alu instid0(VALU_DEP_1) | instskip(NEXT) | instid1(VALU_DEP_1)
	v_fmac_f32_e32 v100, v99, v17
	v_add_f32_e32 v17, v101, v100
	s_delay_alu instid0(VALU_DEP_1) | instskip(SKIP_1) | instid1(VALU_DEP_2)
	v_sub_f32_e32 v103, v15, v17
	v_sub_f32_e32 v101, v17, v101
	v_sub_f32_e32 v15, v15, v103
	s_delay_alu instid0(VALU_DEP_1) | instskip(NEXT) | instid1(VALU_DEP_3)
	v_sub_f32_e32 v15, v15, v17
	v_sub_f32_e32 v17, v101, v100
	s_delay_alu instid0(VALU_DEP_2) | instskip(SKIP_1) | instid1(VALU_DEP_2)
	v_add_f32_e32 v13, v13, v15
	v_add_f32_e32 v15, v102, v99
	;; [unrolled: 1-line block ×3, first 2 shown]
	s_delay_alu instid0(VALU_DEP_2) | instskip(NEXT) | instid1(VALU_DEP_2)
	v_sub_f32_e32 v17, v15, v102
	v_add_f32_e32 v13, v103, v13
	s_delay_alu instid0(VALU_DEP_2) | instskip(NEXT) | instid1(VALU_DEP_2)
	v_sub_f32_e32 v17, v99, v17
	v_mul_f32_e32 v13, v14, v13
	s_delay_alu instid0(VALU_DEP_1) | instskip(NEXT) | instid1(VALU_DEP_1)
	v_add_f32_e32 v13, v17, v13
	v_add_f32_e32 v14, v15, v13
	s_delay_alu instid0(VALU_DEP_1) | instskip(NEXT) | instid1(VALU_DEP_1)
	v_mul_f32_e32 v17, v14, v14
	v_fmaak_f32 v99, s84, v17, 0x3ecc95a3
	s_delay_alu instid0(VALU_DEP_1) | instskip(SKIP_1) | instid1(VALU_DEP_2)
	v_dual_mul_f32 v100, v14, v17 :: v_dual_fmaak_f32 v17, v17, v99, 0x3f2aaada
	v_ldexp_f32 v99, v14, 1
	v_dual_sub_f32 v14, v14, v15 :: v_dual_mul_f32 v17, v100, v17
	s_delay_alu instid0(VALU_DEP_1) | instskip(NEXT) | instid1(VALU_DEP_2)
	v_dual_mul_f32 v100, 0x3f317218, v12 :: v_dual_sub_f32 v13, v13, v14
	v_add_f32_e32 v15, v99, v17
	s_delay_alu instid0(VALU_DEP_2) | instskip(NEXT) | instid1(VALU_DEP_2)
	v_ldexp_f32 v13, v13, 1
	v_sub_f32_e32 v14, v15, v99
	s_delay_alu instid0(VALU_DEP_4) | instskip(NEXT) | instid1(VALU_DEP_1)
	v_fma_f32 v99, 0x3f317218, v12, -v100
	v_dual_sub_f32 v14, v17, v14 :: v_dual_fmac_f32 v99, 0xb102e308, v12
	s_delay_alu instid0(VALU_DEP_1) | instskip(NEXT) | instid1(VALU_DEP_1)
	v_dual_add_f32 v12, v13, v14 :: v_dual_add_f32 v13, v100, v99
	v_add_f32_e32 v14, v15, v12
	s_delay_alu instid0(VALU_DEP_2) | instskip(NEXT) | instid1(VALU_DEP_2)
	v_sub_f32_e32 v100, v13, v100
	v_add_f32_e32 v17, v13, v14
	v_sub_f32_e32 v15, v14, v15
	s_delay_alu instid0(VALU_DEP_3) | instskip(NEXT) | instid1(VALU_DEP_2)
	v_sub_f32_e32 v99, v99, v100
	v_dual_sub_f32 v101, v17, v13 :: v_dual_sub_f32 v12, v12, v15
	s_delay_alu instid0(VALU_DEP_1) | instskip(NEXT) | instid1(VALU_DEP_2)
	v_sub_f32_e32 v102, v17, v101
	v_dual_sub_f32 v14, v14, v101 :: v_dual_add_f32 v15, v99, v12
	s_delay_alu instid0(VALU_DEP_2) | instskip(NEXT) | instid1(VALU_DEP_1)
	v_sub_f32_e32 v13, v13, v102
	v_dual_add_f32 v13, v14, v13 :: v_dual_sub_f32 v14, v15, v99
	s_delay_alu instid0(VALU_DEP_1) | instskip(NEXT) | instid1(VALU_DEP_2)
	v_add_f32_e32 v13, v15, v13
	v_sub_f32_e32 v15, v15, v14
	v_sub_f32_e32 v12, v12, v14
	s_delay_alu instid0(VALU_DEP_2) | instskip(NEXT) | instid1(VALU_DEP_1)
	v_dual_add_f32 v100, v17, v13 :: v_dual_sub_f32 v15, v99, v15
	v_sub_f32_e32 v14, v100, v17
	s_delay_alu instid0(VALU_DEP_1) | instskip(NEXT) | instid1(VALU_DEP_1)
	v_dual_add_f32 v12, v12, v15 :: v_dual_sub_f32 v13, v13, v14
	v_add_f32_e32 v12, v12, v13
	s_delay_alu instid0(VALU_DEP_1) | instskip(NEXT) | instid1(VALU_DEP_1)
	v_add_f32_e32 v12, v100, v12
	v_cndmask_b32_e32 v99, v12, v8, vcc_lo
.LBB90_94:                              ;   in Loop: Header=BB90_12 Depth=1
	s_or_b32 exec_lo, exec_lo, s30
	v_cvt_f32_f16_e32 v8, v9
	s_delay_alu instid0(VALU_DEP_1) | instskip(NEXT) | instid1(VALU_DEP_1)
	v_add_f32_e32 v100, s67, v8
	v_cmp_ge_f32_e32 vcc_lo, 0x41a00000, v100
	s_and_b32 s29, s80, vcc_lo
	s_delay_alu instid0(SALU_CYCLE_1)
	s_and_saveexec_b32 s30, s29
	s_cbranch_execz .LBB90_96
; %bb.95:                               ;   in Loop: Header=BB90_12 Depth=1
	v_mul_f32_e32 v8, 0x3fb8aa3b, v100
	v_cmp_ngt_f32_e32 vcc_lo, 0xc2ce8ed0, v100
	s_delay_alu instid0(VALU_DEP_2) | instskip(SKIP_1) | instid1(VALU_DEP_2)
	v_rndne_f32_e32 v12, v8
	v_fma_f32 v13, 0x3fb8aa3b, v100, -v8
	v_sub_f32_e32 v8, v8, v12
	s_delay_alu instid0(VALU_DEP_2) | instskip(SKIP_1) | instid1(VALU_DEP_2)
	v_fmac_f32_e32 v13, 0x32a5705f, v100
	v_cvt_i32_f32_e32 v12, v12
	v_add_f32_e32 v8, v8, v13
	s_delay_alu instid0(VALU_DEP_1) | instskip(SKIP_2) | instid1(VALU_DEP_1)
	v_exp_f32_e32 v8, v8
	s_waitcnt_depctr 0xfff
	v_ldexp_f32 v8, v8, v12
	v_cndmask_b32_e32 v8, 0, v8, vcc_lo
	v_cmp_nlt_f32_e32 vcc_lo, 0x42b17218, v100
	s_delay_alu instid0(VALU_DEP_2) | instskip(NEXT) | instid1(VALU_DEP_1)
	v_cndmask_b32_e32 v8, 0x7f800000, v8, vcc_lo
	v_add_f32_e32 v14, 1.0, v8
	s_delay_alu instid0(VALU_DEP_1) | instskip(NEXT) | instid1(VALU_DEP_1)
	v_cvt_f64_f32_e32 v[12:13], v14
	v_frexp_exp_i32_f64_e32 v12, v[12:13]
	v_frexp_mant_f32_e32 v13, v14
	s_delay_alu instid0(VALU_DEP_1) | instskip(SKIP_1) | instid1(VALU_DEP_1)
	v_cmp_gt_f32_e32 vcc_lo, 0x3f2aaaab, v13
	v_add_f32_e32 v13, -1.0, v14
	v_sub_f32_e32 v17, v13, v14
	v_sub_f32_e32 v13, v8, v13
	s_delay_alu instid0(VALU_DEP_2) | instskip(NEXT) | instid1(VALU_DEP_1)
	v_add_f32_e32 v17, 1.0, v17
	v_add_f32_e32 v13, v13, v17
	v_cmp_gt_f32_e64 s29, 0x33800000, v8
	v_subrev_co_ci_u32_e32 v12, vcc_lo, 0, v12, vcc_lo
	v_cmp_eq_f32_e32 vcc_lo, 0x7f800000, v8
	s_delay_alu instid0(VALU_DEP_2) | instskip(SKIP_2) | instid1(VALU_DEP_2)
	v_sub_nc_u32_e32 v15, 0, v12
	v_cvt_f32_i32_e32 v12, v12
	s_or_b32 vcc_lo, s29, vcc_lo
	v_ldexp_f32 v14, v14, v15
	v_ldexp_f32 v13, v13, v15
	s_delay_alu instid0(VALU_DEP_2) | instskip(SKIP_1) | instid1(VALU_DEP_2)
	v_add_f32_e32 v100, 1.0, v14
	v_add_f32_e32 v15, -1.0, v14
	v_add_f32_e32 v17, -1.0, v100
	s_delay_alu instid0(VALU_DEP_2) | instskip(NEXT) | instid1(VALU_DEP_2)
	v_add_f32_e32 v101, 1.0, v15
	v_sub_f32_e32 v17, v14, v17
	s_delay_alu instid0(VALU_DEP_2) | instskip(NEXT) | instid1(VALU_DEP_2)
	v_sub_f32_e32 v14, v14, v101
	v_add_f32_e32 v17, v13, v17
	s_delay_alu instid0(VALU_DEP_1) | instskip(NEXT) | instid1(VALU_DEP_1)
	v_add_f32_e32 v101, v100, v17
	v_dual_add_f32 v13, v13, v14 :: v_dual_sub_f32 v100, v100, v101
	v_rcp_f32_e32 v14, v101
	s_delay_alu instid0(VALU_DEP_1) | instskip(NEXT) | instid1(VALU_DEP_1)
	v_dual_add_f32 v102, v15, v13 :: v_dual_add_f32 v17, v17, v100
	v_sub_f32_e32 v15, v15, v102
	s_waitcnt_depctr 0xfff
	v_mul_f32_e32 v103, v102, v14
	v_add_f32_e32 v13, v13, v15
	s_delay_alu instid0(VALU_DEP_2) | instskip(NEXT) | instid1(VALU_DEP_1)
	v_mul_f32_e32 v104, v101, v103
	v_fma_f32 v100, v103, v101, -v104
	s_delay_alu instid0(VALU_DEP_1) | instskip(NEXT) | instid1(VALU_DEP_1)
	v_fmac_f32_e32 v100, v103, v17
	v_add_f32_e32 v105, v104, v100
	s_delay_alu instid0(VALU_DEP_1) | instskip(NEXT) | instid1(VALU_DEP_1)
	v_dual_sub_f32 v106, v102, v105 :: v_dual_sub_f32 v15, v105, v104
	v_dual_sub_f32 v102, v102, v106 :: v_dual_sub_f32 v15, v15, v100
	s_delay_alu instid0(VALU_DEP_1) | instskip(NEXT) | instid1(VALU_DEP_1)
	v_sub_f32_e32 v102, v102, v105
	v_add_f32_e32 v13, v13, v102
	s_delay_alu instid0(VALU_DEP_1) | instskip(NEXT) | instid1(VALU_DEP_1)
	v_add_f32_e32 v13, v15, v13
	v_add_f32_e32 v15, v106, v13
	s_delay_alu instid0(VALU_DEP_1) | instskip(NEXT) | instid1(VALU_DEP_1)
	v_mul_f32_e32 v100, v14, v15
	v_dual_sub_f32 v105, v106, v15 :: v_dual_mul_f32 v102, v101, v100
	s_delay_alu instid0(VALU_DEP_1) | instskip(NEXT) | instid1(VALU_DEP_2)
	v_add_f32_e32 v13, v13, v105
	v_fma_f32 v101, v100, v101, -v102
	s_delay_alu instid0(VALU_DEP_1) | instskip(NEXT) | instid1(VALU_DEP_1)
	v_fmac_f32_e32 v101, v100, v17
	v_add_f32_e32 v17, v102, v101
	s_delay_alu instid0(VALU_DEP_1) | instskip(NEXT) | instid1(VALU_DEP_1)
	v_sub_f32_e32 v104, v15, v17
	v_dual_sub_f32 v102, v17, v102 :: v_dual_sub_f32 v15, v15, v104
	s_delay_alu instid0(VALU_DEP_1) | instskip(NEXT) | instid1(VALU_DEP_2)
	v_sub_f32_e32 v15, v15, v17
	v_sub_f32_e32 v17, v102, v101
	s_delay_alu instid0(VALU_DEP_2) | instskip(SKIP_1) | instid1(VALU_DEP_2)
	v_add_f32_e32 v13, v13, v15
	v_add_f32_e32 v15, v103, v100
	;; [unrolled: 1-line block ×3, first 2 shown]
	s_delay_alu instid0(VALU_DEP_2) | instskip(NEXT) | instid1(VALU_DEP_2)
	v_sub_f32_e32 v17, v15, v103
	v_add_f32_e32 v13, v104, v13
	s_delay_alu instid0(VALU_DEP_2) | instskip(NEXT) | instid1(VALU_DEP_2)
	v_sub_f32_e32 v17, v100, v17
	v_mul_f32_e32 v13, v14, v13
	s_delay_alu instid0(VALU_DEP_1) | instskip(NEXT) | instid1(VALU_DEP_1)
	v_add_f32_e32 v13, v17, v13
	v_add_f32_e32 v14, v15, v13
	s_delay_alu instid0(VALU_DEP_1) | instskip(NEXT) | instid1(VALU_DEP_1)
	v_mul_f32_e32 v17, v14, v14
	v_fmaak_f32 v100, s84, v17, 0x3ecc95a3
	v_mul_f32_e32 v101, v14, v17
	s_delay_alu instid0(VALU_DEP_2) | instskip(SKIP_1) | instid1(VALU_DEP_2)
	v_fmaak_f32 v17, v17, v100, 0x3f2aaada
	v_ldexp_f32 v100, v14, 1
	v_dual_sub_f32 v14, v14, v15 :: v_dual_mul_f32 v17, v101, v17
	v_mul_f32_e32 v101, 0x3f317218, v12
	s_delay_alu instid0(VALU_DEP_2) | instskip(NEXT) | instid1(VALU_DEP_3)
	v_sub_f32_e32 v13, v13, v14
	v_add_f32_e32 v15, v100, v17
	s_delay_alu instid0(VALU_DEP_2) | instskip(NEXT) | instid1(VALU_DEP_2)
	v_ldexp_f32 v13, v13, 1
	v_sub_f32_e32 v14, v15, v100
	v_fma_f32 v100, 0x3f317218, v12, -v101
	s_delay_alu instid0(VALU_DEP_2) | instskip(NEXT) | instid1(VALU_DEP_2)
	v_sub_f32_e32 v14, v17, v14
	v_fmac_f32_e32 v100, 0xb102e308, v12
	s_delay_alu instid0(VALU_DEP_2) | instskip(NEXT) | instid1(VALU_DEP_2)
	v_add_f32_e32 v12, v13, v14
	v_add_f32_e32 v13, v101, v100
	s_delay_alu instid0(VALU_DEP_1) | instskip(NEXT) | instid1(VALU_DEP_1)
	v_dual_add_f32 v14, v15, v12 :: v_dual_sub_f32 v101, v13, v101
	v_add_f32_e32 v17, v13, v14
	s_delay_alu instid0(VALU_DEP_2) | instskip(NEXT) | instid1(VALU_DEP_2)
	v_dual_sub_f32 v15, v14, v15 :: v_dual_sub_f32 v100, v100, v101
	v_sub_f32_e32 v102, v17, v13
	s_delay_alu instid0(VALU_DEP_1) | instskip(NEXT) | instid1(VALU_DEP_1)
	v_dual_sub_f32 v12, v12, v15 :: v_dual_sub_f32 v103, v17, v102
	v_dual_sub_f32 v14, v14, v102 :: v_dual_add_f32 v15, v100, v12
	s_delay_alu instid0(VALU_DEP_2) | instskip(NEXT) | instid1(VALU_DEP_1)
	v_sub_f32_e32 v13, v13, v103
	v_dual_add_f32 v13, v14, v13 :: v_dual_sub_f32 v14, v15, v100
	s_delay_alu instid0(VALU_DEP_1) | instskip(NEXT) | instid1(VALU_DEP_2)
	v_add_f32_e32 v13, v15, v13
	v_sub_f32_e32 v15, v15, v14
	s_delay_alu instid0(VALU_DEP_2) | instskip(NEXT) | instid1(VALU_DEP_1)
	v_dual_sub_f32 v12, v12, v14 :: v_dual_add_f32 v101, v17, v13
	v_dual_sub_f32 v15, v100, v15 :: v_dual_sub_f32 v14, v101, v17
	s_delay_alu instid0(VALU_DEP_1) | instskip(NEXT) | instid1(VALU_DEP_1)
	v_dual_add_f32 v12, v12, v15 :: v_dual_sub_f32 v13, v13, v14
	v_add_f32_e32 v12, v12, v13
	s_delay_alu instid0(VALU_DEP_1) | instskip(NEXT) | instid1(VALU_DEP_1)
	v_add_f32_e32 v12, v101, v12
	v_cndmask_b32_e32 v100, v12, v8, vcc_lo
.LBB90_96:                              ;   in Loop: Header=BB90_12 Depth=1
	s_or_b32 exec_lo, exec_lo, s30
	v_lshrrev_b32_e32 v8, 16, v9
	s_delay_alu instid0(VALU_DEP_1) | instskip(NEXT) | instid1(VALU_DEP_1)
	v_cvt_f32_f16_e32 v8, v8
	v_add_f32_e32 v101, s67, v8
	s_delay_alu instid0(VALU_DEP_1) | instskip(SKIP_1) | instid1(SALU_CYCLE_1)
	v_cmp_ge_f32_e32 vcc_lo, 0x41a00000, v101
	s_and_b32 s29, s80, vcc_lo
	s_and_saveexec_b32 s30, s29
	s_cbranch_execz .LBB90_98
; %bb.97:                               ;   in Loop: Header=BB90_12 Depth=1
	v_mul_f32_e32 v8, 0x3fb8aa3b, v101
	v_cmp_ngt_f32_e32 vcc_lo, 0xc2ce8ed0, v101
	s_delay_alu instid0(VALU_DEP_2) | instskip(SKIP_1) | instid1(VALU_DEP_2)
	v_rndne_f32_e32 v9, v8
	v_fma_f32 v12, 0x3fb8aa3b, v101, -v8
	v_sub_f32_e32 v8, v8, v9
	s_delay_alu instid0(VALU_DEP_2) | instskip(SKIP_1) | instid1(VALU_DEP_2)
	v_fmac_f32_e32 v12, 0x32a5705f, v101
	v_cvt_i32_f32_e32 v9, v9
	v_add_f32_e32 v8, v8, v12
	s_delay_alu instid0(VALU_DEP_1) | instskip(SKIP_2) | instid1(VALU_DEP_1)
	v_exp_f32_e32 v8, v8
	s_waitcnt_depctr 0xfff
	v_ldexp_f32 v8, v8, v9
	v_cndmask_b32_e32 v8, 0, v8, vcc_lo
	v_cmp_nlt_f32_e32 vcc_lo, 0x42b17218, v101
	s_delay_alu instid0(VALU_DEP_2) | instskip(NEXT) | instid1(VALU_DEP_1)
	v_cndmask_b32_e32 v12, 0x7f800000, v8, vcc_lo
	v_add_f32_e32 v13, 1.0, v12
	s_delay_alu instid0(VALU_DEP_1) | instskip(NEXT) | instid1(VALU_DEP_1)
	v_cvt_f64_f32_e32 v[8:9], v13
	v_frexp_exp_i32_f64_e32 v8, v[8:9]
	v_frexp_mant_f32_e32 v9, v13
	s_delay_alu instid0(VALU_DEP_1) | instskip(SKIP_1) | instid1(VALU_DEP_1)
	v_cmp_gt_f32_e32 vcc_lo, 0x3f2aaaab, v9
	v_add_f32_e32 v9, -1.0, v13
	v_sub_f32_e32 v15, v9, v13
	s_delay_alu instid0(VALU_DEP_1) | instskip(SKIP_1) | instid1(VALU_DEP_1)
	v_add_f32_e32 v15, 1.0, v15
	v_subrev_co_ci_u32_e32 v8, vcc_lo, 0, v8, vcc_lo
	v_sub_nc_u32_e32 v14, 0, v8
	v_cvt_f32_i32_e32 v8, v8
	s_delay_alu instid0(VALU_DEP_2) | instskip(NEXT) | instid1(VALU_DEP_1)
	v_ldexp_f32 v13, v13, v14
	v_add_f32_e32 v17, 1.0, v13
	v_sub_f32_e32 v9, v12, v9
	v_cmp_eq_f32_e32 vcc_lo, 0x7f800000, v12
	v_cmp_gt_f32_e64 s29, 0x33800000, v12
	s_delay_alu instid0(VALU_DEP_3) | instskip(NEXT) | instid1(VALU_DEP_2)
	v_add_f32_e32 v9, v9, v15
	s_or_b32 vcc_lo, s29, vcc_lo
	s_delay_alu instid0(VALU_DEP_1) | instskip(SKIP_2) | instid1(VALU_DEP_1)
	v_ldexp_f32 v9, v9, v14
	v_add_f32_e32 v14, -1.0, v13
	v_add_f32_e32 v15, -1.0, v17
	v_sub_f32_e32 v15, v13, v15
	s_delay_alu instid0(VALU_DEP_3) | instskip(NEXT) | instid1(VALU_DEP_2)
	v_add_f32_e32 v101, 1.0, v14
	v_add_f32_e32 v15, v9, v15
	s_delay_alu instid0(VALU_DEP_2) | instskip(NEXT) | instid1(VALU_DEP_2)
	v_sub_f32_e32 v13, v13, v101
	v_add_f32_e32 v101, v17, v15
	s_delay_alu instid0(VALU_DEP_2) | instskip(NEXT) | instid1(VALU_DEP_2)
	v_add_f32_e32 v9, v9, v13
	v_rcp_f32_e32 v13, v101
	s_delay_alu instid0(VALU_DEP_1) | instskip(NEXT) | instid1(VALU_DEP_1)
	v_add_f32_e32 v102, v14, v9
	v_dual_sub_f32 v17, v17, v101 :: v_dual_sub_f32 v14, v14, v102
	s_delay_alu instid0(VALU_DEP_1) | instskip(SKIP_2) | instid1(VALU_DEP_1)
	v_add_f32_e32 v15, v15, v17
	s_waitcnt_depctr 0xfff
	v_mul_f32_e32 v103, v102, v13
	v_mul_f32_e32 v104, v101, v103
	s_delay_alu instid0(VALU_DEP_1) | instskip(NEXT) | instid1(VALU_DEP_1)
	v_fma_f32 v17, v103, v101, -v104
	v_fmac_f32_e32 v17, v103, v15
	v_add_f32_e32 v9, v9, v14
	s_delay_alu instid0(VALU_DEP_2) | instskip(NEXT) | instid1(VALU_DEP_1)
	v_add_f32_e32 v105, v104, v17
	v_sub_f32_e32 v106, v102, v105
	v_sub_f32_e32 v14, v105, v104
	s_delay_alu instid0(VALU_DEP_2) | instskip(NEXT) | instid1(VALU_DEP_2)
	v_sub_f32_e32 v102, v102, v106
	v_sub_f32_e32 v14, v14, v17
	s_delay_alu instid0(VALU_DEP_2) | instskip(NEXT) | instid1(VALU_DEP_1)
	v_sub_f32_e32 v102, v102, v105
	v_add_f32_e32 v9, v9, v102
	s_delay_alu instid0(VALU_DEP_1) | instskip(NEXT) | instid1(VALU_DEP_1)
	v_add_f32_e32 v9, v14, v9
	v_add_f32_e32 v14, v106, v9
	s_delay_alu instid0(VALU_DEP_1) | instskip(NEXT) | instid1(VALU_DEP_1)
	v_mul_f32_e32 v17, v13, v14
	v_dual_sub_f32 v105, v106, v14 :: v_dual_mul_f32 v102, v101, v17
	s_delay_alu instid0(VALU_DEP_1) | instskip(NEXT) | instid1(VALU_DEP_2)
	v_add_f32_e32 v9, v9, v105
	v_fma_f32 v101, v17, v101, -v102
	s_delay_alu instid0(VALU_DEP_1) | instskip(NEXT) | instid1(VALU_DEP_1)
	v_fmac_f32_e32 v101, v17, v15
	v_add_f32_e32 v15, v102, v101
	s_delay_alu instid0(VALU_DEP_1) | instskip(SKIP_1) | instid1(VALU_DEP_2)
	v_sub_f32_e32 v104, v14, v15
	v_sub_f32_e32 v102, v15, v102
	v_sub_f32_e32 v14, v14, v104
	s_delay_alu instid0(VALU_DEP_1) | instskip(NEXT) | instid1(VALU_DEP_1)
	v_sub_f32_e32 v14, v14, v15
	v_dual_add_f32 v9, v9, v14 :: v_dual_add_f32 v14, v103, v17
	s_delay_alu instid0(VALU_DEP_4) | instskip(NEXT) | instid1(VALU_DEP_1)
	v_sub_f32_e32 v15, v102, v101
	v_add_f32_e32 v9, v15, v9
	s_delay_alu instid0(VALU_DEP_3) | instskip(NEXT) | instid1(VALU_DEP_2)
	v_sub_f32_e32 v15, v14, v103
	v_add_f32_e32 v9, v104, v9
	s_delay_alu instid0(VALU_DEP_2) | instskip(NEXT) | instid1(VALU_DEP_2)
	v_sub_f32_e32 v15, v17, v15
	v_mul_f32_e32 v9, v13, v9
	s_delay_alu instid0(VALU_DEP_1) | instskip(NEXT) | instid1(VALU_DEP_1)
	v_add_f32_e32 v9, v15, v9
	v_add_f32_e32 v13, v14, v9
	s_delay_alu instid0(VALU_DEP_1) | instskip(NEXT) | instid1(VALU_DEP_1)
	v_mul_f32_e32 v15, v13, v13
	v_fmaak_f32 v17, s84, v15, 0x3ecc95a3
	v_mul_f32_e32 v101, v13, v15
	s_delay_alu instid0(VALU_DEP_2) | instskip(SKIP_2) | instid1(VALU_DEP_3)
	v_fmaak_f32 v15, v15, v17, 0x3f2aaada
	v_ldexp_f32 v17, v13, 1
	v_sub_f32_e32 v13, v13, v14
	v_mul_f32_e32 v15, v101, v15
	v_mul_f32_e32 v101, 0x3f317218, v8
	s_delay_alu instid0(VALU_DEP_3) | instskip(NEXT) | instid1(VALU_DEP_3)
	v_sub_f32_e32 v9, v9, v13
	v_add_f32_e32 v14, v17, v15
	s_delay_alu instid0(VALU_DEP_2) | instskip(NEXT) | instid1(VALU_DEP_2)
	v_ldexp_f32 v9, v9, 1
	v_sub_f32_e32 v13, v14, v17
	v_fma_f32 v17, 0x3f317218, v8, -v101
	s_delay_alu instid0(VALU_DEP_2) | instskip(NEXT) | instid1(VALU_DEP_1)
	v_sub_f32_e32 v13, v15, v13
	v_dual_fmac_f32 v17, 0xb102e308, v8 :: v_dual_add_f32 v8, v9, v13
	s_delay_alu instid0(VALU_DEP_1) | instskip(NEXT) | instid1(VALU_DEP_2)
	v_add_f32_e32 v9, v101, v17
	v_add_f32_e32 v13, v14, v8
	s_delay_alu instid0(VALU_DEP_2) | instskip(NEXT) | instid1(VALU_DEP_2)
	v_sub_f32_e32 v101, v9, v101
	v_add_f32_e32 v15, v9, v13
	v_sub_f32_e32 v14, v13, v14
	s_delay_alu instid0(VALU_DEP_3) | instskip(NEXT) | instid1(VALU_DEP_3)
	v_sub_f32_e32 v17, v17, v101
	v_sub_f32_e32 v102, v15, v9
	s_delay_alu instid0(VALU_DEP_3) | instskip(NEXT) | instid1(VALU_DEP_2)
	v_sub_f32_e32 v8, v8, v14
	v_sub_f32_e32 v103, v15, v102
	;; [unrolled: 1-line block ×3, first 2 shown]
	s_delay_alu instid0(VALU_DEP_3) | instskip(NEXT) | instid1(VALU_DEP_3)
	v_add_f32_e32 v14, v17, v8
	v_sub_f32_e32 v9, v9, v103
	s_delay_alu instid0(VALU_DEP_1) | instskip(NEXT) | instid1(VALU_DEP_3)
	v_add_f32_e32 v9, v13, v9
	v_sub_f32_e32 v13, v14, v17
	s_delay_alu instid0(VALU_DEP_2) | instskip(NEXT) | instid1(VALU_DEP_2)
	v_add_f32_e32 v9, v14, v9
	v_sub_f32_e32 v14, v14, v13
	v_sub_f32_e32 v8, v8, v13
	s_delay_alu instid0(VALU_DEP_2) | instskip(NEXT) | instid1(VALU_DEP_1)
	v_dual_add_f32 v101, v15, v9 :: v_dual_sub_f32 v14, v17, v14
	v_dual_sub_f32 v13, v101, v15 :: v_dual_add_f32 v8, v8, v14
	s_delay_alu instid0(VALU_DEP_1) | instskip(NEXT) | instid1(VALU_DEP_1)
	v_sub_f32_e32 v9, v9, v13
	v_add_f32_e32 v8, v8, v9
	s_delay_alu instid0(VALU_DEP_1) | instskip(NEXT) | instid1(VALU_DEP_1)
	v_add_f32_e32 v8, v101, v8
	v_cndmask_b32_e32 v101, v8, v12, vcc_lo
.LBB90_98:                              ;   in Loop: Header=BB90_12 Depth=1
	s_or_b32 exec_lo, exec_lo, s30
	v_cvt_f32_f16_e32 v8, v10
	s_delay_alu instid0(VALU_DEP_1) | instskip(NEXT) | instid1(VALU_DEP_1)
	v_add_f32_e32 v102, s67, v8
	v_cmp_ge_f32_e32 vcc_lo, 0x41a00000, v102
	s_and_b32 s29, s80, vcc_lo
	s_delay_alu instid0(SALU_CYCLE_1)
	s_and_saveexec_b32 s30, s29
	s_cbranch_execz .LBB90_100
; %bb.99:                               ;   in Loop: Header=BB90_12 Depth=1
	v_mul_f32_e32 v8, 0x3fb8aa3b, v102
	v_cmp_ngt_f32_e32 vcc_lo, 0xc2ce8ed0, v102
	s_delay_alu instid0(VALU_DEP_2) | instskip(SKIP_1) | instid1(VALU_DEP_2)
	v_rndne_f32_e32 v9, v8
	v_fma_f32 v12, 0x3fb8aa3b, v102, -v8
	v_sub_f32_e32 v8, v8, v9
	s_delay_alu instid0(VALU_DEP_2) | instskip(SKIP_1) | instid1(VALU_DEP_2)
	v_fmac_f32_e32 v12, 0x32a5705f, v102
	v_cvt_i32_f32_e32 v9, v9
	v_add_f32_e32 v8, v8, v12
	s_delay_alu instid0(VALU_DEP_1) | instskip(SKIP_2) | instid1(VALU_DEP_1)
	v_exp_f32_e32 v8, v8
	s_waitcnt_depctr 0xfff
	v_ldexp_f32 v8, v8, v9
	v_cndmask_b32_e32 v8, 0, v8, vcc_lo
	v_cmp_nlt_f32_e32 vcc_lo, 0x42b17218, v102
	s_delay_alu instid0(VALU_DEP_2) | instskip(NEXT) | instid1(VALU_DEP_1)
	v_cndmask_b32_e32 v12, 0x7f800000, v8, vcc_lo
	v_add_f32_e32 v13, 1.0, v12
	s_delay_alu instid0(VALU_DEP_1) | instskip(NEXT) | instid1(VALU_DEP_1)
	v_cvt_f64_f32_e32 v[8:9], v13
	v_frexp_exp_i32_f64_e32 v8, v[8:9]
	v_frexp_mant_f32_e32 v9, v13
	s_delay_alu instid0(VALU_DEP_1) | instskip(SKIP_1) | instid1(VALU_DEP_1)
	v_cmp_gt_f32_e32 vcc_lo, 0x3f2aaaab, v9
	v_add_f32_e32 v9, -1.0, v13
	v_sub_f32_e32 v15, v9, v13
	s_delay_alu instid0(VALU_DEP_1) | instskip(SKIP_1) | instid1(VALU_DEP_1)
	v_add_f32_e32 v15, 1.0, v15
	v_subrev_co_ci_u32_e32 v8, vcc_lo, 0, v8, vcc_lo
	v_sub_nc_u32_e32 v14, 0, v8
	v_cvt_f32_i32_e32 v8, v8
	s_delay_alu instid0(VALU_DEP_2) | instskip(NEXT) | instid1(VALU_DEP_1)
	v_ldexp_f32 v13, v13, v14
	v_add_f32_e32 v17, 1.0, v13
	v_sub_f32_e32 v9, v12, v9
	v_cmp_eq_f32_e32 vcc_lo, 0x7f800000, v12
	v_cmp_gt_f32_e64 s29, 0x33800000, v12
	s_delay_alu instid0(VALU_DEP_3) | instskip(NEXT) | instid1(VALU_DEP_2)
	v_add_f32_e32 v9, v9, v15
	s_or_b32 vcc_lo, s29, vcc_lo
	s_delay_alu instid0(VALU_DEP_1) | instskip(SKIP_1) | instid1(VALU_DEP_1)
	v_ldexp_f32 v9, v9, v14
	v_add_f32_e32 v14, -1.0, v13
	v_dual_add_f32 v15, -1.0, v17 :: v_dual_add_f32 v102, 1.0, v14
	s_delay_alu instid0(VALU_DEP_1) | instskip(NEXT) | instid1(VALU_DEP_2)
	v_sub_f32_e32 v15, v13, v15
	v_sub_f32_e32 v13, v13, v102
	s_delay_alu instid0(VALU_DEP_2) | instskip(NEXT) | instid1(VALU_DEP_2)
	v_add_f32_e32 v15, v9, v15
	v_add_f32_e32 v9, v9, v13
	s_delay_alu instid0(VALU_DEP_1) | instskip(NEXT) | instid1(VALU_DEP_1)
	v_dual_add_f32 v102, v17, v15 :: v_dual_add_f32 v103, v14, v9
	v_rcp_f32_e32 v13, v102
	s_delay_alu instid0(VALU_DEP_1) | instskip(NEXT) | instid1(VALU_DEP_1)
	v_dual_sub_f32 v17, v17, v102 :: v_dual_sub_f32 v14, v14, v103
	v_add_f32_e32 v15, v15, v17
	s_waitcnt_depctr 0xfff
	v_dual_add_f32 v9, v9, v14 :: v_dual_mul_f32 v104, v103, v13
	s_delay_alu instid0(VALU_DEP_1) | instskip(NEXT) | instid1(VALU_DEP_1)
	v_mul_f32_e32 v105, v102, v104
	v_fma_f32 v17, v104, v102, -v105
	s_delay_alu instid0(VALU_DEP_1) | instskip(NEXT) | instid1(VALU_DEP_1)
	v_fmac_f32_e32 v17, v104, v15
	v_add_f32_e32 v106, v105, v17
	s_delay_alu instid0(VALU_DEP_1) | instskip(NEXT) | instid1(VALU_DEP_1)
	v_sub_f32_e32 v107, v103, v106
	v_dual_sub_f32 v103, v103, v107 :: v_dual_sub_f32 v14, v106, v105
	s_delay_alu instid0(VALU_DEP_1) | instskip(NEXT) | instid1(VALU_DEP_1)
	v_dual_sub_f32 v103, v103, v106 :: v_dual_sub_f32 v14, v14, v17
	v_add_f32_e32 v9, v9, v103
	s_delay_alu instid0(VALU_DEP_1) | instskip(NEXT) | instid1(VALU_DEP_1)
	v_add_f32_e32 v9, v14, v9
	v_add_f32_e32 v14, v107, v9
	s_delay_alu instid0(VALU_DEP_1) | instskip(NEXT) | instid1(VALU_DEP_1)
	v_mul_f32_e32 v17, v13, v14
	v_dual_sub_f32 v106, v107, v14 :: v_dual_mul_f32 v103, v102, v17
	s_delay_alu instid0(VALU_DEP_1) | instskip(NEXT) | instid1(VALU_DEP_2)
	v_add_f32_e32 v9, v9, v106
	v_fma_f32 v102, v17, v102, -v103
	s_delay_alu instid0(VALU_DEP_1) | instskip(NEXT) | instid1(VALU_DEP_1)
	v_fmac_f32_e32 v102, v17, v15
	v_add_f32_e32 v15, v103, v102
	s_delay_alu instid0(VALU_DEP_1) | instskip(NEXT) | instid1(VALU_DEP_1)
	v_sub_f32_e32 v105, v14, v15
	v_dual_sub_f32 v103, v15, v103 :: v_dual_sub_f32 v14, v14, v105
	s_delay_alu instid0(VALU_DEP_1) | instskip(NEXT) | instid1(VALU_DEP_1)
	v_dual_sub_f32 v14, v14, v15 :: v_dual_sub_f32 v15, v103, v102
	v_dual_add_f32 v9, v9, v14 :: v_dual_add_f32 v14, v104, v17
	s_delay_alu instid0(VALU_DEP_1) | instskip(NEXT) | instid1(VALU_DEP_2)
	v_add_f32_e32 v9, v15, v9
	v_sub_f32_e32 v15, v14, v104
	s_delay_alu instid0(VALU_DEP_2) | instskip(NEXT) | instid1(VALU_DEP_2)
	v_add_f32_e32 v9, v105, v9
	v_sub_f32_e32 v15, v17, v15
	s_delay_alu instid0(VALU_DEP_2) | instskip(NEXT) | instid1(VALU_DEP_1)
	v_mul_f32_e32 v9, v13, v9
	v_add_f32_e32 v9, v15, v9
	s_delay_alu instid0(VALU_DEP_1) | instskip(NEXT) | instid1(VALU_DEP_1)
	v_add_f32_e32 v13, v14, v9
	v_mul_f32_e32 v15, v13, v13
	s_delay_alu instid0(VALU_DEP_1) | instskip(NEXT) | instid1(VALU_DEP_1)
	v_fmaak_f32 v17, s84, v15, 0x3ecc95a3
	v_dual_mul_f32 v102, v13, v15 :: v_dual_fmaak_f32 v15, v15, v17, 0x3f2aaada
	v_ldexp_f32 v17, v13, 1
	v_sub_f32_e32 v13, v13, v14
	s_delay_alu instid0(VALU_DEP_3) | instskip(NEXT) | instid1(VALU_DEP_2)
	v_dual_mul_f32 v15, v102, v15 :: v_dual_mul_f32 v102, 0x3f317218, v8
	v_sub_f32_e32 v9, v9, v13
	s_delay_alu instid0(VALU_DEP_2) | instskip(NEXT) | instid1(VALU_DEP_2)
	v_add_f32_e32 v14, v17, v15
	v_ldexp_f32 v9, v9, 1
	s_delay_alu instid0(VALU_DEP_2) | instskip(SKIP_1) | instid1(VALU_DEP_2)
	v_sub_f32_e32 v13, v14, v17
	v_fma_f32 v17, 0x3f317218, v8, -v102
	v_sub_f32_e32 v13, v15, v13
	s_delay_alu instid0(VALU_DEP_1) | instskip(NEXT) | instid1(VALU_DEP_1)
	v_dual_fmac_f32 v17, 0xb102e308, v8 :: v_dual_add_f32 v8, v9, v13
	v_add_f32_e32 v9, v102, v17
	s_delay_alu instid0(VALU_DEP_1) | instskip(NEXT) | instid1(VALU_DEP_1)
	v_dual_add_f32 v13, v14, v8 :: v_dual_sub_f32 v102, v9, v102
	v_add_f32_e32 v15, v9, v13
	v_sub_f32_e32 v14, v13, v14
	s_delay_alu instid0(VALU_DEP_3) | instskip(NEXT) | instid1(VALU_DEP_2)
	v_sub_f32_e32 v17, v17, v102
	v_dual_sub_f32 v103, v15, v9 :: v_dual_sub_f32 v8, v8, v14
	s_delay_alu instid0(VALU_DEP_1) | instskip(SKIP_1) | instid1(VALU_DEP_3)
	v_sub_f32_e32 v104, v15, v103
	v_sub_f32_e32 v13, v13, v103
	v_add_f32_e32 v14, v17, v8
	s_delay_alu instid0(VALU_DEP_3) | instskip(NEXT) | instid1(VALU_DEP_1)
	v_sub_f32_e32 v9, v9, v104
	v_add_f32_e32 v9, v13, v9
	s_delay_alu instid0(VALU_DEP_3) | instskip(NEXT) | instid1(VALU_DEP_2)
	v_sub_f32_e32 v13, v14, v17
	v_add_f32_e32 v9, v14, v9
	s_delay_alu instid0(VALU_DEP_2) | instskip(SKIP_1) | instid1(VALU_DEP_3)
	v_sub_f32_e32 v14, v14, v13
	v_sub_f32_e32 v8, v8, v13
	v_add_f32_e32 v102, v15, v9
	s_delay_alu instid0(VALU_DEP_1) | instskip(NEXT) | instid1(VALU_DEP_1)
	v_dual_sub_f32 v14, v17, v14 :: v_dual_sub_f32 v13, v102, v15
	v_dual_add_f32 v8, v8, v14 :: v_dual_sub_f32 v9, v9, v13
	s_delay_alu instid0(VALU_DEP_1) | instskip(NEXT) | instid1(VALU_DEP_1)
	v_add_f32_e32 v8, v8, v9
	v_add_f32_e32 v8, v102, v8
	s_delay_alu instid0(VALU_DEP_1)
	v_cndmask_b32_e32 v102, v8, v12, vcc_lo
.LBB90_100:                             ;   in Loop: Header=BB90_12 Depth=1
	s_or_b32 exec_lo, exec_lo, s30
	v_lshrrev_b32_e32 v8, 16, v10
	s_delay_alu instid0(VALU_DEP_1) | instskip(NEXT) | instid1(VALU_DEP_1)
	v_cvt_f32_f16_e32 v8, v8
	v_add_f32_e32 v103, s67, v8
	s_delay_alu instid0(VALU_DEP_1) | instskip(SKIP_1) | instid1(SALU_CYCLE_1)
	v_cmp_ge_f32_e32 vcc_lo, 0x41a00000, v103
	s_and_b32 s29, s80, vcc_lo
	s_and_saveexec_b32 s30, s29
	s_cbranch_execz .LBB90_102
; %bb.101:                              ;   in Loop: Header=BB90_12 Depth=1
	v_mul_f32_e32 v8, 0x3fb8aa3b, v103
	v_cmp_ngt_f32_e32 vcc_lo, 0xc2ce8ed0, v103
	s_delay_alu instid0(VALU_DEP_2) | instskip(SKIP_1) | instid1(VALU_DEP_2)
	v_rndne_f32_e32 v9, v8
	v_fma_f32 v10, 0x3fb8aa3b, v103, -v8
	v_sub_f32_e32 v8, v8, v9
	s_delay_alu instid0(VALU_DEP_2) | instskip(SKIP_1) | instid1(VALU_DEP_2)
	v_fmac_f32_e32 v10, 0x32a5705f, v103
	v_cvt_i32_f32_e32 v9, v9
	v_add_f32_e32 v8, v8, v10
	s_delay_alu instid0(VALU_DEP_1) | instskip(SKIP_2) | instid1(VALU_DEP_1)
	v_exp_f32_e32 v8, v8
	s_waitcnt_depctr 0xfff
	v_ldexp_f32 v8, v8, v9
	v_cndmask_b32_e32 v8, 0, v8, vcc_lo
	v_cmp_nlt_f32_e32 vcc_lo, 0x42b17218, v103
	s_delay_alu instid0(VALU_DEP_2) | instskip(NEXT) | instid1(VALU_DEP_1)
	v_cndmask_b32_e32 v10, 0x7f800000, v8, vcc_lo
	v_add_f32_e32 v12, 1.0, v10
	s_delay_alu instid0(VALU_DEP_1) | instskip(NEXT) | instid1(VALU_DEP_1)
	v_cvt_f64_f32_e32 v[8:9], v12
	v_frexp_exp_i32_f64_e32 v8, v[8:9]
	v_frexp_mant_f32_e32 v9, v12
	s_delay_alu instid0(VALU_DEP_1) | instskip(SKIP_1) | instid1(VALU_DEP_1)
	v_cmp_gt_f32_e32 vcc_lo, 0x3f2aaaab, v9
	v_add_f32_e32 v9, -1.0, v12
	v_dual_sub_f32 v14, v9, v12 :: v_dual_sub_f32 v9, v10, v9
	v_subrev_co_ci_u32_e32 v8, vcc_lo, 0, v8, vcc_lo
	s_delay_alu instid0(VALU_DEP_1) | instskip(SKIP_1) | instid1(VALU_DEP_2)
	v_sub_nc_u32_e32 v13, 0, v8
	v_cvt_f32_i32_e32 v8, v8
	v_ldexp_f32 v12, v12, v13
	s_delay_alu instid0(VALU_DEP_1) | instskip(NEXT) | instid1(VALU_DEP_1)
	v_dual_add_f32 v14, 1.0, v14 :: v_dual_add_f32 v15, 1.0, v12
	v_add_f32_e32 v9, v9, v14
	s_delay_alu instid0(VALU_DEP_1) | instskip(NEXT) | instid1(VALU_DEP_3)
	v_ldexp_f32 v9, v9, v13
	v_dual_add_f32 v13, -1.0, v12 :: v_dual_add_f32 v14, -1.0, v15
	s_delay_alu instid0(VALU_DEP_1) | instskip(NEXT) | instid1(VALU_DEP_1)
	v_dual_add_f32 v17, 1.0, v13 :: v_dual_sub_f32 v14, v12, v14
	v_sub_f32_e32 v12, v12, v17
	s_delay_alu instid0(VALU_DEP_2) | instskip(NEXT) | instid1(VALU_DEP_2)
	v_add_f32_e32 v14, v9, v14
	v_add_f32_e32 v9, v9, v12
	s_delay_alu instid0(VALU_DEP_2) | instskip(SKIP_2) | instid1(VALU_DEP_4)
	v_add_f32_e32 v17, v15, v14
	v_cmp_eq_f32_e32 vcc_lo, 0x7f800000, v10
	v_cmp_gt_f32_e64 s29, 0x33800000, v10
	v_add_f32_e32 v103, v13, v9
	s_delay_alu instid0(VALU_DEP_4) | instskip(SKIP_1) | instid1(VALU_DEP_3)
	v_rcp_f32_e32 v12, v17
	v_sub_f32_e32 v15, v15, v17
	s_or_b32 vcc_lo, s29, vcc_lo
	s_delay_alu instid0(VALU_DEP_2) | instskip(NEXT) | instid1(VALU_DEP_1)
	v_sub_f32_e32 v13, v13, v103
	v_dual_add_f32 v14, v14, v15 :: v_dual_add_f32 v9, v9, v13
	s_waitcnt_depctr 0xfff
	v_mul_f32_e32 v104, v103, v12
	s_delay_alu instid0(VALU_DEP_1) | instskip(NEXT) | instid1(VALU_DEP_1)
	v_mul_f32_e32 v105, v17, v104
	v_fma_f32 v15, v104, v17, -v105
	s_delay_alu instid0(VALU_DEP_1) | instskip(NEXT) | instid1(VALU_DEP_1)
	v_fmac_f32_e32 v15, v104, v14
	v_add_f32_e32 v106, v105, v15
	s_delay_alu instid0(VALU_DEP_1) | instskip(SKIP_1) | instid1(VALU_DEP_2)
	v_sub_f32_e32 v107, v103, v106
	v_sub_f32_e32 v13, v106, v105
	;; [unrolled: 1-line block ×3, first 2 shown]
	s_delay_alu instid0(VALU_DEP_2) | instskip(NEXT) | instid1(VALU_DEP_2)
	v_sub_f32_e32 v13, v13, v15
	v_sub_f32_e32 v103, v103, v106
	s_delay_alu instid0(VALU_DEP_1) | instskip(NEXT) | instid1(VALU_DEP_1)
	v_add_f32_e32 v9, v9, v103
	v_add_f32_e32 v9, v13, v9
	s_delay_alu instid0(VALU_DEP_1) | instskip(NEXT) | instid1(VALU_DEP_1)
	v_add_f32_e32 v13, v107, v9
	v_mul_f32_e32 v15, v12, v13
	s_delay_alu instid0(VALU_DEP_1) | instskip(NEXT) | instid1(VALU_DEP_1)
	v_dual_sub_f32 v106, v107, v13 :: v_dual_mul_f32 v103, v17, v15
	v_add_f32_e32 v9, v9, v106
	s_delay_alu instid0(VALU_DEP_2) | instskip(NEXT) | instid1(VALU_DEP_1)
	v_fma_f32 v17, v15, v17, -v103
	v_fmac_f32_e32 v17, v15, v14
	s_delay_alu instid0(VALU_DEP_1) | instskip(NEXT) | instid1(VALU_DEP_1)
	v_add_f32_e32 v14, v103, v17
	v_sub_f32_e32 v105, v13, v14
	v_sub_f32_e32 v103, v14, v103
	s_delay_alu instid0(VALU_DEP_2) | instskip(NEXT) | instid1(VALU_DEP_1)
	v_sub_f32_e32 v13, v13, v105
	v_dual_sub_f32 v13, v13, v14 :: v_dual_sub_f32 v14, v103, v17
	s_delay_alu instid0(VALU_DEP_1) | instskip(SKIP_1) | instid1(VALU_DEP_1)
	v_add_f32_e32 v9, v9, v13
	v_add_f32_e32 v13, v104, v15
	v_dual_add_f32 v9, v14, v9 :: v_dual_sub_f32 v14, v13, v104
	s_delay_alu instid0(VALU_DEP_1) | instskip(NEXT) | instid1(VALU_DEP_1)
	v_dual_add_f32 v9, v105, v9 :: v_dual_sub_f32 v14, v15, v14
	v_mul_f32_e32 v9, v12, v9
	s_delay_alu instid0(VALU_DEP_1) | instskip(NEXT) | instid1(VALU_DEP_1)
	v_add_f32_e32 v9, v14, v9
	v_add_f32_e32 v12, v13, v9
	s_delay_alu instid0(VALU_DEP_1) | instskip(NEXT) | instid1(VALU_DEP_1)
	v_mul_f32_e32 v14, v12, v12
	v_fmaak_f32 v15, s84, v14, 0x3ecc95a3
	s_delay_alu instid0(VALU_DEP_1) | instskip(SKIP_2) | instid1(VALU_DEP_3)
	v_dual_mul_f32 v17, v12, v14 :: v_dual_fmaak_f32 v14, v14, v15, 0x3f2aaada
	v_ldexp_f32 v15, v12, 1
	v_sub_f32_e32 v12, v12, v13
	v_dual_mul_f32 v14, v17, v14 :: v_dual_mul_f32 v17, 0x3f317218, v8
	s_delay_alu instid0(VALU_DEP_2) | instskip(NEXT) | instid1(VALU_DEP_2)
	v_sub_f32_e32 v9, v9, v12
	v_add_f32_e32 v13, v15, v14
	s_delay_alu instid0(VALU_DEP_2) | instskip(NEXT) | instid1(VALU_DEP_2)
	v_ldexp_f32 v9, v9, 1
	v_sub_f32_e32 v12, v13, v15
	v_fma_f32 v15, 0x3f317218, v8, -v17
	s_delay_alu instid0(VALU_DEP_2) | instskip(NEXT) | instid1(VALU_DEP_2)
	v_sub_f32_e32 v12, v14, v12
	v_fmac_f32_e32 v15, 0xb102e308, v8
	s_delay_alu instid0(VALU_DEP_2) | instskip(NEXT) | instid1(VALU_DEP_2)
	v_add_f32_e32 v8, v9, v12
	v_add_f32_e32 v9, v17, v15
	s_delay_alu instid0(VALU_DEP_2) | instskip(NEXT) | instid1(VALU_DEP_2)
	v_add_f32_e32 v12, v13, v8
	v_sub_f32_e32 v17, v9, v17
	s_delay_alu instid0(VALU_DEP_2) | instskip(NEXT) | instid1(VALU_DEP_2)
	v_dual_add_f32 v14, v9, v12 :: v_dual_sub_f32 v13, v12, v13
	v_sub_f32_e32 v15, v15, v17
	s_delay_alu instid0(VALU_DEP_2) | instskip(NEXT) | instid1(VALU_DEP_3)
	v_sub_f32_e32 v103, v14, v9
	v_sub_f32_e32 v8, v8, v13
	s_delay_alu instid0(VALU_DEP_2) | instskip(NEXT) | instid1(VALU_DEP_2)
	v_sub_f32_e32 v104, v14, v103
	v_dual_sub_f32 v12, v12, v103 :: v_dual_add_f32 v13, v15, v8
	s_delay_alu instid0(VALU_DEP_2) | instskip(NEXT) | instid1(VALU_DEP_1)
	v_sub_f32_e32 v9, v9, v104
	v_dual_add_f32 v9, v12, v9 :: v_dual_sub_f32 v12, v13, v15
	s_delay_alu instid0(VALU_DEP_1) | instskip(NEXT) | instid1(VALU_DEP_2)
	v_add_f32_e32 v9, v13, v9
	v_sub_f32_e32 v13, v13, v12
	s_delay_alu instid0(VALU_DEP_2) | instskip(NEXT) | instid1(VALU_DEP_1)
	v_dual_sub_f32 v8, v8, v12 :: v_dual_add_f32 v17, v14, v9
	v_dual_sub_f32 v13, v15, v13 :: v_dual_sub_f32 v12, v17, v14
	s_delay_alu instid0(VALU_DEP_1) | instskip(NEXT) | instid1(VALU_DEP_1)
	v_dual_add_f32 v8, v8, v13 :: v_dual_sub_f32 v9, v9, v12
	v_add_f32_e32 v8, v8, v9
	s_delay_alu instid0(VALU_DEP_1) | instskip(NEXT) | instid1(VALU_DEP_1)
	v_add_f32_e32 v8, v17, v8
	v_cndmask_b32_e32 v103, v8, v10, vcc_lo
.LBB90_102:                             ;   in Loop: Header=BB90_12 Depth=1
	s_or_b32 exec_lo, exec_lo, s30
	v_cvt_f32_f16_e32 v8, v11
	s_delay_alu instid0(VALU_DEP_1) | instskip(NEXT) | instid1(VALU_DEP_1)
	v_add_f32_e32 v104, s67, v8
	v_cmp_ge_f32_e32 vcc_lo, 0x41a00000, v104
	s_and_b32 s29, s80, vcc_lo
	s_delay_alu instid0(SALU_CYCLE_1)
	s_and_saveexec_b32 s30, s29
	s_cbranch_execz .LBB90_104
; %bb.103:                              ;   in Loop: Header=BB90_12 Depth=1
	v_mul_f32_e32 v8, 0x3fb8aa3b, v104
	v_cmp_ngt_f32_e32 vcc_lo, 0xc2ce8ed0, v104
	s_delay_alu instid0(VALU_DEP_2) | instskip(SKIP_1) | instid1(VALU_DEP_2)
	v_rndne_f32_e32 v9, v8
	v_fma_f32 v10, 0x3fb8aa3b, v104, -v8
	v_sub_f32_e32 v8, v8, v9
	s_delay_alu instid0(VALU_DEP_2) | instskip(SKIP_1) | instid1(VALU_DEP_2)
	v_fmac_f32_e32 v10, 0x32a5705f, v104
	v_cvt_i32_f32_e32 v9, v9
	v_add_f32_e32 v8, v8, v10
	s_delay_alu instid0(VALU_DEP_1) | instskip(SKIP_2) | instid1(VALU_DEP_1)
	v_exp_f32_e32 v8, v8
	s_waitcnt_depctr 0xfff
	v_ldexp_f32 v8, v8, v9
	v_cndmask_b32_e32 v8, 0, v8, vcc_lo
	v_cmp_nlt_f32_e32 vcc_lo, 0x42b17218, v104
	s_delay_alu instid0(VALU_DEP_2) | instskip(NEXT) | instid1(VALU_DEP_1)
	v_cndmask_b32_e32 v10, 0x7f800000, v8, vcc_lo
	v_add_f32_e32 v12, 1.0, v10
	s_delay_alu instid0(VALU_DEP_1) | instskip(NEXT) | instid1(VALU_DEP_1)
	v_cvt_f64_f32_e32 v[8:9], v12
	v_frexp_exp_i32_f64_e32 v8, v[8:9]
	v_frexp_mant_f32_e32 v9, v12
	s_delay_alu instid0(VALU_DEP_1) | instskip(SKIP_1) | instid1(VALU_DEP_1)
	v_cmp_gt_f32_e32 vcc_lo, 0x3f2aaaab, v9
	v_add_f32_e32 v9, -1.0, v12
	v_dual_sub_f32 v14, v9, v12 :: v_dual_sub_f32 v9, v10, v9
	v_subrev_co_ci_u32_e32 v8, vcc_lo, 0, v8, vcc_lo
	s_delay_alu instid0(VALU_DEP_1) | instskip(SKIP_1) | instid1(VALU_DEP_2)
	v_sub_nc_u32_e32 v13, 0, v8
	v_cvt_f32_i32_e32 v8, v8
	v_ldexp_f32 v12, v12, v13
	s_delay_alu instid0(VALU_DEP_1) | instskip(NEXT) | instid1(VALU_DEP_1)
	v_dual_add_f32 v14, 1.0, v14 :: v_dual_add_f32 v15, 1.0, v12
	v_add_f32_e32 v9, v9, v14
	s_delay_alu instid0(VALU_DEP_1) | instskip(NEXT) | instid1(VALU_DEP_3)
	v_ldexp_f32 v9, v9, v13
	v_dual_add_f32 v13, -1.0, v12 :: v_dual_add_f32 v14, -1.0, v15
	s_delay_alu instid0(VALU_DEP_1) | instskip(NEXT) | instid1(VALU_DEP_1)
	v_dual_add_f32 v17, 1.0, v13 :: v_dual_sub_f32 v14, v12, v14
	v_sub_f32_e32 v12, v12, v17
	s_delay_alu instid0(VALU_DEP_2) | instskip(NEXT) | instid1(VALU_DEP_2)
	v_add_f32_e32 v14, v9, v14
	v_add_f32_e32 v9, v9, v12
	s_delay_alu instid0(VALU_DEP_2) | instskip(SKIP_2) | instid1(VALU_DEP_4)
	v_add_f32_e32 v17, v15, v14
	v_cmp_eq_f32_e32 vcc_lo, 0x7f800000, v10
	v_cmp_gt_f32_e64 s29, 0x33800000, v10
	v_add_f32_e32 v104, v13, v9
	s_delay_alu instid0(VALU_DEP_4) | instskip(SKIP_1) | instid1(VALU_DEP_3)
	v_rcp_f32_e32 v12, v17
	v_sub_f32_e32 v15, v15, v17
	s_or_b32 vcc_lo, s29, vcc_lo
	s_delay_alu instid0(VALU_DEP_2) | instskip(NEXT) | instid1(VALU_DEP_1)
	v_sub_f32_e32 v13, v13, v104
	v_add_f32_e32 v9, v9, v13
	s_waitcnt_depctr 0xfff
	v_dual_mul_f32 v105, v104, v12 :: v_dual_add_f32 v14, v14, v15
	s_delay_alu instid0(VALU_DEP_1) | instskip(NEXT) | instid1(VALU_DEP_1)
	v_mul_f32_e32 v106, v17, v105
	v_fma_f32 v15, v105, v17, -v106
	s_delay_alu instid0(VALU_DEP_1) | instskip(NEXT) | instid1(VALU_DEP_1)
	v_fmac_f32_e32 v15, v105, v14
	v_add_f32_e32 v107, v106, v15
	s_delay_alu instid0(VALU_DEP_1) | instskip(NEXT) | instid1(VALU_DEP_1)
	v_dual_sub_f32 v13, v107, v106 :: v_dual_sub_f32 v108, v104, v107
	v_dual_sub_f32 v13, v13, v15 :: v_dual_sub_f32 v104, v104, v108
	s_delay_alu instid0(VALU_DEP_1) | instskip(NEXT) | instid1(VALU_DEP_1)
	v_sub_f32_e32 v104, v104, v107
	v_add_f32_e32 v9, v9, v104
	s_delay_alu instid0(VALU_DEP_1) | instskip(NEXT) | instid1(VALU_DEP_1)
	v_add_f32_e32 v9, v13, v9
	v_add_f32_e32 v13, v108, v9
	s_delay_alu instid0(VALU_DEP_1) | instskip(NEXT) | instid1(VALU_DEP_1)
	v_mul_f32_e32 v15, v12, v13
	v_mul_f32_e32 v104, v17, v15
	s_delay_alu instid0(VALU_DEP_1) | instskip(NEXT) | instid1(VALU_DEP_1)
	v_fma_f32 v17, v15, v17, -v104
	v_fmac_f32_e32 v17, v15, v14
	s_delay_alu instid0(VALU_DEP_1) | instskip(NEXT) | instid1(VALU_DEP_1)
	v_add_f32_e32 v14, v104, v17
	v_dual_sub_f32 v107, v108, v13 :: v_dual_sub_f32 v106, v13, v14
	s_delay_alu instid0(VALU_DEP_1) | instskip(NEXT) | instid1(VALU_DEP_2)
	v_dual_sub_f32 v13, v13, v106 :: v_dual_sub_f32 v104, v14, v104
	v_add_f32_e32 v9, v9, v107
	s_delay_alu instid0(VALU_DEP_2) | instskip(NEXT) | instid1(VALU_DEP_1)
	v_dual_sub_f32 v13, v13, v14 :: v_dual_sub_f32 v14, v104, v17
	v_add_f32_e32 v9, v9, v13
	v_add_f32_e32 v13, v105, v15
	s_delay_alu instid0(VALU_DEP_2) | instskip(NEXT) | instid1(VALU_DEP_2)
	v_add_f32_e32 v9, v14, v9
	v_sub_f32_e32 v14, v13, v105
	s_delay_alu instid0(VALU_DEP_1) | instskip(NEXT) | instid1(VALU_DEP_1)
	v_dual_add_f32 v9, v106, v9 :: v_dual_sub_f32 v14, v15, v14
	v_mul_f32_e32 v9, v12, v9
	s_delay_alu instid0(VALU_DEP_1) | instskip(NEXT) | instid1(VALU_DEP_1)
	v_add_f32_e32 v9, v14, v9
	v_add_f32_e32 v12, v13, v9
	s_delay_alu instid0(VALU_DEP_1) | instskip(NEXT) | instid1(VALU_DEP_1)
	v_mul_f32_e32 v14, v12, v12
	v_fmaak_f32 v15, s84, v14, 0x3ecc95a3
	s_delay_alu instid0(VALU_DEP_1) | instskip(SKIP_1) | instid1(VALU_DEP_2)
	v_dual_mul_f32 v17, v12, v14 :: v_dual_fmaak_f32 v14, v14, v15, 0x3f2aaada
	v_ldexp_f32 v15, v12, 1
	v_mul_f32_e32 v14, v17, v14
	v_dual_sub_f32 v12, v12, v13 :: v_dual_mul_f32 v17, 0x3f317218, v8
	s_delay_alu instid0(VALU_DEP_2) | instskip(NEXT) | instid1(VALU_DEP_2)
	v_add_f32_e32 v13, v15, v14
	v_sub_f32_e32 v9, v9, v12
	s_delay_alu instid0(VALU_DEP_2) | instskip(NEXT) | instid1(VALU_DEP_4)
	v_sub_f32_e32 v12, v13, v15
	v_fma_f32 v15, 0x3f317218, v8, -v17
	s_delay_alu instid0(VALU_DEP_3) | instskip(NEXT) | instid1(VALU_DEP_3)
	v_ldexp_f32 v9, v9, 1
	v_sub_f32_e32 v12, v14, v12
	s_delay_alu instid0(VALU_DEP_3) | instskip(NEXT) | instid1(VALU_DEP_2)
	v_fmac_f32_e32 v15, 0xb102e308, v8
	v_add_f32_e32 v8, v9, v12
	s_delay_alu instid0(VALU_DEP_1) | instskip(NEXT) | instid1(VALU_DEP_3)
	v_add_f32_e32 v12, v13, v8
	v_add_f32_e32 v9, v17, v15
	s_delay_alu instid0(VALU_DEP_1) | instskip(NEXT) | instid1(VALU_DEP_1)
	v_dual_sub_f32 v13, v12, v13 :: v_dual_add_f32 v14, v9, v12
	v_sub_f32_e32 v8, v8, v13
	s_delay_alu instid0(VALU_DEP_2) | instskip(NEXT) | instid1(VALU_DEP_1)
	v_sub_f32_e32 v104, v14, v9
	v_dual_sub_f32 v12, v12, v104 :: v_dual_sub_f32 v17, v9, v17
	s_delay_alu instid0(VALU_DEP_1) | instskip(NEXT) | instid1(VALU_DEP_1)
	v_sub_f32_e32 v15, v15, v17
	v_add_f32_e32 v13, v15, v8
	v_sub_f32_e32 v105, v14, v104
	s_delay_alu instid0(VALU_DEP_1) | instskip(NEXT) | instid1(VALU_DEP_1)
	v_sub_f32_e32 v9, v9, v105
	v_dual_add_f32 v9, v12, v9 :: v_dual_sub_f32 v12, v13, v15
	s_delay_alu instid0(VALU_DEP_1) | instskip(NEXT) | instid1(VALU_DEP_2)
	v_add_f32_e32 v9, v13, v9
	v_sub_f32_e32 v13, v13, v12
	s_delay_alu instid0(VALU_DEP_2) | instskip(NEXT) | instid1(VALU_DEP_1)
	v_dual_sub_f32 v8, v8, v12 :: v_dual_add_f32 v17, v14, v9
	v_dual_sub_f32 v12, v17, v14 :: v_dual_sub_f32 v13, v15, v13
	s_delay_alu instid0(VALU_DEP_1) | instskip(NEXT) | instid1(VALU_DEP_1)
	v_dual_sub_f32 v9, v9, v12 :: v_dual_add_f32 v8, v8, v13
	v_add_f32_e32 v8, v8, v9
	s_delay_alu instid0(VALU_DEP_1) | instskip(NEXT) | instid1(VALU_DEP_1)
	v_add_f32_e32 v8, v17, v8
	v_cndmask_b32_e32 v104, v8, v10, vcc_lo
.LBB90_104:                             ;   in Loop: Header=BB90_12 Depth=1
	s_or_b32 exec_lo, exec_lo, s30
	v_lshrrev_b32_e32 v8, 16, v11
	s_delay_alu instid0(VALU_DEP_1) | instskip(NEXT) | instid1(VALU_DEP_1)
	v_cvt_f32_f16_e32 v8, v8
	v_add_f32_e32 v111, s67, v8
	s_delay_alu instid0(VALU_DEP_1) | instskip(SKIP_1) | instid1(SALU_CYCLE_1)
	v_cmp_ge_f32_e32 vcc_lo, 0x41a00000, v111
	s_and_b32 s29, s80, vcc_lo
	s_and_saveexec_b32 s30, s29
	s_cbranch_execz .LBB90_106
; %bb.105:                              ;   in Loop: Header=BB90_12 Depth=1
	v_mul_f32_e32 v8, 0x3fb8aa3b, v111
	v_cmp_ngt_f32_e32 vcc_lo, 0xc2ce8ed0, v111
	s_delay_alu instid0(VALU_DEP_2) | instskip(SKIP_1) | instid1(VALU_DEP_2)
	v_rndne_f32_e32 v9, v8
	v_fma_f32 v10, 0x3fb8aa3b, v111, -v8
	v_sub_f32_e32 v8, v8, v9
	s_delay_alu instid0(VALU_DEP_2) | instskip(SKIP_1) | instid1(VALU_DEP_2)
	v_fmac_f32_e32 v10, 0x32a5705f, v111
	v_cvt_i32_f32_e32 v9, v9
	v_add_f32_e32 v8, v8, v10
	s_delay_alu instid0(VALU_DEP_1) | instskip(SKIP_2) | instid1(VALU_DEP_1)
	v_exp_f32_e32 v8, v8
	s_waitcnt_depctr 0xfff
	v_ldexp_f32 v8, v8, v9
	v_cndmask_b32_e32 v8, 0, v8, vcc_lo
	v_cmp_nlt_f32_e32 vcc_lo, 0x42b17218, v111
	s_delay_alu instid0(VALU_DEP_2) | instskip(NEXT) | instid1(VALU_DEP_1)
	v_cndmask_b32_e32 v10, 0x7f800000, v8, vcc_lo
	v_add_f32_e32 v11, 1.0, v10
	s_delay_alu instid0(VALU_DEP_1) | instskip(NEXT) | instid1(VALU_DEP_1)
	v_cvt_f64_f32_e32 v[8:9], v11
	v_frexp_exp_i32_f64_e32 v8, v[8:9]
	v_frexp_mant_f32_e32 v9, v11
	s_delay_alu instid0(VALU_DEP_1) | instskip(SKIP_1) | instid1(VALU_DEP_1)
	v_cmp_gt_f32_e32 vcc_lo, 0x3f2aaaab, v9
	v_add_f32_e32 v9, -1.0, v11
	v_sub_f32_e32 v13, v9, v11
	v_sub_f32_e32 v9, v10, v9
	s_delay_alu instid0(VALU_DEP_2) | instskip(NEXT) | instid1(VALU_DEP_1)
	v_add_f32_e32 v13, 1.0, v13
	v_add_f32_e32 v9, v9, v13
	v_cmp_gt_f32_e64 s29, 0x33800000, v10
	v_subrev_co_ci_u32_e32 v8, vcc_lo, 0, v8, vcc_lo
	v_cmp_eq_f32_e32 vcc_lo, 0x7f800000, v10
	s_delay_alu instid0(VALU_DEP_2) | instskip(SKIP_2) | instid1(VALU_DEP_2)
	v_sub_nc_u32_e32 v12, 0, v8
	v_cvt_f32_i32_e32 v8, v8
	s_or_b32 vcc_lo, s29, vcc_lo
	v_ldexp_f32 v11, v11, v12
	v_ldexp_f32 v9, v9, v12
	s_delay_alu instid0(VALU_DEP_2) | instskip(NEXT) | instid1(VALU_DEP_1)
	v_add_f32_e32 v14, 1.0, v11
	v_dual_add_f32 v12, -1.0, v11 :: v_dual_add_f32 v13, -1.0, v14
	s_delay_alu instid0(VALU_DEP_1) | instskip(NEXT) | instid1(VALU_DEP_2)
	v_add_f32_e32 v15, 1.0, v12
	v_sub_f32_e32 v13, v11, v13
	s_delay_alu instid0(VALU_DEP_2) | instskip(NEXT) | instid1(VALU_DEP_2)
	v_sub_f32_e32 v11, v11, v15
	v_add_f32_e32 v13, v9, v13
	s_delay_alu instid0(VALU_DEP_2) | instskip(NEXT) | instid1(VALU_DEP_1)
	v_add_f32_e32 v9, v9, v11
	v_add_f32_e32 v17, v12, v9
	s_delay_alu instid0(VALU_DEP_3) | instskip(NEXT) | instid1(VALU_DEP_2)
	v_add_f32_e32 v15, v14, v13
	v_sub_f32_e32 v12, v12, v17
	s_delay_alu instid0(VALU_DEP_2) | instskip(SKIP_1) | instid1(VALU_DEP_1)
	v_rcp_f32_e32 v11, v15
	v_sub_f32_e32 v14, v14, v15
	v_add_f32_e32 v13, v13, v14
	s_waitcnt_depctr 0xfff
	v_mul_f32_e32 v105, v17, v11
	s_delay_alu instid0(VALU_DEP_1) | instskip(NEXT) | instid1(VALU_DEP_1)
	v_dual_mul_f32 v106, v15, v105 :: v_dual_add_f32 v9, v9, v12
	v_fma_f32 v14, v105, v15, -v106
	s_delay_alu instid0(VALU_DEP_1) | instskip(NEXT) | instid1(VALU_DEP_1)
	v_fmac_f32_e32 v14, v105, v13
	v_add_f32_e32 v107, v106, v14
	s_delay_alu instid0(VALU_DEP_1) | instskip(SKIP_1) | instid1(VALU_DEP_1)
	v_sub_f32_e32 v12, v107, v106
	v_sub_f32_e32 v108, v17, v107
	v_dual_sub_f32 v12, v12, v14 :: v_dual_sub_f32 v17, v17, v108
	s_delay_alu instid0(VALU_DEP_1) | instskip(NEXT) | instid1(VALU_DEP_1)
	v_sub_f32_e32 v17, v17, v107
	v_add_f32_e32 v9, v9, v17
	s_delay_alu instid0(VALU_DEP_1) | instskip(NEXT) | instid1(VALU_DEP_1)
	v_add_f32_e32 v9, v12, v9
	v_add_f32_e32 v12, v108, v9
	s_delay_alu instid0(VALU_DEP_1) | instskip(SKIP_1) | instid1(VALU_DEP_2)
	v_mul_f32_e32 v14, v11, v12
	v_sub_f32_e32 v107, v108, v12
	v_mul_f32_e32 v17, v15, v14
	s_delay_alu instid0(VALU_DEP_2) | instskip(NEXT) | instid1(VALU_DEP_2)
	v_add_f32_e32 v9, v9, v107
	v_fma_f32 v15, v14, v15, -v17
	s_delay_alu instid0(VALU_DEP_1) | instskip(NEXT) | instid1(VALU_DEP_1)
	v_fmac_f32_e32 v15, v14, v13
	v_add_f32_e32 v13, v17, v15
	s_delay_alu instid0(VALU_DEP_1) | instskip(NEXT) | instid1(VALU_DEP_1)
	v_sub_f32_e32 v106, v12, v13
	v_dual_sub_f32 v17, v13, v17 :: v_dual_sub_f32 v12, v12, v106
	s_delay_alu instid0(VALU_DEP_1) | instskip(NEXT) | instid1(VALU_DEP_1)
	v_dual_sub_f32 v12, v12, v13 :: v_dual_sub_f32 v13, v17, v15
	v_add_f32_e32 v9, v9, v12
	v_add_f32_e32 v12, v105, v14
	s_delay_alu instid0(VALU_DEP_2) | instskip(NEXT) | instid1(VALU_DEP_2)
	v_add_f32_e32 v9, v13, v9
	v_sub_f32_e32 v13, v12, v105
	s_delay_alu instid0(VALU_DEP_2) | instskip(NEXT) | instid1(VALU_DEP_2)
	v_add_f32_e32 v9, v106, v9
	v_sub_f32_e32 v13, v14, v13
	s_delay_alu instid0(VALU_DEP_2) | instskip(NEXT) | instid1(VALU_DEP_1)
	v_mul_f32_e32 v9, v11, v9
	v_add_f32_e32 v9, v13, v9
	s_delay_alu instid0(VALU_DEP_1) | instskip(NEXT) | instid1(VALU_DEP_1)
	v_add_f32_e32 v11, v12, v9
	v_mul_f32_e32 v13, v11, v11
	s_delay_alu instid0(VALU_DEP_1) | instskip(SKIP_1) | instid1(VALU_DEP_2)
	v_fmaak_f32 v14, s84, v13, 0x3ecc95a3
	v_mul_f32_e32 v15, v11, v13
	v_fmaak_f32 v13, v13, v14, 0x3f2aaada
	v_ldexp_f32 v14, v11, 1
	v_sub_f32_e32 v11, v11, v12
	s_delay_alu instid0(VALU_DEP_3) | instskip(SKIP_1) | instid1(VALU_DEP_2)
	v_mul_f32_e32 v13, v15, v13
	v_mul_f32_e32 v15, 0x3f317218, v8
	v_dual_sub_f32 v9, v9, v11 :: v_dual_add_f32 v12, v14, v13
	s_delay_alu instid0(VALU_DEP_1) | instskip(NEXT) | instid1(VALU_DEP_2)
	v_ldexp_f32 v9, v9, 1
	v_sub_f32_e32 v11, v12, v14
	s_delay_alu instid0(VALU_DEP_4) | instskip(NEXT) | instid1(VALU_DEP_1)
	v_fma_f32 v14, 0x3f317218, v8, -v15
	v_dual_sub_f32 v11, v13, v11 :: v_dual_fmac_f32 v14, 0xb102e308, v8
	s_delay_alu instid0(VALU_DEP_1) | instskip(NEXT) | instid1(VALU_DEP_1)
	v_dual_add_f32 v8, v9, v11 :: v_dual_add_f32 v9, v15, v14
	v_add_f32_e32 v11, v12, v8
	s_delay_alu instid0(VALU_DEP_2) | instskip(NEXT) | instid1(VALU_DEP_2)
	v_sub_f32_e32 v15, v9, v15
	v_dual_add_f32 v13, v9, v11 :: v_dual_sub_f32 v12, v11, v12
	s_delay_alu instid0(VALU_DEP_1) | instskip(NEXT) | instid1(VALU_DEP_1)
	v_dual_sub_f32 v14, v14, v15 :: v_dual_sub_f32 v17, v13, v9
	v_dual_sub_f32 v8, v8, v12 :: v_dual_sub_f32 v105, v13, v17
	s_delay_alu instid0(VALU_DEP_1) | instskip(NEXT) | instid1(VALU_DEP_2)
	v_dual_sub_f32 v11, v11, v17 :: v_dual_add_f32 v12, v14, v8
	v_sub_f32_e32 v9, v9, v105
	s_delay_alu instid0(VALU_DEP_1) | instskip(NEXT) | instid1(VALU_DEP_3)
	v_add_f32_e32 v9, v11, v9
	v_sub_f32_e32 v11, v12, v14
	s_delay_alu instid0(VALU_DEP_2) | instskip(NEXT) | instid1(VALU_DEP_2)
	v_add_f32_e32 v9, v12, v9
	v_sub_f32_e32 v12, v12, v11
	s_delay_alu instid0(VALU_DEP_2) | instskip(NEXT) | instid1(VALU_DEP_1)
	v_dual_sub_f32 v8, v8, v11 :: v_dual_add_f32 v15, v13, v9
	v_dual_sub_f32 v12, v14, v12 :: v_dual_sub_f32 v11, v15, v13
	s_delay_alu instid0(VALU_DEP_1) | instskip(NEXT) | instid1(VALU_DEP_1)
	v_dual_add_f32 v8, v8, v12 :: v_dual_sub_f32 v9, v9, v11
	v_add_f32_e32 v8, v8, v9
	s_delay_alu instid0(VALU_DEP_1) | instskip(NEXT) | instid1(VALU_DEP_1)
	v_add_f32_e32 v8, v15, v8
	v_cndmask_b32_e32 v111, v8, v10, vcc_lo
.LBB90_106:                             ;   in Loop: Header=BB90_12 Depth=1
	s_or_b32 exec_lo, exec_lo, s30
	v_lshrrev_b32_e32 v9, 16, v6
	v_lshrrev_b32_e32 v10, 16, v7
	;; [unrolled: 1-line block ×6, first 2 shown]
	v_cvt_f32_f16_e32 v8, v7
	v_cvt_f32_f16_e32 v7, v9
	;; [unrolled: 1-line block ×7, first 2 shown]
	v_lshrrev_b32_e32 v14, 16, v1
	v_lshrrev_b32_e32 v15, 16, v0
	v_cvt_f32_f16_e32 v6, v6
	v_cvt_f32_f16_e32 v5, v5
	;; [unrolled: 1-line block ×9, first 2 shown]
	v_dual_mul_f32 v105, s68, v8 :: v_dual_mul_f32 v106, s68, v7
	v_dual_mul_f32 v107, s68, v6 :: v_dual_mul_f32 v108, s68, v9
	;; [unrolled: 1-line block ×8, first 2 shown]
	s_and_b32 vcc_lo, exec_lo, s81
	s_barrier
	buffer_gl0_inv
	s_cbranch_vccz .LBB90_204
; %bb.107:                              ;   in Loop: Header=BB90_12 Depth=1
	v_dual_mul_f32 v122, v111, v11 :: v_dual_mul_f32 v127, v104, v8
	v_add_co_u32 v11, s29, s53, v16
	s_delay_alu instid0(VALU_DEP_1) | instskip(SKIP_1) | instid1(VALU_DEP_1)
	v_add_co_ci_u32_e64 v17, null, s74, 0, s29
	v_add_co_u32 v16, s29, s57, v16
	v_add_co_ci_u32_e64 v126, null, s75, 0, s29
	s_delay_alu instid0(VALU_DEP_4) | instskip(NEXT) | instid1(VALU_DEP_4)
	v_add_co_u32 v123, vcc_lo, v11, v89
	v_add_co_ci_u32_e32 v124, vcc_lo, 0, v17, vcc_lo
	s_delay_alu instid0(VALU_DEP_4) | instskip(NEXT) | instid1(VALU_DEP_4)
	v_add_co_u32 v125, vcc_lo, v16, v89
	v_add_co_ci_u32_e32 v126, vcc_lo, 0, v126, vcc_lo
	v_cmp_gt_u32_e32 vcc_lo, s41, v18
	s_cmp_lg_u32 s86, 0
	v_cmp_gt_u32_e64 s31, s41, v75
	s_cselect_b32 s51, -1, 0
	s_cmp_eq_u32 s86, s83
	v_cmp_gt_u32_e64 s33, s41, v76
	s_cselect_b32 s87, -1, 0
	s_or_b32 s29, s82, vcc_lo
	v_cmp_gt_u32_e32 vcc_lo, s41, v74
	v_cmp_gt_u32_e64 s34, s41, v77
	v_cmp_gt_u32_e64 s35, s41, v78
	;; [unrolled: 1-line block ×4, first 2 shown]
	s_or_b32 s30, s82, vcc_lo
	v_cmp_gt_u32_e32 vcc_lo, s41, v79
	v_cmp_gt_u32_e64 s39, s41, v82
	v_cmp_gt_u32_e64 s40, s41, v83
	;; [unrolled: 1-line block ×4, first 2 shown]
	s_or_b32 s36, s82, vcc_lo
	v_cmp_gt_u32_e32 vcc_lo, s41, v84
	v_cmp_gt_u32_e64 s44, s41, v87
	v_cmp_gt_u32_e64 s45, s41, v88
	v_dual_mul_f32 v128, v103, v7 :: v_dual_mul_f32 v129, v102, v6
	v_dual_mul_f32 v130, v101, v9 :: v_dual_mul_f32 v133, v98, v4
	;; [unrolled: 1-line block ×7, first 2 shown]
	s_mov_b32 s64, 0
	s_or_b32 s31, s82, s31
	s_or_b32 s33, s82, s33
	;; [unrolled: 1-line block ×8, first 2 shown]
	s_or_b32 s41, s82, vcc_lo
	s_or_b32 s42, s82, s42
	s_or_b32 s43, s82, s43
	;; [unrolled: 1-line block ×4, first 2 shown]
	s_mov_b32 s54, s64
	s_mov_b32 s58, s64
	;; [unrolled: 1-line block ×5, first 2 shown]
	s_branch .LBB90_109
.LBB90_108:                             ;   in Loop: Header=BB90_109 Depth=2
	s_or_b32 exec_lo, exec_lo, s46
	v_cndmask_b32_e64 v9, v171, v11, s12
	v_cndmask_b32_e64 v10, v170, v10, s12
	s_add_i32 s88, s88, -1
	s_add_i32 s89, s89, 8
	s_add_i32 s60, s60, s62
	v_fma_f32 v9, v9, v142, v15
	v_mul_f32_e32 v10, v10, v142
	s_add_i32 s58, s58, s56
	s_add_i32 s54, s54, s52
	;; [unrolled: 1-line block ×3, first 2 shown]
	v_cndmask_b32_e64 v9, v9, v15, s11
	v_cndmask_b32_e64 v10, v10, v142, s11
	s_cmp_eq_u32 s88, 0
	s_waitcnt lgkmcnt(0)
	s_delay_alu instid0(VALU_DEP_1) | instskip(NEXT) | instid1(VALU_DEP_1)
	v_fmac_f32_e32 v9, v8, v10
	v_fmac_f32_e32 v12, v9, v144
	s_delay_alu instid0(VALU_DEP_1) | instskip(NEXT) | instid1(VALU_DEP_1)
	v_fmac_f32_e32 v13, v12, v146
	v_fmac_f32_e32 v14, v13, v148
	v_fma_mix_f32 v121, v9, v4, v121 op_sel_hi:[0,1,0]
	s_delay_alu instid0(VALU_DEP_2) | instskip(SKIP_2) | instid1(VALU_DEP_3)
	v_fmac_f32_e32 v143, v14, v150
	v_fma_mix_f32 v120, v12, v4, v120 op_sel:[0,1,0] op_sel_hi:[0,1,0]
	v_fma_mix_f32 v118, v14, v5, v118 op_sel:[0,1,0] op_sel_hi:[0,1,0]
	v_fmac_f32_e32 v145, v143, v151
	v_fma_mix_f32 v117, v143, v6, v117 op_sel_hi:[0,1,0]
	s_delay_alu instid0(VALU_DEP_2) | instskip(SKIP_1) | instid1(VALU_DEP_2)
	v_fmac_f32_e32 v147, v145, v153
	v_fma_mix_f32 v115, v145, v6, v115 op_sel:[0,1,0] op_sel_hi:[0,1,0]
	v_fmac_f32_e32 v149, v147, v156
	s_delay_alu instid0(VALU_DEP_1) | instskip(SKIP_1) | instid1(VALU_DEP_2)
	v_fmac_f32_e32 v152, v149, v157
	v_fma_mix_f32 v119, v13, v5, v119 op_sel_hi:[0,1,0]
	v_fmac_f32_e32 v154, v152, v158
	v_fma_mix_f32 v114, v147, v7, v114 op_sel_hi:[0,1,0]
	v_fma_mix_f32 v112, v152, v0, v112 op_sel_hi:[0,1,0]
	s_delay_alu instid0(VALU_DEP_3) | instskip(SKIP_1) | instid1(VALU_DEP_2)
	v_fmac_f32_e32 v155, v154, v159
	v_fma_mix_f32 v110, v154, v0, v110 op_sel:[0,1,0] op_sel_hi:[0,1,0]
	v_fmac_f32_e32 v160, v155, v166
	v_fma_mix_f32 v109, v155, v1, v109 op_sel_hi:[0,1,0]
	s_delay_alu instid0(VALU_DEP_2) | instskip(NEXT) | instid1(VALU_DEP_1)
	v_fmac_f32_e32 v161, v160, v163
	v_fmac_f32_e32 v162, v161, v165
	v_fma_mix_f32 v113, v149, v7, v113 op_sel:[0,1,0] op_sel_hi:[0,1,0]
	s_delay_alu instid0(VALU_DEP_2) | instskip(SKIP_2) | instid1(VALU_DEP_3)
	v_fmac_f32_e32 v164, v162, v168
	v_fma_mix_f32 v107, v161, v2, v107 op_sel_hi:[0,1,0]
	v_fma_mix_f32 v106, v162, v2, v106 op_sel:[0,1,0] op_sel_hi:[0,1,0]
	v_fmac_f32_e32 v167, v164, v169
	v_fma_mix_f32 v108, v160, v1, v108 op_sel:[0,1,0] op_sel_hi:[0,1,0]
	v_fma_mix_f32 v105, v164, v3, v105 op_sel_hi:[0,1,0]
	s_delay_alu instid0(VALU_DEP_3)
	v_fma_mix_f32 v116, v167, v3, v116 op_sel:[0,1,0] op_sel_hi:[0,1,0]
	s_cbranch_scc1 .LBB90_204
.LBB90_109:                             ;   Parent Loop BB90_12 Depth=1
                                        ; =>  This Inner Loop Header: Depth=2
	s_lshl_b64 s[46:47], s[64:65], 2
	s_mov_b32 s55, s65
	s_add_u32 s46, s73, s46
	s_addc_u32 s47, s63, s47
	v_dual_mov_b32 v2, 0 :: v_dual_mov_b32 v3, 0
	global_load_b32 v142, v21, s[46:47]
	s_lshl_b64 s[46:47], s[54:55], 1
	s_delay_alu instid0(SALU_CYCLE_1)
	v_add_co_u32 v0, vcc_lo, v123, s46
	v_add_co_ci_u32_e32 v1, vcc_lo, s47, v124, vcc_lo
	s_and_saveexec_b32 s46, s13
	s_cbranch_execnz .LBB90_145
; %bb.110:                              ;   in Loop: Header=BB90_109 Depth=2
	s_or_b32 exec_lo, exec_lo, s46
	s_and_saveexec_b32 s46, s14
	s_cbranch_execnz .LBB90_146
.LBB90_111:                             ;   in Loop: Header=BB90_109 Depth=2
	s_or_b32 exec_lo, exec_lo, s46
	v_mov_b32_e32 v4, 0
	s_and_saveexec_b32 s46, s15
	s_cbranch_execnz .LBB90_147
.LBB90_112:                             ;   in Loop: Header=BB90_109 Depth=2
	s_or_b32 exec_lo, exec_lo, s46
	s_and_saveexec_b32 s46, s16
	s_cbranch_execnz .LBB90_148
.LBB90_113:                             ;   in Loop: Header=BB90_109 Depth=2
	s_or_b32 exec_lo, exec_lo, s46
	v_mov_b32_e32 v5, 0
	s_and_saveexec_b32 s46, s17
	s_cbranch_execnz .LBB90_149
.LBB90_114:                             ;   in Loop: Header=BB90_109 Depth=2
	s_or_b32 exec_lo, exec_lo, s46
	s_and_saveexec_b32 s46, s18
	s_cbranch_execnz .LBB90_150
.LBB90_115:                             ;   in Loop: Header=BB90_109 Depth=2
	s_or_b32 exec_lo, exec_lo, s46
	v_mov_b32_e32 v6, 0
	s_and_saveexec_b32 s46, s19
	s_cbranch_execnz .LBB90_151
.LBB90_116:                             ;   in Loop: Header=BB90_109 Depth=2
	s_or_b32 exec_lo, exec_lo, s46
	s_and_saveexec_b32 s46, s20
	s_cbranch_execnz .LBB90_152
.LBB90_117:                             ;   in Loop: Header=BB90_109 Depth=2
	s_or_b32 exec_lo, exec_lo, s46
	v_mov_b32_e32 v7, 0
	s_and_saveexec_b32 s46, s21
	s_cbranch_execnz .LBB90_153
.LBB90_118:                             ;   in Loop: Header=BB90_109 Depth=2
	s_or_b32 exec_lo, exec_lo, s46
	s_and_saveexec_b32 s46, s22
	s_cbranch_execnz .LBB90_154
.LBB90_119:                             ;   in Loop: Header=BB90_109 Depth=2
	s_or_b32 exec_lo, exec_lo, s46
	v_mov_b32_e32 v8, 0
	s_and_saveexec_b32 s46, s23
	s_cbranch_execnz .LBB90_155
.LBB90_120:                             ;   in Loop: Header=BB90_109 Depth=2
	s_or_b32 exec_lo, exec_lo, s46
	s_and_saveexec_b32 s46, s24
	s_cbranch_execnz .LBB90_156
.LBB90_121:                             ;   in Loop: Header=BB90_109 Depth=2
	s_or_b32 exec_lo, exec_lo, s46
	v_mov_b32_e32 v9, 0
	s_and_saveexec_b32 s46, s25
	s_cbranch_execnz .LBB90_157
.LBB90_122:                             ;   in Loop: Header=BB90_109 Depth=2
	s_or_b32 exec_lo, exec_lo, s46
	s_and_saveexec_b32 s46, s26
	s_cbranch_execnz .LBB90_158
.LBB90_123:                             ;   in Loop: Header=BB90_109 Depth=2
	s_or_b32 exec_lo, exec_lo, s46
	v_mov_b32_e32 v10, 0
	s_and_saveexec_b32 s46, s27
	s_cbranch_execnz .LBB90_159
.LBB90_124:                             ;   in Loop: Header=BB90_109 Depth=2
	s_or_b32 exec_lo, exec_lo, s46
	s_and_saveexec_b32 s46, s28
	s_cbranch_execz .LBB90_126
.LBB90_125:                             ;   in Loop: Header=BB90_109 Depth=2
	global_load_u16 v0, v[0:1], off offset:960
	s_waitcnt vmcnt(0)
	v_lshl_or_b32 v10, v0, 16, v10
.LBB90_126:                             ;   in Loop: Header=BB90_109 Depth=2
	s_or_b32 exec_lo, exec_lo, s46
	s_waitcnt vmcnt(0)
	ds_store_b16 v37, v3
	ds_store_b16 v37, v2 offset:64
	ds_store_b16 v38, v4 offset:128
	ds_store_b16_d16_hi v39, v4 offset:192
	ds_store_b16 v40, v5 offset:256
	ds_store_b16_d16_hi v41, v5 offset:320
	ds_store_b16 v42, v6 offset:384
	ds_store_b16_d16_hi v43, v6 offset:448
	ds_store_b16 v44, v7 offset:512
	ds_store_b16_d16_hi v45, v7 offset:576
	ds_store_b16 v46, v8 offset:640
	ds_store_b16_d16_hi v47, v8 offset:704
	ds_store_b16 v48, v9 offset:768
	ds_store_b16_d16_hi v49, v9 offset:832
	ds_store_b16 v50, v10 offset:896
	ds_store_b16_d16_hi v51, v10 offset:960
	; wave barrier
	ds_load_b128 v[12:15], v52
	ds_load_b128 v[8:11], v52 offset:16
	s_mov_b32 s59, s65
	v_dual_mov_b32 v2, 0 :: v_dual_mov_b32 v3, 0
	s_lshl_b64 s[46:47], s[58:59], 1
	s_delay_alu instid0(SALU_CYCLE_1)
	v_add_co_u32 v0, vcc_lo, v125, s46
	v_add_co_ci_u32_e32 v1, vcc_lo, s47, v126, vcc_lo
	s_and_saveexec_b32 s46, s13
	s_cbranch_execnz .LBB90_160
; %bb.127:                              ;   in Loop: Header=BB90_109 Depth=2
	s_or_b32 exec_lo, exec_lo, s46
	s_and_saveexec_b32 s46, s14
	s_cbranch_execnz .LBB90_161
.LBB90_128:                             ;   in Loop: Header=BB90_109 Depth=2
	s_or_b32 exec_lo, exec_lo, s46
	v_mov_b32_e32 v4, 0
	s_and_saveexec_b32 s46, s15
	s_cbranch_execnz .LBB90_162
.LBB90_129:                             ;   in Loop: Header=BB90_109 Depth=2
	s_or_b32 exec_lo, exec_lo, s46
	s_and_saveexec_b32 s46, s16
	s_cbranch_execnz .LBB90_163
.LBB90_130:                             ;   in Loop: Header=BB90_109 Depth=2
	s_or_b32 exec_lo, exec_lo, s46
	v_mov_b32_e32 v5, 0
	s_and_saveexec_b32 s46, s17
	s_cbranch_execnz .LBB90_164
.LBB90_131:                             ;   in Loop: Header=BB90_109 Depth=2
	s_or_b32 exec_lo, exec_lo, s46
	s_and_saveexec_b32 s46, s18
	s_cbranch_execnz .LBB90_165
.LBB90_132:                             ;   in Loop: Header=BB90_109 Depth=2
	s_or_b32 exec_lo, exec_lo, s46
	v_mov_b32_e32 v6, 0
	s_and_saveexec_b32 s46, s19
	s_cbranch_execnz .LBB90_166
.LBB90_133:                             ;   in Loop: Header=BB90_109 Depth=2
	s_or_b32 exec_lo, exec_lo, s46
	s_and_saveexec_b32 s46, s20
	s_cbranch_execnz .LBB90_167
.LBB90_134:                             ;   in Loop: Header=BB90_109 Depth=2
	s_or_b32 exec_lo, exec_lo, s46
	v_mov_b32_e32 v7, 0
	s_and_saveexec_b32 s46, s21
	s_cbranch_execnz .LBB90_168
.LBB90_135:                             ;   in Loop: Header=BB90_109 Depth=2
	s_or_b32 exec_lo, exec_lo, s46
	s_and_saveexec_b32 s46, s22
	s_cbranch_execnz .LBB90_169
.LBB90_136:                             ;   in Loop: Header=BB90_109 Depth=2
	s_or_b32 exec_lo, exec_lo, s46
	v_mov_b32_e32 v16, 0
	s_and_saveexec_b32 s46, s23
	s_cbranch_execnz .LBB90_170
.LBB90_137:                             ;   in Loop: Header=BB90_109 Depth=2
	s_or_b32 exec_lo, exec_lo, s46
	s_and_saveexec_b32 s46, s24
	s_cbranch_execnz .LBB90_171
.LBB90_138:                             ;   in Loop: Header=BB90_109 Depth=2
	s_or_b32 exec_lo, exec_lo, s46
	v_mov_b32_e32 v17, 0
	s_and_saveexec_b32 s46, s25
	s_cbranch_execnz .LBB90_172
.LBB90_139:                             ;   in Loop: Header=BB90_109 Depth=2
	s_or_b32 exec_lo, exec_lo, s46
	s_and_saveexec_b32 s46, s26
	s_cbranch_execnz .LBB90_173
.LBB90_140:                             ;   in Loop: Header=BB90_109 Depth=2
	s_or_b32 exec_lo, exec_lo, s46
	v_mov_b32_e32 v143, 0
	s_and_saveexec_b32 s46, s27
	s_cbranch_execnz .LBB90_174
.LBB90_141:                             ;   in Loop: Header=BB90_109 Depth=2
	s_or_b32 exec_lo, exec_lo, s46
	s_and_saveexec_b32 s46, s28
	s_cbranch_execz .LBB90_143
.LBB90_142:                             ;   in Loop: Header=BB90_109 Depth=2
	global_load_u16 v0, v[0:1], off offset:960
	s_waitcnt vmcnt(0)
	v_lshl_or_b32 v143, v0, 16, v143
.LBB90_143:                             ;   in Loop: Header=BB90_109 Depth=2
	s_or_b32 exec_lo, exec_lo, s46
	s_waitcnt vmcnt(0)
	ds_store_b16 v37, v3 offset:4224
	ds_store_b16 v53, v2 offset:64
	;; [unrolled: 1-line block ×3, first 2 shown]
	ds_store_b16_d16_hi v55, v4 offset:192
	ds_store_b16 v56, v5 offset:256
	ds_store_b16_d16_hi v57, v5 offset:320
	ds_store_b16 v58, v6 offset:384
	;; [unrolled: 2-line block ×6, first 2 shown]
	ds_store_b16_d16_hi v67, v143 offset:960
	; wave barrier
	ds_load_b128 v[4:7], v52 offset:4224
	ds_load_b128 v[0:3], v68 offset:16
	s_and_not1_b32 vcc_lo, exec_lo, s51
	s_cbranch_vccnz .LBB90_175
; %bb.144:                              ;   in Loop: Header=BB90_109 Depth=2
	v_mov_b32_e32 v16, s89
	ds_load_b64 v[16:17], v16
	s_cbranch_execz .LBB90_176
	s_branch .LBB90_179
.LBB90_145:                             ;   in Loop: Header=BB90_109 Depth=2
	global_load_u16 v3, v[0:1], off
	s_or_b32 exec_lo, exec_lo, s46
	s_and_saveexec_b32 s46, s14
	s_cbranch_execz .LBB90_111
.LBB90_146:                             ;   in Loop: Header=BB90_109 Depth=2
	global_load_u16 v2, v[0:1], off offset:64
	s_or_b32 exec_lo, exec_lo, s46
	v_mov_b32_e32 v4, 0
	s_and_saveexec_b32 s46, s15
	s_cbranch_execz .LBB90_112
.LBB90_147:                             ;   in Loop: Header=BB90_109 Depth=2
	global_load_u16 v4, v[0:1], off offset:128
	s_or_b32 exec_lo, exec_lo, s46
	s_and_saveexec_b32 s46, s16
	s_cbranch_execz .LBB90_113
.LBB90_148:                             ;   in Loop: Header=BB90_109 Depth=2
	global_load_u16 v5, v[0:1], off offset:192
	s_waitcnt vmcnt(0)
	v_lshl_or_b32 v4, v5, 16, v4
	s_or_b32 exec_lo, exec_lo, s46
	v_mov_b32_e32 v5, 0
	s_and_saveexec_b32 s46, s17
	s_cbranch_execz .LBB90_114
.LBB90_149:                             ;   in Loop: Header=BB90_109 Depth=2
	global_load_u16 v5, v[0:1], off offset:256
	s_or_b32 exec_lo, exec_lo, s46
	s_and_saveexec_b32 s46, s18
	s_cbranch_execz .LBB90_115
.LBB90_150:                             ;   in Loop: Header=BB90_109 Depth=2
	global_load_u16 v6, v[0:1], off offset:320
	s_waitcnt vmcnt(0)
	v_lshl_or_b32 v5, v6, 16, v5
	s_or_b32 exec_lo, exec_lo, s46
	v_mov_b32_e32 v6, 0
	s_and_saveexec_b32 s46, s19
	s_cbranch_execz .LBB90_116
.LBB90_151:                             ;   in Loop: Header=BB90_109 Depth=2
	global_load_u16 v6, v[0:1], off offset:384
	s_or_b32 exec_lo, exec_lo, s46
	s_and_saveexec_b32 s46, s20
	s_cbranch_execz .LBB90_117
.LBB90_152:                             ;   in Loop: Header=BB90_109 Depth=2
	global_load_u16 v7, v[0:1], off offset:448
	s_waitcnt vmcnt(0)
	v_lshl_or_b32 v6, v7, 16, v6
	s_or_b32 exec_lo, exec_lo, s46
	v_mov_b32_e32 v7, 0
	s_and_saveexec_b32 s46, s21
	s_cbranch_execz .LBB90_118
.LBB90_153:                             ;   in Loop: Header=BB90_109 Depth=2
	global_load_u16 v7, v[0:1], off offset:512
	s_or_b32 exec_lo, exec_lo, s46
	s_and_saveexec_b32 s46, s22
	s_cbranch_execz .LBB90_119
.LBB90_154:                             ;   in Loop: Header=BB90_109 Depth=2
	global_load_u16 v8, v[0:1], off offset:576
	s_waitcnt vmcnt(0)
	v_lshl_or_b32 v7, v8, 16, v7
	s_or_b32 exec_lo, exec_lo, s46
	v_mov_b32_e32 v8, 0
	s_and_saveexec_b32 s46, s23
	s_cbranch_execz .LBB90_120
.LBB90_155:                             ;   in Loop: Header=BB90_109 Depth=2
	global_load_u16 v8, v[0:1], off offset:640
	s_or_b32 exec_lo, exec_lo, s46
	s_and_saveexec_b32 s46, s24
	s_cbranch_execz .LBB90_121
.LBB90_156:                             ;   in Loop: Header=BB90_109 Depth=2
	global_load_u16 v9, v[0:1], off offset:704
	s_waitcnt vmcnt(0)
	v_lshl_or_b32 v8, v9, 16, v8
	s_or_b32 exec_lo, exec_lo, s46
	v_mov_b32_e32 v9, 0
	s_and_saveexec_b32 s46, s25
	s_cbranch_execz .LBB90_122
.LBB90_157:                             ;   in Loop: Header=BB90_109 Depth=2
	global_load_u16 v9, v[0:1], off offset:768
	s_or_b32 exec_lo, exec_lo, s46
	s_and_saveexec_b32 s46, s26
	s_cbranch_execz .LBB90_123
.LBB90_158:                             ;   in Loop: Header=BB90_109 Depth=2
	global_load_u16 v10, v[0:1], off offset:832
	s_waitcnt vmcnt(0)
	v_lshl_or_b32 v9, v10, 16, v9
	s_or_b32 exec_lo, exec_lo, s46
	v_mov_b32_e32 v10, 0
	s_and_saveexec_b32 s46, s27
	s_cbranch_execz .LBB90_124
.LBB90_159:                             ;   in Loop: Header=BB90_109 Depth=2
	global_load_u16 v10, v[0:1], off offset:896
	s_or_b32 exec_lo, exec_lo, s46
	s_and_saveexec_b32 s46, s28
	s_cbranch_execnz .LBB90_125
	s_branch .LBB90_126
.LBB90_160:                             ;   in Loop: Header=BB90_109 Depth=2
	global_load_u16 v3, v[0:1], off
	s_or_b32 exec_lo, exec_lo, s46
	s_and_saveexec_b32 s46, s14
	s_cbranch_execz .LBB90_128
.LBB90_161:                             ;   in Loop: Header=BB90_109 Depth=2
	global_load_u16 v2, v[0:1], off offset:64
	s_or_b32 exec_lo, exec_lo, s46
	v_mov_b32_e32 v4, 0
	s_and_saveexec_b32 s46, s15
	s_cbranch_execz .LBB90_129
.LBB90_162:                             ;   in Loop: Header=BB90_109 Depth=2
	global_load_u16 v4, v[0:1], off offset:128
	s_or_b32 exec_lo, exec_lo, s46
	s_and_saveexec_b32 s46, s16
	s_cbranch_execz .LBB90_130
.LBB90_163:                             ;   in Loop: Header=BB90_109 Depth=2
	global_load_u16 v5, v[0:1], off offset:192
	s_waitcnt vmcnt(0)
	v_lshl_or_b32 v4, v5, 16, v4
	s_or_b32 exec_lo, exec_lo, s46
	v_mov_b32_e32 v5, 0
	s_and_saveexec_b32 s46, s17
	s_cbranch_execz .LBB90_131
.LBB90_164:                             ;   in Loop: Header=BB90_109 Depth=2
	global_load_u16 v5, v[0:1], off offset:256
	s_or_b32 exec_lo, exec_lo, s46
	s_and_saveexec_b32 s46, s18
	s_cbranch_execz .LBB90_132
.LBB90_165:                             ;   in Loop: Header=BB90_109 Depth=2
	global_load_u16 v6, v[0:1], off offset:320
	s_waitcnt vmcnt(0)
	v_lshl_or_b32 v5, v6, 16, v5
	s_or_b32 exec_lo, exec_lo, s46
	v_mov_b32_e32 v6, 0
	s_and_saveexec_b32 s46, s19
	s_cbranch_execz .LBB90_133
.LBB90_166:                             ;   in Loop: Header=BB90_109 Depth=2
	global_load_u16 v6, v[0:1], off offset:384
	s_or_b32 exec_lo, exec_lo, s46
	s_and_saveexec_b32 s46, s20
	s_cbranch_execz .LBB90_134
.LBB90_167:                             ;   in Loop: Header=BB90_109 Depth=2
	global_load_u16 v7, v[0:1], off offset:448
	s_waitcnt vmcnt(0)
	v_lshl_or_b32 v6, v7, 16, v6
	s_or_b32 exec_lo, exec_lo, s46
	v_mov_b32_e32 v7, 0
	s_and_saveexec_b32 s46, s21
	s_cbranch_execz .LBB90_135
.LBB90_168:                             ;   in Loop: Header=BB90_109 Depth=2
	global_load_u16 v7, v[0:1], off offset:512
	s_or_b32 exec_lo, exec_lo, s46
	s_and_saveexec_b32 s46, s22
	s_cbranch_execz .LBB90_136
.LBB90_169:                             ;   in Loop: Header=BB90_109 Depth=2
	global_load_u16 v16, v[0:1], off offset:576
	s_waitcnt vmcnt(0)
	v_lshl_or_b32 v7, v16, 16, v7
	s_or_b32 exec_lo, exec_lo, s46
	v_mov_b32_e32 v16, 0
	s_and_saveexec_b32 s46, s23
	s_cbranch_execz .LBB90_137
.LBB90_170:                             ;   in Loop: Header=BB90_109 Depth=2
	global_load_u16 v16, v[0:1], off offset:640
	s_or_b32 exec_lo, exec_lo, s46
	s_and_saveexec_b32 s46, s24
	s_cbranch_execz .LBB90_138
.LBB90_171:                             ;   in Loop: Header=BB90_109 Depth=2
	global_load_u16 v17, v[0:1], off offset:704
	s_waitcnt vmcnt(0)
	v_lshl_or_b32 v16, v17, 16, v16
	s_or_b32 exec_lo, exec_lo, s46
	v_mov_b32_e32 v17, 0
	s_and_saveexec_b32 s46, s25
	s_cbranch_execz .LBB90_139
.LBB90_172:                             ;   in Loop: Header=BB90_109 Depth=2
	global_load_u16 v17, v[0:1], off offset:768
	s_or_b32 exec_lo, exec_lo, s46
	s_and_saveexec_b32 s46, s26
	s_cbranch_execz .LBB90_140
.LBB90_173:                             ;   in Loop: Header=BB90_109 Depth=2
	global_load_u16 v143, v[0:1], off offset:832
	s_waitcnt vmcnt(0)
	v_lshl_or_b32 v17, v143, 16, v17
	s_or_b32 exec_lo, exec_lo, s46
	v_mov_b32_e32 v143, 0
	s_and_saveexec_b32 s46, s27
	s_cbranch_execz .LBB90_141
.LBB90_174:                             ;   in Loop: Header=BB90_109 Depth=2
	global_load_u16 v143, v[0:1], off offset:896
	s_or_b32 exec_lo, exec_lo, s46
	s_and_saveexec_b32 s46, s28
	s_cbranch_execnz .LBB90_142
	s_branch .LBB90_143
.LBB90_175:                             ;   in Loop: Header=BB90_109 Depth=2
                                        ; implicit-def: $vgpr16
.LBB90_176:                             ;   in Loop: Header=BB90_109 Depth=2
	s_waitcnt lgkmcnt(0)
	v_mov_b32_e32 v17, 0
	s_and_not1_b32 vcc_lo, exec_lo, s66
	s_cbranch_vccnz .LBB90_178
; %bb.177:                              ;   in Loop: Header=BB90_109 Depth=2
	s_mov_b32 s61, s65
	s_delay_alu instid0(SALU_CYCLE_1) | instskip(NEXT) | instid1(SALU_CYCLE_1)
	s_lshl_b64 s[46:47], s[60:61], 1
	s_add_u32 s46, s76, s46
	s_addc_u32 s47, s77, s47
	global_load_u16 v16, v21, s[46:47]
	s_waitcnt vmcnt(0)
	v_cvt_f32_f16_e32 v17, v16
.LBB90_178:                             ;   in Loop: Header=BB90_109 Depth=2
	v_mov_b32_e32 v16, 1.0
.LBB90_179:                             ;   in Loop: Header=BB90_109 Depth=2
	v_mul_f32_e32 v164, 0x3fb8aa3b, v142
	s_waitcnt lgkmcnt(19)
	v_lshrrev_b32_e32 v144, 16, v13
	v_lshrrev_b32_e32 v145, 16, v14
	v_cvt_f32_f16_e32 v13, v13
	v_cvt_f32_f16_e64 v152, v14
	v_mul_f32_e32 v14, v164, v90
	v_lshrrev_b32_e32 v143, 16, v12
	v_lshrrev_b32_e32 v146, 16, v15
	v_mul_f32_e32 v13, v139, v13
	v_cvt_f32_f16_e32 v12, v12
	v_cmp_gt_f32_e32 vcc_lo, 0xc2fc0000, v14
	v_cvt_f32_f16_e64 v153, v15
	v_mul_f32_e32 v15, v164, v91
	v_cvt_f32_f16_e64 v151, v144
	v_mul_f32_e32 v12, v141, v12
	v_cndmask_b32_e64 v14, 0, 0x42800000, vcc_lo
	v_mul_f32_e32 v142, v164, v92
	v_cmp_gt_f32_e64 s46, 0xc2fc0000, v15
	v_cndmask_b32_e64 v144, 1.0, 0x1f800000, vcc_lo
	s_waitcnt lgkmcnt(18)
	v_lshrrev_b32_e32 v147, 16, v8
	v_fmac_f32_e32 v14, v164, v90
	v_cvt_f32_f16_e64 v143, v143
	v_cndmask_b32_e64 v15, 0, 0x42800000, s46
	v_cvt_f32_f16_e64 v154, v146
	v_cmp_gt_f32_e32 vcc_lo, 0xc2fc0000, v142
	v_exp_f32_e32 v14, v14
	v_mul_f32_e32 v142, v164, v93
	v_fmac_f32_e32 v15, v164, v91
	v_cvt_f32_f16_e64 v155, v147
	v_cndmask_b32_e64 v147, 0, 0x42800000, vcc_lo
	v_lshrrev_b32_e32 v148, 16, v9
	v_lshrrev_b32_e32 v149, 16, v10
	;; [unrolled: 1-line block ×3, first 2 shown]
	v_cvt_f32_f16_e32 v9, v9
	v_cvt_f32_f16_e32 v8, v8
	v_mul_f32_e32 v14, v14, v144
	v_exp_f32_e32 v146, v15
	v_cndmask_b32_e64 v15, 0, v12, s29
	v_cndmask_b32_e64 v12, 1.0, 0x1f800000, s46
	v_cmp_gt_f32_e64 s46, 0xc2fc0000, v142
	v_cndmask_b32_e64 v142, 1.0, v14, s29
	v_mul_f32_e32 v14, v140, v143
	v_cvt_f32_f16_e64 v160, v148
	v_cvt_f32_f16_e64 v162, v149
	v_cndmask_b32_e64 v144, 0, 0x42800000, s46
	v_cvt_f32_f16_e64 v167, v150
	v_mul_f32_e32 v143, v146, v12
	v_cndmask_b32_e64 v12, 0, v14, s30
	v_cndmask_b32_e64 v14, 1.0, 0x1f800000, vcc_lo
	v_fmac_f32_e32 v147, v164, v92
	v_fmac_f32_e32 v144, v164, v93
	v_dual_mul_f32 v149, v164, v95 :: v_dual_mul_f32 v154, v134, v154
	v_dual_mul_f32 v150, v164, v96 :: v_dual_mul_f32 v9, v131, v9
	s_delay_alu instid0(VALU_DEP_4)
	v_exp_f32_e32 v146, v147
	v_mul_f32_e32 v147, v164, v94
	v_exp_f32_e32 v148, v144
	v_cndmask_b32_e64 v144, 1.0, v143, s30
	v_cndmask_b32_e64 v143, 1.0, 0x1f800000, s46
	v_cmp_gt_f32_e64 s46, 0xc2fc0000, v149
	v_cvt_f32_f16_e32 v10, v10
	v_cvt_f32_f16_e32 v11, v11
	v_mul_f32_e32 v165, v164, v102
	s_delay_alu instid0(TRANS32_DEP_2) | instskip(SKIP_1) | instid1(TRANS32_DEP_1)
	v_dual_mul_f32 v155, v132, v155 :: v_dual_mul_f32 v14, v146, v14
	v_cndmask_b32_e64 v149, 0, 0x42800000, s46
	v_dual_mul_f32 v143, v148, v143 :: v_dual_mul_f32 v10, v129, v10
	v_cndmask_b32_e64 v13, 0, v13, s31
	s_delay_alu instid0(VALU_DEP_4)
	v_cndmask_b32_e64 v146, 1.0, v14, s31
	v_mul_f32_e32 v14, v138, v151
	v_cmp_gt_f32_e32 vcc_lo, 0xc2fc0000, v147
	v_cndmask_b32_e64 v148, 1.0, v143, s33
	v_dual_fmac_f32 v149, v164, v95 :: v_dual_mul_f32 v8, v133, v8
	v_mul_f32_e32 v151, v164, v97
	v_cndmask_b32_e64 v147, 0, 0x42800000, vcc_lo
	v_cndmask_b32_e64 v143, 1.0, 0x1f800000, vcc_lo
	v_cmp_gt_f32_e32 vcc_lo, 0xc2fc0000, v150
	v_exp_f32_e32 v149, v149
	v_cmp_gt_f32_e64 s47, 0xc2fc0000, v151
	v_fmac_f32_e32 v147, v164, v94
	v_mul_f32_e32 v158, v164, v99
	v_cndmask_b32_e64 v150, 0, 0x42800000, vcc_lo
	v_cvt_f32_f16_e64 v145, v145
	v_cndmask_b32_e64 v151, 0, 0x42800000, s47
	v_exp_f32_e32 v147, v147
	v_cndmask_b32_e64 v14, 0, v14, s33
	v_dual_fmac_f32 v150, v164, v96 :: v_dual_mul_f32 v11, v127, v11
	s_delay_alu instid0(VALU_DEP_3) | instskip(SKIP_2) | instid1(VALU_DEP_4)
	v_fmac_f32_e32 v151, v164, v97
	v_mul_f32_e32 v166, v164, v103
	v_mul_f32_e32 v162, v128, v162
	v_exp_f32_e32 v156, v150
	s_delay_alu instid0(TRANS32_DEP_2)
	v_mul_f32_e32 v147, v147, v143
	v_mul_f32_e32 v143, v137, v152
	v_cndmask_b32_e64 v152, 1.0, 0x1f800000, s46
	v_cmp_gt_f32_e64 s46, 0xc2fc0000, v158
	v_mul_f32_e32 v158, v164, v101
	v_cndmask_b32_e64 v150, 1.0, v147, s34
	v_cndmask_b32_e64 v143, 0, v143, s34
	v_mul_f32_e32 v147, v149, v152
	v_cndmask_b32_e64 v149, 1.0, 0x1f800000, vcc_lo
	v_exp_f32_e32 v152, v151
	v_cndmask_b32_e64 v162, 0, v162, s43
	s_delay_alu instid0(VALU_DEP_3) | instskip(NEXT) | instid1(VALU_DEP_3)
	v_cndmask_b32_e64 v151, 1.0, v147, s35
	v_mul_f32_e32 v149, v156, v149
	v_mul_f32_e32 v147, v135, v153
	v_cndmask_b32_e64 v156, 1.0, 0x1f800000, s47
	s_delay_alu instid0(VALU_DEP_3)
	v_cndmask_b32_e64 v153, 1.0, v149, s36
	v_mul_f32_e32 v157, v164, v98
	v_cndmask_b32_e64 v149, 0, v154, s37
	v_mul_f32_e32 v154, v164, v100
	v_mul_f32_e32 v152, v152, v156
	v_cndmask_b32_e64 v147, 0, v147, s36
	v_cmp_gt_f32_e32 vcc_lo, 0xc2fc0000, v157
	s_delay_alu instid0(VALU_DEP_4) | instskip(NEXT) | instid1(VALU_DEP_4)
	v_cmp_gt_f32_e64 s47, 0xc2fc0000, v154
	v_cndmask_b32_e64 v156, 1.0, v152, s37
	v_cndmask_b32_e64 v157, 0, 0x42800000, vcc_lo
	v_cndmask_b32_e64 v159, 1.0, 0x1f800000, vcc_lo
	s_delay_alu instid0(VALU_DEP_4) | instskip(SKIP_1) | instid1(VALU_DEP_4)
	v_cndmask_b32_e64 v154, 0, 0x42800000, s47
	v_cmp_gt_f32_e32 vcc_lo, 0xc2fc0000, v158
	v_fmac_f32_e32 v157, v164, v98
	s_delay_alu instid0(VALU_DEP_3) | instskip(SKIP_1) | instid1(VALU_DEP_3)
	v_fmac_f32_e32 v154, v164, v100
	v_cndmask_b32_e64 v158, 0, 0x42800000, vcc_lo
	v_exp_f32_e32 v152, v157
	v_cndmask_b32_e64 v157, 0, 0x42800000, s46
	s_delay_alu instid0(VALU_DEP_2) | instskip(NEXT) | instid1(VALU_DEP_2)
	v_fmac_f32_e32 v158, v164, v101
	v_fmac_f32_e32 v157, v164, v99
	s_delay_alu instid0(VALU_DEP_2) | instskip(NEXT) | instid1(VALU_DEP_1)
	v_exp_f32_e32 v163, v158
	v_exp_f32_e32 v161, v157
	s_delay_alu instid0(TRANS32_DEP_3)
	v_mul_f32_e32 v157, v152, v159
	v_cndmask_b32_e64 v152, 0, v8, s38
	v_exp_f32_e32 v8, v154
	v_cndmask_b32_e64 v154, 1.0, 0x1f800000, s46
	v_cndmask_b32_e64 v159, 1.0, 0x1f800000, s47
	v_cmp_gt_f32_e64 s46, 0xc2fc0000, v166
	v_cndmask_b32_e64 v157, 1.0, v157, s38
	s_delay_alu instid0(TRANS32_DEP_2) | instid1(VALU_DEP_4)
	v_mul_f32_e32 v158, v161, v154
	v_cndmask_b32_e64 v161, 1.0, 0x1f800000, vcc_lo
	v_cmp_gt_f32_e32 vcc_lo, 0xc2fc0000, v165
	s_delay_alu instid0(TRANS32_DEP_1)
	v_mul_f32_e32 v8, v8, v159
	v_cndmask_b32_e64 v154, 0, v155, s39
	v_cndmask_b32_e64 v155, 0, v9, s40
	v_mul_f32_e32 v9, v130, v160
	v_fma_f32 v165, v144, v15, v12
	v_cndmask_b32_e64 v159, 1.0, v8, s40
	v_mul_f32_e32 v8, v163, v161
	v_cndmask_b32_e64 v161, 0, 0x42800000, vcc_lo
	v_mul_f32_e32 v163, v144, v142
	v_cndmask_b32_e64 v160, 0, v9, s41
	v_cndmask_b32_e64 v158, 1.0, v158, s39
	v_cndmask_b32_e64 v166, 1.0, v8, s41
	v_fmac_f32_e32 v161, v164, v102
	v_mul_f32_e32 v9, v163, v146
	v_fma_f32 v163, v165, v146, v13
	v_cndmask_b32_e64 v8, 1.0, 0x1f800000, vcc_lo
	v_cndmask_b32_e64 v165, 0, 0x42800000, s46
	v_exp_f32_e32 v161, v161
	v_mul_f32_e32 v145, v136, v145
	v_mul_f32_e32 v9, v9, v148
	v_fma_f32 v163, v163, v148, v14
	v_fmac_f32_e32 v165, v164, v103
	s_delay_alu instid0(VALU_DEP_3) | instskip(NEXT) | instid1(VALU_DEP_3)
	v_mul_f32_e32 v9, v9, v150
	v_fma_f32 v163, v163, v150, v143
	s_delay_alu instid0(VALU_DEP_3) | instskip(NEXT) | instid1(TRANS32_DEP_2)
	v_exp_f32_e32 v165, v165
	v_mul_f32_e32 v8, v161, v8
	v_cndmask_b32_e64 v145, 0, v145, s35
	v_mul_f32_e32 v9, v9, v151
	v_cndmask_b32_e64 v161, 0, v10, s42
	v_cndmask_b32_e64 v10, 1.0, 0x1f800000, s46
	s_delay_alu instid0(VALU_DEP_4)
	v_fma_f32 v168, v163, v151, v145
	v_cndmask_b32_e64 v163, 1.0, v8, s42
	v_mul_f32_e32 v8, v9, v153
	s_delay_alu instid0(TRANS32_DEP_1) | instid1(VALU_DEP_4)
	v_mul_f32_e32 v10, v165, v10
	s_delay_alu instid0(VALU_DEP_4) | instskip(SKIP_1) | instid1(VALU_DEP_4)
	v_fma_f32 v9, v168, v153, v147
	v_mul_f32_e32 v168, v164, v104
	v_mul_f32_e32 v8, v8, v156
	s_delay_alu instid0(VALU_DEP_3) | instskip(NEXT) | instid1(VALU_DEP_3)
	v_fma_f32 v9, v9, v156, v149
	v_cmp_gt_f32_e32 vcc_lo, 0xc2fc0000, v168
	v_mul_f32_e32 v168, v164, v111
	s_delay_alu instid0(VALU_DEP_4) | instskip(NEXT) | instid1(VALU_DEP_4)
	v_mul_f32_e32 v8, v8, v157
	v_fma_f32 v9, v9, v157, v152
	v_cndmask_b32_e64 v165, 0, 0x42800000, vcc_lo
	s_delay_alu instid0(VALU_DEP_4) | instskip(NEXT) | instid1(VALU_DEP_4)
	v_cmp_gt_f32_e64 s46, 0xc2fc0000, v168
	v_mul_f32_e32 v8, v8, v158
	s_delay_alu instid0(VALU_DEP_4) | instskip(NEXT) | instid1(VALU_DEP_4)
	v_fma_f32 v9, v9, v158, v154
	v_fmac_f32_e32 v165, v164, v104
	s_delay_alu instid0(VALU_DEP_4) | instskip(NEXT) | instid1(VALU_DEP_4)
	v_cndmask_b32_e64 v168, 0, 0x42800000, s46
	v_mul_f32_e32 v8, v8, v159
	s_delay_alu instid0(VALU_DEP_4) | instskip(NEXT) | instid1(VALU_DEP_4)
	v_fma_f32 v9, v9, v159, v155
	v_exp_f32_e32 v169, v165
	s_delay_alu instid0(VALU_DEP_3)
	v_fmac_f32_e32 v168, v164, v111
	v_cndmask_b32_e64 v165, 1.0, v10, s43
	v_cndmask_b32_e64 v10, 1.0, 0x1f800000, vcc_lo
	v_mul_f32_e32 v8, v8, v166
	v_fma_f32 v9, v9, v166, v160
	v_exp_f32_e32 v170, v168
	v_cndmask_b32_e64 v164, 0, v11, s44
	v_cndmask_b32_e64 v11, 1.0, 0x1f800000, s46
	v_mul_f32_e32 v8, v8, v163
	v_mul_f32_e32 v10, v169, v10
	v_fma_f32 v9, v9, v163, v161
	s_delay_alu instid0(VALU_DEP_3) | instskip(NEXT) | instid1(VALU_DEP_3)
	v_mul_f32_e32 v8, v8, v165
	v_cndmask_b32_e64 v168, 1.0, v10, s44
	v_mul_f32_e32 v10, v122, v167
	s_delay_alu instid0(TRANS32_DEP_1) | instskip(SKIP_1) | instid1(VALU_DEP_4)
	v_mul_f32_e32 v11, v170, v11
	v_fma_f32 v9, v9, v165, v162
	v_mul_f32_e32 v8, v8, v168
	s_delay_alu instid0(VALU_DEP_4) | instskip(NEXT) | instid1(VALU_DEP_4)
	v_cndmask_b32_e64 v167, 0, v10, s45
	v_cndmask_b32_e64 v169, 1.0, v11, s45
	s_delay_alu instid0(VALU_DEP_4) | instskip(NEXT) | instid1(VALU_DEP_2)
	v_fma_f32 v9, v9, v168, v164
	v_mul_f32_e32 v8, v8, v169
	s_delay_alu instid0(VALU_DEP_2) | instskip(NEXT) | instid1(VALU_DEP_2)
	v_fma_f32 v9, v9, v169, v167
	v_mov_b32_dpp v11, v8 row_shr:1 row_mask:0xf bank_mask:0xf
	s_delay_alu instid0(VALU_DEP_2)
	v_mov_b32_dpp v10, v9 row_shr:1 row_mask:0xf bank_mask:0xf
	s_and_saveexec_b32 s46, s0
; %bb.180:                              ;   in Loop: Header=BB90_109 Depth=2
	s_delay_alu instid0(VALU_DEP_2) | instskip(NEXT) | instid1(VALU_DEP_1)
	v_mul_f32_e32 v11, v8, v11
	v_dual_fmac_f32 v9, v8, v10 :: v_dual_mov_b32 v8, v11
; %bb.181:                              ;   in Loop: Header=BB90_109 Depth=2
	s_or_b32 exec_lo, exec_lo, s46
	s_delay_alu instid0(VALU_DEP_1) | instskip(NEXT) | instid1(VALU_DEP_2)
	v_mov_b32_dpp v10, v8 row_shr:2 row_mask:0xf bank_mask:0xf
	v_mov_b32_dpp v11, v9 row_shr:2 row_mask:0xf bank_mask:0xf
	s_and_saveexec_b32 s46, s1
; %bb.182:                              ;   in Loop: Header=BB90_109 Depth=2
	s_delay_alu instid0(VALU_DEP_1) | instskip(NEXT) | instid1(VALU_DEP_3)
	v_fmac_f32_e32 v9, v8, v11
	v_mul_f32_e32 v8, v8, v10
; %bb.183:                              ;   in Loop: Header=BB90_109 Depth=2
	s_or_b32 exec_lo, exec_lo, s46
	s_delay_alu instid0(VALU_DEP_1) | instskip(NEXT) | instid1(VALU_DEP_3)
	v_mov_b32_dpp v10, v8 row_shr:4 row_mask:0xf bank_mask:0xf
	v_mov_b32_dpp v11, v9 row_shr:4 row_mask:0xf bank_mask:0xf
	s_and_saveexec_b32 s46, s2
; %bb.184:                              ;   in Loop: Header=BB90_109 Depth=2
	s_delay_alu instid0(VALU_DEP_1) | instskip(NEXT) | instid1(VALU_DEP_3)
	v_fmac_f32_e32 v9, v8, v11
	v_mul_f32_e32 v8, v8, v10
; %bb.185:                              ;   in Loop: Header=BB90_109 Depth=2
	s_or_b32 exec_lo, exec_lo, s46
	s_delay_alu instid0(VALU_DEP_1) | instskip(NEXT) | instid1(VALU_DEP_3)
	v_mov_b32_dpp v10, v8 row_shr:8 row_mask:0xf bank_mask:0xf
	v_mov_b32_dpp v11, v9 row_shr:8 row_mask:0xf bank_mask:0xf
	s_and_saveexec_b32 s46, s3
; %bb.186:                              ;   in Loop: Header=BB90_109 Depth=2
	s_delay_alu instid0(VALU_DEP_1) | instskip(NEXT) | instid1(VALU_DEP_3)
	v_fmac_f32_e32 v9, v8, v11
	v_mul_f32_e32 v8, v8, v10
; %bb.187:                              ;   in Loop: Header=BB90_109 Depth=2
	s_or_b32 exec_lo, exec_lo, s46
	ds_swizzle_b32 v11, v8 offset:swizzle(BROADCAST,32,15)
	ds_swizzle_b32 v10, v9 offset:swizzle(BROADCAST,32,15)
	s_and_saveexec_b32 s46, s4
	s_cbranch_execz .LBB90_189
; %bb.188:                              ;   in Loop: Header=BB90_109 Depth=2
	s_waitcnt lgkmcnt(1)
	v_mul_f32_e32 v11, v8, v11
	s_waitcnt lgkmcnt(0)
	s_delay_alu instid0(VALU_DEP_1)
	v_dual_fmac_f32 v9, v8, v10 :: v_dual_mov_b32 v8, v11
.LBB90_189:                             ;   in Loop: Header=BB90_109 Depth=2
	s_or_b32 exec_lo, exec_lo, s46
	s_and_saveexec_b32 s46, s5
	s_cbranch_execz .LBB90_191
; %bb.190:                              ;   in Loop: Header=BB90_109 Depth=2
	ds_store_b64 v69, v[8:9] offset:8448
.LBB90_191:                             ;   in Loop: Header=BB90_109 Depth=2
	s_or_b32 exec_lo, exec_lo, s46
	s_waitcnt lgkmcnt(0)
	s_waitcnt_vscnt null, 0x0
	s_barrier
	buffer_gl0_inv
	s_and_saveexec_b32 s46, s6
	s_cbranch_execz .LBB90_195
; %bb.192:                              ;   in Loop: Header=BB90_109 Depth=2
	ds_load_b64 v[10:11], v70 offset:8448
	s_waitcnt lgkmcnt(0)
	v_mov_b32_dpp v172, v10 row_shr:1 row_mask:0xf bank_mask:0xf
	v_mov_b32_dpp v171, v11 row_shr:1 row_mask:0xf bank_mask:0xf
	v_mov_b32_e32 v170, v10
	s_and_saveexec_b32 s47, s7
; %bb.193:                              ;   in Loop: Header=BB90_109 Depth=2
	s_delay_alu instid0(VALU_DEP_3) | instskip(NEXT) | instid1(VALU_DEP_3)
	v_mul_f32_e32 v170, v10, v172
	v_fmac_f32_e32 v11, v10, v171
	s_delay_alu instid0(VALU_DEP_2)
	v_mov_b32_e32 v10, v170
; %bb.194:                              ;   in Loop: Header=BB90_109 Depth=2
	s_or_b32 exec_lo, exec_lo, s47
	v_mov_b32_dpp v170, v170 row_shr:2 row_mask:0xf bank_mask:0xf
	s_delay_alu instid0(VALU_DEP_3) | instskip(NEXT) | instid1(VALU_DEP_2)
	v_mov_b32_dpp v171, v11 row_shr:2 row_mask:0xf bank_mask:0xf
	v_mul_f32_e32 v170, v10, v170
	s_delay_alu instid0(VALU_DEP_2) | instskip(NEXT) | instid1(VALU_DEP_2)
	v_fma_f32 v171, v10, v171, v11
	v_cndmask_b32_e64 v10, v10, v170, s8
	s_delay_alu instid0(VALU_DEP_2)
	v_cndmask_b32_e64 v11, v11, v171, s8
	ds_store_b64 v70, v[10:11] offset:8448
.LBB90_195:                             ;   in Loop: Header=BB90_109 Depth=2
	s_or_b32 exec_lo, exec_lo, s46
	s_waitcnt lgkmcnt(0)
	s_barrier
	buffer_gl0_inv
                                        ; implicit-def: $vgpr11
	s_and_saveexec_b32 s46, s10
	s_cbranch_execz .LBB90_197
; %bb.196:                              ;   in Loop: Header=BB90_109 Depth=2
	ds_load_b64 v[10:11], v69 offset:8440
	s_waitcnt lgkmcnt(0)
	v_mul_f32_e32 v170, v8, v10
	s_delay_alu instid0(VALU_DEP_1)
	v_dual_fmac_f32 v9, v8, v11 :: v_dual_mov_b32 v8, v170
.LBB90_197:                             ;   in Loop: Header=BB90_109 Depth=2
	s_or_b32 exec_lo, exec_lo, s46
	ds_bpermute_b32 v170, v71, v8
	ds_bpermute_b32 v171, v71, v9
	s_and_saveexec_b32 s46, s9
	s_cbranch_execz .LBB90_201
; %bb.198:                              ;   in Loop: Header=BB90_109 Depth=2
	ds_load_b64 v[8:9], v21 offset:8472
	s_and_saveexec_b32 s47, s11
	s_cbranch_execz .LBB90_200
; %bb.199:                              ;   in Loop: Header=BB90_109 Depth=2
	ds_store_b64 v21, v[16:17] offset:8472
.LBB90_200:                             ;   in Loop: Header=BB90_109 Depth=2
	s_or_b32 exec_lo, exec_lo, s47
	s_waitcnt lgkmcnt(0)
	v_fmac_f32_e32 v9, v17, v8
	s_delay_alu instid0(VALU_DEP_1)
	v_dual_mul_f32 v16, v16, v8 :: v_dual_mov_b32 v17, v9
.LBB90_201:                             ;   in Loop: Header=BB90_109 Depth=2
	s_or_b32 exec_lo, exec_lo, s46
	s_waitcnt lgkmcnt(0)
	s_barrier
	buffer_gl0_inv
	ds_load_b32 v8, v21 offset:8476
	s_and_saveexec_b32 s46, s11
	s_cbranch_execz .LBB90_108
; %bb.202:                              ;   in Loop: Header=BB90_109 Depth=2
	v_mov_b32_e32 v9, s89
	s_and_not1_b32 vcc_lo, exec_lo, s87
	ds_store_b64 v9, v[16:17]
	s_cbranch_vccnz .LBB90_108
; %bb.203:                              ;   in Loop: Header=BB90_109 Depth=2
	s_mov_b32 s61, s65
	v_cvt_f16_f32_e32 v9, v17
	s_lshl_b64 s[90:91], s[60:61], 1
	s_delay_alu instid0(SALU_CYCLE_1)
	s_add_u32 s90, s76, s90
	s_addc_u32 s91, s77, s91
	global_store_b16 v21, v9, s[90:91]
	s_branch .LBB90_108
.LBB90_204:                             ;   in Loop: Header=BB90_12 Depth=1
	v_cvt_f16_f32_e32 v0, v121
	v_cvt_f16_f32_e32 v4, v120
	;; [unrolled: 1-line block ×16, first 2 shown]
	v_pack_b32_f16 v3, v3, v7
	v_pack_b32_f16 v2, v2, v6
	;; [unrolled: 1-line block ×8, first 2 shown]
	s_waitcnt_vscnt null, 0x0
	s_barrier
	buffer_gl0_inv
	ds_store_b128 v52, v[0:3]
	ds_store_b128 v52, v[4:7] offset:16
	; wave barrier
	ds_load_u16 v16, v37 offset:64
	ds_load_u16 v15, v38 offset:128
	;; [unrolled: 1-line block ×15, first 2 shown]
	s_mov_b32 s51, s65
	s_delay_alu instid0(SALU_CYCLE_1) | instskip(NEXT) | instid1(SALU_CYCLE_1)
	s_lshl_b64 s[30:31], s[50:51], 1
	v_add_co_u32 v0, vcc_lo, v72, s30
	v_add_co_ci_u32_e32 v1, vcc_lo, s31, v73, vcc_lo
	s_and_saveexec_b32 s29, s13
	s_cbranch_execnz .LBB90_222
; %bb.205:                              ;   in Loop: Header=BB90_12 Depth=1
	s_or_b32 exec_lo, exec_lo, s29
	s_and_saveexec_b32 s13, s14
	s_cbranch_execnz .LBB90_223
.LBB90_206:                             ;   in Loop: Header=BB90_12 Depth=1
	s_or_b32 exec_lo, exec_lo, s13
	s_and_saveexec_b32 s13, s15
	s_cbranch_execnz .LBB90_224
.LBB90_207:                             ;   in Loop: Header=BB90_12 Depth=1
	s_or_b32 exec_lo, exec_lo, s13
	s_and_saveexec_b32 s13, s16
	s_cbranch_execnz .LBB90_225
.LBB90_208:                             ;   in Loop: Header=BB90_12 Depth=1
	s_or_b32 exec_lo, exec_lo, s13
	s_and_saveexec_b32 s13, s17
	s_cbranch_execnz .LBB90_226
.LBB90_209:                             ;   in Loop: Header=BB90_12 Depth=1
	s_or_b32 exec_lo, exec_lo, s13
	s_and_saveexec_b32 s13, s18
	s_cbranch_execnz .LBB90_227
.LBB90_210:                             ;   in Loop: Header=BB90_12 Depth=1
	s_or_b32 exec_lo, exec_lo, s13
	s_and_saveexec_b32 s13, s19
	s_cbranch_execnz .LBB90_228
.LBB90_211:                             ;   in Loop: Header=BB90_12 Depth=1
	s_or_b32 exec_lo, exec_lo, s13
	s_and_saveexec_b32 s13, s20
	s_cbranch_execnz .LBB90_229
.LBB90_212:                             ;   in Loop: Header=BB90_12 Depth=1
	s_or_b32 exec_lo, exec_lo, s13
	s_and_saveexec_b32 s13, s21
	s_cbranch_execnz .LBB90_230
.LBB90_213:                             ;   in Loop: Header=BB90_12 Depth=1
	s_or_b32 exec_lo, exec_lo, s13
	s_and_saveexec_b32 s13, s22
	s_cbranch_execnz .LBB90_231
.LBB90_214:                             ;   in Loop: Header=BB90_12 Depth=1
	s_or_b32 exec_lo, exec_lo, s13
	s_and_saveexec_b32 s13, s23
	s_cbranch_execnz .LBB90_232
.LBB90_215:                             ;   in Loop: Header=BB90_12 Depth=1
	s_or_b32 exec_lo, exec_lo, s13
	s_and_saveexec_b32 s13, s24
	s_cbranch_execnz .LBB90_233
.LBB90_216:                             ;   in Loop: Header=BB90_12 Depth=1
	s_or_b32 exec_lo, exec_lo, s13
	s_and_saveexec_b32 s13, s25
	s_cbranch_execnz .LBB90_234
.LBB90_217:                             ;   in Loop: Header=BB90_12 Depth=1
	s_or_b32 exec_lo, exec_lo, s13
	s_and_saveexec_b32 s13, s26
	s_cbranch_execnz .LBB90_235
.LBB90_218:                             ;   in Loop: Header=BB90_12 Depth=1
	s_or_b32 exec_lo, exec_lo, s13
	s_and_saveexec_b32 s13, s27
	s_cbranch_execnz .LBB90_236
.LBB90_219:                             ;   in Loop: Header=BB90_12 Depth=1
	s_or_b32 exec_lo, exec_lo, s13
	s_and_saveexec_b32 s13, s28
	s_cbranch_execz .LBB90_11
	s_branch .LBB90_237
.LBB90_220:                             ;   in Loop: Header=BB90_12 Depth=1
	global_load_u16 v97, v[8:9], off offset:832
	s_or_b32 exec_lo, exec_lo, s29
	s_and_saveexec_b32 s29, s27
	s_cbranch_execz .LBB90_72
.LBB90_221:                             ;   in Loop: Header=BB90_12 Depth=1
	global_load_u16 v96, v[8:9], off offset:896
	s_or_b32 exec_lo, exec_lo, s29
	v_mov_b32_e32 v98, 0
	s_and_saveexec_b32 s29, s28
	s_cbranch_execnz .LBB90_73
	s_branch .LBB90_74
.LBB90_222:                             ;   in Loop: Header=BB90_12 Depth=1
	ds_load_u16 v17, v37
	s_waitcnt lgkmcnt(0)
	global_store_b16 v[0:1], v17, off
	s_or_b32 exec_lo, exec_lo, s29
	s_and_saveexec_b32 s13, s14
	s_cbranch_execz .LBB90_206
.LBB90_223:                             ;   in Loop: Header=BB90_12 Depth=1
	s_waitcnt lgkmcnt(14)
	global_store_b16 v[0:1], v16, off offset:64
	s_or_b32 exec_lo, exec_lo, s13
	s_and_saveexec_b32 s13, s15
	s_cbranch_execz .LBB90_207
.LBB90_224:                             ;   in Loop: Header=BB90_12 Depth=1
	s_waitcnt lgkmcnt(13)
	global_store_b16 v[0:1], v15, off offset:128
	s_or_b32 exec_lo, exec_lo, s13
	s_and_saveexec_b32 s13, s16
	s_cbranch_execz .LBB90_208
.LBB90_225:                             ;   in Loop: Header=BB90_12 Depth=1
	s_waitcnt lgkmcnt(12)
	global_store_b16 v[0:1], v14, off offset:192
	s_or_b32 exec_lo, exec_lo, s13
	s_and_saveexec_b32 s13, s17
	s_cbranch_execz .LBB90_209
.LBB90_226:                             ;   in Loop: Header=BB90_12 Depth=1
	s_waitcnt lgkmcnt(11)
	global_store_b16 v[0:1], v13, off offset:256
	s_or_b32 exec_lo, exec_lo, s13
	s_and_saveexec_b32 s13, s18
	s_cbranch_execz .LBB90_210
.LBB90_227:                             ;   in Loop: Header=BB90_12 Depth=1
	s_waitcnt lgkmcnt(10)
	global_store_b16 v[0:1], v12, off offset:320
	s_or_b32 exec_lo, exec_lo, s13
	s_and_saveexec_b32 s13, s19
	s_cbranch_execz .LBB90_211
.LBB90_228:                             ;   in Loop: Header=BB90_12 Depth=1
	s_waitcnt lgkmcnt(9)
	global_store_b16 v[0:1], v11, off offset:384
	s_or_b32 exec_lo, exec_lo, s13
	s_and_saveexec_b32 s13, s20
	s_cbranch_execz .LBB90_212
.LBB90_229:                             ;   in Loop: Header=BB90_12 Depth=1
	s_waitcnt lgkmcnt(8)
	global_store_b16 v[0:1], v10, off offset:448
	s_or_b32 exec_lo, exec_lo, s13
	s_and_saveexec_b32 s13, s21
	s_cbranch_execz .LBB90_213
.LBB90_230:                             ;   in Loop: Header=BB90_12 Depth=1
	s_waitcnt lgkmcnt(7)
	global_store_b16 v[0:1], v9, off offset:512
	s_or_b32 exec_lo, exec_lo, s13
	s_and_saveexec_b32 s13, s22
	s_cbranch_execz .LBB90_214
.LBB90_231:                             ;   in Loop: Header=BB90_12 Depth=1
	s_waitcnt lgkmcnt(6)
	global_store_b16 v[0:1], v8, off offset:576
	s_or_b32 exec_lo, exec_lo, s13
	s_and_saveexec_b32 s13, s23
	s_cbranch_execz .LBB90_215
.LBB90_232:                             ;   in Loop: Header=BB90_12 Depth=1
	s_waitcnt lgkmcnt(5)
	global_store_b16 v[0:1], v7, off offset:640
	s_or_b32 exec_lo, exec_lo, s13
	s_and_saveexec_b32 s13, s24
	s_cbranch_execz .LBB90_216
.LBB90_233:                             ;   in Loop: Header=BB90_12 Depth=1
	s_waitcnt lgkmcnt(4)
	global_store_b16 v[0:1], v6, off offset:704
	s_or_b32 exec_lo, exec_lo, s13
	s_and_saveexec_b32 s13, s25
	s_cbranch_execz .LBB90_217
.LBB90_234:                             ;   in Loop: Header=BB90_12 Depth=1
	s_waitcnt lgkmcnt(3)
	global_store_b16 v[0:1], v5, off offset:768
	s_or_b32 exec_lo, exec_lo, s13
	s_and_saveexec_b32 s13, s26
	s_cbranch_execz .LBB90_218
.LBB90_235:                             ;   in Loop: Header=BB90_12 Depth=1
	s_waitcnt lgkmcnt(2)
	global_store_b16 v[0:1], v4, off offset:832
	s_or_b32 exec_lo, exec_lo, s13
	s_and_saveexec_b32 s13, s27
	s_cbranch_execz .LBB90_219
.LBB90_236:                             ;   in Loop: Header=BB90_12 Depth=1
	s_waitcnt lgkmcnt(1)
	global_store_b16 v[0:1], v3, off offset:896
	s_or_b32 exec_lo, exec_lo, s13
	s_and_saveexec_b32 s13, s28
	s_cbranch_execz .LBB90_11
.LBB90_237:                             ;   in Loop: Header=BB90_12 Depth=1
	s_waitcnt lgkmcnt(0)
	global_store_b16 v[0:1], v2, off offset:960
	s_branch .LBB90_11
.LBB90_238:
	s_nop 0
	s_sendmsg sendmsg(MSG_DEALLOC_VGPRS)
	s_endpgm
	.section	.rodata,"a",@progbits
	.p2align	6, 0x0
	.amdhsa_kernel _Z25selective_scan_fwd_kernelI32Selective_Scan_fwd_kernel_traitsILi128ELi16ELi1ELb1ELb1ELb1ELb0ELb1EN3c104HalfEfS2_EEv13SSMParamsBase
		.amdhsa_group_segment_fixed_size 0
		.amdhsa_private_segment_fixed_size 0
		.amdhsa_kernarg_size 248
		.amdhsa_user_sgpr_count 14
		.amdhsa_user_sgpr_dispatch_ptr 0
		.amdhsa_user_sgpr_queue_ptr 0
		.amdhsa_user_sgpr_kernarg_segment_ptr 1
		.amdhsa_user_sgpr_dispatch_id 0
		.amdhsa_user_sgpr_private_segment_size 0
		.amdhsa_wavefront_size32 1
		.amdhsa_uses_dynamic_stack 0
		.amdhsa_enable_private_segment 0
		.amdhsa_system_sgpr_workgroup_id_x 1
		.amdhsa_system_sgpr_workgroup_id_y 1
		.amdhsa_system_sgpr_workgroup_id_z 0
		.amdhsa_system_sgpr_workgroup_info 0
		.amdhsa_system_vgpr_workitem_id 0
		.amdhsa_next_free_vgpr 173
		.amdhsa_next_free_sgpr 92
		.amdhsa_reserve_vcc 1
		.amdhsa_float_round_mode_32 0
		.amdhsa_float_round_mode_16_64 0
		.amdhsa_float_denorm_mode_32 3
		.amdhsa_float_denorm_mode_16_64 3
		.amdhsa_dx10_clamp 1
		.amdhsa_ieee_mode 1
		.amdhsa_fp16_overflow 0
		.amdhsa_workgroup_processor_mode 1
		.amdhsa_memory_ordered 1
		.amdhsa_forward_progress 0
		.amdhsa_shared_vgpr_count 0
		.amdhsa_exception_fp_ieee_invalid_op 0
		.amdhsa_exception_fp_denorm_src 0
		.amdhsa_exception_fp_ieee_div_zero 0
		.amdhsa_exception_fp_ieee_overflow 0
		.amdhsa_exception_fp_ieee_underflow 0
		.amdhsa_exception_fp_ieee_inexact 0
		.amdhsa_exception_int_div_zero 0
	.end_amdhsa_kernel
	.section	.text._Z25selective_scan_fwd_kernelI32Selective_Scan_fwd_kernel_traitsILi128ELi16ELi1ELb1ELb1ELb1ELb0ELb1EN3c104HalfEfS2_EEv13SSMParamsBase,"axG",@progbits,_Z25selective_scan_fwd_kernelI32Selective_Scan_fwd_kernel_traitsILi128ELi16ELi1ELb1ELb1ELb1ELb0ELb1EN3c104HalfEfS2_EEv13SSMParamsBase,comdat
.Lfunc_end90:
	.size	_Z25selective_scan_fwd_kernelI32Selective_Scan_fwd_kernel_traitsILi128ELi16ELi1ELb1ELb1ELb1ELb0ELb1EN3c104HalfEfS2_EEv13SSMParamsBase, .Lfunc_end90-_Z25selective_scan_fwd_kernelI32Selective_Scan_fwd_kernel_traitsILi128ELi16ELi1ELb1ELb1ELb1ELb0ELb1EN3c104HalfEfS2_EEv13SSMParamsBase
                                        ; -- End function
	.section	.AMDGPU.csdata,"",@progbits
; Kernel info:
; codeLenInByte = 21484
; NumSgprs: 94
; NumVgprs: 173
; ScratchSize: 0
; MemoryBound: 0
; FloatMode: 240
; IeeeMode: 1
; LDSByteSize: 0 bytes/workgroup (compile time only)
; SGPRBlocks: 11
; VGPRBlocks: 21
; NumSGPRsForWavesPerEU: 94
; NumVGPRsForWavesPerEU: 173
; Occupancy: 8
; WaveLimiterHint : 1
; COMPUTE_PGM_RSRC2:SCRATCH_EN: 0
; COMPUTE_PGM_RSRC2:USER_SGPR: 14
; COMPUTE_PGM_RSRC2:TRAP_HANDLER: 0
; COMPUTE_PGM_RSRC2:TGID_X_EN: 1
; COMPUTE_PGM_RSRC2:TGID_Y_EN: 1
; COMPUTE_PGM_RSRC2:TGID_Z_EN: 0
; COMPUTE_PGM_RSRC2:TIDIG_COMP_CNT: 0
	.section	.text._Z25selective_scan_fwd_kernelI32Selective_Scan_fwd_kernel_traitsILi128ELi16ELi1ELb1ELb1ELb1ELb0ELb0EN3c104HalfEfS2_EEv13SSMParamsBase,"axG",@progbits,_Z25selective_scan_fwd_kernelI32Selective_Scan_fwd_kernel_traitsILi128ELi16ELi1ELb1ELb1ELb1ELb0ELb0EN3c104HalfEfS2_EEv13SSMParamsBase,comdat
	.protected	_Z25selective_scan_fwd_kernelI32Selective_Scan_fwd_kernel_traitsILi128ELi16ELi1ELb1ELb1ELb1ELb0ELb0EN3c104HalfEfS2_EEv13SSMParamsBase ; -- Begin function _Z25selective_scan_fwd_kernelI32Selective_Scan_fwd_kernel_traitsILi128ELi16ELi1ELb1ELb1ELb1ELb0ELb0EN3c104HalfEfS2_EEv13SSMParamsBase
	.globl	_Z25selective_scan_fwd_kernelI32Selective_Scan_fwd_kernel_traitsILi128ELi16ELi1ELb1ELb1ELb1ELb0ELb0EN3c104HalfEfS2_EEv13SSMParamsBase
	.p2align	8
	.type	_Z25selective_scan_fwd_kernelI32Selective_Scan_fwd_kernel_traitsILi128ELi16ELi1ELb1ELb1ELb1ELb0ELb0EN3c104HalfEfS2_EEv13SSMParamsBase,@function
_Z25selective_scan_fwd_kernelI32Selective_Scan_fwd_kernel_traitsILi128ELi16ELi1ELb1ELb1ELb1ELb0ELb0EN3c104HalfEfS2_EEv13SSMParamsBase: ; @_Z25selective_scan_fwd_kernelI32Selective_Scan_fwd_kernel_traitsILi128ELi16ELi1ELb1ELb1ELb1ELb0ELb0EN3c104HalfEfS2_EEv13SSMParamsBase
; %bb.0:
	s_clause 0x1
	s_load_b32 s9, s[0:1], 0x18
	s_load_b128 s[4:7], s[0:1], 0xe8
	s_mov_b32 s54, s15
	s_mov_b32 s56, 0
	s_waitcnt lgkmcnt(0)
	s_abs_i32 s8, s9
	s_cmp_eq_u64 s[6:7], 0
	v_cvt_f32_u32_e32 v1, s8
	s_delay_alu instid0(VALU_DEP_1) | instskip(SKIP_2) | instid1(VALU_DEP_1)
	v_rcp_iflag_f32_e32 v1, v1
	s_waitcnt_depctr 0xfff
	v_mul_f32_e32 v1, 0x4f7ffffe, v1
	v_cvt_u32_f32_e32 v1, v1
	s_delay_alu instid0(VALU_DEP_1)
	v_readfirstlane_b32 s10, v1
	s_cbranch_scc1 .LBB91_2
; %bb.1:
	v_mov_b32_e32 v1, 0
	s_ashr_i32 s3, s14, 31
	s_add_u32 s2, s6, s14
	s_addc_u32 s3, s7, s3
	global_load_u8 v1, v1, s[2:3]
	s_waitcnt vmcnt(0)
	v_and_b32_e32 v1, 1, v1
	s_delay_alu instid0(VALU_DEP_1)
	v_cmp_eq_u32_e64 s56, 1, v1
.LBB91_2:
	s_load_b64 s[6:7], s[0:1], 0x20
	s_cmp_eq_u64 s[4:5], 0
	s_cbranch_scc1 .LBB91_4
; %bb.3:
	s_ashr_i32 s15, s14, 31
	s_delay_alu instid0(SALU_CYCLE_1) | instskip(NEXT) | instid1(SALU_CYCLE_1)
	s_lshl_b64 s[2:3], s[14:15], 2
	s_add_u32 s2, s4, s2
	s_addc_u32 s3, s5, s3
	s_load_b32 s2, s[2:3], 0x0
	s_waitcnt lgkmcnt(0)
	s_ashr_i32 s3, s2, 31
	s_delay_alu instid0(SALU_CYCLE_1)
	s_cmp_eq_u64 s[6:7], s[2:3]
	s_cbranch_scc0 .LBB91_5
	s_branch .LBB91_86
.LBB91_4:
	s_mov_b32 s2, s14
	s_delay_alu instid0(SALU_CYCLE_1)
	s_ashr_i32 s3, s2, 31
	s_waitcnt lgkmcnt(0)
	s_cmp_eq_u64 s[6:7], s[2:3]
	s_cbranch_scc1 .LBB91_86
.LBB91_5:
	s_clause 0x1
	s_load_b512 s[16:31], s[0:1], 0x88
	s_load_b64 s[34:35], s[0:1], 0x8
	s_mov_b32 s57, 0
	s_mov_b32 s58, 0
	s_waitcnt lgkmcnt(0)
	s_cmp_eq_u64 s[22:23], 0
	s_cbranch_scc1 .LBB91_7
; %bb.6:
	s_ashr_i32 s55, s54, 31
	s_delay_alu instid0(SALU_CYCLE_1) | instskip(NEXT) | instid1(SALU_CYCLE_1)
	s_lshl_b64 s[4:5], s[54:55], 2
	s_add_u32 s4, s22, s4
	s_addc_u32 s5, s23, s5
	s_load_b32 s58, s[4:5], 0x0
.LBB91_7:
	s_cmp_eq_u64 s[28:29], 0
	s_cbranch_scc1 .LBB91_9
; %bb.8:
	s_ashr_i32 s55, s54, 31
	s_delay_alu instid0(SALU_CYCLE_1) | instskip(NEXT) | instid1(SALU_CYCLE_1)
	s_lshl_b64 s[4:5], s[54:55], 2
	s_add_u32 s4, s28, s4
	s_addc_u32 s5, s29, s5
	s_load_b32 s57, s[4:5], 0x0
.LBB91_9:
	s_cmp_lt_i32 s34, 1
	s_cbranch_scc1 .LBB91_86
; %bb.10:
	s_sub_i32 s3, 0, s8
	s_clause 0x1
	s_load_b64 s[4:5], s[0:1], 0x5c
	s_load_b128 s[44:47], s[0:1], 0x4c
	s_mul_i32 s3, s3, s10
	s_abs_i32 s6, s54
	s_mul_hi_u32 s3, s10, s3
	s_ashr_i32 s9, s9, 31
	s_add_i32 s10, s10, s3
	s_ashr_i32 s3, s54, 31
	s_mul_hi_u32 s7, s6, s10
	s_xor_b32 s3, s3, s9
	s_mul_i32 s10, s7, s8
	s_add_i32 s9, s7, 1
	s_sub_i32 s6, s6, s10
	s_load_b256 s[36:43], s[0:1], 0x2c
	s_sub_i32 s10, s6, s8
	s_cmp_ge_u32 s6, s8
	s_mov_b32 s53, 0
	s_cselect_b32 s7, s9, s7
	s_cselect_b32 s6, s10, s6
	s_add_i32 s9, s7, 1
	s_cmp_ge_u32 s6, s8
	s_waitcnt lgkmcnt(0)
	s_mul_i32 s52, s46, s14
	s_cselect_b32 s6, s9, s7
	s_load_b128 s[48:51], s[0:1], 0x7c
	s_xor_b32 s8, s6, s3
	s_lshl_b64 s[6:7], s[52:53], 1
	s_sub_i32 s3, s8, s3
	s_mul_i32 s52, s47, s54
	s_add_u32 s8, s24, s6
	s_addc_u32 s9, s25, s7
	s_lshl_b64 s[6:7], s[52:53], 1
	s_mul_i32 s52, s4, s14
	s_add_u32 s55, s8, s6
	s_addc_u32 s59, s9, s7
	s_lshl_b64 s[6:7], s[52:53], 1
	;; [unrolled: 4-line block ×3, first 2 shown]
	s_mul_i32 s52, s36, s54
	s_add_u32 s60, s6, s4
	s_addc_u32 s36, s7, s5
	s_load_b64 s[6:7], s[0:1], 0xc8
	s_lshl_b64 s[4:5], s[52:53], 2
	s_mul_i32 s52, s38, s14
	s_add_u32 s61, s16, s4
	s_waitcnt lgkmcnt(0)
	s_addc_u32 s51, s17, s5
	s_load_b64 s[16:17], s[0:1], 0x6c
	s_lshl_b64 s[4:5], s[52:53], 1
	s_mul_i32 s52, s3, s41
	s_add_u32 s8, s18, s4
	s_addc_u32 s9, s19, s5
	s_lshl_b64 s[4:5], s[52:53], 1
	s_mul_i32 s52, s42, s14
	s_add_u32 s41, s8, s4
	s_addc_u32 s62, s9, s5
	s_lshl_b64 s[4:5], s[52:53], 1
	s_mul_i32 s52, s3, s45
	s_add_u32 s8, s20, s4
	s_addc_u32 s3, s21, s5
	s_lshl_b64 s[4:5], s[52:53], 1
	s_mul_i32 s52, s2, s48
	v_dual_mov_b32 v34, 0 :: v_dual_lshlrev_b32 v1, 1, v0
	s_add_u32 s45, s8, s4
	s_addc_u32 s63, s3, s5
	s_lshl_b64 s[2:3], s[52:53], 1
	v_mbcnt_lo_u32_b32 v2, -1, 0
	s_add_u32 s4, s6, s2
	s_load_b32 s6, s[0:1], 0x28
	v_and_b32_e32 v1, 0xc0, v1
	v_and_b32_e32 v4, 0x60, v0
	s_mul_i32 s52, s49, s54
	s_addc_u32 s5, s7, s3
	s_lshl_b64 s[2:3], s[52:53], 1
	v_or_b32_e32 v3, v2, v1
	s_add_u32 s64, s4, s2
	v_lshrrev_b32_e32 v5, 5, v1
	v_or_b32_e32 v7, v2, v4
	s_addc_u32 s65, s5, s3
	v_or_b32_e32 v6, 32, v3
	s_add_i32 s0, s34, 0x7ff
	v_add_nc_u32_e32 v5, v5, v3
	s_lshr_b32 s66, s0, 11
	v_cmp_gt_u32_e64 s0, 0x100, v3
	v_lshrrev_b32_e32 v8, 5, v6
	v_lshlrev_b32_e32 v9, 1, v7
	v_bfe_u32 v7, v7, 4, 27
	v_lshl_add_u32 v35, v5, 4, 0
	s_waitcnt lgkmcnt(0)
	s_bitcmp1_b32 s6, 0
	v_add_lshl_u32 v3, v8, v3, 4
	s_cselect_b32 s67, -1, 0
	s_cmp_gt_i32 s35, 0
	v_add_lshl_u32 v5, v7, v9, 4
	s_cselect_b32 s68, -1, 0
	s_add_i32 s2, 0, 0x1080
	v_add_nc_u32_e32 v36, 0, v3
	v_add_nc_u32_e32 v38, s2, v3
	v_and_b32_e32 v3, 15, v2
	s_and_b32 s3, s34, 0x7ff
	v_add_nc_u32_e32 v39, s2, v5
	s_cmp_eq_u32 s3, 0
	s_mul_i32 s52, s16, s14
	v_cmp_ne_u32_e64 s2, 0, v3
	v_cmp_lt_u32_e64 s3, 1, v3
	v_cmp_lt_u32_e64 s4, 3, v3
	;; [unrolled: 1-line block ×3, first 2 shown]
	v_add_nc_u32_e32 v3, -1, v2
	s_cselect_b32 s69, -1, 0
	s_lshl_b64 s[14:15], s[52:53], 1
	s_add_i32 s70, s66, -1
	s_mul_i32 s52, s17, s54
	v_cmp_gt_i32_e32 vcc_lo, 0, v3
	v_add_nc_u32_e32 v37, 0, v5
	v_lshlrev_b32_e32 v40, 4, v0
	v_lshrrev_b32_e32 v5, 2, v0
	v_cmp_gt_u32_e64 s8, 4, v0
	v_cndmask_b32_e32 v3, v3, v2, vcc_lo
	v_or_b32_e32 v4, 31, v4
	v_lshl_add_u32 v42, v0, 3, 0
	v_cmp_gt_u32_e64 s11, 32, v0
	v_cmp_lt_u32_e64 s12, 31, v0
	v_cmp_eq_u32_e64 s13, 0, v0
	v_cmp_eq_u32_e64 s7, v4, v0
	s_add_u32 s16, s30, s14
	v_lshlrev_b32_e32 v0, 4, v2
	s_addc_u32 s17, s31, s15
	s_lshl_b64 s[14:15], s[52:53], 1
	v_and_b32_e32 v4, 3, v2
	s_add_u32 s14, s16, s14
	v_lshlrev_b32_e32 v43, 2, v3
	s_addc_u32 s15, s17, s15
	v_lshlrev_b32_e32 v3, 4, v1
	v_add_co_u32 v0, s14, s14, v0
	v_cmp_gt_u32_e64 s1, 0x100, v6
	v_and_b32_e32 v6, 16, v2
	v_and_b32_e32 v5, 24, v5
	v_cmp_ne_u32_e64 s9, 0, v4
	v_cmp_lt_u32_e64 s10, 1, v4
	v_add_co_ci_u32_e64 v4, null, s15, 0, s14
	v_add_co_u32 v44, vcc_lo, v0, v3
	v_cmp_ne_u32_e64 s6, 0, v6
	v_add_nc_u32_e32 v41, 0, v5
	v_cmp_eq_u32_e64 s14, 0, v2
	v_add_co_ci_u32_e32 v45, vcc_lo, 0, v4, vcc_lo
	v_or_b32_e32 v46, 1, v40
	v_or_b32_e32 v47, 2, v40
	;; [unrolled: 1-line block ×15, first 2 shown]
	v_lshlrev_b32_e32 v61, 4, v2
	v_lshlrev_b32_e32 v62, 4, v1
	s_mov_b32 s54, 0x3e9b6dac
	s_add_i32 s71, 0, 0x2120
	s_mov_b32 s72, 0
                                        ; implicit-def: $vgpr4
                                        ; implicit-def: $vgpr0
                                        ; implicit-def: $vgpr12
                                        ; implicit-def: $vgpr8
	s_branch .LBB91_12
.LBB91_11:                              ;   in Loop: Header=BB91_12 Depth=1
	v_cvt_f16_f32_e32 v16, v94
	v_cvt_f16_f32_e32 v20, v93
	;; [unrolled: 1-line block ×16, first 2 shown]
	v_pack_b32_f16 v19, v23, v19
	v_pack_b32_f16 v18, v22, v18
	;; [unrolled: 1-line block ×8, first 2 shown]
	s_waitcnt_vscnt null, 0x0
	s_barrier
	buffer_gl0_inv
	ds_store_b128 v37, v[16:19]
	ds_store_b128 v37, v[20:23] offset:16
	; wave barrier
	ds_load_b128 v[16:19], v35
	ds_load_b128 v[20:23], v36 offset:512
	s_add_u32 s60, s60, 0x1000
	s_addc_u32 s36, s36, 0
	s_mov_b32 s39, s53
	s_add_u32 s55, s55, 0x1000
	s_addc_u32 s59, s59, 0
	s_lshl_b64 s[16:17], s[38:39], 1
	s_add_u32 s41, s41, 0x1000
	v_add_co_u32 v24, vcc_lo, v44, s16
	s_addc_u32 s62, s62, 0
	v_add_co_ci_u32_e32 v25, vcc_lo, s17, v45, vcc_lo
	s_add_u32 s45, s45, 0x1000
	s_addc_u32 s63, s63, 0
	s_add_i32 s72, s72, 1
	s_delay_alu instid0(SALU_CYCLE_1)
	s_cmp_eq_u32 s72, s66
	s_waitcnt lgkmcnt(1)
	v_lshrrev_b32_e32 v28, 16, v19
	v_alignbit_b32 v27, v18, v17, 16
	v_alignbit_b32 v26, v17, v16, 16
	;; [unrolled: 1-line block ×3, first 2 shown]
	s_clause 0x3
	global_store_b16 v[24:25], v16, off
	global_store_b16 v[24:25], v28, off offset:14
	global_store_b32 v[24:25], v17, off offset:10
	global_store_b64 v[24:25], v[26:27], off offset:2
	s_waitcnt lgkmcnt(0)
	global_store_b128 v[24:25], v[20:23], off offset:512
	s_cbranch_scc1 .LBB91_86
.LBB91_12:                              ; =>This Loop Header: Depth=1
                                        ;     Child Loop BB91_55 Depth 2
	v_add_co_u32 v16, s15, s55, v61
	s_delay_alu instid0(VALU_DEP_1) | instskip(NEXT) | instid1(VALU_DEP_2)
	v_add_co_ci_u32_e64 v17, null, s59, 0, s15
	v_add_co_u32 v16, vcc_lo, v16, v62
	s_delay_alu instid0(VALU_DEP_2)
	v_add_co_ci_u32_e32 v17, vcc_lo, 0, v17, vcc_lo
	s_waitcnt_vscnt null, 0x0
	s_barrier
	buffer_gl0_inv
	s_and_saveexec_b32 s15, s0
	s_cbranch_execz .LBB91_14
; %bb.13:                               ;   in Loop: Header=BB91_12 Depth=1
	global_load_b128 v[12:15], v[16:17], off
.LBB91_14:                              ;   in Loop: Header=BB91_12 Depth=1
	s_or_b32 exec_lo, exec_lo, s15
	s_and_saveexec_b32 s15, s1
	s_cbranch_execz .LBB91_16
; %bb.15:                               ;   in Loop: Header=BB91_12 Depth=1
	global_load_b128 v[8:11], v[16:17], off offset:512
.LBB91_16:                              ;   in Loop: Header=BB91_12 Depth=1
	s_or_b32 exec_lo, exec_lo, s15
	s_waitcnt vmcnt(0)
	ds_store_b128 v35, v[12:15]
	ds_store_b128 v36, v[8:11] offset:512
	; wave barrier
	ds_load_b128 v[12:15], v37
	ds_load_b128 v[8:11], v37 offset:16
	v_add_co_u32 v16, s15, s60, v61
	s_delay_alu instid0(VALU_DEP_1) | instskip(SKIP_1) | instid1(VALU_DEP_2)
	v_add_co_ci_u32_e64 v17, null, s36, 0, s15
	s_waitcnt lgkmcnt(0)
	v_add_co_u32 v16, vcc_lo, v16, v62
	s_delay_alu instid0(VALU_DEP_2)
	v_add_co_ci_u32_e32 v17, vcc_lo, 0, v17, vcc_lo
	s_barrier
	buffer_gl0_inv
	s_and_saveexec_b32 s15, s0
	s_cbranch_execz .LBB91_18
; %bb.17:                               ;   in Loop: Header=BB91_12 Depth=1
	global_load_b128 v[4:7], v[16:17], off
.LBB91_18:                              ;   in Loop: Header=BB91_12 Depth=1
	s_or_b32 exec_lo, exec_lo, s15
	s_and_saveexec_b32 s15, s1
	s_cbranch_execz .LBB91_20
; %bb.19:                               ;   in Loop: Header=BB91_12 Depth=1
	global_load_b128 v[0:3], v[16:17], off offset:512
.LBB91_20:                              ;   in Loop: Header=BB91_12 Depth=1
	s_or_b32 exec_lo, exec_lo, s15
	s_waitcnt vmcnt(0)
	ds_store_b128 v35, v[4:7]
	ds_store_b128 v36, v[0:3] offset:512
	; wave barrier
	ds_load_b128 v[4:7], v37
	ds_load_b128 v[0:3], v37 offset:16
	s_waitcnt lgkmcnt(1)
	v_cvt_f32_f16_e32 v16, v4
	s_delay_alu instid0(VALU_DEP_1) | instskip(NEXT) | instid1(VALU_DEP_1)
	v_add_f32_e32 v63, s57, v16
	v_cmp_ge_f32_e32 vcc_lo, 0x41a00000, v63
	s_and_b32 s15, s67, vcc_lo
	s_delay_alu instid0(SALU_CYCLE_1)
	s_and_saveexec_b32 s16, s15
	s_cbranch_execz .LBB91_22
; %bb.21:                               ;   in Loop: Header=BB91_12 Depth=1
	v_mul_f32_e32 v16, 0x3fb8aa3b, v63
	v_cmp_ngt_f32_e32 vcc_lo, 0xc2ce8ed0, v63
	s_delay_alu instid0(VALU_DEP_2) | instskip(SKIP_1) | instid1(VALU_DEP_2)
	v_rndne_f32_e32 v17, v16
	v_fma_f32 v18, 0x3fb8aa3b, v63, -v16
	v_sub_f32_e32 v16, v16, v17
	s_delay_alu instid0(VALU_DEP_2) | instskip(SKIP_1) | instid1(VALU_DEP_2)
	v_fmac_f32_e32 v18, 0x32a5705f, v63
	v_cvt_i32_f32_e32 v17, v17
	v_add_f32_e32 v16, v16, v18
	s_delay_alu instid0(VALU_DEP_1) | instskip(SKIP_2) | instid1(VALU_DEP_1)
	v_exp_f32_e32 v16, v16
	s_waitcnt_depctr 0xfff
	v_ldexp_f32 v16, v16, v17
	v_cndmask_b32_e32 v16, 0, v16, vcc_lo
	v_cmp_nlt_f32_e32 vcc_lo, 0x42b17218, v63
	s_delay_alu instid0(VALU_DEP_2) | instskip(NEXT) | instid1(VALU_DEP_1)
	v_cndmask_b32_e32 v18, 0x7f800000, v16, vcc_lo
	v_add_f32_e32 v19, 1.0, v18
	s_delay_alu instid0(VALU_DEP_1) | instskip(NEXT) | instid1(VALU_DEP_1)
	v_cvt_f64_f32_e32 v[16:17], v19
	v_frexp_exp_i32_f64_e32 v16, v[16:17]
	v_frexp_mant_f32_e32 v17, v19
	s_delay_alu instid0(VALU_DEP_1) | instskip(SKIP_1) | instid1(VALU_DEP_1)
	v_cmp_gt_f32_e32 vcc_lo, 0x3f2aaaab, v17
	v_add_f32_e32 v17, -1.0, v19
	v_sub_f32_e32 v21, v17, v19
	v_sub_f32_e32 v17, v18, v17
	s_delay_alu instid0(VALU_DEP_2) | instskip(NEXT) | instid1(VALU_DEP_1)
	v_add_f32_e32 v21, 1.0, v21
	v_add_f32_e32 v17, v17, v21
	v_cmp_gt_f32_e64 s15, 0x33800000, v18
	v_subrev_co_ci_u32_e32 v16, vcc_lo, 0, v16, vcc_lo
	v_cmp_eq_f32_e32 vcc_lo, 0x7f800000, v18
	s_delay_alu instid0(VALU_DEP_2) | instskip(SKIP_2) | instid1(VALU_DEP_2)
	v_sub_nc_u32_e32 v20, 0, v16
	v_cvt_f32_i32_e32 v16, v16
	s_or_b32 vcc_lo, s15, vcc_lo
	v_ldexp_f32 v19, v19, v20
	v_ldexp_f32 v17, v17, v20
	s_delay_alu instid0(VALU_DEP_2) | instskip(NEXT) | instid1(VALU_DEP_1)
	v_add_f32_e32 v22, 1.0, v19
	v_dual_add_f32 v20, -1.0, v19 :: v_dual_add_f32 v21, -1.0, v22
	s_delay_alu instid0(VALU_DEP_1) | instskip(NEXT) | instid1(VALU_DEP_2)
	v_add_f32_e32 v23, 1.0, v20
	v_sub_f32_e32 v21, v19, v21
	s_delay_alu instid0(VALU_DEP_2) | instskip(NEXT) | instid1(VALU_DEP_2)
	v_sub_f32_e32 v19, v19, v23
	v_add_f32_e32 v21, v17, v21
	s_delay_alu instid0(VALU_DEP_2) | instskip(NEXT) | instid1(VALU_DEP_1)
	v_add_f32_e32 v17, v17, v19
	v_add_f32_e32 v24, v20, v17
	s_delay_alu instid0(VALU_DEP_1) | instskip(NEXT) | instid1(VALU_DEP_1)
	v_dual_add_f32 v23, v22, v21 :: v_dual_sub_f32 v20, v20, v24
	v_rcp_f32_e32 v19, v23
	v_sub_f32_e32 v22, v22, v23
	s_delay_alu instid0(VALU_DEP_1) | instskip(SKIP_2) | instid1(VALU_DEP_1)
	v_add_f32_e32 v21, v21, v22
	s_waitcnt_depctr 0xfff
	v_mul_f32_e32 v25, v24, v19
	v_mul_f32_e32 v26, v23, v25
	s_delay_alu instid0(VALU_DEP_1) | instskip(NEXT) | instid1(VALU_DEP_1)
	v_fma_f32 v22, v25, v23, -v26
	v_fmac_f32_e32 v22, v25, v21
	s_delay_alu instid0(VALU_DEP_1) | instskip(NEXT) | instid1(VALU_DEP_1)
	v_add_f32_e32 v27, v26, v22
	v_sub_f32_e32 v28, v24, v27
	s_delay_alu instid0(VALU_DEP_1) | instskip(SKIP_1) | instid1(VALU_DEP_2)
	v_sub_f32_e32 v24, v24, v28
	v_dual_add_f32 v17, v17, v20 :: v_dual_sub_f32 v20, v27, v26
	v_sub_f32_e32 v24, v24, v27
	s_delay_alu instid0(VALU_DEP_1) | instskip(NEXT) | instid1(VALU_DEP_1)
	v_dual_sub_f32 v20, v20, v22 :: v_dual_add_f32 v17, v17, v24
	v_add_f32_e32 v17, v20, v17
	s_delay_alu instid0(VALU_DEP_1) | instskip(NEXT) | instid1(VALU_DEP_1)
	v_add_f32_e32 v20, v28, v17
	v_mul_f32_e32 v22, v19, v20
	s_delay_alu instid0(VALU_DEP_1) | instskip(NEXT) | instid1(VALU_DEP_1)
	v_dual_sub_f32 v27, v28, v20 :: v_dual_mul_f32 v24, v23, v22
	v_add_f32_e32 v17, v17, v27
	s_delay_alu instid0(VALU_DEP_2) | instskip(NEXT) | instid1(VALU_DEP_1)
	v_fma_f32 v23, v22, v23, -v24
	v_fmac_f32_e32 v23, v22, v21
	s_delay_alu instid0(VALU_DEP_1) | instskip(NEXT) | instid1(VALU_DEP_1)
	v_add_f32_e32 v21, v24, v23
	v_sub_f32_e32 v26, v20, v21
	s_delay_alu instid0(VALU_DEP_1) | instskip(NEXT) | instid1(VALU_DEP_1)
	v_sub_f32_e32 v20, v20, v26
	v_sub_f32_e32 v20, v20, v21
	s_delay_alu instid0(VALU_DEP_1) | instskip(SKIP_2) | instid1(VALU_DEP_1)
	v_add_f32_e32 v17, v17, v20
	v_add_f32_e32 v20, v25, v22
	v_sub_f32_e32 v24, v21, v24
	v_sub_f32_e32 v21, v24, v23
	s_delay_alu instid0(VALU_DEP_1) | instskip(NEXT) | instid1(VALU_DEP_4)
	v_add_f32_e32 v17, v21, v17
	v_sub_f32_e32 v21, v20, v25
	s_delay_alu instid0(VALU_DEP_2) | instskip(NEXT) | instid1(VALU_DEP_2)
	v_add_f32_e32 v17, v26, v17
	v_sub_f32_e32 v21, v22, v21
	s_delay_alu instid0(VALU_DEP_2) | instskip(NEXT) | instid1(VALU_DEP_1)
	v_mul_f32_e32 v17, v19, v17
	v_add_f32_e32 v17, v21, v17
	s_delay_alu instid0(VALU_DEP_1) | instskip(NEXT) | instid1(VALU_DEP_1)
	v_add_f32_e32 v19, v20, v17
	v_mul_f32_e32 v21, v19, v19
	s_delay_alu instid0(VALU_DEP_1) | instskip(SKIP_1) | instid1(VALU_DEP_2)
	v_fmaak_f32 v22, s54, v21, 0x3ecc95a3
	v_mul_f32_e32 v23, v19, v21
	v_fmaak_f32 v21, v21, v22, 0x3f2aaada
	v_ldexp_f32 v22, v19, 1
	s_delay_alu instid0(VALU_DEP_2) | instskip(SKIP_1) | instid1(VALU_DEP_2)
	v_mul_f32_e32 v21, v23, v21
	v_sub_f32_e32 v19, v19, v20
	v_dual_mul_f32 v23, 0x3f317218, v16 :: v_dual_add_f32 v20, v22, v21
	s_delay_alu instid0(VALU_DEP_2) | instskip(NEXT) | instid1(VALU_DEP_2)
	v_sub_f32_e32 v17, v17, v19
	v_sub_f32_e32 v19, v20, v22
	s_delay_alu instid0(VALU_DEP_3) | instskip(NEXT) | instid1(VALU_DEP_3)
	v_fma_f32 v22, 0x3f317218, v16, -v23
	v_ldexp_f32 v17, v17, 1
	s_delay_alu instid0(VALU_DEP_2) | instskip(NEXT) | instid1(VALU_DEP_1)
	v_dual_sub_f32 v19, v21, v19 :: v_dual_fmac_f32 v22, 0xb102e308, v16
	v_dual_add_f32 v16, v17, v19 :: v_dual_add_f32 v17, v23, v22
	s_delay_alu instid0(VALU_DEP_1) | instskip(NEXT) | instid1(VALU_DEP_1)
	v_add_f32_e32 v19, v20, v16
	v_dual_add_f32 v21, v17, v19 :: v_dual_sub_f32 v20, v19, v20
	s_delay_alu instid0(VALU_DEP_1) | instskip(NEXT) | instid1(VALU_DEP_2)
	v_sub_f32_e32 v24, v21, v17
	v_dual_sub_f32 v23, v17, v23 :: v_dual_sub_f32 v16, v16, v20
	s_delay_alu instid0(VALU_DEP_1) | instskip(SKIP_1) | instid1(VALU_DEP_2)
	v_dual_sub_f32 v25, v21, v24 :: v_dual_sub_f32 v22, v22, v23
	v_sub_f32_e32 v19, v19, v24
	v_dual_sub_f32 v17, v17, v25 :: v_dual_add_f32 v20, v22, v16
	s_delay_alu instid0(VALU_DEP_1) | instskip(NEXT) | instid1(VALU_DEP_2)
	v_add_f32_e32 v17, v19, v17
	v_sub_f32_e32 v19, v20, v22
	s_delay_alu instid0(VALU_DEP_2) | instskip(NEXT) | instid1(VALU_DEP_2)
	v_add_f32_e32 v17, v20, v17
	v_sub_f32_e32 v20, v20, v19
	s_delay_alu instid0(VALU_DEP_2) | instskip(NEXT) | instid1(VALU_DEP_1)
	v_dual_sub_f32 v16, v16, v19 :: v_dual_add_f32 v23, v21, v17
	v_dual_sub_f32 v20, v22, v20 :: v_dual_sub_f32 v19, v23, v21
	s_delay_alu instid0(VALU_DEP_1) | instskip(NEXT) | instid1(VALU_DEP_1)
	v_dual_add_f32 v16, v16, v20 :: v_dual_sub_f32 v17, v17, v19
	v_add_f32_e32 v16, v16, v17
	s_delay_alu instid0(VALU_DEP_1) | instskip(NEXT) | instid1(VALU_DEP_1)
	v_add_f32_e32 v16, v23, v16
	v_cndmask_b32_e32 v63, v16, v18, vcc_lo
.LBB91_22:                              ;   in Loop: Header=BB91_12 Depth=1
	s_or_b32 exec_lo, exec_lo, s16
	v_lshrrev_b32_e32 v16, 16, v4
	s_delay_alu instid0(VALU_DEP_1) | instskip(NEXT) | instid1(VALU_DEP_1)
	v_cvt_f32_f16_e32 v16, v16
	v_add_f32_e32 v64, s57, v16
	s_delay_alu instid0(VALU_DEP_1) | instskip(SKIP_1) | instid1(SALU_CYCLE_1)
	v_cmp_ge_f32_e32 vcc_lo, 0x41a00000, v64
	s_and_b32 s15, s67, vcc_lo
	s_and_saveexec_b32 s16, s15
	s_cbranch_execz .LBB91_24
; %bb.23:                               ;   in Loop: Header=BB91_12 Depth=1
	v_mul_f32_e32 v16, 0x3fb8aa3b, v64
	v_cmp_ngt_f32_e32 vcc_lo, 0xc2ce8ed0, v64
	s_delay_alu instid0(VALU_DEP_2) | instskip(SKIP_1) | instid1(VALU_DEP_2)
	v_rndne_f32_e32 v17, v16
	v_fma_f32 v18, 0x3fb8aa3b, v64, -v16
	v_sub_f32_e32 v16, v16, v17
	s_delay_alu instid0(VALU_DEP_2) | instskip(SKIP_1) | instid1(VALU_DEP_2)
	v_fmac_f32_e32 v18, 0x32a5705f, v64
	v_cvt_i32_f32_e32 v17, v17
	v_add_f32_e32 v16, v16, v18
	s_delay_alu instid0(VALU_DEP_1) | instskip(SKIP_2) | instid1(VALU_DEP_1)
	v_exp_f32_e32 v16, v16
	s_waitcnt_depctr 0xfff
	v_ldexp_f32 v16, v16, v17
	v_cndmask_b32_e32 v16, 0, v16, vcc_lo
	v_cmp_nlt_f32_e32 vcc_lo, 0x42b17218, v64
	s_delay_alu instid0(VALU_DEP_2) | instskip(NEXT) | instid1(VALU_DEP_1)
	v_cndmask_b32_e32 v18, 0x7f800000, v16, vcc_lo
	v_add_f32_e32 v19, 1.0, v18
	s_delay_alu instid0(VALU_DEP_1) | instskip(NEXT) | instid1(VALU_DEP_1)
	v_cvt_f64_f32_e32 v[16:17], v19
	v_frexp_exp_i32_f64_e32 v16, v[16:17]
	v_frexp_mant_f32_e32 v17, v19
	s_delay_alu instid0(VALU_DEP_1) | instskip(SKIP_1) | instid1(VALU_DEP_1)
	v_cmp_gt_f32_e32 vcc_lo, 0x3f2aaaab, v17
	v_add_f32_e32 v17, -1.0, v19
	v_sub_f32_e32 v21, v17, v19
	v_sub_f32_e32 v17, v18, v17
	s_delay_alu instid0(VALU_DEP_2) | instskip(NEXT) | instid1(VALU_DEP_1)
	v_add_f32_e32 v21, 1.0, v21
	v_add_f32_e32 v17, v17, v21
	v_cmp_gt_f32_e64 s15, 0x33800000, v18
	v_subrev_co_ci_u32_e32 v16, vcc_lo, 0, v16, vcc_lo
	v_cmp_eq_f32_e32 vcc_lo, 0x7f800000, v18
	s_delay_alu instid0(VALU_DEP_2) | instskip(SKIP_2) | instid1(VALU_DEP_2)
	v_sub_nc_u32_e32 v20, 0, v16
	v_cvt_f32_i32_e32 v16, v16
	s_or_b32 vcc_lo, s15, vcc_lo
	v_ldexp_f32 v19, v19, v20
	v_ldexp_f32 v17, v17, v20
	s_delay_alu instid0(VALU_DEP_2) | instskip(NEXT) | instid1(VALU_DEP_1)
	v_add_f32_e32 v22, 1.0, v19
	v_dual_add_f32 v20, -1.0, v19 :: v_dual_add_f32 v21, -1.0, v22
	s_delay_alu instid0(VALU_DEP_1) | instskip(NEXT) | instid1(VALU_DEP_2)
	v_add_f32_e32 v23, 1.0, v20
	v_sub_f32_e32 v21, v19, v21
	s_delay_alu instid0(VALU_DEP_2) | instskip(NEXT) | instid1(VALU_DEP_2)
	v_sub_f32_e32 v19, v19, v23
	v_add_f32_e32 v21, v17, v21
	s_delay_alu instid0(VALU_DEP_2) | instskip(NEXT) | instid1(VALU_DEP_1)
	v_add_f32_e32 v17, v17, v19
	v_add_f32_e32 v24, v20, v17
	s_delay_alu instid0(VALU_DEP_1) | instskip(NEXT) | instid1(VALU_DEP_1)
	v_dual_add_f32 v23, v22, v21 :: v_dual_sub_f32 v20, v20, v24
	v_rcp_f32_e32 v19, v23
	v_sub_f32_e32 v22, v22, v23
	s_delay_alu instid0(VALU_DEP_1) | instskip(SKIP_2) | instid1(VALU_DEP_1)
	v_add_f32_e32 v21, v21, v22
	s_waitcnt_depctr 0xfff
	v_mul_f32_e32 v25, v24, v19
	v_mul_f32_e32 v26, v23, v25
	s_delay_alu instid0(VALU_DEP_1) | instskip(NEXT) | instid1(VALU_DEP_1)
	v_fma_f32 v22, v25, v23, -v26
	v_fmac_f32_e32 v22, v25, v21
	s_delay_alu instid0(VALU_DEP_1) | instskip(NEXT) | instid1(VALU_DEP_1)
	v_add_f32_e32 v27, v26, v22
	v_sub_f32_e32 v28, v24, v27
	s_delay_alu instid0(VALU_DEP_1) | instskip(SKIP_1) | instid1(VALU_DEP_2)
	v_sub_f32_e32 v24, v24, v28
	v_dual_add_f32 v17, v17, v20 :: v_dual_sub_f32 v20, v27, v26
	v_sub_f32_e32 v24, v24, v27
	s_delay_alu instid0(VALU_DEP_1) | instskip(NEXT) | instid1(VALU_DEP_1)
	v_dual_sub_f32 v20, v20, v22 :: v_dual_add_f32 v17, v17, v24
	v_add_f32_e32 v17, v20, v17
	s_delay_alu instid0(VALU_DEP_1) | instskip(NEXT) | instid1(VALU_DEP_1)
	v_add_f32_e32 v20, v28, v17
	v_mul_f32_e32 v22, v19, v20
	s_delay_alu instid0(VALU_DEP_1) | instskip(NEXT) | instid1(VALU_DEP_1)
	v_dual_sub_f32 v27, v28, v20 :: v_dual_mul_f32 v24, v23, v22
	v_add_f32_e32 v17, v17, v27
	s_delay_alu instid0(VALU_DEP_2) | instskip(NEXT) | instid1(VALU_DEP_1)
	v_fma_f32 v23, v22, v23, -v24
	v_fmac_f32_e32 v23, v22, v21
	s_delay_alu instid0(VALU_DEP_1) | instskip(NEXT) | instid1(VALU_DEP_1)
	v_add_f32_e32 v21, v24, v23
	v_sub_f32_e32 v26, v20, v21
	s_delay_alu instid0(VALU_DEP_1) | instskip(NEXT) | instid1(VALU_DEP_1)
	v_sub_f32_e32 v20, v20, v26
	v_sub_f32_e32 v20, v20, v21
	s_delay_alu instid0(VALU_DEP_1) | instskip(SKIP_2) | instid1(VALU_DEP_1)
	v_add_f32_e32 v17, v17, v20
	v_add_f32_e32 v20, v25, v22
	v_sub_f32_e32 v24, v21, v24
	v_sub_f32_e32 v21, v24, v23
	s_delay_alu instid0(VALU_DEP_1) | instskip(NEXT) | instid1(VALU_DEP_4)
	v_add_f32_e32 v17, v21, v17
	v_sub_f32_e32 v21, v20, v25
	s_delay_alu instid0(VALU_DEP_2) | instskip(NEXT) | instid1(VALU_DEP_2)
	v_add_f32_e32 v17, v26, v17
	v_sub_f32_e32 v21, v22, v21
	s_delay_alu instid0(VALU_DEP_2) | instskip(NEXT) | instid1(VALU_DEP_1)
	v_mul_f32_e32 v17, v19, v17
	v_add_f32_e32 v17, v21, v17
	s_delay_alu instid0(VALU_DEP_1) | instskip(NEXT) | instid1(VALU_DEP_1)
	v_add_f32_e32 v19, v20, v17
	v_mul_f32_e32 v21, v19, v19
	s_delay_alu instid0(VALU_DEP_1) | instskip(SKIP_1) | instid1(VALU_DEP_2)
	v_fmaak_f32 v22, s54, v21, 0x3ecc95a3
	v_mul_f32_e32 v23, v19, v21
	v_fmaak_f32 v21, v21, v22, 0x3f2aaada
	v_ldexp_f32 v22, v19, 1
	s_delay_alu instid0(VALU_DEP_2) | instskip(SKIP_1) | instid1(VALU_DEP_2)
	v_mul_f32_e32 v21, v23, v21
	v_sub_f32_e32 v19, v19, v20
	v_dual_mul_f32 v23, 0x3f317218, v16 :: v_dual_add_f32 v20, v22, v21
	s_delay_alu instid0(VALU_DEP_2) | instskip(NEXT) | instid1(VALU_DEP_2)
	v_sub_f32_e32 v17, v17, v19
	v_sub_f32_e32 v19, v20, v22
	s_delay_alu instid0(VALU_DEP_3) | instskip(NEXT) | instid1(VALU_DEP_3)
	v_fma_f32 v22, 0x3f317218, v16, -v23
	v_ldexp_f32 v17, v17, 1
	s_delay_alu instid0(VALU_DEP_2) | instskip(NEXT) | instid1(VALU_DEP_1)
	v_dual_sub_f32 v19, v21, v19 :: v_dual_fmac_f32 v22, 0xb102e308, v16
	v_dual_add_f32 v16, v17, v19 :: v_dual_add_f32 v17, v23, v22
	s_delay_alu instid0(VALU_DEP_1) | instskip(NEXT) | instid1(VALU_DEP_1)
	v_add_f32_e32 v19, v20, v16
	v_dual_add_f32 v21, v17, v19 :: v_dual_sub_f32 v20, v19, v20
	s_delay_alu instid0(VALU_DEP_1) | instskip(NEXT) | instid1(VALU_DEP_2)
	v_sub_f32_e32 v24, v21, v17
	v_dual_sub_f32 v23, v17, v23 :: v_dual_sub_f32 v16, v16, v20
	s_delay_alu instid0(VALU_DEP_1) | instskip(SKIP_1) | instid1(VALU_DEP_2)
	v_dual_sub_f32 v25, v21, v24 :: v_dual_sub_f32 v22, v22, v23
	v_sub_f32_e32 v19, v19, v24
	v_dual_sub_f32 v17, v17, v25 :: v_dual_add_f32 v20, v22, v16
	s_delay_alu instid0(VALU_DEP_1) | instskip(NEXT) | instid1(VALU_DEP_2)
	v_add_f32_e32 v17, v19, v17
	v_sub_f32_e32 v19, v20, v22
	s_delay_alu instid0(VALU_DEP_2) | instskip(NEXT) | instid1(VALU_DEP_2)
	v_add_f32_e32 v17, v20, v17
	v_sub_f32_e32 v20, v20, v19
	s_delay_alu instid0(VALU_DEP_2) | instskip(NEXT) | instid1(VALU_DEP_1)
	v_dual_sub_f32 v16, v16, v19 :: v_dual_add_f32 v23, v21, v17
	v_dual_sub_f32 v20, v22, v20 :: v_dual_sub_f32 v19, v23, v21
	s_delay_alu instid0(VALU_DEP_1) | instskip(NEXT) | instid1(VALU_DEP_1)
	v_dual_add_f32 v16, v16, v20 :: v_dual_sub_f32 v17, v17, v19
	v_add_f32_e32 v16, v16, v17
	s_delay_alu instid0(VALU_DEP_1) | instskip(NEXT) | instid1(VALU_DEP_1)
	v_add_f32_e32 v16, v23, v16
	v_cndmask_b32_e32 v64, v16, v18, vcc_lo
.LBB91_24:                              ;   in Loop: Header=BB91_12 Depth=1
	s_or_b32 exec_lo, exec_lo, s16
	v_cvt_f32_f16_e32 v16, v5
	s_delay_alu instid0(VALU_DEP_1) | instskip(NEXT) | instid1(VALU_DEP_1)
	v_add_f32_e32 v65, s57, v16
	v_cmp_ge_f32_e32 vcc_lo, 0x41a00000, v65
	s_and_b32 s15, s67, vcc_lo
	s_delay_alu instid0(SALU_CYCLE_1)
	s_and_saveexec_b32 s16, s15
	s_cbranch_execz .LBB91_26
; %bb.25:                               ;   in Loop: Header=BB91_12 Depth=1
	v_mul_f32_e32 v16, 0x3fb8aa3b, v65
	v_cmp_ngt_f32_e32 vcc_lo, 0xc2ce8ed0, v65
	s_delay_alu instid0(VALU_DEP_2) | instskip(SKIP_1) | instid1(VALU_DEP_2)
	v_rndne_f32_e32 v17, v16
	v_fma_f32 v18, 0x3fb8aa3b, v65, -v16
	v_sub_f32_e32 v16, v16, v17
	s_delay_alu instid0(VALU_DEP_2) | instskip(SKIP_1) | instid1(VALU_DEP_2)
	v_fmac_f32_e32 v18, 0x32a5705f, v65
	v_cvt_i32_f32_e32 v17, v17
	v_add_f32_e32 v16, v16, v18
	s_delay_alu instid0(VALU_DEP_1) | instskip(SKIP_2) | instid1(VALU_DEP_1)
	v_exp_f32_e32 v16, v16
	s_waitcnt_depctr 0xfff
	v_ldexp_f32 v16, v16, v17
	v_cndmask_b32_e32 v16, 0, v16, vcc_lo
	v_cmp_nlt_f32_e32 vcc_lo, 0x42b17218, v65
	s_delay_alu instid0(VALU_DEP_2) | instskip(NEXT) | instid1(VALU_DEP_1)
	v_cndmask_b32_e32 v18, 0x7f800000, v16, vcc_lo
	v_add_f32_e32 v19, 1.0, v18
	s_delay_alu instid0(VALU_DEP_1) | instskip(NEXT) | instid1(VALU_DEP_1)
	v_cvt_f64_f32_e32 v[16:17], v19
	v_frexp_exp_i32_f64_e32 v16, v[16:17]
	v_frexp_mant_f32_e32 v17, v19
	s_delay_alu instid0(VALU_DEP_1) | instskip(SKIP_1) | instid1(VALU_DEP_1)
	v_cmp_gt_f32_e32 vcc_lo, 0x3f2aaaab, v17
	v_add_f32_e32 v17, -1.0, v19
	v_sub_f32_e32 v21, v17, v19
	v_sub_f32_e32 v17, v18, v17
	s_delay_alu instid0(VALU_DEP_2) | instskip(NEXT) | instid1(VALU_DEP_1)
	v_add_f32_e32 v21, 1.0, v21
	v_add_f32_e32 v17, v17, v21
	v_cmp_gt_f32_e64 s15, 0x33800000, v18
	v_subrev_co_ci_u32_e32 v16, vcc_lo, 0, v16, vcc_lo
	v_cmp_eq_f32_e32 vcc_lo, 0x7f800000, v18
	s_delay_alu instid0(VALU_DEP_2) | instskip(SKIP_2) | instid1(VALU_DEP_2)
	v_sub_nc_u32_e32 v20, 0, v16
	v_cvt_f32_i32_e32 v16, v16
	s_or_b32 vcc_lo, s15, vcc_lo
	v_ldexp_f32 v19, v19, v20
	v_ldexp_f32 v17, v17, v20
	s_delay_alu instid0(VALU_DEP_2) | instskip(NEXT) | instid1(VALU_DEP_1)
	v_add_f32_e32 v22, 1.0, v19
	v_dual_add_f32 v20, -1.0, v19 :: v_dual_add_f32 v21, -1.0, v22
	s_delay_alu instid0(VALU_DEP_1) | instskip(NEXT) | instid1(VALU_DEP_2)
	v_add_f32_e32 v23, 1.0, v20
	v_sub_f32_e32 v21, v19, v21
	s_delay_alu instid0(VALU_DEP_2) | instskip(NEXT) | instid1(VALU_DEP_2)
	v_sub_f32_e32 v19, v19, v23
	v_add_f32_e32 v21, v17, v21
	s_delay_alu instid0(VALU_DEP_2) | instskip(NEXT) | instid1(VALU_DEP_1)
	v_add_f32_e32 v17, v17, v19
	v_add_f32_e32 v24, v20, v17
	s_delay_alu instid0(VALU_DEP_1) | instskip(NEXT) | instid1(VALU_DEP_1)
	v_dual_add_f32 v23, v22, v21 :: v_dual_sub_f32 v20, v20, v24
	v_rcp_f32_e32 v19, v23
	v_sub_f32_e32 v22, v22, v23
	s_delay_alu instid0(VALU_DEP_1) | instskip(SKIP_2) | instid1(VALU_DEP_1)
	v_add_f32_e32 v21, v21, v22
	s_waitcnt_depctr 0xfff
	v_mul_f32_e32 v25, v24, v19
	v_mul_f32_e32 v26, v23, v25
	s_delay_alu instid0(VALU_DEP_1) | instskip(NEXT) | instid1(VALU_DEP_1)
	v_fma_f32 v22, v25, v23, -v26
	v_fmac_f32_e32 v22, v25, v21
	s_delay_alu instid0(VALU_DEP_1) | instskip(NEXT) | instid1(VALU_DEP_1)
	v_add_f32_e32 v27, v26, v22
	v_sub_f32_e32 v28, v24, v27
	s_delay_alu instid0(VALU_DEP_1) | instskip(SKIP_1) | instid1(VALU_DEP_2)
	v_sub_f32_e32 v24, v24, v28
	v_dual_add_f32 v17, v17, v20 :: v_dual_sub_f32 v20, v27, v26
	v_sub_f32_e32 v24, v24, v27
	s_delay_alu instid0(VALU_DEP_1) | instskip(NEXT) | instid1(VALU_DEP_1)
	v_dual_sub_f32 v20, v20, v22 :: v_dual_add_f32 v17, v17, v24
	v_add_f32_e32 v17, v20, v17
	s_delay_alu instid0(VALU_DEP_1) | instskip(NEXT) | instid1(VALU_DEP_1)
	v_add_f32_e32 v20, v28, v17
	v_mul_f32_e32 v22, v19, v20
	s_delay_alu instid0(VALU_DEP_1) | instskip(NEXT) | instid1(VALU_DEP_1)
	v_dual_sub_f32 v27, v28, v20 :: v_dual_mul_f32 v24, v23, v22
	v_add_f32_e32 v17, v17, v27
	s_delay_alu instid0(VALU_DEP_2) | instskip(NEXT) | instid1(VALU_DEP_1)
	v_fma_f32 v23, v22, v23, -v24
	v_fmac_f32_e32 v23, v22, v21
	s_delay_alu instid0(VALU_DEP_1) | instskip(NEXT) | instid1(VALU_DEP_1)
	v_add_f32_e32 v21, v24, v23
	v_sub_f32_e32 v26, v20, v21
	s_delay_alu instid0(VALU_DEP_1) | instskip(NEXT) | instid1(VALU_DEP_1)
	v_sub_f32_e32 v20, v20, v26
	v_sub_f32_e32 v20, v20, v21
	s_delay_alu instid0(VALU_DEP_1) | instskip(SKIP_2) | instid1(VALU_DEP_1)
	v_add_f32_e32 v17, v17, v20
	v_add_f32_e32 v20, v25, v22
	v_sub_f32_e32 v24, v21, v24
	v_sub_f32_e32 v21, v24, v23
	s_delay_alu instid0(VALU_DEP_1) | instskip(NEXT) | instid1(VALU_DEP_4)
	v_add_f32_e32 v17, v21, v17
	v_sub_f32_e32 v21, v20, v25
	s_delay_alu instid0(VALU_DEP_2) | instskip(NEXT) | instid1(VALU_DEP_2)
	v_add_f32_e32 v17, v26, v17
	v_sub_f32_e32 v21, v22, v21
	s_delay_alu instid0(VALU_DEP_2) | instskip(NEXT) | instid1(VALU_DEP_1)
	v_mul_f32_e32 v17, v19, v17
	v_add_f32_e32 v17, v21, v17
	s_delay_alu instid0(VALU_DEP_1) | instskip(NEXT) | instid1(VALU_DEP_1)
	v_add_f32_e32 v19, v20, v17
	v_mul_f32_e32 v21, v19, v19
	s_delay_alu instid0(VALU_DEP_1) | instskip(SKIP_1) | instid1(VALU_DEP_2)
	v_fmaak_f32 v22, s54, v21, 0x3ecc95a3
	v_mul_f32_e32 v23, v19, v21
	v_fmaak_f32 v21, v21, v22, 0x3f2aaada
	v_ldexp_f32 v22, v19, 1
	s_delay_alu instid0(VALU_DEP_2) | instskip(SKIP_1) | instid1(VALU_DEP_2)
	v_mul_f32_e32 v21, v23, v21
	v_sub_f32_e32 v19, v19, v20
	v_dual_mul_f32 v23, 0x3f317218, v16 :: v_dual_add_f32 v20, v22, v21
	s_delay_alu instid0(VALU_DEP_2) | instskip(NEXT) | instid1(VALU_DEP_2)
	v_sub_f32_e32 v17, v17, v19
	v_sub_f32_e32 v19, v20, v22
	s_delay_alu instid0(VALU_DEP_3) | instskip(NEXT) | instid1(VALU_DEP_3)
	v_fma_f32 v22, 0x3f317218, v16, -v23
	v_ldexp_f32 v17, v17, 1
	s_delay_alu instid0(VALU_DEP_2) | instskip(NEXT) | instid1(VALU_DEP_1)
	v_dual_sub_f32 v19, v21, v19 :: v_dual_fmac_f32 v22, 0xb102e308, v16
	v_dual_add_f32 v16, v17, v19 :: v_dual_add_f32 v17, v23, v22
	s_delay_alu instid0(VALU_DEP_1) | instskip(NEXT) | instid1(VALU_DEP_1)
	v_add_f32_e32 v19, v20, v16
	v_dual_add_f32 v21, v17, v19 :: v_dual_sub_f32 v20, v19, v20
	s_delay_alu instid0(VALU_DEP_1) | instskip(NEXT) | instid1(VALU_DEP_2)
	v_sub_f32_e32 v24, v21, v17
	v_dual_sub_f32 v23, v17, v23 :: v_dual_sub_f32 v16, v16, v20
	s_delay_alu instid0(VALU_DEP_1) | instskip(SKIP_1) | instid1(VALU_DEP_2)
	v_dual_sub_f32 v25, v21, v24 :: v_dual_sub_f32 v22, v22, v23
	v_sub_f32_e32 v19, v19, v24
	v_dual_sub_f32 v17, v17, v25 :: v_dual_add_f32 v20, v22, v16
	s_delay_alu instid0(VALU_DEP_1) | instskip(NEXT) | instid1(VALU_DEP_2)
	v_add_f32_e32 v17, v19, v17
	v_sub_f32_e32 v19, v20, v22
	s_delay_alu instid0(VALU_DEP_2) | instskip(NEXT) | instid1(VALU_DEP_2)
	v_add_f32_e32 v17, v20, v17
	v_sub_f32_e32 v20, v20, v19
	s_delay_alu instid0(VALU_DEP_2) | instskip(NEXT) | instid1(VALU_DEP_1)
	v_dual_sub_f32 v16, v16, v19 :: v_dual_add_f32 v23, v21, v17
	v_dual_sub_f32 v20, v22, v20 :: v_dual_sub_f32 v19, v23, v21
	s_delay_alu instid0(VALU_DEP_1) | instskip(NEXT) | instid1(VALU_DEP_1)
	v_dual_add_f32 v16, v16, v20 :: v_dual_sub_f32 v17, v17, v19
	v_add_f32_e32 v16, v16, v17
	s_delay_alu instid0(VALU_DEP_1) | instskip(NEXT) | instid1(VALU_DEP_1)
	v_add_f32_e32 v16, v23, v16
	v_cndmask_b32_e32 v65, v16, v18, vcc_lo
.LBB91_26:                              ;   in Loop: Header=BB91_12 Depth=1
	s_or_b32 exec_lo, exec_lo, s16
	v_lshrrev_b32_e32 v16, 16, v5
	s_delay_alu instid0(VALU_DEP_1) | instskip(NEXT) | instid1(VALU_DEP_1)
	v_cvt_f32_f16_e32 v16, v16
	v_add_f32_e32 v66, s57, v16
	s_delay_alu instid0(VALU_DEP_1) | instskip(SKIP_1) | instid1(SALU_CYCLE_1)
	v_cmp_ge_f32_e32 vcc_lo, 0x41a00000, v66
	s_and_b32 s15, s67, vcc_lo
	s_and_saveexec_b32 s16, s15
	s_cbranch_execz .LBB91_28
; %bb.27:                               ;   in Loop: Header=BB91_12 Depth=1
	v_mul_f32_e32 v16, 0x3fb8aa3b, v66
	v_cmp_ngt_f32_e32 vcc_lo, 0xc2ce8ed0, v66
	s_delay_alu instid0(VALU_DEP_2) | instskip(SKIP_1) | instid1(VALU_DEP_2)
	v_rndne_f32_e32 v17, v16
	v_fma_f32 v18, 0x3fb8aa3b, v66, -v16
	v_sub_f32_e32 v16, v16, v17
	s_delay_alu instid0(VALU_DEP_2) | instskip(SKIP_1) | instid1(VALU_DEP_2)
	v_fmac_f32_e32 v18, 0x32a5705f, v66
	v_cvt_i32_f32_e32 v17, v17
	v_add_f32_e32 v16, v16, v18
	s_delay_alu instid0(VALU_DEP_1) | instskip(SKIP_2) | instid1(VALU_DEP_1)
	v_exp_f32_e32 v16, v16
	s_waitcnt_depctr 0xfff
	v_ldexp_f32 v16, v16, v17
	v_cndmask_b32_e32 v16, 0, v16, vcc_lo
	v_cmp_nlt_f32_e32 vcc_lo, 0x42b17218, v66
	s_delay_alu instid0(VALU_DEP_2) | instskip(NEXT) | instid1(VALU_DEP_1)
	v_cndmask_b32_e32 v18, 0x7f800000, v16, vcc_lo
	v_add_f32_e32 v19, 1.0, v18
	s_delay_alu instid0(VALU_DEP_1) | instskip(NEXT) | instid1(VALU_DEP_1)
	v_cvt_f64_f32_e32 v[16:17], v19
	v_frexp_exp_i32_f64_e32 v16, v[16:17]
	v_frexp_mant_f32_e32 v17, v19
	s_delay_alu instid0(VALU_DEP_1) | instskip(SKIP_1) | instid1(VALU_DEP_1)
	v_cmp_gt_f32_e32 vcc_lo, 0x3f2aaaab, v17
	v_add_f32_e32 v17, -1.0, v19
	v_sub_f32_e32 v21, v17, v19
	v_sub_f32_e32 v17, v18, v17
	s_delay_alu instid0(VALU_DEP_2) | instskip(NEXT) | instid1(VALU_DEP_1)
	v_add_f32_e32 v21, 1.0, v21
	v_add_f32_e32 v17, v17, v21
	v_cmp_gt_f32_e64 s15, 0x33800000, v18
	v_subrev_co_ci_u32_e32 v16, vcc_lo, 0, v16, vcc_lo
	v_cmp_eq_f32_e32 vcc_lo, 0x7f800000, v18
	s_delay_alu instid0(VALU_DEP_2) | instskip(SKIP_2) | instid1(VALU_DEP_2)
	v_sub_nc_u32_e32 v20, 0, v16
	v_cvt_f32_i32_e32 v16, v16
	s_or_b32 vcc_lo, s15, vcc_lo
	v_ldexp_f32 v19, v19, v20
	v_ldexp_f32 v17, v17, v20
	s_delay_alu instid0(VALU_DEP_2) | instskip(NEXT) | instid1(VALU_DEP_1)
	v_add_f32_e32 v22, 1.0, v19
	v_dual_add_f32 v20, -1.0, v19 :: v_dual_add_f32 v21, -1.0, v22
	s_delay_alu instid0(VALU_DEP_1) | instskip(NEXT) | instid1(VALU_DEP_2)
	v_add_f32_e32 v23, 1.0, v20
	v_sub_f32_e32 v21, v19, v21
	s_delay_alu instid0(VALU_DEP_2) | instskip(NEXT) | instid1(VALU_DEP_2)
	v_sub_f32_e32 v19, v19, v23
	v_add_f32_e32 v21, v17, v21
	s_delay_alu instid0(VALU_DEP_2) | instskip(NEXT) | instid1(VALU_DEP_1)
	v_add_f32_e32 v17, v17, v19
	v_add_f32_e32 v24, v20, v17
	s_delay_alu instid0(VALU_DEP_1) | instskip(NEXT) | instid1(VALU_DEP_1)
	v_dual_add_f32 v23, v22, v21 :: v_dual_sub_f32 v20, v20, v24
	v_rcp_f32_e32 v19, v23
	v_sub_f32_e32 v22, v22, v23
	s_delay_alu instid0(VALU_DEP_1) | instskip(SKIP_2) | instid1(VALU_DEP_1)
	v_add_f32_e32 v21, v21, v22
	s_waitcnt_depctr 0xfff
	v_mul_f32_e32 v25, v24, v19
	v_mul_f32_e32 v26, v23, v25
	s_delay_alu instid0(VALU_DEP_1) | instskip(NEXT) | instid1(VALU_DEP_1)
	v_fma_f32 v22, v25, v23, -v26
	v_fmac_f32_e32 v22, v25, v21
	s_delay_alu instid0(VALU_DEP_1) | instskip(NEXT) | instid1(VALU_DEP_1)
	v_add_f32_e32 v27, v26, v22
	v_sub_f32_e32 v28, v24, v27
	s_delay_alu instid0(VALU_DEP_1) | instskip(SKIP_1) | instid1(VALU_DEP_2)
	v_sub_f32_e32 v24, v24, v28
	v_dual_add_f32 v17, v17, v20 :: v_dual_sub_f32 v20, v27, v26
	v_sub_f32_e32 v24, v24, v27
	s_delay_alu instid0(VALU_DEP_1) | instskip(NEXT) | instid1(VALU_DEP_1)
	v_dual_sub_f32 v20, v20, v22 :: v_dual_add_f32 v17, v17, v24
	v_add_f32_e32 v17, v20, v17
	s_delay_alu instid0(VALU_DEP_1) | instskip(NEXT) | instid1(VALU_DEP_1)
	v_add_f32_e32 v20, v28, v17
	v_mul_f32_e32 v22, v19, v20
	s_delay_alu instid0(VALU_DEP_1) | instskip(NEXT) | instid1(VALU_DEP_1)
	v_dual_sub_f32 v27, v28, v20 :: v_dual_mul_f32 v24, v23, v22
	v_add_f32_e32 v17, v17, v27
	s_delay_alu instid0(VALU_DEP_2) | instskip(NEXT) | instid1(VALU_DEP_1)
	v_fma_f32 v23, v22, v23, -v24
	v_fmac_f32_e32 v23, v22, v21
	s_delay_alu instid0(VALU_DEP_1) | instskip(NEXT) | instid1(VALU_DEP_1)
	v_add_f32_e32 v21, v24, v23
	v_sub_f32_e32 v26, v20, v21
	s_delay_alu instid0(VALU_DEP_1) | instskip(NEXT) | instid1(VALU_DEP_1)
	v_sub_f32_e32 v20, v20, v26
	v_sub_f32_e32 v20, v20, v21
	s_delay_alu instid0(VALU_DEP_1) | instskip(SKIP_2) | instid1(VALU_DEP_1)
	v_add_f32_e32 v17, v17, v20
	v_add_f32_e32 v20, v25, v22
	v_sub_f32_e32 v24, v21, v24
	v_sub_f32_e32 v21, v24, v23
	s_delay_alu instid0(VALU_DEP_1) | instskip(NEXT) | instid1(VALU_DEP_4)
	v_add_f32_e32 v17, v21, v17
	v_sub_f32_e32 v21, v20, v25
	s_delay_alu instid0(VALU_DEP_2) | instskip(NEXT) | instid1(VALU_DEP_2)
	v_add_f32_e32 v17, v26, v17
	v_sub_f32_e32 v21, v22, v21
	s_delay_alu instid0(VALU_DEP_2) | instskip(NEXT) | instid1(VALU_DEP_1)
	v_mul_f32_e32 v17, v19, v17
	v_add_f32_e32 v17, v21, v17
	s_delay_alu instid0(VALU_DEP_1) | instskip(NEXT) | instid1(VALU_DEP_1)
	v_add_f32_e32 v19, v20, v17
	v_mul_f32_e32 v21, v19, v19
	s_delay_alu instid0(VALU_DEP_1) | instskip(SKIP_1) | instid1(VALU_DEP_2)
	v_fmaak_f32 v22, s54, v21, 0x3ecc95a3
	v_mul_f32_e32 v23, v19, v21
	v_fmaak_f32 v21, v21, v22, 0x3f2aaada
	v_ldexp_f32 v22, v19, 1
	s_delay_alu instid0(VALU_DEP_2) | instskip(SKIP_1) | instid1(VALU_DEP_2)
	v_mul_f32_e32 v21, v23, v21
	v_sub_f32_e32 v19, v19, v20
	v_dual_mul_f32 v23, 0x3f317218, v16 :: v_dual_add_f32 v20, v22, v21
	s_delay_alu instid0(VALU_DEP_2) | instskip(NEXT) | instid1(VALU_DEP_2)
	v_sub_f32_e32 v17, v17, v19
	v_sub_f32_e32 v19, v20, v22
	s_delay_alu instid0(VALU_DEP_3) | instskip(NEXT) | instid1(VALU_DEP_3)
	v_fma_f32 v22, 0x3f317218, v16, -v23
	v_ldexp_f32 v17, v17, 1
	s_delay_alu instid0(VALU_DEP_2) | instskip(NEXT) | instid1(VALU_DEP_1)
	v_dual_sub_f32 v19, v21, v19 :: v_dual_fmac_f32 v22, 0xb102e308, v16
	v_dual_add_f32 v16, v17, v19 :: v_dual_add_f32 v17, v23, v22
	s_delay_alu instid0(VALU_DEP_1) | instskip(NEXT) | instid1(VALU_DEP_1)
	v_add_f32_e32 v19, v20, v16
	v_dual_add_f32 v21, v17, v19 :: v_dual_sub_f32 v20, v19, v20
	s_delay_alu instid0(VALU_DEP_1) | instskip(NEXT) | instid1(VALU_DEP_2)
	v_sub_f32_e32 v24, v21, v17
	v_dual_sub_f32 v23, v17, v23 :: v_dual_sub_f32 v16, v16, v20
	s_delay_alu instid0(VALU_DEP_1) | instskip(SKIP_1) | instid1(VALU_DEP_2)
	v_dual_sub_f32 v25, v21, v24 :: v_dual_sub_f32 v22, v22, v23
	v_sub_f32_e32 v19, v19, v24
	v_dual_sub_f32 v17, v17, v25 :: v_dual_add_f32 v20, v22, v16
	s_delay_alu instid0(VALU_DEP_1) | instskip(NEXT) | instid1(VALU_DEP_2)
	v_add_f32_e32 v17, v19, v17
	v_sub_f32_e32 v19, v20, v22
	s_delay_alu instid0(VALU_DEP_2) | instskip(NEXT) | instid1(VALU_DEP_2)
	v_add_f32_e32 v17, v20, v17
	v_sub_f32_e32 v20, v20, v19
	s_delay_alu instid0(VALU_DEP_2) | instskip(NEXT) | instid1(VALU_DEP_1)
	v_dual_sub_f32 v16, v16, v19 :: v_dual_add_f32 v23, v21, v17
	v_dual_sub_f32 v20, v22, v20 :: v_dual_sub_f32 v19, v23, v21
	s_delay_alu instid0(VALU_DEP_1) | instskip(NEXT) | instid1(VALU_DEP_1)
	v_dual_add_f32 v16, v16, v20 :: v_dual_sub_f32 v17, v17, v19
	v_add_f32_e32 v16, v16, v17
	s_delay_alu instid0(VALU_DEP_1) | instskip(NEXT) | instid1(VALU_DEP_1)
	v_add_f32_e32 v16, v23, v16
	v_cndmask_b32_e32 v66, v16, v18, vcc_lo
.LBB91_28:                              ;   in Loop: Header=BB91_12 Depth=1
	s_or_b32 exec_lo, exec_lo, s16
	v_cvt_f32_f16_e32 v16, v6
	s_delay_alu instid0(VALU_DEP_1) | instskip(NEXT) | instid1(VALU_DEP_1)
	v_add_f32_e32 v67, s57, v16
	v_cmp_ge_f32_e32 vcc_lo, 0x41a00000, v67
	s_and_b32 s15, s67, vcc_lo
	s_delay_alu instid0(SALU_CYCLE_1)
	s_and_saveexec_b32 s16, s15
	s_cbranch_execz .LBB91_30
; %bb.29:                               ;   in Loop: Header=BB91_12 Depth=1
	v_mul_f32_e32 v16, 0x3fb8aa3b, v67
	v_cmp_ngt_f32_e32 vcc_lo, 0xc2ce8ed0, v67
	s_delay_alu instid0(VALU_DEP_2) | instskip(SKIP_1) | instid1(VALU_DEP_2)
	v_rndne_f32_e32 v17, v16
	v_fma_f32 v18, 0x3fb8aa3b, v67, -v16
	v_sub_f32_e32 v16, v16, v17
	s_delay_alu instid0(VALU_DEP_2) | instskip(SKIP_1) | instid1(VALU_DEP_2)
	v_fmac_f32_e32 v18, 0x32a5705f, v67
	v_cvt_i32_f32_e32 v17, v17
	v_add_f32_e32 v16, v16, v18
	s_delay_alu instid0(VALU_DEP_1) | instskip(SKIP_2) | instid1(VALU_DEP_1)
	v_exp_f32_e32 v16, v16
	s_waitcnt_depctr 0xfff
	v_ldexp_f32 v16, v16, v17
	v_cndmask_b32_e32 v16, 0, v16, vcc_lo
	v_cmp_nlt_f32_e32 vcc_lo, 0x42b17218, v67
	s_delay_alu instid0(VALU_DEP_2) | instskip(NEXT) | instid1(VALU_DEP_1)
	v_cndmask_b32_e32 v18, 0x7f800000, v16, vcc_lo
	v_add_f32_e32 v19, 1.0, v18
	s_delay_alu instid0(VALU_DEP_1) | instskip(NEXT) | instid1(VALU_DEP_1)
	v_cvt_f64_f32_e32 v[16:17], v19
	v_frexp_exp_i32_f64_e32 v16, v[16:17]
	v_frexp_mant_f32_e32 v17, v19
	s_delay_alu instid0(VALU_DEP_1) | instskip(SKIP_1) | instid1(VALU_DEP_1)
	v_cmp_gt_f32_e32 vcc_lo, 0x3f2aaaab, v17
	v_add_f32_e32 v17, -1.0, v19
	v_sub_f32_e32 v21, v17, v19
	v_sub_f32_e32 v17, v18, v17
	s_delay_alu instid0(VALU_DEP_2) | instskip(NEXT) | instid1(VALU_DEP_1)
	v_add_f32_e32 v21, 1.0, v21
	v_add_f32_e32 v17, v17, v21
	v_cmp_gt_f32_e64 s15, 0x33800000, v18
	v_subrev_co_ci_u32_e32 v16, vcc_lo, 0, v16, vcc_lo
	v_cmp_eq_f32_e32 vcc_lo, 0x7f800000, v18
	s_delay_alu instid0(VALU_DEP_2) | instskip(SKIP_2) | instid1(VALU_DEP_2)
	v_sub_nc_u32_e32 v20, 0, v16
	v_cvt_f32_i32_e32 v16, v16
	s_or_b32 vcc_lo, s15, vcc_lo
	v_ldexp_f32 v19, v19, v20
	v_ldexp_f32 v17, v17, v20
	s_delay_alu instid0(VALU_DEP_2) | instskip(NEXT) | instid1(VALU_DEP_1)
	v_add_f32_e32 v22, 1.0, v19
	v_dual_add_f32 v20, -1.0, v19 :: v_dual_add_f32 v21, -1.0, v22
	s_delay_alu instid0(VALU_DEP_1) | instskip(NEXT) | instid1(VALU_DEP_2)
	v_add_f32_e32 v23, 1.0, v20
	v_sub_f32_e32 v21, v19, v21
	s_delay_alu instid0(VALU_DEP_2) | instskip(NEXT) | instid1(VALU_DEP_2)
	v_sub_f32_e32 v19, v19, v23
	v_add_f32_e32 v21, v17, v21
	s_delay_alu instid0(VALU_DEP_2) | instskip(NEXT) | instid1(VALU_DEP_1)
	v_add_f32_e32 v17, v17, v19
	v_add_f32_e32 v24, v20, v17
	s_delay_alu instid0(VALU_DEP_1) | instskip(NEXT) | instid1(VALU_DEP_1)
	v_dual_add_f32 v23, v22, v21 :: v_dual_sub_f32 v20, v20, v24
	v_rcp_f32_e32 v19, v23
	v_sub_f32_e32 v22, v22, v23
	s_delay_alu instid0(VALU_DEP_1) | instskip(SKIP_2) | instid1(VALU_DEP_1)
	v_add_f32_e32 v21, v21, v22
	s_waitcnt_depctr 0xfff
	v_mul_f32_e32 v25, v24, v19
	v_mul_f32_e32 v26, v23, v25
	s_delay_alu instid0(VALU_DEP_1) | instskip(NEXT) | instid1(VALU_DEP_1)
	v_fma_f32 v22, v25, v23, -v26
	v_fmac_f32_e32 v22, v25, v21
	s_delay_alu instid0(VALU_DEP_1) | instskip(NEXT) | instid1(VALU_DEP_1)
	v_add_f32_e32 v27, v26, v22
	v_sub_f32_e32 v28, v24, v27
	s_delay_alu instid0(VALU_DEP_1) | instskip(SKIP_1) | instid1(VALU_DEP_2)
	v_sub_f32_e32 v24, v24, v28
	v_dual_add_f32 v17, v17, v20 :: v_dual_sub_f32 v20, v27, v26
	v_sub_f32_e32 v24, v24, v27
	s_delay_alu instid0(VALU_DEP_1) | instskip(NEXT) | instid1(VALU_DEP_1)
	v_dual_sub_f32 v20, v20, v22 :: v_dual_add_f32 v17, v17, v24
	v_add_f32_e32 v17, v20, v17
	s_delay_alu instid0(VALU_DEP_1) | instskip(NEXT) | instid1(VALU_DEP_1)
	v_add_f32_e32 v20, v28, v17
	v_mul_f32_e32 v22, v19, v20
	s_delay_alu instid0(VALU_DEP_1) | instskip(NEXT) | instid1(VALU_DEP_1)
	v_dual_sub_f32 v27, v28, v20 :: v_dual_mul_f32 v24, v23, v22
	v_add_f32_e32 v17, v17, v27
	s_delay_alu instid0(VALU_DEP_2) | instskip(NEXT) | instid1(VALU_DEP_1)
	v_fma_f32 v23, v22, v23, -v24
	v_fmac_f32_e32 v23, v22, v21
	s_delay_alu instid0(VALU_DEP_1) | instskip(NEXT) | instid1(VALU_DEP_1)
	v_add_f32_e32 v21, v24, v23
	v_sub_f32_e32 v26, v20, v21
	s_delay_alu instid0(VALU_DEP_1) | instskip(NEXT) | instid1(VALU_DEP_1)
	v_sub_f32_e32 v20, v20, v26
	v_sub_f32_e32 v20, v20, v21
	s_delay_alu instid0(VALU_DEP_1) | instskip(SKIP_2) | instid1(VALU_DEP_1)
	v_add_f32_e32 v17, v17, v20
	v_add_f32_e32 v20, v25, v22
	v_sub_f32_e32 v24, v21, v24
	v_sub_f32_e32 v21, v24, v23
	s_delay_alu instid0(VALU_DEP_1) | instskip(NEXT) | instid1(VALU_DEP_4)
	v_add_f32_e32 v17, v21, v17
	v_sub_f32_e32 v21, v20, v25
	s_delay_alu instid0(VALU_DEP_2) | instskip(NEXT) | instid1(VALU_DEP_2)
	v_add_f32_e32 v17, v26, v17
	v_sub_f32_e32 v21, v22, v21
	s_delay_alu instid0(VALU_DEP_2) | instskip(NEXT) | instid1(VALU_DEP_1)
	v_mul_f32_e32 v17, v19, v17
	v_add_f32_e32 v17, v21, v17
	s_delay_alu instid0(VALU_DEP_1) | instskip(NEXT) | instid1(VALU_DEP_1)
	v_add_f32_e32 v19, v20, v17
	v_mul_f32_e32 v21, v19, v19
	s_delay_alu instid0(VALU_DEP_1) | instskip(SKIP_1) | instid1(VALU_DEP_2)
	v_fmaak_f32 v22, s54, v21, 0x3ecc95a3
	v_mul_f32_e32 v23, v19, v21
	v_fmaak_f32 v21, v21, v22, 0x3f2aaada
	v_ldexp_f32 v22, v19, 1
	s_delay_alu instid0(VALU_DEP_2) | instskip(SKIP_1) | instid1(VALU_DEP_2)
	v_mul_f32_e32 v21, v23, v21
	v_sub_f32_e32 v19, v19, v20
	v_dual_mul_f32 v23, 0x3f317218, v16 :: v_dual_add_f32 v20, v22, v21
	s_delay_alu instid0(VALU_DEP_2) | instskip(NEXT) | instid1(VALU_DEP_2)
	v_sub_f32_e32 v17, v17, v19
	v_sub_f32_e32 v19, v20, v22
	s_delay_alu instid0(VALU_DEP_3) | instskip(NEXT) | instid1(VALU_DEP_3)
	v_fma_f32 v22, 0x3f317218, v16, -v23
	v_ldexp_f32 v17, v17, 1
	s_delay_alu instid0(VALU_DEP_2) | instskip(NEXT) | instid1(VALU_DEP_1)
	v_dual_sub_f32 v19, v21, v19 :: v_dual_fmac_f32 v22, 0xb102e308, v16
	v_dual_add_f32 v16, v17, v19 :: v_dual_add_f32 v17, v23, v22
	s_delay_alu instid0(VALU_DEP_1) | instskip(NEXT) | instid1(VALU_DEP_1)
	v_add_f32_e32 v19, v20, v16
	v_dual_add_f32 v21, v17, v19 :: v_dual_sub_f32 v20, v19, v20
	s_delay_alu instid0(VALU_DEP_1) | instskip(NEXT) | instid1(VALU_DEP_2)
	v_sub_f32_e32 v24, v21, v17
	v_dual_sub_f32 v23, v17, v23 :: v_dual_sub_f32 v16, v16, v20
	s_delay_alu instid0(VALU_DEP_1) | instskip(SKIP_1) | instid1(VALU_DEP_2)
	v_dual_sub_f32 v25, v21, v24 :: v_dual_sub_f32 v22, v22, v23
	v_sub_f32_e32 v19, v19, v24
	v_dual_sub_f32 v17, v17, v25 :: v_dual_add_f32 v20, v22, v16
	s_delay_alu instid0(VALU_DEP_1) | instskip(NEXT) | instid1(VALU_DEP_2)
	v_add_f32_e32 v17, v19, v17
	v_sub_f32_e32 v19, v20, v22
	s_delay_alu instid0(VALU_DEP_2) | instskip(NEXT) | instid1(VALU_DEP_2)
	v_add_f32_e32 v17, v20, v17
	v_sub_f32_e32 v20, v20, v19
	s_delay_alu instid0(VALU_DEP_2) | instskip(NEXT) | instid1(VALU_DEP_1)
	v_dual_sub_f32 v16, v16, v19 :: v_dual_add_f32 v23, v21, v17
	v_dual_sub_f32 v20, v22, v20 :: v_dual_sub_f32 v19, v23, v21
	s_delay_alu instid0(VALU_DEP_1) | instskip(NEXT) | instid1(VALU_DEP_1)
	v_dual_add_f32 v16, v16, v20 :: v_dual_sub_f32 v17, v17, v19
	v_add_f32_e32 v16, v16, v17
	s_delay_alu instid0(VALU_DEP_1) | instskip(NEXT) | instid1(VALU_DEP_1)
	v_add_f32_e32 v16, v23, v16
	v_cndmask_b32_e32 v67, v16, v18, vcc_lo
.LBB91_30:                              ;   in Loop: Header=BB91_12 Depth=1
	s_or_b32 exec_lo, exec_lo, s16
	v_lshrrev_b32_e32 v16, 16, v6
	s_delay_alu instid0(VALU_DEP_1) | instskip(NEXT) | instid1(VALU_DEP_1)
	v_cvt_f32_f16_e32 v16, v16
	v_add_f32_e32 v68, s57, v16
	s_delay_alu instid0(VALU_DEP_1) | instskip(SKIP_1) | instid1(SALU_CYCLE_1)
	v_cmp_ge_f32_e32 vcc_lo, 0x41a00000, v68
	s_and_b32 s15, s67, vcc_lo
	s_and_saveexec_b32 s16, s15
	s_cbranch_execz .LBB91_32
; %bb.31:                               ;   in Loop: Header=BB91_12 Depth=1
	v_mul_f32_e32 v16, 0x3fb8aa3b, v68
	v_cmp_ngt_f32_e32 vcc_lo, 0xc2ce8ed0, v68
	s_delay_alu instid0(VALU_DEP_2) | instskip(SKIP_1) | instid1(VALU_DEP_2)
	v_rndne_f32_e32 v17, v16
	v_fma_f32 v18, 0x3fb8aa3b, v68, -v16
	v_sub_f32_e32 v16, v16, v17
	s_delay_alu instid0(VALU_DEP_2) | instskip(SKIP_1) | instid1(VALU_DEP_2)
	v_fmac_f32_e32 v18, 0x32a5705f, v68
	v_cvt_i32_f32_e32 v17, v17
	v_add_f32_e32 v16, v16, v18
	s_delay_alu instid0(VALU_DEP_1) | instskip(SKIP_2) | instid1(VALU_DEP_1)
	v_exp_f32_e32 v16, v16
	s_waitcnt_depctr 0xfff
	v_ldexp_f32 v16, v16, v17
	v_cndmask_b32_e32 v16, 0, v16, vcc_lo
	v_cmp_nlt_f32_e32 vcc_lo, 0x42b17218, v68
	s_delay_alu instid0(VALU_DEP_2) | instskip(NEXT) | instid1(VALU_DEP_1)
	v_cndmask_b32_e32 v18, 0x7f800000, v16, vcc_lo
	v_add_f32_e32 v19, 1.0, v18
	s_delay_alu instid0(VALU_DEP_1) | instskip(NEXT) | instid1(VALU_DEP_1)
	v_cvt_f64_f32_e32 v[16:17], v19
	v_frexp_exp_i32_f64_e32 v16, v[16:17]
	v_frexp_mant_f32_e32 v17, v19
	s_delay_alu instid0(VALU_DEP_1) | instskip(SKIP_1) | instid1(VALU_DEP_1)
	v_cmp_gt_f32_e32 vcc_lo, 0x3f2aaaab, v17
	v_add_f32_e32 v17, -1.0, v19
	v_sub_f32_e32 v21, v17, v19
	v_sub_f32_e32 v17, v18, v17
	s_delay_alu instid0(VALU_DEP_2) | instskip(NEXT) | instid1(VALU_DEP_1)
	v_add_f32_e32 v21, 1.0, v21
	v_add_f32_e32 v17, v17, v21
	v_cmp_gt_f32_e64 s15, 0x33800000, v18
	v_subrev_co_ci_u32_e32 v16, vcc_lo, 0, v16, vcc_lo
	v_cmp_eq_f32_e32 vcc_lo, 0x7f800000, v18
	s_delay_alu instid0(VALU_DEP_2) | instskip(SKIP_2) | instid1(VALU_DEP_2)
	v_sub_nc_u32_e32 v20, 0, v16
	v_cvt_f32_i32_e32 v16, v16
	s_or_b32 vcc_lo, s15, vcc_lo
	v_ldexp_f32 v19, v19, v20
	v_ldexp_f32 v17, v17, v20
	s_delay_alu instid0(VALU_DEP_2) | instskip(NEXT) | instid1(VALU_DEP_1)
	v_add_f32_e32 v22, 1.0, v19
	v_dual_add_f32 v20, -1.0, v19 :: v_dual_add_f32 v21, -1.0, v22
	s_delay_alu instid0(VALU_DEP_1) | instskip(NEXT) | instid1(VALU_DEP_2)
	v_add_f32_e32 v23, 1.0, v20
	v_sub_f32_e32 v21, v19, v21
	s_delay_alu instid0(VALU_DEP_2) | instskip(NEXT) | instid1(VALU_DEP_2)
	v_sub_f32_e32 v19, v19, v23
	v_add_f32_e32 v21, v17, v21
	s_delay_alu instid0(VALU_DEP_2) | instskip(NEXT) | instid1(VALU_DEP_1)
	v_add_f32_e32 v17, v17, v19
	v_add_f32_e32 v24, v20, v17
	s_delay_alu instid0(VALU_DEP_1) | instskip(NEXT) | instid1(VALU_DEP_1)
	v_dual_add_f32 v23, v22, v21 :: v_dual_sub_f32 v20, v20, v24
	v_rcp_f32_e32 v19, v23
	v_sub_f32_e32 v22, v22, v23
	s_delay_alu instid0(VALU_DEP_1) | instskip(SKIP_2) | instid1(VALU_DEP_1)
	v_add_f32_e32 v21, v21, v22
	s_waitcnt_depctr 0xfff
	v_mul_f32_e32 v25, v24, v19
	v_mul_f32_e32 v26, v23, v25
	s_delay_alu instid0(VALU_DEP_1) | instskip(NEXT) | instid1(VALU_DEP_1)
	v_fma_f32 v22, v25, v23, -v26
	v_fmac_f32_e32 v22, v25, v21
	s_delay_alu instid0(VALU_DEP_1) | instskip(NEXT) | instid1(VALU_DEP_1)
	v_add_f32_e32 v27, v26, v22
	v_sub_f32_e32 v28, v24, v27
	s_delay_alu instid0(VALU_DEP_1) | instskip(SKIP_1) | instid1(VALU_DEP_2)
	v_sub_f32_e32 v24, v24, v28
	v_dual_add_f32 v17, v17, v20 :: v_dual_sub_f32 v20, v27, v26
	v_sub_f32_e32 v24, v24, v27
	s_delay_alu instid0(VALU_DEP_1) | instskip(NEXT) | instid1(VALU_DEP_1)
	v_dual_sub_f32 v20, v20, v22 :: v_dual_add_f32 v17, v17, v24
	v_add_f32_e32 v17, v20, v17
	s_delay_alu instid0(VALU_DEP_1) | instskip(NEXT) | instid1(VALU_DEP_1)
	v_add_f32_e32 v20, v28, v17
	v_mul_f32_e32 v22, v19, v20
	s_delay_alu instid0(VALU_DEP_1) | instskip(NEXT) | instid1(VALU_DEP_1)
	v_dual_sub_f32 v27, v28, v20 :: v_dual_mul_f32 v24, v23, v22
	v_add_f32_e32 v17, v17, v27
	s_delay_alu instid0(VALU_DEP_2) | instskip(NEXT) | instid1(VALU_DEP_1)
	v_fma_f32 v23, v22, v23, -v24
	v_fmac_f32_e32 v23, v22, v21
	s_delay_alu instid0(VALU_DEP_1) | instskip(NEXT) | instid1(VALU_DEP_1)
	v_add_f32_e32 v21, v24, v23
	v_sub_f32_e32 v26, v20, v21
	s_delay_alu instid0(VALU_DEP_1) | instskip(NEXT) | instid1(VALU_DEP_1)
	v_sub_f32_e32 v20, v20, v26
	v_sub_f32_e32 v20, v20, v21
	s_delay_alu instid0(VALU_DEP_1) | instskip(SKIP_2) | instid1(VALU_DEP_1)
	v_add_f32_e32 v17, v17, v20
	v_add_f32_e32 v20, v25, v22
	v_sub_f32_e32 v24, v21, v24
	v_sub_f32_e32 v21, v24, v23
	s_delay_alu instid0(VALU_DEP_1) | instskip(NEXT) | instid1(VALU_DEP_4)
	v_add_f32_e32 v17, v21, v17
	v_sub_f32_e32 v21, v20, v25
	s_delay_alu instid0(VALU_DEP_2) | instskip(NEXT) | instid1(VALU_DEP_2)
	v_add_f32_e32 v17, v26, v17
	v_sub_f32_e32 v21, v22, v21
	s_delay_alu instid0(VALU_DEP_2) | instskip(NEXT) | instid1(VALU_DEP_1)
	v_mul_f32_e32 v17, v19, v17
	v_add_f32_e32 v17, v21, v17
	s_delay_alu instid0(VALU_DEP_1) | instskip(NEXT) | instid1(VALU_DEP_1)
	v_add_f32_e32 v19, v20, v17
	v_mul_f32_e32 v21, v19, v19
	s_delay_alu instid0(VALU_DEP_1) | instskip(SKIP_1) | instid1(VALU_DEP_2)
	v_fmaak_f32 v22, s54, v21, 0x3ecc95a3
	v_mul_f32_e32 v23, v19, v21
	v_fmaak_f32 v21, v21, v22, 0x3f2aaada
	v_ldexp_f32 v22, v19, 1
	s_delay_alu instid0(VALU_DEP_2) | instskip(SKIP_1) | instid1(VALU_DEP_2)
	v_mul_f32_e32 v21, v23, v21
	v_sub_f32_e32 v19, v19, v20
	v_dual_mul_f32 v23, 0x3f317218, v16 :: v_dual_add_f32 v20, v22, v21
	s_delay_alu instid0(VALU_DEP_2) | instskip(NEXT) | instid1(VALU_DEP_2)
	v_sub_f32_e32 v17, v17, v19
	v_sub_f32_e32 v19, v20, v22
	s_delay_alu instid0(VALU_DEP_3) | instskip(NEXT) | instid1(VALU_DEP_3)
	v_fma_f32 v22, 0x3f317218, v16, -v23
	v_ldexp_f32 v17, v17, 1
	s_delay_alu instid0(VALU_DEP_2) | instskip(NEXT) | instid1(VALU_DEP_1)
	v_dual_sub_f32 v19, v21, v19 :: v_dual_fmac_f32 v22, 0xb102e308, v16
	v_dual_add_f32 v16, v17, v19 :: v_dual_add_f32 v17, v23, v22
	s_delay_alu instid0(VALU_DEP_1) | instskip(NEXT) | instid1(VALU_DEP_1)
	v_add_f32_e32 v19, v20, v16
	v_dual_add_f32 v21, v17, v19 :: v_dual_sub_f32 v20, v19, v20
	s_delay_alu instid0(VALU_DEP_1) | instskip(NEXT) | instid1(VALU_DEP_2)
	v_sub_f32_e32 v24, v21, v17
	v_dual_sub_f32 v23, v17, v23 :: v_dual_sub_f32 v16, v16, v20
	s_delay_alu instid0(VALU_DEP_1) | instskip(SKIP_1) | instid1(VALU_DEP_2)
	v_dual_sub_f32 v25, v21, v24 :: v_dual_sub_f32 v22, v22, v23
	v_sub_f32_e32 v19, v19, v24
	v_dual_sub_f32 v17, v17, v25 :: v_dual_add_f32 v20, v22, v16
	s_delay_alu instid0(VALU_DEP_1) | instskip(NEXT) | instid1(VALU_DEP_2)
	v_add_f32_e32 v17, v19, v17
	v_sub_f32_e32 v19, v20, v22
	s_delay_alu instid0(VALU_DEP_2) | instskip(NEXT) | instid1(VALU_DEP_2)
	v_add_f32_e32 v17, v20, v17
	v_sub_f32_e32 v20, v20, v19
	s_delay_alu instid0(VALU_DEP_2) | instskip(NEXT) | instid1(VALU_DEP_1)
	v_dual_sub_f32 v16, v16, v19 :: v_dual_add_f32 v23, v21, v17
	v_dual_sub_f32 v20, v22, v20 :: v_dual_sub_f32 v19, v23, v21
	s_delay_alu instid0(VALU_DEP_1) | instskip(NEXT) | instid1(VALU_DEP_1)
	v_dual_add_f32 v16, v16, v20 :: v_dual_sub_f32 v17, v17, v19
	v_add_f32_e32 v16, v16, v17
	s_delay_alu instid0(VALU_DEP_1) | instskip(NEXT) | instid1(VALU_DEP_1)
	v_add_f32_e32 v16, v23, v16
	v_cndmask_b32_e32 v68, v16, v18, vcc_lo
.LBB91_32:                              ;   in Loop: Header=BB91_12 Depth=1
	s_or_b32 exec_lo, exec_lo, s16
	v_cvt_f32_f16_e32 v16, v7
	s_delay_alu instid0(VALU_DEP_1) | instskip(NEXT) | instid1(VALU_DEP_1)
	v_add_f32_e32 v69, s57, v16
	v_cmp_ge_f32_e32 vcc_lo, 0x41a00000, v69
	s_and_b32 s15, s67, vcc_lo
	s_delay_alu instid0(SALU_CYCLE_1)
	s_and_saveexec_b32 s16, s15
	s_cbranch_execz .LBB91_34
; %bb.33:                               ;   in Loop: Header=BB91_12 Depth=1
	v_mul_f32_e32 v16, 0x3fb8aa3b, v69
	v_cmp_ngt_f32_e32 vcc_lo, 0xc2ce8ed0, v69
	s_delay_alu instid0(VALU_DEP_2) | instskip(SKIP_1) | instid1(VALU_DEP_2)
	v_rndne_f32_e32 v17, v16
	v_fma_f32 v18, 0x3fb8aa3b, v69, -v16
	v_sub_f32_e32 v16, v16, v17
	s_delay_alu instid0(VALU_DEP_2) | instskip(SKIP_1) | instid1(VALU_DEP_2)
	v_fmac_f32_e32 v18, 0x32a5705f, v69
	v_cvt_i32_f32_e32 v17, v17
	v_add_f32_e32 v16, v16, v18
	s_delay_alu instid0(VALU_DEP_1) | instskip(SKIP_2) | instid1(VALU_DEP_1)
	v_exp_f32_e32 v16, v16
	s_waitcnt_depctr 0xfff
	v_ldexp_f32 v16, v16, v17
	v_cndmask_b32_e32 v16, 0, v16, vcc_lo
	v_cmp_nlt_f32_e32 vcc_lo, 0x42b17218, v69
	s_delay_alu instid0(VALU_DEP_2) | instskip(NEXT) | instid1(VALU_DEP_1)
	v_cndmask_b32_e32 v18, 0x7f800000, v16, vcc_lo
	v_add_f32_e32 v19, 1.0, v18
	s_delay_alu instid0(VALU_DEP_1) | instskip(NEXT) | instid1(VALU_DEP_1)
	v_cvt_f64_f32_e32 v[16:17], v19
	v_frexp_exp_i32_f64_e32 v16, v[16:17]
	v_frexp_mant_f32_e32 v17, v19
	s_delay_alu instid0(VALU_DEP_1) | instskip(SKIP_1) | instid1(VALU_DEP_1)
	v_cmp_gt_f32_e32 vcc_lo, 0x3f2aaaab, v17
	v_add_f32_e32 v17, -1.0, v19
	v_sub_f32_e32 v21, v17, v19
	v_sub_f32_e32 v17, v18, v17
	s_delay_alu instid0(VALU_DEP_2) | instskip(NEXT) | instid1(VALU_DEP_1)
	v_add_f32_e32 v21, 1.0, v21
	v_add_f32_e32 v17, v17, v21
	v_cmp_gt_f32_e64 s15, 0x33800000, v18
	v_subrev_co_ci_u32_e32 v16, vcc_lo, 0, v16, vcc_lo
	v_cmp_eq_f32_e32 vcc_lo, 0x7f800000, v18
	s_delay_alu instid0(VALU_DEP_2) | instskip(SKIP_2) | instid1(VALU_DEP_2)
	v_sub_nc_u32_e32 v20, 0, v16
	v_cvt_f32_i32_e32 v16, v16
	s_or_b32 vcc_lo, s15, vcc_lo
	v_ldexp_f32 v19, v19, v20
	v_ldexp_f32 v17, v17, v20
	s_delay_alu instid0(VALU_DEP_2) | instskip(NEXT) | instid1(VALU_DEP_1)
	v_add_f32_e32 v22, 1.0, v19
	v_dual_add_f32 v20, -1.0, v19 :: v_dual_add_f32 v21, -1.0, v22
	s_delay_alu instid0(VALU_DEP_1) | instskip(NEXT) | instid1(VALU_DEP_2)
	v_add_f32_e32 v23, 1.0, v20
	v_sub_f32_e32 v21, v19, v21
	s_delay_alu instid0(VALU_DEP_2) | instskip(NEXT) | instid1(VALU_DEP_2)
	v_sub_f32_e32 v19, v19, v23
	v_add_f32_e32 v21, v17, v21
	s_delay_alu instid0(VALU_DEP_2) | instskip(NEXT) | instid1(VALU_DEP_1)
	v_add_f32_e32 v17, v17, v19
	v_add_f32_e32 v24, v20, v17
	s_delay_alu instid0(VALU_DEP_1) | instskip(NEXT) | instid1(VALU_DEP_1)
	v_dual_add_f32 v23, v22, v21 :: v_dual_sub_f32 v20, v20, v24
	v_rcp_f32_e32 v19, v23
	v_sub_f32_e32 v22, v22, v23
	s_delay_alu instid0(VALU_DEP_1) | instskip(SKIP_2) | instid1(VALU_DEP_1)
	v_add_f32_e32 v21, v21, v22
	s_waitcnt_depctr 0xfff
	v_mul_f32_e32 v25, v24, v19
	v_mul_f32_e32 v26, v23, v25
	s_delay_alu instid0(VALU_DEP_1) | instskip(NEXT) | instid1(VALU_DEP_1)
	v_fma_f32 v22, v25, v23, -v26
	v_fmac_f32_e32 v22, v25, v21
	s_delay_alu instid0(VALU_DEP_1) | instskip(NEXT) | instid1(VALU_DEP_1)
	v_add_f32_e32 v27, v26, v22
	v_sub_f32_e32 v28, v24, v27
	s_delay_alu instid0(VALU_DEP_1) | instskip(SKIP_1) | instid1(VALU_DEP_2)
	v_sub_f32_e32 v24, v24, v28
	v_dual_add_f32 v17, v17, v20 :: v_dual_sub_f32 v20, v27, v26
	v_sub_f32_e32 v24, v24, v27
	s_delay_alu instid0(VALU_DEP_1) | instskip(NEXT) | instid1(VALU_DEP_1)
	v_dual_sub_f32 v20, v20, v22 :: v_dual_add_f32 v17, v17, v24
	v_add_f32_e32 v17, v20, v17
	s_delay_alu instid0(VALU_DEP_1) | instskip(NEXT) | instid1(VALU_DEP_1)
	v_add_f32_e32 v20, v28, v17
	v_mul_f32_e32 v22, v19, v20
	s_delay_alu instid0(VALU_DEP_1) | instskip(NEXT) | instid1(VALU_DEP_1)
	v_dual_sub_f32 v27, v28, v20 :: v_dual_mul_f32 v24, v23, v22
	v_add_f32_e32 v17, v17, v27
	s_delay_alu instid0(VALU_DEP_2) | instskip(NEXT) | instid1(VALU_DEP_1)
	v_fma_f32 v23, v22, v23, -v24
	v_fmac_f32_e32 v23, v22, v21
	s_delay_alu instid0(VALU_DEP_1) | instskip(NEXT) | instid1(VALU_DEP_1)
	v_add_f32_e32 v21, v24, v23
	v_sub_f32_e32 v26, v20, v21
	s_delay_alu instid0(VALU_DEP_1) | instskip(NEXT) | instid1(VALU_DEP_1)
	v_sub_f32_e32 v20, v20, v26
	v_sub_f32_e32 v20, v20, v21
	s_delay_alu instid0(VALU_DEP_1) | instskip(SKIP_2) | instid1(VALU_DEP_1)
	v_add_f32_e32 v17, v17, v20
	v_add_f32_e32 v20, v25, v22
	v_sub_f32_e32 v24, v21, v24
	v_sub_f32_e32 v21, v24, v23
	s_delay_alu instid0(VALU_DEP_1) | instskip(NEXT) | instid1(VALU_DEP_4)
	v_add_f32_e32 v17, v21, v17
	v_sub_f32_e32 v21, v20, v25
	s_delay_alu instid0(VALU_DEP_2) | instskip(NEXT) | instid1(VALU_DEP_2)
	v_add_f32_e32 v17, v26, v17
	v_sub_f32_e32 v21, v22, v21
	s_delay_alu instid0(VALU_DEP_2) | instskip(NEXT) | instid1(VALU_DEP_1)
	v_mul_f32_e32 v17, v19, v17
	v_add_f32_e32 v17, v21, v17
	s_delay_alu instid0(VALU_DEP_1) | instskip(NEXT) | instid1(VALU_DEP_1)
	v_add_f32_e32 v19, v20, v17
	v_mul_f32_e32 v21, v19, v19
	s_delay_alu instid0(VALU_DEP_1) | instskip(SKIP_1) | instid1(VALU_DEP_2)
	v_fmaak_f32 v22, s54, v21, 0x3ecc95a3
	v_mul_f32_e32 v23, v19, v21
	v_fmaak_f32 v21, v21, v22, 0x3f2aaada
	v_ldexp_f32 v22, v19, 1
	s_delay_alu instid0(VALU_DEP_2) | instskip(SKIP_1) | instid1(VALU_DEP_2)
	v_mul_f32_e32 v21, v23, v21
	v_sub_f32_e32 v19, v19, v20
	v_dual_mul_f32 v23, 0x3f317218, v16 :: v_dual_add_f32 v20, v22, v21
	s_delay_alu instid0(VALU_DEP_2) | instskip(NEXT) | instid1(VALU_DEP_2)
	v_sub_f32_e32 v17, v17, v19
	v_sub_f32_e32 v19, v20, v22
	s_delay_alu instid0(VALU_DEP_3) | instskip(NEXT) | instid1(VALU_DEP_3)
	v_fma_f32 v22, 0x3f317218, v16, -v23
	v_ldexp_f32 v17, v17, 1
	s_delay_alu instid0(VALU_DEP_2) | instskip(NEXT) | instid1(VALU_DEP_1)
	v_dual_sub_f32 v19, v21, v19 :: v_dual_fmac_f32 v22, 0xb102e308, v16
	v_dual_add_f32 v16, v17, v19 :: v_dual_add_f32 v17, v23, v22
	s_delay_alu instid0(VALU_DEP_1) | instskip(NEXT) | instid1(VALU_DEP_1)
	v_add_f32_e32 v19, v20, v16
	v_dual_add_f32 v21, v17, v19 :: v_dual_sub_f32 v20, v19, v20
	s_delay_alu instid0(VALU_DEP_1) | instskip(NEXT) | instid1(VALU_DEP_2)
	v_sub_f32_e32 v24, v21, v17
	v_dual_sub_f32 v23, v17, v23 :: v_dual_sub_f32 v16, v16, v20
	s_delay_alu instid0(VALU_DEP_1) | instskip(SKIP_1) | instid1(VALU_DEP_2)
	v_dual_sub_f32 v25, v21, v24 :: v_dual_sub_f32 v22, v22, v23
	v_sub_f32_e32 v19, v19, v24
	v_dual_sub_f32 v17, v17, v25 :: v_dual_add_f32 v20, v22, v16
	s_delay_alu instid0(VALU_DEP_1) | instskip(NEXT) | instid1(VALU_DEP_2)
	v_add_f32_e32 v17, v19, v17
	v_sub_f32_e32 v19, v20, v22
	s_delay_alu instid0(VALU_DEP_2) | instskip(NEXT) | instid1(VALU_DEP_2)
	v_add_f32_e32 v17, v20, v17
	v_sub_f32_e32 v20, v20, v19
	s_delay_alu instid0(VALU_DEP_2) | instskip(NEXT) | instid1(VALU_DEP_1)
	v_dual_sub_f32 v16, v16, v19 :: v_dual_add_f32 v23, v21, v17
	v_dual_sub_f32 v20, v22, v20 :: v_dual_sub_f32 v19, v23, v21
	s_delay_alu instid0(VALU_DEP_1) | instskip(NEXT) | instid1(VALU_DEP_1)
	v_dual_add_f32 v16, v16, v20 :: v_dual_sub_f32 v17, v17, v19
	v_add_f32_e32 v16, v16, v17
	s_delay_alu instid0(VALU_DEP_1) | instskip(NEXT) | instid1(VALU_DEP_1)
	v_add_f32_e32 v16, v23, v16
	v_cndmask_b32_e32 v69, v16, v18, vcc_lo
.LBB91_34:                              ;   in Loop: Header=BB91_12 Depth=1
	s_or_b32 exec_lo, exec_lo, s16
	v_lshrrev_b32_e32 v16, 16, v7
	s_delay_alu instid0(VALU_DEP_1) | instskip(NEXT) | instid1(VALU_DEP_1)
	v_cvt_f32_f16_e32 v16, v16
	v_add_f32_e32 v70, s57, v16
	s_delay_alu instid0(VALU_DEP_1) | instskip(SKIP_1) | instid1(SALU_CYCLE_1)
	v_cmp_ge_f32_e32 vcc_lo, 0x41a00000, v70
	s_and_b32 s15, s67, vcc_lo
	s_and_saveexec_b32 s16, s15
	s_cbranch_execz .LBB91_36
; %bb.35:                               ;   in Loop: Header=BB91_12 Depth=1
	v_mul_f32_e32 v16, 0x3fb8aa3b, v70
	v_cmp_ngt_f32_e32 vcc_lo, 0xc2ce8ed0, v70
	s_delay_alu instid0(VALU_DEP_2) | instskip(SKIP_1) | instid1(VALU_DEP_2)
	v_rndne_f32_e32 v17, v16
	v_fma_f32 v18, 0x3fb8aa3b, v70, -v16
	v_sub_f32_e32 v16, v16, v17
	s_delay_alu instid0(VALU_DEP_2) | instskip(SKIP_1) | instid1(VALU_DEP_2)
	v_fmac_f32_e32 v18, 0x32a5705f, v70
	v_cvt_i32_f32_e32 v17, v17
	v_add_f32_e32 v16, v16, v18
	s_delay_alu instid0(VALU_DEP_1) | instskip(SKIP_2) | instid1(VALU_DEP_1)
	v_exp_f32_e32 v16, v16
	s_waitcnt_depctr 0xfff
	v_ldexp_f32 v16, v16, v17
	v_cndmask_b32_e32 v16, 0, v16, vcc_lo
	v_cmp_nlt_f32_e32 vcc_lo, 0x42b17218, v70
	s_delay_alu instid0(VALU_DEP_2) | instskip(NEXT) | instid1(VALU_DEP_1)
	v_cndmask_b32_e32 v18, 0x7f800000, v16, vcc_lo
	v_add_f32_e32 v19, 1.0, v18
	s_delay_alu instid0(VALU_DEP_1) | instskip(NEXT) | instid1(VALU_DEP_1)
	v_cvt_f64_f32_e32 v[16:17], v19
	v_frexp_exp_i32_f64_e32 v16, v[16:17]
	v_frexp_mant_f32_e32 v17, v19
	s_delay_alu instid0(VALU_DEP_1) | instskip(SKIP_1) | instid1(VALU_DEP_1)
	v_cmp_gt_f32_e32 vcc_lo, 0x3f2aaaab, v17
	v_add_f32_e32 v17, -1.0, v19
	v_sub_f32_e32 v21, v17, v19
	v_sub_f32_e32 v17, v18, v17
	s_delay_alu instid0(VALU_DEP_2) | instskip(NEXT) | instid1(VALU_DEP_1)
	v_add_f32_e32 v21, 1.0, v21
	v_add_f32_e32 v17, v17, v21
	v_cmp_gt_f32_e64 s15, 0x33800000, v18
	v_subrev_co_ci_u32_e32 v16, vcc_lo, 0, v16, vcc_lo
	v_cmp_eq_f32_e32 vcc_lo, 0x7f800000, v18
	s_delay_alu instid0(VALU_DEP_2) | instskip(SKIP_2) | instid1(VALU_DEP_2)
	v_sub_nc_u32_e32 v20, 0, v16
	v_cvt_f32_i32_e32 v16, v16
	s_or_b32 vcc_lo, s15, vcc_lo
	v_ldexp_f32 v19, v19, v20
	v_ldexp_f32 v17, v17, v20
	s_delay_alu instid0(VALU_DEP_2) | instskip(NEXT) | instid1(VALU_DEP_1)
	v_add_f32_e32 v22, 1.0, v19
	v_dual_add_f32 v20, -1.0, v19 :: v_dual_add_f32 v21, -1.0, v22
	s_delay_alu instid0(VALU_DEP_1) | instskip(NEXT) | instid1(VALU_DEP_2)
	v_add_f32_e32 v23, 1.0, v20
	v_sub_f32_e32 v21, v19, v21
	s_delay_alu instid0(VALU_DEP_2) | instskip(NEXT) | instid1(VALU_DEP_2)
	v_sub_f32_e32 v19, v19, v23
	v_add_f32_e32 v21, v17, v21
	s_delay_alu instid0(VALU_DEP_2) | instskip(NEXT) | instid1(VALU_DEP_1)
	v_add_f32_e32 v17, v17, v19
	v_add_f32_e32 v24, v20, v17
	s_delay_alu instid0(VALU_DEP_1) | instskip(NEXT) | instid1(VALU_DEP_1)
	v_dual_add_f32 v23, v22, v21 :: v_dual_sub_f32 v20, v20, v24
	v_rcp_f32_e32 v19, v23
	v_sub_f32_e32 v22, v22, v23
	s_delay_alu instid0(VALU_DEP_1) | instskip(SKIP_2) | instid1(VALU_DEP_1)
	v_add_f32_e32 v21, v21, v22
	s_waitcnt_depctr 0xfff
	v_mul_f32_e32 v25, v24, v19
	v_mul_f32_e32 v26, v23, v25
	s_delay_alu instid0(VALU_DEP_1) | instskip(NEXT) | instid1(VALU_DEP_1)
	v_fma_f32 v22, v25, v23, -v26
	v_fmac_f32_e32 v22, v25, v21
	s_delay_alu instid0(VALU_DEP_1) | instskip(NEXT) | instid1(VALU_DEP_1)
	v_add_f32_e32 v27, v26, v22
	v_sub_f32_e32 v28, v24, v27
	s_delay_alu instid0(VALU_DEP_1) | instskip(SKIP_1) | instid1(VALU_DEP_2)
	v_sub_f32_e32 v24, v24, v28
	v_dual_add_f32 v17, v17, v20 :: v_dual_sub_f32 v20, v27, v26
	v_sub_f32_e32 v24, v24, v27
	s_delay_alu instid0(VALU_DEP_1) | instskip(NEXT) | instid1(VALU_DEP_1)
	v_dual_sub_f32 v20, v20, v22 :: v_dual_add_f32 v17, v17, v24
	v_add_f32_e32 v17, v20, v17
	s_delay_alu instid0(VALU_DEP_1) | instskip(NEXT) | instid1(VALU_DEP_1)
	v_add_f32_e32 v20, v28, v17
	v_mul_f32_e32 v22, v19, v20
	s_delay_alu instid0(VALU_DEP_1) | instskip(NEXT) | instid1(VALU_DEP_1)
	v_dual_sub_f32 v27, v28, v20 :: v_dual_mul_f32 v24, v23, v22
	v_add_f32_e32 v17, v17, v27
	s_delay_alu instid0(VALU_DEP_2) | instskip(NEXT) | instid1(VALU_DEP_1)
	v_fma_f32 v23, v22, v23, -v24
	v_fmac_f32_e32 v23, v22, v21
	s_delay_alu instid0(VALU_DEP_1) | instskip(NEXT) | instid1(VALU_DEP_1)
	v_add_f32_e32 v21, v24, v23
	v_sub_f32_e32 v26, v20, v21
	s_delay_alu instid0(VALU_DEP_1) | instskip(NEXT) | instid1(VALU_DEP_1)
	v_sub_f32_e32 v20, v20, v26
	v_sub_f32_e32 v20, v20, v21
	s_delay_alu instid0(VALU_DEP_1) | instskip(SKIP_2) | instid1(VALU_DEP_1)
	v_add_f32_e32 v17, v17, v20
	v_add_f32_e32 v20, v25, v22
	v_sub_f32_e32 v24, v21, v24
	v_sub_f32_e32 v21, v24, v23
	s_delay_alu instid0(VALU_DEP_1) | instskip(NEXT) | instid1(VALU_DEP_4)
	v_add_f32_e32 v17, v21, v17
	v_sub_f32_e32 v21, v20, v25
	s_delay_alu instid0(VALU_DEP_2) | instskip(NEXT) | instid1(VALU_DEP_2)
	v_add_f32_e32 v17, v26, v17
	v_sub_f32_e32 v21, v22, v21
	s_delay_alu instid0(VALU_DEP_2) | instskip(NEXT) | instid1(VALU_DEP_1)
	v_mul_f32_e32 v17, v19, v17
	v_add_f32_e32 v17, v21, v17
	s_delay_alu instid0(VALU_DEP_1) | instskip(NEXT) | instid1(VALU_DEP_1)
	v_add_f32_e32 v19, v20, v17
	v_mul_f32_e32 v21, v19, v19
	s_delay_alu instid0(VALU_DEP_1) | instskip(SKIP_1) | instid1(VALU_DEP_2)
	v_fmaak_f32 v22, s54, v21, 0x3ecc95a3
	v_mul_f32_e32 v23, v19, v21
	v_fmaak_f32 v21, v21, v22, 0x3f2aaada
	v_ldexp_f32 v22, v19, 1
	s_delay_alu instid0(VALU_DEP_2) | instskip(SKIP_1) | instid1(VALU_DEP_2)
	v_mul_f32_e32 v21, v23, v21
	v_sub_f32_e32 v19, v19, v20
	v_dual_mul_f32 v23, 0x3f317218, v16 :: v_dual_add_f32 v20, v22, v21
	s_delay_alu instid0(VALU_DEP_2) | instskip(NEXT) | instid1(VALU_DEP_2)
	v_sub_f32_e32 v17, v17, v19
	v_sub_f32_e32 v19, v20, v22
	s_delay_alu instid0(VALU_DEP_3) | instskip(NEXT) | instid1(VALU_DEP_3)
	v_fma_f32 v22, 0x3f317218, v16, -v23
	v_ldexp_f32 v17, v17, 1
	s_delay_alu instid0(VALU_DEP_2) | instskip(NEXT) | instid1(VALU_DEP_1)
	v_dual_sub_f32 v19, v21, v19 :: v_dual_fmac_f32 v22, 0xb102e308, v16
	v_dual_add_f32 v16, v17, v19 :: v_dual_add_f32 v17, v23, v22
	s_delay_alu instid0(VALU_DEP_1) | instskip(NEXT) | instid1(VALU_DEP_1)
	v_add_f32_e32 v19, v20, v16
	v_dual_add_f32 v21, v17, v19 :: v_dual_sub_f32 v20, v19, v20
	s_delay_alu instid0(VALU_DEP_1) | instskip(NEXT) | instid1(VALU_DEP_2)
	v_sub_f32_e32 v24, v21, v17
	v_dual_sub_f32 v23, v17, v23 :: v_dual_sub_f32 v16, v16, v20
	s_delay_alu instid0(VALU_DEP_1) | instskip(SKIP_1) | instid1(VALU_DEP_2)
	v_dual_sub_f32 v25, v21, v24 :: v_dual_sub_f32 v22, v22, v23
	v_sub_f32_e32 v19, v19, v24
	v_dual_sub_f32 v17, v17, v25 :: v_dual_add_f32 v20, v22, v16
	s_delay_alu instid0(VALU_DEP_1) | instskip(NEXT) | instid1(VALU_DEP_2)
	v_add_f32_e32 v17, v19, v17
	v_sub_f32_e32 v19, v20, v22
	s_delay_alu instid0(VALU_DEP_2) | instskip(NEXT) | instid1(VALU_DEP_2)
	v_add_f32_e32 v17, v20, v17
	v_sub_f32_e32 v20, v20, v19
	s_delay_alu instid0(VALU_DEP_2) | instskip(NEXT) | instid1(VALU_DEP_1)
	v_dual_sub_f32 v16, v16, v19 :: v_dual_add_f32 v23, v21, v17
	v_dual_sub_f32 v20, v22, v20 :: v_dual_sub_f32 v19, v23, v21
	s_delay_alu instid0(VALU_DEP_1) | instskip(NEXT) | instid1(VALU_DEP_1)
	v_dual_add_f32 v16, v16, v20 :: v_dual_sub_f32 v17, v17, v19
	v_add_f32_e32 v16, v16, v17
	s_delay_alu instid0(VALU_DEP_1) | instskip(NEXT) | instid1(VALU_DEP_1)
	v_add_f32_e32 v16, v23, v16
	v_cndmask_b32_e32 v70, v16, v18, vcc_lo
.LBB91_36:                              ;   in Loop: Header=BB91_12 Depth=1
	s_or_b32 exec_lo, exec_lo, s16
	s_waitcnt lgkmcnt(0)
	v_cvt_f32_f16_e32 v16, v0
	s_delay_alu instid0(VALU_DEP_1) | instskip(NEXT) | instid1(VALU_DEP_1)
	v_add_f32_e32 v71, s57, v16
	v_cmp_ge_f32_e32 vcc_lo, 0x41a00000, v71
	s_and_b32 s15, s67, vcc_lo
	s_delay_alu instid0(SALU_CYCLE_1)
	s_and_saveexec_b32 s16, s15
	s_cbranch_execz .LBB91_38
; %bb.37:                               ;   in Loop: Header=BB91_12 Depth=1
	v_mul_f32_e32 v16, 0x3fb8aa3b, v71
	v_cmp_ngt_f32_e32 vcc_lo, 0xc2ce8ed0, v71
	s_delay_alu instid0(VALU_DEP_2) | instskip(SKIP_1) | instid1(VALU_DEP_2)
	v_rndne_f32_e32 v17, v16
	v_fma_f32 v18, 0x3fb8aa3b, v71, -v16
	v_sub_f32_e32 v16, v16, v17
	s_delay_alu instid0(VALU_DEP_2) | instskip(SKIP_1) | instid1(VALU_DEP_2)
	v_fmac_f32_e32 v18, 0x32a5705f, v71
	v_cvt_i32_f32_e32 v17, v17
	v_add_f32_e32 v16, v16, v18
	s_delay_alu instid0(VALU_DEP_1) | instskip(SKIP_2) | instid1(VALU_DEP_1)
	v_exp_f32_e32 v16, v16
	s_waitcnt_depctr 0xfff
	v_ldexp_f32 v16, v16, v17
	v_cndmask_b32_e32 v16, 0, v16, vcc_lo
	v_cmp_nlt_f32_e32 vcc_lo, 0x42b17218, v71
	s_delay_alu instid0(VALU_DEP_2) | instskip(NEXT) | instid1(VALU_DEP_1)
	v_cndmask_b32_e32 v18, 0x7f800000, v16, vcc_lo
	v_add_f32_e32 v19, 1.0, v18
	s_delay_alu instid0(VALU_DEP_1) | instskip(NEXT) | instid1(VALU_DEP_1)
	v_cvt_f64_f32_e32 v[16:17], v19
	v_frexp_exp_i32_f64_e32 v16, v[16:17]
	v_frexp_mant_f32_e32 v17, v19
	s_delay_alu instid0(VALU_DEP_1) | instskip(SKIP_1) | instid1(VALU_DEP_1)
	v_cmp_gt_f32_e32 vcc_lo, 0x3f2aaaab, v17
	v_add_f32_e32 v17, -1.0, v19
	v_sub_f32_e32 v21, v17, v19
	v_sub_f32_e32 v17, v18, v17
	s_delay_alu instid0(VALU_DEP_2) | instskip(NEXT) | instid1(VALU_DEP_1)
	v_add_f32_e32 v21, 1.0, v21
	v_add_f32_e32 v17, v17, v21
	v_cmp_gt_f32_e64 s15, 0x33800000, v18
	v_subrev_co_ci_u32_e32 v16, vcc_lo, 0, v16, vcc_lo
	v_cmp_eq_f32_e32 vcc_lo, 0x7f800000, v18
	s_delay_alu instid0(VALU_DEP_2) | instskip(SKIP_2) | instid1(VALU_DEP_2)
	v_sub_nc_u32_e32 v20, 0, v16
	v_cvt_f32_i32_e32 v16, v16
	s_or_b32 vcc_lo, s15, vcc_lo
	v_ldexp_f32 v19, v19, v20
	v_ldexp_f32 v17, v17, v20
	s_delay_alu instid0(VALU_DEP_2) | instskip(NEXT) | instid1(VALU_DEP_1)
	v_add_f32_e32 v22, 1.0, v19
	v_dual_add_f32 v20, -1.0, v19 :: v_dual_add_f32 v21, -1.0, v22
	s_delay_alu instid0(VALU_DEP_1) | instskip(NEXT) | instid1(VALU_DEP_2)
	v_add_f32_e32 v23, 1.0, v20
	v_sub_f32_e32 v21, v19, v21
	s_delay_alu instid0(VALU_DEP_2) | instskip(NEXT) | instid1(VALU_DEP_2)
	v_sub_f32_e32 v19, v19, v23
	v_add_f32_e32 v21, v17, v21
	s_delay_alu instid0(VALU_DEP_2) | instskip(NEXT) | instid1(VALU_DEP_1)
	v_add_f32_e32 v17, v17, v19
	v_add_f32_e32 v24, v20, v17
	s_delay_alu instid0(VALU_DEP_1) | instskip(NEXT) | instid1(VALU_DEP_1)
	v_dual_add_f32 v23, v22, v21 :: v_dual_sub_f32 v20, v20, v24
	v_rcp_f32_e32 v19, v23
	v_sub_f32_e32 v22, v22, v23
	s_delay_alu instid0(VALU_DEP_1) | instskip(SKIP_2) | instid1(VALU_DEP_1)
	v_add_f32_e32 v21, v21, v22
	s_waitcnt_depctr 0xfff
	v_mul_f32_e32 v25, v24, v19
	v_mul_f32_e32 v26, v23, v25
	s_delay_alu instid0(VALU_DEP_1) | instskip(NEXT) | instid1(VALU_DEP_1)
	v_fma_f32 v22, v25, v23, -v26
	v_fmac_f32_e32 v22, v25, v21
	s_delay_alu instid0(VALU_DEP_1) | instskip(NEXT) | instid1(VALU_DEP_1)
	v_add_f32_e32 v27, v26, v22
	v_sub_f32_e32 v28, v24, v27
	s_delay_alu instid0(VALU_DEP_1) | instskip(SKIP_1) | instid1(VALU_DEP_2)
	v_sub_f32_e32 v24, v24, v28
	v_dual_add_f32 v17, v17, v20 :: v_dual_sub_f32 v20, v27, v26
	v_sub_f32_e32 v24, v24, v27
	s_delay_alu instid0(VALU_DEP_1) | instskip(NEXT) | instid1(VALU_DEP_1)
	v_dual_sub_f32 v20, v20, v22 :: v_dual_add_f32 v17, v17, v24
	v_add_f32_e32 v17, v20, v17
	s_delay_alu instid0(VALU_DEP_1) | instskip(NEXT) | instid1(VALU_DEP_1)
	v_add_f32_e32 v20, v28, v17
	v_mul_f32_e32 v22, v19, v20
	s_delay_alu instid0(VALU_DEP_1) | instskip(NEXT) | instid1(VALU_DEP_1)
	v_dual_sub_f32 v27, v28, v20 :: v_dual_mul_f32 v24, v23, v22
	v_add_f32_e32 v17, v17, v27
	s_delay_alu instid0(VALU_DEP_2) | instskip(NEXT) | instid1(VALU_DEP_1)
	v_fma_f32 v23, v22, v23, -v24
	v_fmac_f32_e32 v23, v22, v21
	s_delay_alu instid0(VALU_DEP_1) | instskip(NEXT) | instid1(VALU_DEP_1)
	v_add_f32_e32 v21, v24, v23
	v_sub_f32_e32 v26, v20, v21
	s_delay_alu instid0(VALU_DEP_1) | instskip(NEXT) | instid1(VALU_DEP_1)
	v_sub_f32_e32 v20, v20, v26
	v_sub_f32_e32 v20, v20, v21
	s_delay_alu instid0(VALU_DEP_1) | instskip(SKIP_2) | instid1(VALU_DEP_1)
	v_add_f32_e32 v17, v17, v20
	v_add_f32_e32 v20, v25, v22
	v_sub_f32_e32 v24, v21, v24
	v_sub_f32_e32 v21, v24, v23
	s_delay_alu instid0(VALU_DEP_1) | instskip(NEXT) | instid1(VALU_DEP_4)
	v_add_f32_e32 v17, v21, v17
	v_sub_f32_e32 v21, v20, v25
	s_delay_alu instid0(VALU_DEP_2) | instskip(NEXT) | instid1(VALU_DEP_2)
	v_add_f32_e32 v17, v26, v17
	v_sub_f32_e32 v21, v22, v21
	s_delay_alu instid0(VALU_DEP_2) | instskip(NEXT) | instid1(VALU_DEP_1)
	v_mul_f32_e32 v17, v19, v17
	v_add_f32_e32 v17, v21, v17
	s_delay_alu instid0(VALU_DEP_1) | instskip(NEXT) | instid1(VALU_DEP_1)
	v_add_f32_e32 v19, v20, v17
	v_mul_f32_e32 v21, v19, v19
	s_delay_alu instid0(VALU_DEP_1) | instskip(SKIP_1) | instid1(VALU_DEP_2)
	v_fmaak_f32 v22, s54, v21, 0x3ecc95a3
	v_mul_f32_e32 v23, v19, v21
	v_fmaak_f32 v21, v21, v22, 0x3f2aaada
	v_ldexp_f32 v22, v19, 1
	s_delay_alu instid0(VALU_DEP_2) | instskip(SKIP_1) | instid1(VALU_DEP_2)
	v_mul_f32_e32 v21, v23, v21
	v_sub_f32_e32 v19, v19, v20
	v_dual_mul_f32 v23, 0x3f317218, v16 :: v_dual_add_f32 v20, v22, v21
	s_delay_alu instid0(VALU_DEP_2) | instskip(NEXT) | instid1(VALU_DEP_2)
	v_sub_f32_e32 v17, v17, v19
	v_sub_f32_e32 v19, v20, v22
	s_delay_alu instid0(VALU_DEP_3) | instskip(NEXT) | instid1(VALU_DEP_3)
	v_fma_f32 v22, 0x3f317218, v16, -v23
	v_ldexp_f32 v17, v17, 1
	s_delay_alu instid0(VALU_DEP_2) | instskip(NEXT) | instid1(VALU_DEP_1)
	v_dual_sub_f32 v19, v21, v19 :: v_dual_fmac_f32 v22, 0xb102e308, v16
	v_dual_add_f32 v16, v17, v19 :: v_dual_add_f32 v17, v23, v22
	s_delay_alu instid0(VALU_DEP_1) | instskip(NEXT) | instid1(VALU_DEP_1)
	v_add_f32_e32 v19, v20, v16
	v_dual_add_f32 v21, v17, v19 :: v_dual_sub_f32 v20, v19, v20
	s_delay_alu instid0(VALU_DEP_1) | instskip(NEXT) | instid1(VALU_DEP_2)
	v_sub_f32_e32 v24, v21, v17
	v_dual_sub_f32 v23, v17, v23 :: v_dual_sub_f32 v16, v16, v20
	s_delay_alu instid0(VALU_DEP_1) | instskip(SKIP_1) | instid1(VALU_DEP_2)
	v_dual_sub_f32 v25, v21, v24 :: v_dual_sub_f32 v22, v22, v23
	v_sub_f32_e32 v19, v19, v24
	v_dual_sub_f32 v17, v17, v25 :: v_dual_add_f32 v20, v22, v16
	s_delay_alu instid0(VALU_DEP_1) | instskip(NEXT) | instid1(VALU_DEP_2)
	v_add_f32_e32 v17, v19, v17
	v_sub_f32_e32 v19, v20, v22
	s_delay_alu instid0(VALU_DEP_2) | instskip(NEXT) | instid1(VALU_DEP_2)
	v_add_f32_e32 v17, v20, v17
	v_sub_f32_e32 v20, v20, v19
	s_delay_alu instid0(VALU_DEP_2) | instskip(NEXT) | instid1(VALU_DEP_1)
	v_dual_sub_f32 v16, v16, v19 :: v_dual_add_f32 v23, v21, v17
	v_dual_sub_f32 v20, v22, v20 :: v_dual_sub_f32 v19, v23, v21
	s_delay_alu instid0(VALU_DEP_1) | instskip(NEXT) | instid1(VALU_DEP_1)
	v_dual_add_f32 v16, v16, v20 :: v_dual_sub_f32 v17, v17, v19
	v_add_f32_e32 v16, v16, v17
	s_delay_alu instid0(VALU_DEP_1) | instskip(NEXT) | instid1(VALU_DEP_1)
	v_add_f32_e32 v16, v23, v16
	v_cndmask_b32_e32 v71, v16, v18, vcc_lo
.LBB91_38:                              ;   in Loop: Header=BB91_12 Depth=1
	s_or_b32 exec_lo, exec_lo, s16
	v_lshrrev_b32_e32 v16, 16, v0
	s_delay_alu instid0(VALU_DEP_1) | instskip(NEXT) | instid1(VALU_DEP_1)
	v_cvt_f32_f16_e32 v16, v16
	v_add_f32_e32 v72, s57, v16
	s_delay_alu instid0(VALU_DEP_1) | instskip(SKIP_1) | instid1(SALU_CYCLE_1)
	v_cmp_ge_f32_e32 vcc_lo, 0x41a00000, v72
	s_and_b32 s15, s67, vcc_lo
	s_and_saveexec_b32 s16, s15
	s_cbranch_execz .LBB91_40
; %bb.39:                               ;   in Loop: Header=BB91_12 Depth=1
	v_mul_f32_e32 v16, 0x3fb8aa3b, v72
	v_cmp_ngt_f32_e32 vcc_lo, 0xc2ce8ed0, v72
	s_delay_alu instid0(VALU_DEP_2) | instskip(SKIP_1) | instid1(VALU_DEP_2)
	v_rndne_f32_e32 v17, v16
	v_fma_f32 v18, 0x3fb8aa3b, v72, -v16
	v_sub_f32_e32 v16, v16, v17
	s_delay_alu instid0(VALU_DEP_2) | instskip(SKIP_1) | instid1(VALU_DEP_2)
	v_fmac_f32_e32 v18, 0x32a5705f, v72
	v_cvt_i32_f32_e32 v17, v17
	v_add_f32_e32 v16, v16, v18
	s_delay_alu instid0(VALU_DEP_1) | instskip(SKIP_2) | instid1(VALU_DEP_1)
	v_exp_f32_e32 v16, v16
	s_waitcnt_depctr 0xfff
	v_ldexp_f32 v16, v16, v17
	v_cndmask_b32_e32 v16, 0, v16, vcc_lo
	v_cmp_nlt_f32_e32 vcc_lo, 0x42b17218, v72
	s_delay_alu instid0(VALU_DEP_2) | instskip(NEXT) | instid1(VALU_DEP_1)
	v_cndmask_b32_e32 v18, 0x7f800000, v16, vcc_lo
	v_add_f32_e32 v19, 1.0, v18
	s_delay_alu instid0(VALU_DEP_1) | instskip(NEXT) | instid1(VALU_DEP_1)
	v_cvt_f64_f32_e32 v[16:17], v19
	v_frexp_exp_i32_f64_e32 v16, v[16:17]
	v_frexp_mant_f32_e32 v17, v19
	s_delay_alu instid0(VALU_DEP_1) | instskip(SKIP_1) | instid1(VALU_DEP_1)
	v_cmp_gt_f32_e32 vcc_lo, 0x3f2aaaab, v17
	v_add_f32_e32 v17, -1.0, v19
	v_sub_f32_e32 v21, v17, v19
	v_sub_f32_e32 v17, v18, v17
	s_delay_alu instid0(VALU_DEP_2) | instskip(NEXT) | instid1(VALU_DEP_1)
	v_add_f32_e32 v21, 1.0, v21
	v_add_f32_e32 v17, v17, v21
	v_cmp_gt_f32_e64 s15, 0x33800000, v18
	v_subrev_co_ci_u32_e32 v16, vcc_lo, 0, v16, vcc_lo
	v_cmp_eq_f32_e32 vcc_lo, 0x7f800000, v18
	s_delay_alu instid0(VALU_DEP_2) | instskip(SKIP_2) | instid1(VALU_DEP_2)
	v_sub_nc_u32_e32 v20, 0, v16
	v_cvt_f32_i32_e32 v16, v16
	s_or_b32 vcc_lo, s15, vcc_lo
	v_ldexp_f32 v19, v19, v20
	v_ldexp_f32 v17, v17, v20
	s_delay_alu instid0(VALU_DEP_2) | instskip(NEXT) | instid1(VALU_DEP_1)
	v_add_f32_e32 v22, 1.0, v19
	v_dual_add_f32 v20, -1.0, v19 :: v_dual_add_f32 v21, -1.0, v22
	s_delay_alu instid0(VALU_DEP_1) | instskip(NEXT) | instid1(VALU_DEP_2)
	v_add_f32_e32 v23, 1.0, v20
	v_sub_f32_e32 v21, v19, v21
	s_delay_alu instid0(VALU_DEP_2) | instskip(NEXT) | instid1(VALU_DEP_2)
	v_sub_f32_e32 v19, v19, v23
	v_add_f32_e32 v21, v17, v21
	s_delay_alu instid0(VALU_DEP_2) | instskip(NEXT) | instid1(VALU_DEP_1)
	v_add_f32_e32 v17, v17, v19
	v_add_f32_e32 v24, v20, v17
	s_delay_alu instid0(VALU_DEP_1) | instskip(NEXT) | instid1(VALU_DEP_1)
	v_dual_add_f32 v23, v22, v21 :: v_dual_sub_f32 v20, v20, v24
	v_rcp_f32_e32 v19, v23
	v_sub_f32_e32 v22, v22, v23
	s_delay_alu instid0(VALU_DEP_1) | instskip(SKIP_2) | instid1(VALU_DEP_1)
	v_add_f32_e32 v21, v21, v22
	s_waitcnt_depctr 0xfff
	v_mul_f32_e32 v25, v24, v19
	v_mul_f32_e32 v26, v23, v25
	s_delay_alu instid0(VALU_DEP_1) | instskip(NEXT) | instid1(VALU_DEP_1)
	v_fma_f32 v22, v25, v23, -v26
	v_fmac_f32_e32 v22, v25, v21
	s_delay_alu instid0(VALU_DEP_1) | instskip(NEXT) | instid1(VALU_DEP_1)
	v_add_f32_e32 v27, v26, v22
	v_sub_f32_e32 v28, v24, v27
	s_delay_alu instid0(VALU_DEP_1) | instskip(SKIP_1) | instid1(VALU_DEP_2)
	v_sub_f32_e32 v24, v24, v28
	v_dual_add_f32 v17, v17, v20 :: v_dual_sub_f32 v20, v27, v26
	v_sub_f32_e32 v24, v24, v27
	s_delay_alu instid0(VALU_DEP_1) | instskip(NEXT) | instid1(VALU_DEP_1)
	v_dual_sub_f32 v20, v20, v22 :: v_dual_add_f32 v17, v17, v24
	v_add_f32_e32 v17, v20, v17
	s_delay_alu instid0(VALU_DEP_1) | instskip(NEXT) | instid1(VALU_DEP_1)
	v_add_f32_e32 v20, v28, v17
	v_mul_f32_e32 v22, v19, v20
	s_delay_alu instid0(VALU_DEP_1) | instskip(NEXT) | instid1(VALU_DEP_1)
	v_dual_sub_f32 v27, v28, v20 :: v_dual_mul_f32 v24, v23, v22
	v_add_f32_e32 v17, v17, v27
	s_delay_alu instid0(VALU_DEP_2) | instskip(NEXT) | instid1(VALU_DEP_1)
	v_fma_f32 v23, v22, v23, -v24
	v_fmac_f32_e32 v23, v22, v21
	s_delay_alu instid0(VALU_DEP_1) | instskip(NEXT) | instid1(VALU_DEP_1)
	v_add_f32_e32 v21, v24, v23
	v_sub_f32_e32 v26, v20, v21
	s_delay_alu instid0(VALU_DEP_1) | instskip(NEXT) | instid1(VALU_DEP_1)
	v_sub_f32_e32 v20, v20, v26
	v_sub_f32_e32 v20, v20, v21
	s_delay_alu instid0(VALU_DEP_1) | instskip(SKIP_2) | instid1(VALU_DEP_1)
	v_add_f32_e32 v17, v17, v20
	v_add_f32_e32 v20, v25, v22
	v_sub_f32_e32 v24, v21, v24
	v_sub_f32_e32 v21, v24, v23
	s_delay_alu instid0(VALU_DEP_1) | instskip(NEXT) | instid1(VALU_DEP_4)
	v_add_f32_e32 v17, v21, v17
	v_sub_f32_e32 v21, v20, v25
	s_delay_alu instid0(VALU_DEP_2) | instskip(NEXT) | instid1(VALU_DEP_2)
	v_add_f32_e32 v17, v26, v17
	v_sub_f32_e32 v21, v22, v21
	s_delay_alu instid0(VALU_DEP_2) | instskip(NEXT) | instid1(VALU_DEP_1)
	v_mul_f32_e32 v17, v19, v17
	v_add_f32_e32 v17, v21, v17
	s_delay_alu instid0(VALU_DEP_1) | instskip(NEXT) | instid1(VALU_DEP_1)
	v_add_f32_e32 v19, v20, v17
	v_mul_f32_e32 v21, v19, v19
	s_delay_alu instid0(VALU_DEP_1) | instskip(SKIP_1) | instid1(VALU_DEP_2)
	v_fmaak_f32 v22, s54, v21, 0x3ecc95a3
	v_mul_f32_e32 v23, v19, v21
	v_fmaak_f32 v21, v21, v22, 0x3f2aaada
	v_ldexp_f32 v22, v19, 1
	s_delay_alu instid0(VALU_DEP_2) | instskip(SKIP_1) | instid1(VALU_DEP_2)
	v_mul_f32_e32 v21, v23, v21
	v_sub_f32_e32 v19, v19, v20
	v_dual_mul_f32 v23, 0x3f317218, v16 :: v_dual_add_f32 v20, v22, v21
	s_delay_alu instid0(VALU_DEP_2) | instskip(NEXT) | instid1(VALU_DEP_2)
	v_sub_f32_e32 v17, v17, v19
	v_sub_f32_e32 v19, v20, v22
	s_delay_alu instid0(VALU_DEP_3) | instskip(NEXT) | instid1(VALU_DEP_3)
	v_fma_f32 v22, 0x3f317218, v16, -v23
	v_ldexp_f32 v17, v17, 1
	s_delay_alu instid0(VALU_DEP_2) | instskip(NEXT) | instid1(VALU_DEP_1)
	v_dual_sub_f32 v19, v21, v19 :: v_dual_fmac_f32 v22, 0xb102e308, v16
	v_dual_add_f32 v16, v17, v19 :: v_dual_add_f32 v17, v23, v22
	s_delay_alu instid0(VALU_DEP_1) | instskip(NEXT) | instid1(VALU_DEP_1)
	v_add_f32_e32 v19, v20, v16
	v_dual_add_f32 v21, v17, v19 :: v_dual_sub_f32 v20, v19, v20
	s_delay_alu instid0(VALU_DEP_1) | instskip(NEXT) | instid1(VALU_DEP_2)
	v_sub_f32_e32 v24, v21, v17
	v_dual_sub_f32 v23, v17, v23 :: v_dual_sub_f32 v16, v16, v20
	s_delay_alu instid0(VALU_DEP_1) | instskip(SKIP_1) | instid1(VALU_DEP_2)
	v_dual_sub_f32 v25, v21, v24 :: v_dual_sub_f32 v22, v22, v23
	v_sub_f32_e32 v19, v19, v24
	v_dual_sub_f32 v17, v17, v25 :: v_dual_add_f32 v20, v22, v16
	s_delay_alu instid0(VALU_DEP_1) | instskip(NEXT) | instid1(VALU_DEP_2)
	v_add_f32_e32 v17, v19, v17
	v_sub_f32_e32 v19, v20, v22
	s_delay_alu instid0(VALU_DEP_2) | instskip(NEXT) | instid1(VALU_DEP_2)
	v_add_f32_e32 v17, v20, v17
	v_sub_f32_e32 v20, v20, v19
	s_delay_alu instid0(VALU_DEP_2) | instskip(NEXT) | instid1(VALU_DEP_1)
	v_dual_sub_f32 v16, v16, v19 :: v_dual_add_f32 v23, v21, v17
	v_dual_sub_f32 v20, v22, v20 :: v_dual_sub_f32 v19, v23, v21
	s_delay_alu instid0(VALU_DEP_1) | instskip(NEXT) | instid1(VALU_DEP_1)
	v_dual_add_f32 v16, v16, v20 :: v_dual_sub_f32 v17, v17, v19
	v_add_f32_e32 v16, v16, v17
	s_delay_alu instid0(VALU_DEP_1) | instskip(NEXT) | instid1(VALU_DEP_1)
	v_add_f32_e32 v16, v23, v16
	v_cndmask_b32_e32 v72, v16, v18, vcc_lo
.LBB91_40:                              ;   in Loop: Header=BB91_12 Depth=1
	s_or_b32 exec_lo, exec_lo, s16
	v_cvt_f32_f16_e32 v16, v1
	s_delay_alu instid0(VALU_DEP_1) | instskip(NEXT) | instid1(VALU_DEP_1)
	v_add_f32_e32 v73, s57, v16
	v_cmp_ge_f32_e32 vcc_lo, 0x41a00000, v73
	s_and_b32 s15, s67, vcc_lo
	s_delay_alu instid0(SALU_CYCLE_1)
	s_and_saveexec_b32 s16, s15
	s_cbranch_execz .LBB91_42
; %bb.41:                               ;   in Loop: Header=BB91_12 Depth=1
	v_mul_f32_e32 v16, 0x3fb8aa3b, v73
	v_cmp_ngt_f32_e32 vcc_lo, 0xc2ce8ed0, v73
	s_delay_alu instid0(VALU_DEP_2) | instskip(SKIP_1) | instid1(VALU_DEP_2)
	v_rndne_f32_e32 v17, v16
	v_fma_f32 v18, 0x3fb8aa3b, v73, -v16
	v_sub_f32_e32 v16, v16, v17
	s_delay_alu instid0(VALU_DEP_2) | instskip(SKIP_1) | instid1(VALU_DEP_2)
	v_fmac_f32_e32 v18, 0x32a5705f, v73
	v_cvt_i32_f32_e32 v17, v17
	v_add_f32_e32 v16, v16, v18
	s_delay_alu instid0(VALU_DEP_1) | instskip(SKIP_2) | instid1(VALU_DEP_1)
	v_exp_f32_e32 v16, v16
	s_waitcnt_depctr 0xfff
	v_ldexp_f32 v16, v16, v17
	v_cndmask_b32_e32 v16, 0, v16, vcc_lo
	v_cmp_nlt_f32_e32 vcc_lo, 0x42b17218, v73
	s_delay_alu instid0(VALU_DEP_2) | instskip(NEXT) | instid1(VALU_DEP_1)
	v_cndmask_b32_e32 v18, 0x7f800000, v16, vcc_lo
	v_add_f32_e32 v19, 1.0, v18
	s_delay_alu instid0(VALU_DEP_1) | instskip(NEXT) | instid1(VALU_DEP_1)
	v_cvt_f64_f32_e32 v[16:17], v19
	v_frexp_exp_i32_f64_e32 v16, v[16:17]
	v_frexp_mant_f32_e32 v17, v19
	s_delay_alu instid0(VALU_DEP_1) | instskip(SKIP_1) | instid1(VALU_DEP_1)
	v_cmp_gt_f32_e32 vcc_lo, 0x3f2aaaab, v17
	v_add_f32_e32 v17, -1.0, v19
	v_sub_f32_e32 v21, v17, v19
	v_sub_f32_e32 v17, v18, v17
	s_delay_alu instid0(VALU_DEP_2) | instskip(NEXT) | instid1(VALU_DEP_1)
	v_add_f32_e32 v21, 1.0, v21
	v_add_f32_e32 v17, v17, v21
	v_cmp_gt_f32_e64 s15, 0x33800000, v18
	v_subrev_co_ci_u32_e32 v16, vcc_lo, 0, v16, vcc_lo
	v_cmp_eq_f32_e32 vcc_lo, 0x7f800000, v18
	s_delay_alu instid0(VALU_DEP_2) | instskip(SKIP_2) | instid1(VALU_DEP_2)
	v_sub_nc_u32_e32 v20, 0, v16
	v_cvt_f32_i32_e32 v16, v16
	s_or_b32 vcc_lo, s15, vcc_lo
	v_ldexp_f32 v19, v19, v20
	v_ldexp_f32 v17, v17, v20
	s_delay_alu instid0(VALU_DEP_2) | instskip(NEXT) | instid1(VALU_DEP_1)
	v_add_f32_e32 v22, 1.0, v19
	v_dual_add_f32 v20, -1.0, v19 :: v_dual_add_f32 v21, -1.0, v22
	s_delay_alu instid0(VALU_DEP_1) | instskip(NEXT) | instid1(VALU_DEP_2)
	v_add_f32_e32 v23, 1.0, v20
	v_sub_f32_e32 v21, v19, v21
	s_delay_alu instid0(VALU_DEP_2) | instskip(NEXT) | instid1(VALU_DEP_2)
	v_sub_f32_e32 v19, v19, v23
	v_add_f32_e32 v21, v17, v21
	s_delay_alu instid0(VALU_DEP_2) | instskip(NEXT) | instid1(VALU_DEP_1)
	v_add_f32_e32 v17, v17, v19
	v_add_f32_e32 v24, v20, v17
	s_delay_alu instid0(VALU_DEP_1) | instskip(NEXT) | instid1(VALU_DEP_1)
	v_dual_add_f32 v23, v22, v21 :: v_dual_sub_f32 v20, v20, v24
	v_rcp_f32_e32 v19, v23
	v_sub_f32_e32 v22, v22, v23
	s_delay_alu instid0(VALU_DEP_1) | instskip(SKIP_2) | instid1(VALU_DEP_1)
	v_add_f32_e32 v21, v21, v22
	s_waitcnt_depctr 0xfff
	v_mul_f32_e32 v25, v24, v19
	v_mul_f32_e32 v26, v23, v25
	s_delay_alu instid0(VALU_DEP_1) | instskip(NEXT) | instid1(VALU_DEP_1)
	v_fma_f32 v22, v25, v23, -v26
	v_fmac_f32_e32 v22, v25, v21
	s_delay_alu instid0(VALU_DEP_1) | instskip(NEXT) | instid1(VALU_DEP_1)
	v_add_f32_e32 v27, v26, v22
	v_sub_f32_e32 v28, v24, v27
	s_delay_alu instid0(VALU_DEP_1) | instskip(SKIP_1) | instid1(VALU_DEP_2)
	v_sub_f32_e32 v24, v24, v28
	v_dual_add_f32 v17, v17, v20 :: v_dual_sub_f32 v20, v27, v26
	v_sub_f32_e32 v24, v24, v27
	s_delay_alu instid0(VALU_DEP_1) | instskip(NEXT) | instid1(VALU_DEP_1)
	v_dual_sub_f32 v20, v20, v22 :: v_dual_add_f32 v17, v17, v24
	v_add_f32_e32 v17, v20, v17
	s_delay_alu instid0(VALU_DEP_1) | instskip(NEXT) | instid1(VALU_DEP_1)
	v_add_f32_e32 v20, v28, v17
	v_mul_f32_e32 v22, v19, v20
	s_delay_alu instid0(VALU_DEP_1) | instskip(NEXT) | instid1(VALU_DEP_1)
	v_dual_sub_f32 v27, v28, v20 :: v_dual_mul_f32 v24, v23, v22
	v_add_f32_e32 v17, v17, v27
	s_delay_alu instid0(VALU_DEP_2) | instskip(NEXT) | instid1(VALU_DEP_1)
	v_fma_f32 v23, v22, v23, -v24
	v_fmac_f32_e32 v23, v22, v21
	s_delay_alu instid0(VALU_DEP_1) | instskip(NEXT) | instid1(VALU_DEP_1)
	v_add_f32_e32 v21, v24, v23
	v_sub_f32_e32 v26, v20, v21
	s_delay_alu instid0(VALU_DEP_1) | instskip(NEXT) | instid1(VALU_DEP_1)
	v_sub_f32_e32 v20, v20, v26
	v_sub_f32_e32 v20, v20, v21
	s_delay_alu instid0(VALU_DEP_1) | instskip(SKIP_2) | instid1(VALU_DEP_1)
	v_add_f32_e32 v17, v17, v20
	v_add_f32_e32 v20, v25, v22
	v_sub_f32_e32 v24, v21, v24
	v_sub_f32_e32 v21, v24, v23
	s_delay_alu instid0(VALU_DEP_1) | instskip(NEXT) | instid1(VALU_DEP_4)
	v_add_f32_e32 v17, v21, v17
	v_sub_f32_e32 v21, v20, v25
	s_delay_alu instid0(VALU_DEP_2) | instskip(NEXT) | instid1(VALU_DEP_2)
	v_add_f32_e32 v17, v26, v17
	v_sub_f32_e32 v21, v22, v21
	s_delay_alu instid0(VALU_DEP_2) | instskip(NEXT) | instid1(VALU_DEP_1)
	v_mul_f32_e32 v17, v19, v17
	v_add_f32_e32 v17, v21, v17
	s_delay_alu instid0(VALU_DEP_1) | instskip(NEXT) | instid1(VALU_DEP_1)
	v_add_f32_e32 v19, v20, v17
	v_mul_f32_e32 v21, v19, v19
	s_delay_alu instid0(VALU_DEP_1) | instskip(SKIP_1) | instid1(VALU_DEP_2)
	v_fmaak_f32 v22, s54, v21, 0x3ecc95a3
	v_mul_f32_e32 v23, v19, v21
	v_fmaak_f32 v21, v21, v22, 0x3f2aaada
	v_ldexp_f32 v22, v19, 1
	s_delay_alu instid0(VALU_DEP_2) | instskip(SKIP_1) | instid1(VALU_DEP_2)
	v_mul_f32_e32 v21, v23, v21
	v_sub_f32_e32 v19, v19, v20
	v_dual_mul_f32 v23, 0x3f317218, v16 :: v_dual_add_f32 v20, v22, v21
	s_delay_alu instid0(VALU_DEP_2) | instskip(NEXT) | instid1(VALU_DEP_2)
	v_sub_f32_e32 v17, v17, v19
	v_sub_f32_e32 v19, v20, v22
	s_delay_alu instid0(VALU_DEP_3) | instskip(NEXT) | instid1(VALU_DEP_3)
	v_fma_f32 v22, 0x3f317218, v16, -v23
	v_ldexp_f32 v17, v17, 1
	s_delay_alu instid0(VALU_DEP_2) | instskip(NEXT) | instid1(VALU_DEP_1)
	v_dual_sub_f32 v19, v21, v19 :: v_dual_fmac_f32 v22, 0xb102e308, v16
	v_dual_add_f32 v16, v17, v19 :: v_dual_add_f32 v17, v23, v22
	s_delay_alu instid0(VALU_DEP_1) | instskip(NEXT) | instid1(VALU_DEP_1)
	v_add_f32_e32 v19, v20, v16
	v_dual_add_f32 v21, v17, v19 :: v_dual_sub_f32 v20, v19, v20
	s_delay_alu instid0(VALU_DEP_1) | instskip(NEXT) | instid1(VALU_DEP_2)
	v_sub_f32_e32 v24, v21, v17
	v_dual_sub_f32 v23, v17, v23 :: v_dual_sub_f32 v16, v16, v20
	s_delay_alu instid0(VALU_DEP_1) | instskip(SKIP_1) | instid1(VALU_DEP_2)
	v_dual_sub_f32 v25, v21, v24 :: v_dual_sub_f32 v22, v22, v23
	v_sub_f32_e32 v19, v19, v24
	v_dual_sub_f32 v17, v17, v25 :: v_dual_add_f32 v20, v22, v16
	s_delay_alu instid0(VALU_DEP_1) | instskip(NEXT) | instid1(VALU_DEP_2)
	v_add_f32_e32 v17, v19, v17
	v_sub_f32_e32 v19, v20, v22
	s_delay_alu instid0(VALU_DEP_2) | instskip(NEXT) | instid1(VALU_DEP_2)
	v_add_f32_e32 v17, v20, v17
	v_sub_f32_e32 v20, v20, v19
	s_delay_alu instid0(VALU_DEP_2) | instskip(NEXT) | instid1(VALU_DEP_1)
	v_dual_sub_f32 v16, v16, v19 :: v_dual_add_f32 v23, v21, v17
	v_dual_sub_f32 v20, v22, v20 :: v_dual_sub_f32 v19, v23, v21
	s_delay_alu instid0(VALU_DEP_1) | instskip(NEXT) | instid1(VALU_DEP_1)
	v_dual_add_f32 v16, v16, v20 :: v_dual_sub_f32 v17, v17, v19
	v_add_f32_e32 v16, v16, v17
	s_delay_alu instid0(VALU_DEP_1) | instskip(NEXT) | instid1(VALU_DEP_1)
	v_add_f32_e32 v16, v23, v16
	v_cndmask_b32_e32 v73, v16, v18, vcc_lo
.LBB91_42:                              ;   in Loop: Header=BB91_12 Depth=1
	s_or_b32 exec_lo, exec_lo, s16
	v_lshrrev_b32_e32 v16, 16, v1
	s_delay_alu instid0(VALU_DEP_1) | instskip(NEXT) | instid1(VALU_DEP_1)
	v_cvt_f32_f16_e32 v16, v16
	v_add_f32_e32 v74, s57, v16
	s_delay_alu instid0(VALU_DEP_1) | instskip(SKIP_1) | instid1(SALU_CYCLE_1)
	v_cmp_ge_f32_e32 vcc_lo, 0x41a00000, v74
	s_and_b32 s15, s67, vcc_lo
	s_and_saveexec_b32 s16, s15
	s_cbranch_execz .LBB91_44
; %bb.43:                               ;   in Loop: Header=BB91_12 Depth=1
	v_mul_f32_e32 v16, 0x3fb8aa3b, v74
	v_cmp_ngt_f32_e32 vcc_lo, 0xc2ce8ed0, v74
	s_delay_alu instid0(VALU_DEP_2) | instskip(SKIP_1) | instid1(VALU_DEP_2)
	v_rndne_f32_e32 v17, v16
	v_fma_f32 v18, 0x3fb8aa3b, v74, -v16
	v_sub_f32_e32 v16, v16, v17
	s_delay_alu instid0(VALU_DEP_2) | instskip(SKIP_1) | instid1(VALU_DEP_2)
	v_fmac_f32_e32 v18, 0x32a5705f, v74
	v_cvt_i32_f32_e32 v17, v17
	v_add_f32_e32 v16, v16, v18
	s_delay_alu instid0(VALU_DEP_1) | instskip(SKIP_2) | instid1(VALU_DEP_1)
	v_exp_f32_e32 v16, v16
	s_waitcnt_depctr 0xfff
	v_ldexp_f32 v16, v16, v17
	v_cndmask_b32_e32 v16, 0, v16, vcc_lo
	v_cmp_nlt_f32_e32 vcc_lo, 0x42b17218, v74
	s_delay_alu instid0(VALU_DEP_2) | instskip(NEXT) | instid1(VALU_DEP_1)
	v_cndmask_b32_e32 v18, 0x7f800000, v16, vcc_lo
	v_add_f32_e32 v19, 1.0, v18
	s_delay_alu instid0(VALU_DEP_1) | instskip(NEXT) | instid1(VALU_DEP_1)
	v_cvt_f64_f32_e32 v[16:17], v19
	v_frexp_exp_i32_f64_e32 v16, v[16:17]
	v_frexp_mant_f32_e32 v17, v19
	s_delay_alu instid0(VALU_DEP_1) | instskip(SKIP_1) | instid1(VALU_DEP_1)
	v_cmp_gt_f32_e32 vcc_lo, 0x3f2aaaab, v17
	v_add_f32_e32 v17, -1.0, v19
	v_sub_f32_e32 v21, v17, v19
	v_sub_f32_e32 v17, v18, v17
	s_delay_alu instid0(VALU_DEP_2) | instskip(NEXT) | instid1(VALU_DEP_1)
	v_add_f32_e32 v21, 1.0, v21
	v_add_f32_e32 v17, v17, v21
	v_cmp_gt_f32_e64 s15, 0x33800000, v18
	v_subrev_co_ci_u32_e32 v16, vcc_lo, 0, v16, vcc_lo
	v_cmp_eq_f32_e32 vcc_lo, 0x7f800000, v18
	s_delay_alu instid0(VALU_DEP_2) | instskip(SKIP_2) | instid1(VALU_DEP_2)
	v_sub_nc_u32_e32 v20, 0, v16
	v_cvt_f32_i32_e32 v16, v16
	s_or_b32 vcc_lo, s15, vcc_lo
	v_ldexp_f32 v19, v19, v20
	v_ldexp_f32 v17, v17, v20
	s_delay_alu instid0(VALU_DEP_2) | instskip(NEXT) | instid1(VALU_DEP_1)
	v_add_f32_e32 v22, 1.0, v19
	v_dual_add_f32 v20, -1.0, v19 :: v_dual_add_f32 v21, -1.0, v22
	s_delay_alu instid0(VALU_DEP_1) | instskip(NEXT) | instid1(VALU_DEP_2)
	v_add_f32_e32 v23, 1.0, v20
	v_sub_f32_e32 v21, v19, v21
	s_delay_alu instid0(VALU_DEP_2) | instskip(NEXT) | instid1(VALU_DEP_2)
	v_sub_f32_e32 v19, v19, v23
	v_add_f32_e32 v21, v17, v21
	s_delay_alu instid0(VALU_DEP_2) | instskip(NEXT) | instid1(VALU_DEP_1)
	v_add_f32_e32 v17, v17, v19
	v_add_f32_e32 v24, v20, v17
	s_delay_alu instid0(VALU_DEP_1) | instskip(NEXT) | instid1(VALU_DEP_1)
	v_dual_add_f32 v23, v22, v21 :: v_dual_sub_f32 v20, v20, v24
	v_rcp_f32_e32 v19, v23
	v_sub_f32_e32 v22, v22, v23
	s_delay_alu instid0(VALU_DEP_1) | instskip(SKIP_2) | instid1(VALU_DEP_1)
	v_add_f32_e32 v21, v21, v22
	s_waitcnt_depctr 0xfff
	v_mul_f32_e32 v25, v24, v19
	v_mul_f32_e32 v26, v23, v25
	s_delay_alu instid0(VALU_DEP_1) | instskip(NEXT) | instid1(VALU_DEP_1)
	v_fma_f32 v22, v25, v23, -v26
	v_fmac_f32_e32 v22, v25, v21
	s_delay_alu instid0(VALU_DEP_1) | instskip(NEXT) | instid1(VALU_DEP_1)
	v_add_f32_e32 v27, v26, v22
	v_sub_f32_e32 v28, v24, v27
	s_delay_alu instid0(VALU_DEP_1) | instskip(SKIP_1) | instid1(VALU_DEP_2)
	v_sub_f32_e32 v24, v24, v28
	v_dual_add_f32 v17, v17, v20 :: v_dual_sub_f32 v20, v27, v26
	v_sub_f32_e32 v24, v24, v27
	s_delay_alu instid0(VALU_DEP_1) | instskip(NEXT) | instid1(VALU_DEP_1)
	v_dual_sub_f32 v20, v20, v22 :: v_dual_add_f32 v17, v17, v24
	v_add_f32_e32 v17, v20, v17
	s_delay_alu instid0(VALU_DEP_1) | instskip(NEXT) | instid1(VALU_DEP_1)
	v_add_f32_e32 v20, v28, v17
	v_mul_f32_e32 v22, v19, v20
	s_delay_alu instid0(VALU_DEP_1) | instskip(NEXT) | instid1(VALU_DEP_1)
	v_dual_sub_f32 v27, v28, v20 :: v_dual_mul_f32 v24, v23, v22
	v_add_f32_e32 v17, v17, v27
	s_delay_alu instid0(VALU_DEP_2) | instskip(NEXT) | instid1(VALU_DEP_1)
	v_fma_f32 v23, v22, v23, -v24
	v_fmac_f32_e32 v23, v22, v21
	s_delay_alu instid0(VALU_DEP_1) | instskip(NEXT) | instid1(VALU_DEP_1)
	v_add_f32_e32 v21, v24, v23
	v_sub_f32_e32 v26, v20, v21
	s_delay_alu instid0(VALU_DEP_1) | instskip(NEXT) | instid1(VALU_DEP_1)
	v_sub_f32_e32 v20, v20, v26
	v_sub_f32_e32 v20, v20, v21
	s_delay_alu instid0(VALU_DEP_1) | instskip(SKIP_2) | instid1(VALU_DEP_1)
	v_add_f32_e32 v17, v17, v20
	v_add_f32_e32 v20, v25, v22
	v_sub_f32_e32 v24, v21, v24
	v_sub_f32_e32 v21, v24, v23
	s_delay_alu instid0(VALU_DEP_1) | instskip(NEXT) | instid1(VALU_DEP_4)
	v_add_f32_e32 v17, v21, v17
	v_sub_f32_e32 v21, v20, v25
	s_delay_alu instid0(VALU_DEP_2) | instskip(NEXT) | instid1(VALU_DEP_2)
	v_add_f32_e32 v17, v26, v17
	v_sub_f32_e32 v21, v22, v21
	s_delay_alu instid0(VALU_DEP_2) | instskip(NEXT) | instid1(VALU_DEP_1)
	v_mul_f32_e32 v17, v19, v17
	v_add_f32_e32 v17, v21, v17
	s_delay_alu instid0(VALU_DEP_1) | instskip(NEXT) | instid1(VALU_DEP_1)
	v_add_f32_e32 v19, v20, v17
	v_mul_f32_e32 v21, v19, v19
	s_delay_alu instid0(VALU_DEP_1) | instskip(SKIP_1) | instid1(VALU_DEP_2)
	v_fmaak_f32 v22, s54, v21, 0x3ecc95a3
	v_mul_f32_e32 v23, v19, v21
	v_fmaak_f32 v21, v21, v22, 0x3f2aaada
	v_ldexp_f32 v22, v19, 1
	s_delay_alu instid0(VALU_DEP_2) | instskip(SKIP_1) | instid1(VALU_DEP_2)
	v_mul_f32_e32 v21, v23, v21
	v_sub_f32_e32 v19, v19, v20
	v_dual_mul_f32 v23, 0x3f317218, v16 :: v_dual_add_f32 v20, v22, v21
	s_delay_alu instid0(VALU_DEP_2) | instskip(NEXT) | instid1(VALU_DEP_2)
	v_sub_f32_e32 v17, v17, v19
	v_sub_f32_e32 v19, v20, v22
	s_delay_alu instid0(VALU_DEP_3) | instskip(NEXT) | instid1(VALU_DEP_3)
	v_fma_f32 v22, 0x3f317218, v16, -v23
	v_ldexp_f32 v17, v17, 1
	s_delay_alu instid0(VALU_DEP_2) | instskip(NEXT) | instid1(VALU_DEP_1)
	v_dual_sub_f32 v19, v21, v19 :: v_dual_fmac_f32 v22, 0xb102e308, v16
	v_dual_add_f32 v16, v17, v19 :: v_dual_add_f32 v17, v23, v22
	s_delay_alu instid0(VALU_DEP_1) | instskip(NEXT) | instid1(VALU_DEP_1)
	v_add_f32_e32 v19, v20, v16
	v_dual_add_f32 v21, v17, v19 :: v_dual_sub_f32 v20, v19, v20
	s_delay_alu instid0(VALU_DEP_1) | instskip(NEXT) | instid1(VALU_DEP_2)
	v_sub_f32_e32 v24, v21, v17
	v_dual_sub_f32 v23, v17, v23 :: v_dual_sub_f32 v16, v16, v20
	s_delay_alu instid0(VALU_DEP_1) | instskip(SKIP_1) | instid1(VALU_DEP_2)
	v_dual_sub_f32 v25, v21, v24 :: v_dual_sub_f32 v22, v22, v23
	v_sub_f32_e32 v19, v19, v24
	v_dual_sub_f32 v17, v17, v25 :: v_dual_add_f32 v20, v22, v16
	s_delay_alu instid0(VALU_DEP_1) | instskip(NEXT) | instid1(VALU_DEP_2)
	v_add_f32_e32 v17, v19, v17
	v_sub_f32_e32 v19, v20, v22
	s_delay_alu instid0(VALU_DEP_2) | instskip(NEXT) | instid1(VALU_DEP_2)
	v_add_f32_e32 v17, v20, v17
	v_sub_f32_e32 v20, v20, v19
	s_delay_alu instid0(VALU_DEP_2) | instskip(NEXT) | instid1(VALU_DEP_1)
	v_dual_sub_f32 v16, v16, v19 :: v_dual_add_f32 v23, v21, v17
	v_dual_sub_f32 v20, v22, v20 :: v_dual_sub_f32 v19, v23, v21
	s_delay_alu instid0(VALU_DEP_1) | instskip(NEXT) | instid1(VALU_DEP_1)
	v_dual_add_f32 v16, v16, v20 :: v_dual_sub_f32 v17, v17, v19
	v_add_f32_e32 v16, v16, v17
	s_delay_alu instid0(VALU_DEP_1) | instskip(NEXT) | instid1(VALU_DEP_1)
	v_add_f32_e32 v16, v23, v16
	v_cndmask_b32_e32 v74, v16, v18, vcc_lo
.LBB91_44:                              ;   in Loop: Header=BB91_12 Depth=1
	s_or_b32 exec_lo, exec_lo, s16
	v_cvt_f32_f16_e32 v16, v2
	s_delay_alu instid0(VALU_DEP_1) | instskip(NEXT) | instid1(VALU_DEP_1)
	v_add_f32_e32 v75, s57, v16
	v_cmp_ge_f32_e32 vcc_lo, 0x41a00000, v75
	s_and_b32 s15, s67, vcc_lo
	s_delay_alu instid0(SALU_CYCLE_1)
	s_and_saveexec_b32 s16, s15
	s_cbranch_execz .LBB91_46
; %bb.45:                               ;   in Loop: Header=BB91_12 Depth=1
	v_mul_f32_e32 v16, 0x3fb8aa3b, v75
	v_cmp_ngt_f32_e32 vcc_lo, 0xc2ce8ed0, v75
	s_delay_alu instid0(VALU_DEP_2) | instskip(SKIP_1) | instid1(VALU_DEP_2)
	v_rndne_f32_e32 v17, v16
	v_fma_f32 v18, 0x3fb8aa3b, v75, -v16
	v_sub_f32_e32 v16, v16, v17
	s_delay_alu instid0(VALU_DEP_2) | instskip(SKIP_1) | instid1(VALU_DEP_2)
	v_fmac_f32_e32 v18, 0x32a5705f, v75
	v_cvt_i32_f32_e32 v17, v17
	v_add_f32_e32 v16, v16, v18
	s_delay_alu instid0(VALU_DEP_1) | instskip(SKIP_2) | instid1(VALU_DEP_1)
	v_exp_f32_e32 v16, v16
	s_waitcnt_depctr 0xfff
	v_ldexp_f32 v16, v16, v17
	v_cndmask_b32_e32 v16, 0, v16, vcc_lo
	v_cmp_nlt_f32_e32 vcc_lo, 0x42b17218, v75
	s_delay_alu instid0(VALU_DEP_2) | instskip(NEXT) | instid1(VALU_DEP_1)
	v_cndmask_b32_e32 v18, 0x7f800000, v16, vcc_lo
	v_add_f32_e32 v19, 1.0, v18
	s_delay_alu instid0(VALU_DEP_1) | instskip(NEXT) | instid1(VALU_DEP_1)
	v_cvt_f64_f32_e32 v[16:17], v19
	v_frexp_exp_i32_f64_e32 v16, v[16:17]
	v_frexp_mant_f32_e32 v17, v19
	s_delay_alu instid0(VALU_DEP_1) | instskip(SKIP_1) | instid1(VALU_DEP_1)
	v_cmp_gt_f32_e32 vcc_lo, 0x3f2aaaab, v17
	v_add_f32_e32 v17, -1.0, v19
	v_sub_f32_e32 v21, v17, v19
	v_sub_f32_e32 v17, v18, v17
	s_delay_alu instid0(VALU_DEP_2) | instskip(NEXT) | instid1(VALU_DEP_1)
	v_add_f32_e32 v21, 1.0, v21
	v_add_f32_e32 v17, v17, v21
	v_cmp_gt_f32_e64 s15, 0x33800000, v18
	v_subrev_co_ci_u32_e32 v16, vcc_lo, 0, v16, vcc_lo
	v_cmp_eq_f32_e32 vcc_lo, 0x7f800000, v18
	s_delay_alu instid0(VALU_DEP_2) | instskip(SKIP_2) | instid1(VALU_DEP_2)
	v_sub_nc_u32_e32 v20, 0, v16
	v_cvt_f32_i32_e32 v16, v16
	s_or_b32 vcc_lo, s15, vcc_lo
	v_ldexp_f32 v19, v19, v20
	v_ldexp_f32 v17, v17, v20
	s_delay_alu instid0(VALU_DEP_2) | instskip(NEXT) | instid1(VALU_DEP_1)
	v_add_f32_e32 v22, 1.0, v19
	v_dual_add_f32 v20, -1.0, v19 :: v_dual_add_f32 v21, -1.0, v22
	s_delay_alu instid0(VALU_DEP_1) | instskip(NEXT) | instid1(VALU_DEP_2)
	v_add_f32_e32 v23, 1.0, v20
	v_sub_f32_e32 v21, v19, v21
	s_delay_alu instid0(VALU_DEP_2) | instskip(NEXT) | instid1(VALU_DEP_2)
	v_sub_f32_e32 v19, v19, v23
	v_add_f32_e32 v21, v17, v21
	s_delay_alu instid0(VALU_DEP_2) | instskip(NEXT) | instid1(VALU_DEP_1)
	v_add_f32_e32 v17, v17, v19
	v_add_f32_e32 v24, v20, v17
	s_delay_alu instid0(VALU_DEP_1) | instskip(NEXT) | instid1(VALU_DEP_1)
	v_dual_add_f32 v23, v22, v21 :: v_dual_sub_f32 v20, v20, v24
	v_rcp_f32_e32 v19, v23
	v_sub_f32_e32 v22, v22, v23
	s_delay_alu instid0(VALU_DEP_1) | instskip(SKIP_2) | instid1(VALU_DEP_1)
	v_add_f32_e32 v21, v21, v22
	s_waitcnt_depctr 0xfff
	v_mul_f32_e32 v25, v24, v19
	v_mul_f32_e32 v26, v23, v25
	s_delay_alu instid0(VALU_DEP_1) | instskip(NEXT) | instid1(VALU_DEP_1)
	v_fma_f32 v22, v25, v23, -v26
	v_fmac_f32_e32 v22, v25, v21
	s_delay_alu instid0(VALU_DEP_1) | instskip(NEXT) | instid1(VALU_DEP_1)
	v_add_f32_e32 v27, v26, v22
	v_sub_f32_e32 v28, v24, v27
	s_delay_alu instid0(VALU_DEP_1) | instskip(SKIP_1) | instid1(VALU_DEP_2)
	v_sub_f32_e32 v24, v24, v28
	v_dual_add_f32 v17, v17, v20 :: v_dual_sub_f32 v20, v27, v26
	v_sub_f32_e32 v24, v24, v27
	s_delay_alu instid0(VALU_DEP_1) | instskip(NEXT) | instid1(VALU_DEP_1)
	v_dual_sub_f32 v20, v20, v22 :: v_dual_add_f32 v17, v17, v24
	v_add_f32_e32 v17, v20, v17
	s_delay_alu instid0(VALU_DEP_1) | instskip(NEXT) | instid1(VALU_DEP_1)
	v_add_f32_e32 v20, v28, v17
	v_mul_f32_e32 v22, v19, v20
	s_delay_alu instid0(VALU_DEP_1) | instskip(NEXT) | instid1(VALU_DEP_1)
	v_dual_sub_f32 v27, v28, v20 :: v_dual_mul_f32 v24, v23, v22
	v_add_f32_e32 v17, v17, v27
	s_delay_alu instid0(VALU_DEP_2) | instskip(NEXT) | instid1(VALU_DEP_1)
	v_fma_f32 v23, v22, v23, -v24
	v_fmac_f32_e32 v23, v22, v21
	s_delay_alu instid0(VALU_DEP_1) | instskip(NEXT) | instid1(VALU_DEP_1)
	v_add_f32_e32 v21, v24, v23
	v_sub_f32_e32 v26, v20, v21
	s_delay_alu instid0(VALU_DEP_1) | instskip(NEXT) | instid1(VALU_DEP_1)
	v_sub_f32_e32 v20, v20, v26
	v_sub_f32_e32 v20, v20, v21
	s_delay_alu instid0(VALU_DEP_1) | instskip(SKIP_2) | instid1(VALU_DEP_1)
	v_add_f32_e32 v17, v17, v20
	v_add_f32_e32 v20, v25, v22
	v_sub_f32_e32 v24, v21, v24
	v_sub_f32_e32 v21, v24, v23
	s_delay_alu instid0(VALU_DEP_1) | instskip(NEXT) | instid1(VALU_DEP_4)
	v_add_f32_e32 v17, v21, v17
	v_sub_f32_e32 v21, v20, v25
	s_delay_alu instid0(VALU_DEP_2) | instskip(NEXT) | instid1(VALU_DEP_2)
	v_add_f32_e32 v17, v26, v17
	v_sub_f32_e32 v21, v22, v21
	s_delay_alu instid0(VALU_DEP_2) | instskip(NEXT) | instid1(VALU_DEP_1)
	v_mul_f32_e32 v17, v19, v17
	v_add_f32_e32 v17, v21, v17
	s_delay_alu instid0(VALU_DEP_1) | instskip(NEXT) | instid1(VALU_DEP_1)
	v_add_f32_e32 v19, v20, v17
	v_mul_f32_e32 v21, v19, v19
	s_delay_alu instid0(VALU_DEP_1) | instskip(SKIP_1) | instid1(VALU_DEP_2)
	v_fmaak_f32 v22, s54, v21, 0x3ecc95a3
	v_mul_f32_e32 v23, v19, v21
	v_fmaak_f32 v21, v21, v22, 0x3f2aaada
	v_ldexp_f32 v22, v19, 1
	s_delay_alu instid0(VALU_DEP_2) | instskip(SKIP_1) | instid1(VALU_DEP_2)
	v_mul_f32_e32 v21, v23, v21
	v_sub_f32_e32 v19, v19, v20
	v_dual_mul_f32 v23, 0x3f317218, v16 :: v_dual_add_f32 v20, v22, v21
	s_delay_alu instid0(VALU_DEP_2) | instskip(NEXT) | instid1(VALU_DEP_2)
	v_sub_f32_e32 v17, v17, v19
	v_sub_f32_e32 v19, v20, v22
	s_delay_alu instid0(VALU_DEP_3) | instskip(NEXT) | instid1(VALU_DEP_3)
	v_fma_f32 v22, 0x3f317218, v16, -v23
	v_ldexp_f32 v17, v17, 1
	s_delay_alu instid0(VALU_DEP_2) | instskip(NEXT) | instid1(VALU_DEP_1)
	v_dual_sub_f32 v19, v21, v19 :: v_dual_fmac_f32 v22, 0xb102e308, v16
	v_dual_add_f32 v16, v17, v19 :: v_dual_add_f32 v17, v23, v22
	s_delay_alu instid0(VALU_DEP_1) | instskip(NEXT) | instid1(VALU_DEP_1)
	v_add_f32_e32 v19, v20, v16
	v_dual_add_f32 v21, v17, v19 :: v_dual_sub_f32 v20, v19, v20
	s_delay_alu instid0(VALU_DEP_1) | instskip(NEXT) | instid1(VALU_DEP_2)
	v_sub_f32_e32 v24, v21, v17
	v_dual_sub_f32 v23, v17, v23 :: v_dual_sub_f32 v16, v16, v20
	s_delay_alu instid0(VALU_DEP_1) | instskip(SKIP_1) | instid1(VALU_DEP_2)
	v_dual_sub_f32 v25, v21, v24 :: v_dual_sub_f32 v22, v22, v23
	v_sub_f32_e32 v19, v19, v24
	v_dual_sub_f32 v17, v17, v25 :: v_dual_add_f32 v20, v22, v16
	s_delay_alu instid0(VALU_DEP_1) | instskip(NEXT) | instid1(VALU_DEP_2)
	v_add_f32_e32 v17, v19, v17
	v_sub_f32_e32 v19, v20, v22
	s_delay_alu instid0(VALU_DEP_2) | instskip(NEXT) | instid1(VALU_DEP_2)
	v_add_f32_e32 v17, v20, v17
	v_sub_f32_e32 v20, v20, v19
	s_delay_alu instid0(VALU_DEP_2) | instskip(NEXT) | instid1(VALU_DEP_1)
	v_dual_sub_f32 v16, v16, v19 :: v_dual_add_f32 v23, v21, v17
	v_dual_sub_f32 v20, v22, v20 :: v_dual_sub_f32 v19, v23, v21
	s_delay_alu instid0(VALU_DEP_1) | instskip(NEXT) | instid1(VALU_DEP_1)
	v_dual_add_f32 v16, v16, v20 :: v_dual_sub_f32 v17, v17, v19
	v_add_f32_e32 v16, v16, v17
	s_delay_alu instid0(VALU_DEP_1) | instskip(NEXT) | instid1(VALU_DEP_1)
	v_add_f32_e32 v16, v23, v16
	v_cndmask_b32_e32 v75, v16, v18, vcc_lo
.LBB91_46:                              ;   in Loop: Header=BB91_12 Depth=1
	s_or_b32 exec_lo, exec_lo, s16
	v_lshrrev_b32_e32 v16, 16, v2
	s_delay_alu instid0(VALU_DEP_1) | instskip(NEXT) | instid1(VALU_DEP_1)
	v_cvt_f32_f16_e32 v16, v16
	v_add_f32_e32 v76, s57, v16
	s_delay_alu instid0(VALU_DEP_1) | instskip(SKIP_1) | instid1(SALU_CYCLE_1)
	v_cmp_ge_f32_e32 vcc_lo, 0x41a00000, v76
	s_and_b32 s15, s67, vcc_lo
	s_and_saveexec_b32 s16, s15
	s_cbranch_execz .LBB91_48
; %bb.47:                               ;   in Loop: Header=BB91_12 Depth=1
	v_mul_f32_e32 v16, 0x3fb8aa3b, v76
	v_cmp_ngt_f32_e32 vcc_lo, 0xc2ce8ed0, v76
	s_delay_alu instid0(VALU_DEP_2) | instskip(SKIP_1) | instid1(VALU_DEP_2)
	v_rndne_f32_e32 v17, v16
	v_fma_f32 v18, 0x3fb8aa3b, v76, -v16
	v_sub_f32_e32 v16, v16, v17
	s_delay_alu instid0(VALU_DEP_2) | instskip(SKIP_1) | instid1(VALU_DEP_2)
	v_fmac_f32_e32 v18, 0x32a5705f, v76
	v_cvt_i32_f32_e32 v17, v17
	v_add_f32_e32 v16, v16, v18
	s_delay_alu instid0(VALU_DEP_1) | instskip(SKIP_2) | instid1(VALU_DEP_1)
	v_exp_f32_e32 v16, v16
	s_waitcnt_depctr 0xfff
	v_ldexp_f32 v16, v16, v17
	v_cndmask_b32_e32 v16, 0, v16, vcc_lo
	v_cmp_nlt_f32_e32 vcc_lo, 0x42b17218, v76
	s_delay_alu instid0(VALU_DEP_2) | instskip(NEXT) | instid1(VALU_DEP_1)
	v_cndmask_b32_e32 v18, 0x7f800000, v16, vcc_lo
	v_add_f32_e32 v19, 1.0, v18
	s_delay_alu instid0(VALU_DEP_1) | instskip(NEXT) | instid1(VALU_DEP_1)
	v_cvt_f64_f32_e32 v[16:17], v19
	v_frexp_exp_i32_f64_e32 v16, v[16:17]
	v_frexp_mant_f32_e32 v17, v19
	s_delay_alu instid0(VALU_DEP_1) | instskip(SKIP_1) | instid1(VALU_DEP_1)
	v_cmp_gt_f32_e32 vcc_lo, 0x3f2aaaab, v17
	v_add_f32_e32 v17, -1.0, v19
	v_sub_f32_e32 v21, v17, v19
	v_sub_f32_e32 v17, v18, v17
	s_delay_alu instid0(VALU_DEP_2) | instskip(NEXT) | instid1(VALU_DEP_1)
	v_add_f32_e32 v21, 1.0, v21
	v_add_f32_e32 v17, v17, v21
	v_cmp_gt_f32_e64 s15, 0x33800000, v18
	v_subrev_co_ci_u32_e32 v16, vcc_lo, 0, v16, vcc_lo
	v_cmp_eq_f32_e32 vcc_lo, 0x7f800000, v18
	s_delay_alu instid0(VALU_DEP_2) | instskip(SKIP_2) | instid1(VALU_DEP_2)
	v_sub_nc_u32_e32 v20, 0, v16
	v_cvt_f32_i32_e32 v16, v16
	s_or_b32 vcc_lo, s15, vcc_lo
	v_ldexp_f32 v19, v19, v20
	v_ldexp_f32 v17, v17, v20
	s_delay_alu instid0(VALU_DEP_2) | instskip(NEXT) | instid1(VALU_DEP_1)
	v_add_f32_e32 v22, 1.0, v19
	v_dual_add_f32 v20, -1.0, v19 :: v_dual_add_f32 v21, -1.0, v22
	s_delay_alu instid0(VALU_DEP_1) | instskip(NEXT) | instid1(VALU_DEP_2)
	v_add_f32_e32 v23, 1.0, v20
	v_sub_f32_e32 v21, v19, v21
	s_delay_alu instid0(VALU_DEP_2) | instskip(NEXT) | instid1(VALU_DEP_2)
	v_sub_f32_e32 v19, v19, v23
	v_add_f32_e32 v21, v17, v21
	s_delay_alu instid0(VALU_DEP_2) | instskip(NEXT) | instid1(VALU_DEP_1)
	v_add_f32_e32 v17, v17, v19
	v_add_f32_e32 v24, v20, v17
	s_delay_alu instid0(VALU_DEP_1) | instskip(NEXT) | instid1(VALU_DEP_1)
	v_dual_add_f32 v23, v22, v21 :: v_dual_sub_f32 v20, v20, v24
	v_rcp_f32_e32 v19, v23
	v_sub_f32_e32 v22, v22, v23
	s_delay_alu instid0(VALU_DEP_1) | instskip(SKIP_2) | instid1(VALU_DEP_1)
	v_add_f32_e32 v21, v21, v22
	s_waitcnt_depctr 0xfff
	v_mul_f32_e32 v25, v24, v19
	v_mul_f32_e32 v26, v23, v25
	s_delay_alu instid0(VALU_DEP_1) | instskip(NEXT) | instid1(VALU_DEP_1)
	v_fma_f32 v22, v25, v23, -v26
	v_fmac_f32_e32 v22, v25, v21
	s_delay_alu instid0(VALU_DEP_1) | instskip(NEXT) | instid1(VALU_DEP_1)
	v_add_f32_e32 v27, v26, v22
	v_sub_f32_e32 v28, v24, v27
	s_delay_alu instid0(VALU_DEP_1) | instskip(SKIP_1) | instid1(VALU_DEP_2)
	v_sub_f32_e32 v24, v24, v28
	v_dual_add_f32 v17, v17, v20 :: v_dual_sub_f32 v20, v27, v26
	v_sub_f32_e32 v24, v24, v27
	s_delay_alu instid0(VALU_DEP_1) | instskip(NEXT) | instid1(VALU_DEP_1)
	v_dual_sub_f32 v20, v20, v22 :: v_dual_add_f32 v17, v17, v24
	v_add_f32_e32 v17, v20, v17
	s_delay_alu instid0(VALU_DEP_1) | instskip(NEXT) | instid1(VALU_DEP_1)
	v_add_f32_e32 v20, v28, v17
	v_mul_f32_e32 v22, v19, v20
	s_delay_alu instid0(VALU_DEP_1) | instskip(NEXT) | instid1(VALU_DEP_1)
	v_dual_sub_f32 v27, v28, v20 :: v_dual_mul_f32 v24, v23, v22
	v_add_f32_e32 v17, v17, v27
	s_delay_alu instid0(VALU_DEP_2) | instskip(NEXT) | instid1(VALU_DEP_1)
	v_fma_f32 v23, v22, v23, -v24
	v_fmac_f32_e32 v23, v22, v21
	s_delay_alu instid0(VALU_DEP_1) | instskip(NEXT) | instid1(VALU_DEP_1)
	v_add_f32_e32 v21, v24, v23
	v_sub_f32_e32 v26, v20, v21
	s_delay_alu instid0(VALU_DEP_1) | instskip(NEXT) | instid1(VALU_DEP_1)
	v_sub_f32_e32 v20, v20, v26
	v_sub_f32_e32 v20, v20, v21
	s_delay_alu instid0(VALU_DEP_1) | instskip(SKIP_2) | instid1(VALU_DEP_1)
	v_add_f32_e32 v17, v17, v20
	v_add_f32_e32 v20, v25, v22
	v_sub_f32_e32 v24, v21, v24
	v_sub_f32_e32 v21, v24, v23
	s_delay_alu instid0(VALU_DEP_1) | instskip(NEXT) | instid1(VALU_DEP_4)
	v_add_f32_e32 v17, v21, v17
	v_sub_f32_e32 v21, v20, v25
	s_delay_alu instid0(VALU_DEP_2) | instskip(NEXT) | instid1(VALU_DEP_2)
	v_add_f32_e32 v17, v26, v17
	v_sub_f32_e32 v21, v22, v21
	s_delay_alu instid0(VALU_DEP_2) | instskip(NEXT) | instid1(VALU_DEP_1)
	v_mul_f32_e32 v17, v19, v17
	v_add_f32_e32 v17, v21, v17
	s_delay_alu instid0(VALU_DEP_1) | instskip(NEXT) | instid1(VALU_DEP_1)
	v_add_f32_e32 v19, v20, v17
	v_mul_f32_e32 v21, v19, v19
	s_delay_alu instid0(VALU_DEP_1) | instskip(SKIP_1) | instid1(VALU_DEP_2)
	v_fmaak_f32 v22, s54, v21, 0x3ecc95a3
	v_mul_f32_e32 v23, v19, v21
	v_fmaak_f32 v21, v21, v22, 0x3f2aaada
	v_ldexp_f32 v22, v19, 1
	s_delay_alu instid0(VALU_DEP_2) | instskip(SKIP_1) | instid1(VALU_DEP_2)
	v_mul_f32_e32 v21, v23, v21
	v_sub_f32_e32 v19, v19, v20
	v_dual_mul_f32 v23, 0x3f317218, v16 :: v_dual_add_f32 v20, v22, v21
	s_delay_alu instid0(VALU_DEP_2) | instskip(NEXT) | instid1(VALU_DEP_2)
	v_sub_f32_e32 v17, v17, v19
	v_sub_f32_e32 v19, v20, v22
	s_delay_alu instid0(VALU_DEP_3) | instskip(NEXT) | instid1(VALU_DEP_3)
	v_fma_f32 v22, 0x3f317218, v16, -v23
	v_ldexp_f32 v17, v17, 1
	s_delay_alu instid0(VALU_DEP_2) | instskip(NEXT) | instid1(VALU_DEP_1)
	v_dual_sub_f32 v19, v21, v19 :: v_dual_fmac_f32 v22, 0xb102e308, v16
	v_dual_add_f32 v16, v17, v19 :: v_dual_add_f32 v17, v23, v22
	s_delay_alu instid0(VALU_DEP_1) | instskip(NEXT) | instid1(VALU_DEP_1)
	v_add_f32_e32 v19, v20, v16
	v_dual_add_f32 v21, v17, v19 :: v_dual_sub_f32 v20, v19, v20
	s_delay_alu instid0(VALU_DEP_1) | instskip(NEXT) | instid1(VALU_DEP_2)
	v_sub_f32_e32 v24, v21, v17
	v_dual_sub_f32 v23, v17, v23 :: v_dual_sub_f32 v16, v16, v20
	s_delay_alu instid0(VALU_DEP_1) | instskip(SKIP_1) | instid1(VALU_DEP_2)
	v_dual_sub_f32 v25, v21, v24 :: v_dual_sub_f32 v22, v22, v23
	v_sub_f32_e32 v19, v19, v24
	v_dual_sub_f32 v17, v17, v25 :: v_dual_add_f32 v20, v22, v16
	s_delay_alu instid0(VALU_DEP_1) | instskip(NEXT) | instid1(VALU_DEP_2)
	v_add_f32_e32 v17, v19, v17
	v_sub_f32_e32 v19, v20, v22
	s_delay_alu instid0(VALU_DEP_2) | instskip(NEXT) | instid1(VALU_DEP_2)
	v_add_f32_e32 v17, v20, v17
	v_sub_f32_e32 v20, v20, v19
	s_delay_alu instid0(VALU_DEP_2) | instskip(NEXT) | instid1(VALU_DEP_1)
	v_dual_sub_f32 v16, v16, v19 :: v_dual_add_f32 v23, v21, v17
	v_dual_sub_f32 v20, v22, v20 :: v_dual_sub_f32 v19, v23, v21
	s_delay_alu instid0(VALU_DEP_1) | instskip(NEXT) | instid1(VALU_DEP_1)
	v_dual_add_f32 v16, v16, v20 :: v_dual_sub_f32 v17, v17, v19
	v_add_f32_e32 v16, v16, v17
	s_delay_alu instid0(VALU_DEP_1) | instskip(NEXT) | instid1(VALU_DEP_1)
	v_add_f32_e32 v16, v23, v16
	v_cndmask_b32_e32 v76, v16, v18, vcc_lo
.LBB91_48:                              ;   in Loop: Header=BB91_12 Depth=1
	s_or_b32 exec_lo, exec_lo, s16
	v_cvt_f32_f16_e32 v16, v3
	s_delay_alu instid0(VALU_DEP_1) | instskip(NEXT) | instid1(VALU_DEP_1)
	v_add_f32_e32 v77, s57, v16
	v_cmp_ge_f32_e32 vcc_lo, 0x41a00000, v77
	s_and_b32 s15, s67, vcc_lo
	s_delay_alu instid0(SALU_CYCLE_1)
	s_and_saveexec_b32 s16, s15
	s_cbranch_execz .LBB91_50
; %bb.49:                               ;   in Loop: Header=BB91_12 Depth=1
	v_mul_f32_e32 v16, 0x3fb8aa3b, v77
	v_cmp_ngt_f32_e32 vcc_lo, 0xc2ce8ed0, v77
	s_delay_alu instid0(VALU_DEP_2) | instskip(SKIP_1) | instid1(VALU_DEP_2)
	v_rndne_f32_e32 v17, v16
	v_fma_f32 v18, 0x3fb8aa3b, v77, -v16
	v_sub_f32_e32 v16, v16, v17
	s_delay_alu instid0(VALU_DEP_2) | instskip(SKIP_1) | instid1(VALU_DEP_2)
	v_fmac_f32_e32 v18, 0x32a5705f, v77
	v_cvt_i32_f32_e32 v17, v17
	v_add_f32_e32 v16, v16, v18
	s_delay_alu instid0(VALU_DEP_1) | instskip(SKIP_2) | instid1(VALU_DEP_1)
	v_exp_f32_e32 v16, v16
	s_waitcnt_depctr 0xfff
	v_ldexp_f32 v16, v16, v17
	v_cndmask_b32_e32 v16, 0, v16, vcc_lo
	v_cmp_nlt_f32_e32 vcc_lo, 0x42b17218, v77
	s_delay_alu instid0(VALU_DEP_2) | instskip(NEXT) | instid1(VALU_DEP_1)
	v_cndmask_b32_e32 v18, 0x7f800000, v16, vcc_lo
	v_add_f32_e32 v19, 1.0, v18
	s_delay_alu instid0(VALU_DEP_1) | instskip(NEXT) | instid1(VALU_DEP_1)
	v_cvt_f64_f32_e32 v[16:17], v19
	v_frexp_exp_i32_f64_e32 v16, v[16:17]
	v_frexp_mant_f32_e32 v17, v19
	s_delay_alu instid0(VALU_DEP_1) | instskip(SKIP_1) | instid1(VALU_DEP_1)
	v_cmp_gt_f32_e32 vcc_lo, 0x3f2aaaab, v17
	v_add_f32_e32 v17, -1.0, v19
	v_sub_f32_e32 v21, v17, v19
	v_sub_f32_e32 v17, v18, v17
	s_delay_alu instid0(VALU_DEP_2) | instskip(NEXT) | instid1(VALU_DEP_1)
	v_add_f32_e32 v21, 1.0, v21
	v_add_f32_e32 v17, v17, v21
	v_cmp_gt_f32_e64 s15, 0x33800000, v18
	v_subrev_co_ci_u32_e32 v16, vcc_lo, 0, v16, vcc_lo
	v_cmp_eq_f32_e32 vcc_lo, 0x7f800000, v18
	s_delay_alu instid0(VALU_DEP_2) | instskip(SKIP_2) | instid1(VALU_DEP_2)
	v_sub_nc_u32_e32 v20, 0, v16
	v_cvt_f32_i32_e32 v16, v16
	s_or_b32 vcc_lo, s15, vcc_lo
	v_ldexp_f32 v19, v19, v20
	v_ldexp_f32 v17, v17, v20
	s_delay_alu instid0(VALU_DEP_2) | instskip(NEXT) | instid1(VALU_DEP_1)
	v_add_f32_e32 v22, 1.0, v19
	v_dual_add_f32 v20, -1.0, v19 :: v_dual_add_f32 v21, -1.0, v22
	s_delay_alu instid0(VALU_DEP_1) | instskip(NEXT) | instid1(VALU_DEP_2)
	v_add_f32_e32 v23, 1.0, v20
	v_sub_f32_e32 v21, v19, v21
	s_delay_alu instid0(VALU_DEP_2) | instskip(NEXT) | instid1(VALU_DEP_2)
	v_sub_f32_e32 v19, v19, v23
	v_add_f32_e32 v21, v17, v21
	s_delay_alu instid0(VALU_DEP_2) | instskip(NEXT) | instid1(VALU_DEP_1)
	v_add_f32_e32 v17, v17, v19
	v_add_f32_e32 v24, v20, v17
	s_delay_alu instid0(VALU_DEP_1) | instskip(NEXT) | instid1(VALU_DEP_1)
	v_dual_add_f32 v23, v22, v21 :: v_dual_sub_f32 v20, v20, v24
	v_rcp_f32_e32 v19, v23
	v_sub_f32_e32 v22, v22, v23
	s_delay_alu instid0(VALU_DEP_1) | instskip(SKIP_2) | instid1(VALU_DEP_1)
	v_add_f32_e32 v21, v21, v22
	s_waitcnt_depctr 0xfff
	v_mul_f32_e32 v25, v24, v19
	v_mul_f32_e32 v26, v23, v25
	s_delay_alu instid0(VALU_DEP_1) | instskip(NEXT) | instid1(VALU_DEP_1)
	v_fma_f32 v22, v25, v23, -v26
	v_fmac_f32_e32 v22, v25, v21
	s_delay_alu instid0(VALU_DEP_1) | instskip(NEXT) | instid1(VALU_DEP_1)
	v_add_f32_e32 v27, v26, v22
	v_sub_f32_e32 v28, v24, v27
	s_delay_alu instid0(VALU_DEP_1) | instskip(SKIP_1) | instid1(VALU_DEP_2)
	v_sub_f32_e32 v24, v24, v28
	v_dual_add_f32 v17, v17, v20 :: v_dual_sub_f32 v20, v27, v26
	v_sub_f32_e32 v24, v24, v27
	s_delay_alu instid0(VALU_DEP_1) | instskip(NEXT) | instid1(VALU_DEP_1)
	v_dual_sub_f32 v20, v20, v22 :: v_dual_add_f32 v17, v17, v24
	v_add_f32_e32 v17, v20, v17
	s_delay_alu instid0(VALU_DEP_1) | instskip(NEXT) | instid1(VALU_DEP_1)
	v_add_f32_e32 v20, v28, v17
	v_mul_f32_e32 v22, v19, v20
	s_delay_alu instid0(VALU_DEP_1) | instskip(NEXT) | instid1(VALU_DEP_1)
	v_dual_sub_f32 v27, v28, v20 :: v_dual_mul_f32 v24, v23, v22
	v_add_f32_e32 v17, v17, v27
	s_delay_alu instid0(VALU_DEP_2) | instskip(NEXT) | instid1(VALU_DEP_1)
	v_fma_f32 v23, v22, v23, -v24
	v_fmac_f32_e32 v23, v22, v21
	s_delay_alu instid0(VALU_DEP_1) | instskip(NEXT) | instid1(VALU_DEP_1)
	v_add_f32_e32 v21, v24, v23
	v_sub_f32_e32 v26, v20, v21
	s_delay_alu instid0(VALU_DEP_1) | instskip(NEXT) | instid1(VALU_DEP_1)
	v_sub_f32_e32 v20, v20, v26
	v_sub_f32_e32 v20, v20, v21
	s_delay_alu instid0(VALU_DEP_1) | instskip(SKIP_2) | instid1(VALU_DEP_1)
	v_add_f32_e32 v17, v17, v20
	v_add_f32_e32 v20, v25, v22
	v_sub_f32_e32 v24, v21, v24
	v_sub_f32_e32 v21, v24, v23
	s_delay_alu instid0(VALU_DEP_1) | instskip(NEXT) | instid1(VALU_DEP_4)
	v_add_f32_e32 v17, v21, v17
	v_sub_f32_e32 v21, v20, v25
	s_delay_alu instid0(VALU_DEP_2) | instskip(NEXT) | instid1(VALU_DEP_2)
	v_add_f32_e32 v17, v26, v17
	v_sub_f32_e32 v21, v22, v21
	s_delay_alu instid0(VALU_DEP_2) | instskip(NEXT) | instid1(VALU_DEP_1)
	v_mul_f32_e32 v17, v19, v17
	v_add_f32_e32 v17, v21, v17
	s_delay_alu instid0(VALU_DEP_1) | instskip(NEXT) | instid1(VALU_DEP_1)
	v_add_f32_e32 v19, v20, v17
	v_mul_f32_e32 v21, v19, v19
	s_delay_alu instid0(VALU_DEP_1) | instskip(SKIP_1) | instid1(VALU_DEP_2)
	v_fmaak_f32 v22, s54, v21, 0x3ecc95a3
	v_mul_f32_e32 v23, v19, v21
	v_fmaak_f32 v21, v21, v22, 0x3f2aaada
	v_ldexp_f32 v22, v19, 1
	s_delay_alu instid0(VALU_DEP_2) | instskip(SKIP_1) | instid1(VALU_DEP_2)
	v_mul_f32_e32 v21, v23, v21
	v_sub_f32_e32 v19, v19, v20
	v_dual_mul_f32 v23, 0x3f317218, v16 :: v_dual_add_f32 v20, v22, v21
	s_delay_alu instid0(VALU_DEP_2) | instskip(NEXT) | instid1(VALU_DEP_2)
	v_sub_f32_e32 v17, v17, v19
	v_sub_f32_e32 v19, v20, v22
	s_delay_alu instid0(VALU_DEP_3) | instskip(NEXT) | instid1(VALU_DEP_3)
	v_fma_f32 v22, 0x3f317218, v16, -v23
	v_ldexp_f32 v17, v17, 1
	s_delay_alu instid0(VALU_DEP_2) | instskip(NEXT) | instid1(VALU_DEP_1)
	v_dual_sub_f32 v19, v21, v19 :: v_dual_fmac_f32 v22, 0xb102e308, v16
	v_dual_add_f32 v16, v17, v19 :: v_dual_add_f32 v17, v23, v22
	s_delay_alu instid0(VALU_DEP_1) | instskip(NEXT) | instid1(VALU_DEP_1)
	v_add_f32_e32 v19, v20, v16
	v_dual_add_f32 v21, v17, v19 :: v_dual_sub_f32 v20, v19, v20
	s_delay_alu instid0(VALU_DEP_1) | instskip(NEXT) | instid1(VALU_DEP_2)
	v_sub_f32_e32 v24, v21, v17
	v_dual_sub_f32 v23, v17, v23 :: v_dual_sub_f32 v16, v16, v20
	s_delay_alu instid0(VALU_DEP_1) | instskip(SKIP_1) | instid1(VALU_DEP_2)
	v_dual_sub_f32 v25, v21, v24 :: v_dual_sub_f32 v22, v22, v23
	v_sub_f32_e32 v19, v19, v24
	v_dual_sub_f32 v17, v17, v25 :: v_dual_add_f32 v20, v22, v16
	s_delay_alu instid0(VALU_DEP_1) | instskip(NEXT) | instid1(VALU_DEP_2)
	v_add_f32_e32 v17, v19, v17
	v_sub_f32_e32 v19, v20, v22
	s_delay_alu instid0(VALU_DEP_2) | instskip(NEXT) | instid1(VALU_DEP_2)
	v_add_f32_e32 v17, v20, v17
	v_sub_f32_e32 v20, v20, v19
	s_delay_alu instid0(VALU_DEP_2) | instskip(NEXT) | instid1(VALU_DEP_1)
	v_dual_sub_f32 v16, v16, v19 :: v_dual_add_f32 v23, v21, v17
	v_dual_sub_f32 v20, v22, v20 :: v_dual_sub_f32 v19, v23, v21
	s_delay_alu instid0(VALU_DEP_1) | instskip(NEXT) | instid1(VALU_DEP_1)
	v_dual_add_f32 v16, v16, v20 :: v_dual_sub_f32 v17, v17, v19
	v_add_f32_e32 v16, v16, v17
	s_delay_alu instid0(VALU_DEP_1) | instskip(NEXT) | instid1(VALU_DEP_1)
	v_add_f32_e32 v16, v23, v16
	v_cndmask_b32_e32 v77, v16, v18, vcc_lo
.LBB91_50:                              ;   in Loop: Header=BB91_12 Depth=1
	s_or_b32 exec_lo, exec_lo, s16
	v_lshrrev_b32_e32 v16, 16, v3
	s_delay_alu instid0(VALU_DEP_1) | instskip(NEXT) | instid1(VALU_DEP_1)
	v_cvt_f32_f16_e32 v16, v16
	v_add_f32_e32 v87, s57, v16
	s_delay_alu instid0(VALU_DEP_1) | instskip(SKIP_1) | instid1(SALU_CYCLE_1)
	v_cmp_ge_f32_e32 vcc_lo, 0x41a00000, v87
	s_and_b32 s15, s67, vcc_lo
	s_and_saveexec_b32 s16, s15
	s_cbranch_execz .LBB91_52
; %bb.51:                               ;   in Loop: Header=BB91_12 Depth=1
	v_mul_f32_e32 v16, 0x3fb8aa3b, v87
	v_cmp_ngt_f32_e32 vcc_lo, 0xc2ce8ed0, v87
	s_delay_alu instid0(VALU_DEP_2) | instskip(SKIP_1) | instid1(VALU_DEP_2)
	v_rndne_f32_e32 v17, v16
	v_fma_f32 v18, 0x3fb8aa3b, v87, -v16
	v_sub_f32_e32 v16, v16, v17
	s_delay_alu instid0(VALU_DEP_2) | instskip(SKIP_1) | instid1(VALU_DEP_2)
	v_fmac_f32_e32 v18, 0x32a5705f, v87
	v_cvt_i32_f32_e32 v17, v17
	v_add_f32_e32 v16, v16, v18
	s_delay_alu instid0(VALU_DEP_1) | instskip(SKIP_2) | instid1(VALU_DEP_1)
	v_exp_f32_e32 v16, v16
	s_waitcnt_depctr 0xfff
	v_ldexp_f32 v16, v16, v17
	v_cndmask_b32_e32 v16, 0, v16, vcc_lo
	v_cmp_nlt_f32_e32 vcc_lo, 0x42b17218, v87
	s_delay_alu instid0(VALU_DEP_2) | instskip(NEXT) | instid1(VALU_DEP_1)
	v_cndmask_b32_e32 v18, 0x7f800000, v16, vcc_lo
	v_add_f32_e32 v19, 1.0, v18
	s_delay_alu instid0(VALU_DEP_1) | instskip(NEXT) | instid1(VALU_DEP_1)
	v_cvt_f64_f32_e32 v[16:17], v19
	v_frexp_exp_i32_f64_e32 v16, v[16:17]
	v_frexp_mant_f32_e32 v17, v19
	s_delay_alu instid0(VALU_DEP_1) | instskip(SKIP_1) | instid1(VALU_DEP_1)
	v_cmp_gt_f32_e32 vcc_lo, 0x3f2aaaab, v17
	v_add_f32_e32 v17, -1.0, v19
	v_sub_f32_e32 v21, v17, v19
	v_sub_f32_e32 v17, v18, v17
	s_delay_alu instid0(VALU_DEP_2) | instskip(NEXT) | instid1(VALU_DEP_1)
	v_add_f32_e32 v21, 1.0, v21
	v_add_f32_e32 v17, v17, v21
	v_cmp_gt_f32_e64 s15, 0x33800000, v18
	v_subrev_co_ci_u32_e32 v16, vcc_lo, 0, v16, vcc_lo
	v_cmp_eq_f32_e32 vcc_lo, 0x7f800000, v18
	s_delay_alu instid0(VALU_DEP_2) | instskip(SKIP_2) | instid1(VALU_DEP_2)
	v_sub_nc_u32_e32 v20, 0, v16
	v_cvt_f32_i32_e32 v16, v16
	s_or_b32 vcc_lo, s15, vcc_lo
	v_ldexp_f32 v19, v19, v20
	v_ldexp_f32 v17, v17, v20
	s_delay_alu instid0(VALU_DEP_2) | instskip(NEXT) | instid1(VALU_DEP_1)
	v_add_f32_e32 v22, 1.0, v19
	v_dual_add_f32 v20, -1.0, v19 :: v_dual_add_f32 v21, -1.0, v22
	s_delay_alu instid0(VALU_DEP_1) | instskip(NEXT) | instid1(VALU_DEP_2)
	v_add_f32_e32 v23, 1.0, v20
	v_sub_f32_e32 v21, v19, v21
	s_delay_alu instid0(VALU_DEP_2) | instskip(NEXT) | instid1(VALU_DEP_2)
	v_sub_f32_e32 v19, v19, v23
	v_add_f32_e32 v21, v17, v21
	s_delay_alu instid0(VALU_DEP_2) | instskip(NEXT) | instid1(VALU_DEP_1)
	v_add_f32_e32 v17, v17, v19
	v_add_f32_e32 v24, v20, v17
	s_delay_alu instid0(VALU_DEP_1) | instskip(NEXT) | instid1(VALU_DEP_1)
	v_dual_add_f32 v23, v22, v21 :: v_dual_sub_f32 v20, v20, v24
	v_rcp_f32_e32 v19, v23
	v_sub_f32_e32 v22, v22, v23
	s_delay_alu instid0(VALU_DEP_1) | instskip(SKIP_2) | instid1(VALU_DEP_1)
	v_add_f32_e32 v21, v21, v22
	s_waitcnt_depctr 0xfff
	v_mul_f32_e32 v25, v24, v19
	v_mul_f32_e32 v26, v23, v25
	s_delay_alu instid0(VALU_DEP_1) | instskip(NEXT) | instid1(VALU_DEP_1)
	v_fma_f32 v22, v25, v23, -v26
	v_fmac_f32_e32 v22, v25, v21
	s_delay_alu instid0(VALU_DEP_1) | instskip(NEXT) | instid1(VALU_DEP_1)
	v_add_f32_e32 v27, v26, v22
	v_sub_f32_e32 v28, v24, v27
	s_delay_alu instid0(VALU_DEP_1) | instskip(SKIP_1) | instid1(VALU_DEP_2)
	v_sub_f32_e32 v24, v24, v28
	v_dual_add_f32 v17, v17, v20 :: v_dual_sub_f32 v20, v27, v26
	v_sub_f32_e32 v24, v24, v27
	s_delay_alu instid0(VALU_DEP_1) | instskip(NEXT) | instid1(VALU_DEP_1)
	v_dual_sub_f32 v20, v20, v22 :: v_dual_add_f32 v17, v17, v24
	v_add_f32_e32 v17, v20, v17
	s_delay_alu instid0(VALU_DEP_1) | instskip(NEXT) | instid1(VALU_DEP_1)
	v_add_f32_e32 v20, v28, v17
	v_mul_f32_e32 v22, v19, v20
	s_delay_alu instid0(VALU_DEP_1) | instskip(NEXT) | instid1(VALU_DEP_1)
	v_dual_sub_f32 v27, v28, v20 :: v_dual_mul_f32 v24, v23, v22
	v_add_f32_e32 v17, v17, v27
	s_delay_alu instid0(VALU_DEP_2) | instskip(NEXT) | instid1(VALU_DEP_1)
	v_fma_f32 v23, v22, v23, -v24
	v_fmac_f32_e32 v23, v22, v21
	s_delay_alu instid0(VALU_DEP_1) | instskip(NEXT) | instid1(VALU_DEP_1)
	v_add_f32_e32 v21, v24, v23
	v_sub_f32_e32 v26, v20, v21
	s_delay_alu instid0(VALU_DEP_1) | instskip(NEXT) | instid1(VALU_DEP_1)
	v_sub_f32_e32 v20, v20, v26
	v_sub_f32_e32 v20, v20, v21
	s_delay_alu instid0(VALU_DEP_1) | instskip(SKIP_2) | instid1(VALU_DEP_1)
	v_add_f32_e32 v17, v17, v20
	v_add_f32_e32 v20, v25, v22
	v_sub_f32_e32 v24, v21, v24
	v_sub_f32_e32 v21, v24, v23
	s_delay_alu instid0(VALU_DEP_1) | instskip(NEXT) | instid1(VALU_DEP_4)
	v_add_f32_e32 v17, v21, v17
	v_sub_f32_e32 v21, v20, v25
	s_delay_alu instid0(VALU_DEP_2) | instskip(NEXT) | instid1(VALU_DEP_2)
	v_add_f32_e32 v17, v26, v17
	v_sub_f32_e32 v21, v22, v21
	s_delay_alu instid0(VALU_DEP_2) | instskip(NEXT) | instid1(VALU_DEP_1)
	v_mul_f32_e32 v17, v19, v17
	v_add_f32_e32 v17, v21, v17
	s_delay_alu instid0(VALU_DEP_1) | instskip(NEXT) | instid1(VALU_DEP_1)
	v_add_f32_e32 v19, v20, v17
	v_mul_f32_e32 v21, v19, v19
	s_delay_alu instid0(VALU_DEP_1) | instskip(SKIP_1) | instid1(VALU_DEP_2)
	v_fmaak_f32 v22, s54, v21, 0x3ecc95a3
	v_mul_f32_e32 v23, v19, v21
	v_fmaak_f32 v21, v21, v22, 0x3f2aaada
	v_ldexp_f32 v22, v19, 1
	s_delay_alu instid0(VALU_DEP_2) | instskip(SKIP_1) | instid1(VALU_DEP_2)
	v_mul_f32_e32 v21, v23, v21
	v_sub_f32_e32 v19, v19, v20
	v_dual_mul_f32 v23, 0x3f317218, v16 :: v_dual_add_f32 v20, v22, v21
	s_delay_alu instid0(VALU_DEP_2) | instskip(NEXT) | instid1(VALU_DEP_2)
	v_sub_f32_e32 v17, v17, v19
	v_sub_f32_e32 v19, v20, v22
	s_delay_alu instid0(VALU_DEP_3) | instskip(NEXT) | instid1(VALU_DEP_3)
	v_fma_f32 v22, 0x3f317218, v16, -v23
	v_ldexp_f32 v17, v17, 1
	s_delay_alu instid0(VALU_DEP_2) | instskip(NEXT) | instid1(VALU_DEP_1)
	v_dual_sub_f32 v19, v21, v19 :: v_dual_fmac_f32 v22, 0xb102e308, v16
	v_dual_add_f32 v16, v17, v19 :: v_dual_add_f32 v17, v23, v22
	s_delay_alu instid0(VALU_DEP_1) | instskip(NEXT) | instid1(VALU_DEP_1)
	v_add_f32_e32 v19, v20, v16
	v_dual_add_f32 v21, v17, v19 :: v_dual_sub_f32 v20, v19, v20
	s_delay_alu instid0(VALU_DEP_1) | instskip(NEXT) | instid1(VALU_DEP_2)
	v_sub_f32_e32 v24, v21, v17
	v_dual_sub_f32 v23, v17, v23 :: v_dual_sub_f32 v16, v16, v20
	s_delay_alu instid0(VALU_DEP_1) | instskip(SKIP_1) | instid1(VALU_DEP_2)
	v_dual_sub_f32 v25, v21, v24 :: v_dual_sub_f32 v22, v22, v23
	v_sub_f32_e32 v19, v19, v24
	v_dual_sub_f32 v17, v17, v25 :: v_dual_add_f32 v20, v22, v16
	s_delay_alu instid0(VALU_DEP_1) | instskip(NEXT) | instid1(VALU_DEP_2)
	v_add_f32_e32 v17, v19, v17
	v_sub_f32_e32 v19, v20, v22
	s_delay_alu instid0(VALU_DEP_2) | instskip(NEXT) | instid1(VALU_DEP_2)
	v_add_f32_e32 v17, v20, v17
	v_sub_f32_e32 v20, v20, v19
	s_delay_alu instid0(VALU_DEP_2) | instskip(NEXT) | instid1(VALU_DEP_1)
	v_dual_sub_f32 v16, v16, v19 :: v_dual_add_f32 v23, v21, v17
	v_dual_sub_f32 v20, v22, v20 :: v_dual_sub_f32 v19, v23, v21
	s_delay_alu instid0(VALU_DEP_1) | instskip(NEXT) | instid1(VALU_DEP_1)
	v_dual_add_f32 v16, v16, v20 :: v_dual_sub_f32 v17, v17, v19
	v_add_f32_e32 v16, v16, v17
	s_delay_alu instid0(VALU_DEP_1) | instskip(NEXT) | instid1(VALU_DEP_1)
	v_add_f32_e32 v16, v23, v16
	v_cndmask_b32_e32 v87, v16, v18, vcc_lo
.LBB91_52:                              ;   in Loop: Header=BB91_12 Depth=1
	s_or_b32 exec_lo, exec_lo, s16
	v_lshrrev_b32_e32 v18, 16, v10
	v_lshrrev_b32_e32 v20, 16, v11
	;; [unrolled: 1-line block ×8, first 2 shown]
	v_cvt_f32_f16_e32 v16, v11
	v_cvt_f32_f16_e32 v17, v10
	;; [unrolled: 1-line block ×16, first 2 shown]
	v_dual_mul_f32 v78, s58, v16 :: v_dual_mul_f32 v79, s58, v18
	v_dual_mul_f32 v80, s58, v17 :: v_dual_mul_f32 v81, s58, v19
	;; [unrolled: 1-line block ×6, first 2 shown]
	v_mul_f32_e32 v90, s58, v27
	v_dual_mul_f32 v92, s58, v28 :: v_dual_mul_f32 v89, s58, v23
	v_mul_f32_e32 v94, s58, v30
	s_lshl_b32 s38, s72, 11
	s_and_b32 vcc_lo, exec_lo, s68
	s_barrier
	buffer_gl0_inv
	s_cbranch_vccz .LBB91_11
; %bb.53:                               ;   in Loop: Header=BB91_12 Depth=1
	v_dual_mul_f32 v95, v87, v23 :: v_dual_mul_f32 v100, v77, v16
	v_add_co_u32 v23, s15, s41, v61
	s_delay_alu instid0(VALU_DEP_1) | instskip(SKIP_1) | instid1(VALU_DEP_1)
	v_add_co_ci_u32_e64 v32, null, s62, 0, s15
	v_add_co_u32 v33, s15, s45, v61
	v_add_co_ci_u32_e64 v99, null, s63, 0, s15
	s_delay_alu instid0(VALU_DEP_4) | instskip(NEXT) | instid1(VALU_DEP_4)
	v_add_co_u32 v96, vcc_lo, v23, v62
	v_add_co_ci_u32_e32 v97, vcc_lo, 0, v32, vcc_lo
	s_delay_alu instid0(VALU_DEP_4)
	v_add_co_u32 v98, vcc_lo, v33, v62
	s_sub_i32 s26, s34, s38
	v_add_co_ci_u32_e32 v99, vcc_lo, 0, v99, vcc_lo
	v_cmp_gt_u32_e32 vcc_lo, s26, v40
	s_cmp_lg_u32 s72, 0
	v_cmp_gt_u32_e64 s17, s26, v47
	s_cselect_b32 s39, -1, 0
	s_cmp_eq_u32 s72, s70
	v_cmp_gt_u32_e64 s18, s26, v48
	s_cselect_b32 s73, -1, 0
	s_or_b32 s15, s69, vcc_lo
	v_cmp_gt_u32_e32 vcc_lo, s26, v46
	v_cmp_gt_u32_e64 s19, s26, v49
	v_cmp_gt_u32_e64 s20, s26, v50
	;; [unrolled: 1-line block ×4, first 2 shown]
	s_or_b32 s16, s69, vcc_lo
	v_cmp_gt_u32_e32 vcc_lo, s26, v51
	v_cmp_gt_u32_e64 s24, s26, v54
	v_cmp_gt_u32_e64 s25, s26, v55
	;; [unrolled: 1-line block ×4, first 2 shown]
	s_or_b32 s21, s69, vcc_lo
	v_cmp_gt_u32_e32 vcc_lo, s26, v56
	v_cmp_gt_u32_e64 s29, s26, v59
	v_cmp_gt_u32_e64 s30, s26, v60
	v_dual_mul_f32 v101, v76, v18 :: v_dual_mul_f32 v102, v75, v17
	v_dual_mul_f32 v103, v74, v19 :: v_dual_mul_f32 v104, v73, v20
	;; [unrolled: 1-line block ×7, first 2 shown]
	s_mov_b32 s52, 0
	s_or_b32 s17, s69, s17
	s_or_b32 s18, s69, s18
	;; [unrolled: 1-line block ×8, first 2 shown]
	s_or_b32 s26, s69, vcc_lo
	s_or_b32 s27, s69, s27
	s_or_b32 s28, s69, s28
	;; [unrolled: 1-line block ×4, first 2 shown]
	s_mov_b32 s42, s52
	s_mov_b32 s46, s52
	;; [unrolled: 1-line block ×5, first 2 shown]
	s_branch .LBB91_55
.LBB91_54:                              ;   in Loop: Header=BB91_55 Depth=2
	s_or_b32 exec_lo, exec_lo, s31
	v_cndmask_b32_e64 v25, v144, v27, s14
	v_cndmask_b32_e64 v26, v143, v26, s14
	s_add_i32 s74, s74, -1
	s_add_i32 s75, s75, 8
	s_add_i32 s48, s48, s50
	v_fma_f32 v25, v25, v115, v31
	v_mul_f32_e32 v26, v26, v115
	s_add_i32 s46, s46, s44
	s_add_i32 s42, s42, s40
	;; [unrolled: 1-line block ×3, first 2 shown]
	v_cndmask_b32_e64 v25, v25, v31, s13
	v_cndmask_b32_e64 v26, v26, v115, s13
	s_cmp_eq_u32 s74, 0
	s_waitcnt lgkmcnt(0)
	s_delay_alu instid0(VALU_DEP_1) | instskip(NEXT) | instid1(VALU_DEP_1)
	v_fmac_f32_e32 v25, v24, v26
	v_fmac_f32_e32 v28, v25, v117
	s_delay_alu instid0(VALU_DEP_1) | instskip(NEXT) | instid1(VALU_DEP_1)
	v_fmac_f32_e32 v29, v28, v119
	v_fmac_f32_e32 v30, v29, v121
	v_fma_mix_f32 v93, v25, v20, v93 op_sel_hi:[0,1,0]
	s_delay_alu instid0(VALU_DEP_2) | instskip(SKIP_1) | instid1(VALU_DEP_2)
	v_fmac_f32_e32 v116, v30, v123
	v_fma_mix_f32 v92, v30, v21, v92 op_sel:[0,1,0] op_sel_hi:[0,1,0]
	v_fmac_f32_e32 v118, v116, v124
	v_fma_mix_f32 v90, v116, v22, v90 op_sel_hi:[0,1,0]
	s_delay_alu instid0(VALU_DEP_2) | instskip(SKIP_1) | instid1(VALU_DEP_2)
	v_fmac_f32_e32 v120, v118, v126
	v_fma_mix_f32 v91, v29, v21, v91 op_sel_hi:[0,1,0]
	v_fmac_f32_e32 v122, v120, v129
	v_fma_mix_f32 v86, v120, v23, v86 op_sel_hi:[0,1,0]
	s_delay_alu instid0(VALU_DEP_2) | instskip(SKIP_1) | instid1(VALU_DEP_2)
	v_fmac_f32_e32 v125, v122, v130
	v_fma_mix_f32 v94, v28, v20, v94 op_sel:[0,1,0] op_sel_hi:[0,1,0]
	v_fmac_f32_e32 v127, v125, v131
	v_fma_mix_f32 v88, v118, v22, v88 op_sel:[0,1,0] op_sel_hi:[0,1,0]
	v_fma_mix_f32 v84, v125, v16, v84 op_sel_hi:[0,1,0]
	s_delay_alu instid0(VALU_DEP_3) | instskip(SKIP_1) | instid1(VALU_DEP_2)
	v_fmac_f32_e32 v128, v127, v132
	v_fma_mix_f32 v83, v127, v16, v83 op_sel:[0,1,0] op_sel_hi:[0,1,0]
	v_fmac_f32_e32 v133, v128, v139
	v_fma_mix_f32 v82, v128, v17, v82 op_sel_hi:[0,1,0]
	s_delay_alu instid0(VALU_DEP_2) | instskip(NEXT) | instid1(VALU_DEP_1)
	v_fmac_f32_e32 v134, v133, v136
	v_fmac_f32_e32 v135, v134, v138
	v_fma_mix_f32 v85, v122, v23, v85 op_sel:[0,1,0] op_sel_hi:[0,1,0]
	v_fma_mix_f32 v80, v134, v18, v80 op_sel_hi:[0,1,0]
	s_delay_alu instid0(VALU_DEP_3) | instskip(SKIP_1) | instid1(VALU_DEP_2)
	v_fmac_f32_e32 v137, v135, v141
	v_fma_mix_f32 v79, v135, v18, v79 op_sel:[0,1,0] op_sel_hi:[0,1,0]
	v_fmac_f32_e32 v140, v137, v142
	v_fma_mix_f32 v81, v133, v17, v81 op_sel:[0,1,0] op_sel_hi:[0,1,0]
	v_fma_mix_f32 v78, v137, v19, v78 op_sel_hi:[0,1,0]
	s_delay_alu instid0(VALU_DEP_3)
	v_fma_mix_f32 v89, v140, v19, v89 op_sel:[0,1,0] op_sel_hi:[0,1,0]
	s_cbranch_scc1 .LBB91_11
.LBB91_55:                              ;   Parent Loop BB91_12 Depth=1
                                        ; =>  This Inner Loop Header: Depth=2
	s_lshl_b64 s[76:77], s[52:53], 2
	s_mov_b32 s43, s53
	s_add_u32 s76, s61, s76
	s_addc_u32 s77, s51, s77
	s_lshl_b64 s[78:79], s[42:43], 1
	s_mov_b32 s47, s53
	v_add_co_u32 v20, vcc_lo, v96, s78
	v_add_co_ci_u32_e32 v21, vcc_lo, s79, v97, vcc_lo
	s_lshl_b64 s[78:79], s[46:47], 1
	s_clause 0x1
	global_load_b128 v[16:19], v[20:21], off
	global_load_b128 v[20:23], v[20:21], off offset:512
	v_add_co_u32 v24, vcc_lo, v98, s78
	v_add_co_ci_u32_e32 v25, vcc_lo, s79, v99, vcc_lo
	global_load_b32 v115, v34, s[76:77]
	s_and_not1_b32 vcc_lo, exec_lo, s39
	s_waitcnt vmcnt(2)
	ds_store_b128 v35, v[16:19]
	s_waitcnt vmcnt(1)
	ds_store_b128 v36, v[20:23] offset:512
	; wave barrier
	s_clause 0x1
	global_load_b128 v[16:19], v[24:25], off
	global_load_b128 v[20:23], v[24:25], off offset:512
	ds_load_b128 v[28:31], v37
	ds_load_b128 v[24:27], v37 offset:16
	s_waitcnt vmcnt(1)
	ds_store_b128 v35, v[16:19] offset:4224
	s_waitcnt vmcnt(0)
	ds_store_b128 v38, v[20:23] offset:512
	; wave barrier
	ds_load_b128 v[20:23], v37 offset:4224
	ds_load_b128 v[16:19], v39 offset:16
	s_cbranch_vccnz .LBB91_57
; %bb.56:                               ;   in Loop: Header=BB91_55 Depth=2
	v_mov_b32_e32 v32, s75
	ds_load_b64 v[32:33], v32
	s_cbranch_execz .LBB91_58
	s_branch .LBB91_61
.LBB91_57:                              ;   in Loop: Header=BB91_55 Depth=2
                                        ; implicit-def: $vgpr32
.LBB91_58:                              ;   in Loop: Header=BB91_55 Depth=2
	s_waitcnt lgkmcnt(0)
	v_mov_b32_e32 v33, 0
	s_and_not1_b32 vcc_lo, exec_lo, s56
	s_cbranch_vccnz .LBB91_60
; %bb.59:                               ;   in Loop: Header=BB91_55 Depth=2
	s_mov_b32 s49, s53
	s_delay_alu instid0(SALU_CYCLE_1) | instskip(NEXT) | instid1(SALU_CYCLE_1)
	s_lshl_b64 s[76:77], s[48:49], 1
	s_add_u32 s76, s64, s76
	s_addc_u32 s77, s65, s77
	global_load_u16 v32, v34, s[76:77]
	s_waitcnt vmcnt(0)
	v_cvt_f32_f16_e32 v33, v32
.LBB91_60:                              ;   in Loop: Header=BB91_55 Depth=2
	v_mov_b32_e32 v32, 1.0
.LBB91_61:                              ;   in Loop: Header=BB91_55 Depth=2
	s_waitcnt lgkmcnt(5)
	v_lshrrev_b32_e32 v116, 16, v28
	v_cvt_f32_f16_e32 v28, v28
	v_mul_f32_e32 v137, 0x3fb8aa3b, v115
	v_lshrrev_b32_e32 v115, 16, v29
	v_lshrrev_b32_e32 v117, 16, v30
	v_cvt_f32_f16_e32 v120, v30
	v_mul_f32_e32 v28, v114, v28
	s_waitcnt lgkmcnt(4)
	v_lshrrev_b32_e32 v30, 16, v24
	v_cvt_f32_f16_e32 v118, v115
	v_lshrrev_b32_e32 v115, 16, v31
	v_cvt_f32_f16_e32 v125, v31
	v_cvt_f32_f16_e32 v122, v117
	;; [unrolled: 1-line block ×3, first 2 shown]
	v_lshrrev_b32_e32 v30, 16, v25
	v_cvt_f32_f16_e32 v126, v115
	v_mul_f32_e32 v115, v137, v64
	v_mul_f32_e32 v117, v137, v65
	v_cvt_f32_f16_e32 v116, v116
	v_cvt_f32_f16_e64 v133, v30
	v_lshrrev_b32_e32 v30, 16, v26
	v_cmp_gt_f32_e64 s31, 0xc2fc0000, v115
	v_cvt_f32_f16_e32 v29, v29
	v_mul_f32_e32 v124, v137, v68
	v_cvt_f32_f16_e32 v25, v25
	v_cvt_f32_f16_e64 v135, v30
	v_cndmask_b32_e64 v115, 0, 0x42800000, s31
	v_lshrrev_b32_e32 v30, 16, v27
	s_delay_alu instid0(VALU_DEP_4) | instskip(SKIP_1) | instid1(VALU_DEP_4)
	v_dual_mul_f32 v128, v137, v70 :: v_dual_mul_f32 v25, v104, v25
	v_cvt_f32_f16_e32 v24, v24
	v_fmac_f32_e32 v115, v137, v64
	s_delay_alu instid0(VALU_DEP_4) | instskip(NEXT) | instid1(VALU_DEP_4)
	v_cvt_f32_f16_e64 v140, v30
	v_cmp_gt_f32_e64 s33, 0xc2fc0000, v128
	v_cvt_f32_f16_e32 v27, v27
	v_mul_f32_e32 v122, v109, v122
	v_exp_f32_e32 v119, v115
	v_mul_f32_e32 v31, v137, v63
	v_mul_f32_e32 v115, v137, v66
	v_cndmask_b32_e64 v128, 0, 0x42800000, s33
	v_mul_f32_e32 v131, v137, v73
	v_mul_f32_e32 v138, v137, v75
	v_cmp_gt_f32_e32 vcc_lo, 0xc2fc0000, v31
	v_mul_f32_e32 v139, v137, v76
	v_fmac_f32_e32 v128, v137, v70
	v_cvt_f32_f16_e32 v26, v26
	v_mul_f32_e32 v127, v105, v127
	v_cndmask_b32_e64 v31, 0, 0x42800000, vcc_lo
	v_cndmask_b32_e64 v30, 1.0, 0x1f800000, vcc_lo
	v_cmp_gt_f32_e32 vcc_lo, 0xc2fc0000, v117
	v_mul_f32_e32 v26, v102, v26
	v_exp_f32_e32 v128, v128
	v_fmac_f32_e32 v31, v137, v63
	v_cndmask_b32_e64 v127, 0, v127, s24
	v_cndmask_b32_e64 v117, 0, 0x42800000, vcc_lo
	v_dual_mul_f32 v29, v112, v29 :: v_dual_mul_f32 v24, v106, v24
	s_delay_alu instid0(VALU_DEP_4) | instskip(SKIP_1) | instid1(VALU_DEP_3)
	v_exp_f32_e32 v31, v31
	v_mul_f32_e32 v27, v100, v27
	v_fmac_f32_e32 v117, v137, v65
	s_delay_alu instid0(VALU_DEP_3)
	v_cndmask_b32_e64 v29, 0, v29, s17
	s_waitcnt_depctr 0xfff
	v_mul_f32_e32 v30, v31, v30
	v_cndmask_b32_e64 v31, 0, v28, s15
	v_cndmask_b32_e64 v28, 1.0, 0x1f800000, s31
	v_cmp_gt_f32_e64 s31, 0xc2fc0000, v115
	s_delay_alu instid0(VALU_DEP_4) | instskip(SKIP_1) | instid1(VALU_DEP_4)
	v_cndmask_b32_e64 v115, 1.0, v30, s15
	v_mul_f32_e32 v30, v113, v116
	v_mul_f32_e32 v116, v119, v28
	v_exp_f32_e32 v119, v117
	v_mul_f32_e32 v117, v137, v67
	v_cndmask_b32_e64 v121, 0, 0x42800000, s31
	v_cndmask_b32_e64 v28, 0, v30, s16
	v_cndmask_b32_e64 v30, 1.0, 0x1f800000, vcc_lo
	s_delay_alu instid0(VALU_DEP_4) | instskip(SKIP_3) | instid1(TRANS32_DEP_1)
	v_cmp_gt_f32_e32 vcc_lo, 0xc2fc0000, v117
	v_cndmask_b32_e64 v117, 1.0, v116, s16
	v_cndmask_b32_e64 v116, 1.0, 0x1f800000, s31
	v_cmp_gt_f32_e64 s31, 0xc2fc0000, v124
	v_mul_f32_e32 v30, v119, v30
	v_cndmask_b32_e64 v123, 0, 0x42800000, vcc_lo
	s_delay_alu instid0(VALU_DEP_3) | instskip(SKIP_1) | instid1(VALU_DEP_3)
	v_cndmask_b32_e64 v129, 1.0, 0x1f800000, s31
	v_fmac_f32_e32 v121, v137, v66
	v_fmac_f32_e32 v123, v137, v67
	v_cndmask_b32_e64 v119, 1.0, v30, s17
	v_mul_f32_e32 v30, v111, v118
	v_mul_f32_e32 v124, v137, v69
	v_exp_f32_e32 v121, v121
	v_exp_f32_e32 v118, v123
	v_cndmask_b32_e64 v123, 0, 0x42800000, s31
	v_cndmask_b32_e64 v30, 0, v30, s18
	s_delay_alu instid0(VALU_DEP_2) | instskip(SKIP_2) | instid1(VALU_DEP_1)
	v_fmac_f32_e32 v123, v137, v68
	s_waitcnt_depctr 0xfff
	v_mul_f32_e32 v116, v121, v116
	v_cndmask_b32_e64 v121, 1.0, v116, s18
	v_cndmask_b32_e64 v116, 1.0, 0x1f800000, vcc_lo
	v_cmp_gt_f32_e32 vcc_lo, 0xc2fc0000, v124
	s_delay_alu instid0(VALU_DEP_2) | instskip(SKIP_3) | instid1(VALU_DEP_3)
	v_mul_f32_e32 v118, v118, v116
	v_cndmask_b32_e64 v124, 0, 0x42800000, vcc_lo
	v_mul_f32_e32 v116, v110, v120
	v_exp_f32_e32 v120, v123
	v_cndmask_b32_e64 v123, 1.0, v118, s19
	s_delay_alu instid0(VALU_DEP_3) | instskip(SKIP_3) | instid1(VALU_DEP_4)
	v_fmac_f32_e32 v124, v137, v69
	v_cndmask_b32_e64 v118, 0, v122, s20
	v_cndmask_b32_e64 v122, 1.0, 0x1f800000, vcc_lo
	v_cndmask_b32_e64 v116, 0, v116, s19
	v_exp_f32_e32 v130, v124
	s_delay_alu instid0(TRANS32_DEP_2) | instskip(NEXT) | instid1(VALU_DEP_1)
	v_dual_mul_f32 v120, v120, v129 :: v_dual_mul_f32 v129, v137, v71
	v_cndmask_b32_e64 v124, 1.0, v120, s20
	v_mul_f32_e32 v120, v108, v125
	v_cndmask_b32_e64 v125, 1.0, 0x1f800000, s33
	s_delay_alu instid0(VALU_DEP_4)
	v_cmp_gt_f32_e32 vcc_lo, 0xc2fc0000, v129
	s_waitcnt_depctr 0xfff
	v_mul_f32_e32 v122, v130, v122
	v_mul_f32_e32 v129, v107, v126
	v_cmp_gt_f32_e64 s33, 0xc2fc0000, v131
	v_mul_f32_e32 v125, v128, v125
	v_cndmask_b32_e64 v130, 0, 0x42800000, vcc_lo
	v_mul_f32_e32 v128, v137, v72
	v_mul_f32_e32 v131, v137, v74
	v_cndmask_b32_e64 v126, 1.0, v122, s21
	v_cndmask_b32_e64 v122, 0, v129, s22
	v_fmac_f32_e32 v130, v137, v71
	v_cmp_gt_f32_e64 s31, 0xc2fc0000, v128
	v_cndmask_b32_e64 v129, 1.0, v125, s22
	v_cndmask_b32_e64 v132, 1.0, 0x1f800000, vcc_lo
	v_cmp_gt_f32_e32 vcc_lo, 0xc2fc0000, v131
	v_exp_f32_e32 v125, v130
	v_cndmask_b32_e64 v128, 0, 0x42800000, s31
	v_cndmask_b32_e64 v130, 0, 0x42800000, s33
	v_cndmask_b32_e64 v134, 1.0, 0x1f800000, s31
	v_cndmask_b32_e64 v131, 0, 0x42800000, vcc_lo
	v_cmp_gt_f32_e64 s31, 0xc2fc0000, v139
	v_fmac_f32_e32 v128, v137, v72
	v_fmac_f32_e32 v130, v137, v73
	v_cndmask_b32_e64 v120, 0, v120, s21
	v_fmac_f32_e32 v131, v137, v74
	v_mul_f32_e32 v132, v125, v132
	v_exp_f32_e32 v128, v128
	v_cndmask_b32_e64 v125, 0, v24, s23
	v_exp_f32_e32 v24, v130
	v_exp_f32_e32 v136, v131
	v_cndmask_b32_e64 v130, 1.0, v132, s23
	v_cndmask_b32_e64 v132, 1.0, 0x1f800000, s33
	s_delay_alu instid0(TRANS32_DEP_3)
	v_mul_f32_e32 v128, v128, v134
	v_cndmask_b32_e64 v134, 1.0, 0x1f800000, vcc_lo
	s_waitcnt_depctr 0xfff
	v_mul_f32_e32 v24, v24, v132
	v_cmp_gt_f32_e32 vcc_lo, 0xc2fc0000, v138
	v_fma_f32 v138, v117, v31, v28
	v_cndmask_b32_e64 v131, 1.0, v128, s24
	v_cndmask_b32_e64 v128, 0, v25, s25
	v_cndmask_b32_e64 v132, 1.0, v24, s25
	v_dual_mul_f32 v24, v136, v134 :: v_dual_mul_f32 v25, v103, v133
	v_cndmask_b32_e64 v134, 0, 0x42800000, vcc_lo
	v_mul_f32_e32 v136, v117, v115
	s_delay_alu instid0(VALU_DEP_3) | instskip(NEXT) | instid1(VALU_DEP_4)
	v_cndmask_b32_e64 v139, 1.0, v24, s26
	v_cndmask_b32_e64 v133, 0, v25, s26
	s_delay_alu instid0(VALU_DEP_4) | instskip(NEXT) | instid1(VALU_DEP_4)
	v_fmac_f32_e32 v134, v137, v75
	v_mul_f32_e32 v25, v136, v119
	v_fma_f32 v136, v138, v119, v29
	v_cndmask_b32_e64 v24, 1.0, 0x1f800000, vcc_lo
	v_cndmask_b32_e64 v138, 0, 0x42800000, s31
	v_exp_f32_e32 v134, v134
	v_mul_f32_e32 v25, v25, v121
	v_fma_f32 v136, v136, v121, v30
	s_delay_alu instid0(VALU_DEP_3) | instskip(NEXT) | instid1(VALU_DEP_3)
	v_fmac_f32_e32 v138, v137, v76
	v_mul_f32_e32 v25, v25, v123
	s_delay_alu instid0(VALU_DEP_3) | instskip(NEXT) | instid1(VALU_DEP_3)
	v_fma_f32 v136, v136, v123, v116
	v_exp_f32_e32 v138, v138
	s_delay_alu instid0(TRANS32_DEP_2) | instskip(NEXT) | instid1(VALU_DEP_3)
	v_mul_f32_e32 v24, v134, v24
	v_mul_f32_e32 v25, v25, v124
	s_delay_alu instid0(VALU_DEP_3)
	v_fma_f32 v141, v136, v124, v118
	v_cndmask_b32_e64 v134, 0, v26, s27
	v_cndmask_b32_e64 v26, 1.0, 0x1f800000, s31
	v_cndmask_b32_e64 v136, 1.0, v24, s27
	v_mul_f32_e32 v24, v25, v126
	v_fma_f32 v25, v141, v126, v120
	s_delay_alu instid0(TRANS32_DEP_1) | instid1(VALU_DEP_4)
	v_mul_f32_e32 v26, v138, v26
	s_delay_alu instid0(VALU_DEP_3) | instskip(NEXT) | instid1(VALU_DEP_3)
	v_mul_f32_e32 v24, v24, v129
	v_fma_f32 v25, v25, v129, v122
	s_delay_alu instid0(VALU_DEP_2) | instskip(NEXT) | instid1(VALU_DEP_2)
	v_mul_f32_e32 v24, v24, v130
	v_fma_f32 v25, v25, v130, v125
	s_delay_alu instid0(VALU_DEP_2) | instskip(NEXT) | instid1(VALU_DEP_2)
	;; [unrolled: 3-line block ×3, first 2 shown]
	v_dual_mul_f32 v24, v24, v132 :: v_dual_mul_f32 v141, v137, v77
	v_fma_f32 v25, v25, v132, v128
	s_delay_alu instid0(VALU_DEP_2) | instskip(NEXT) | instid1(VALU_DEP_3)
	v_mul_f32_e32 v24, v24, v139
	v_cmp_gt_f32_e32 vcc_lo, 0xc2fc0000, v141
	v_mul_f32_e32 v141, v137, v87
	s_delay_alu instid0(VALU_DEP_4) | instskip(NEXT) | instid1(VALU_DEP_4)
	v_fma_f32 v25, v25, v139, v133
	v_mul_f32_e32 v24, v24, v136
	v_cndmask_b32_e64 v138, 0, 0x42800000, vcc_lo
	s_delay_alu instid0(VALU_DEP_4) | instskip(NEXT) | instid1(VALU_DEP_4)
	v_cmp_gt_f32_e64 s31, 0xc2fc0000, v141
	v_fma_f32 v25, v25, v136, v134
	s_delay_alu instid0(VALU_DEP_3) | instskip(NEXT) | instid1(VALU_DEP_3)
	v_fmac_f32_e32 v138, v137, v77
	v_cndmask_b32_e64 v141, 0, 0x42800000, s31
	s_delay_alu instid0(VALU_DEP_2) | instskip(NEXT) | instid1(VALU_DEP_1)
	v_exp_f32_e32 v142, v138
	v_fmac_f32_e32 v141, v137, v87
	v_cndmask_b32_e64 v138, 1.0, v26, s28
	v_cndmask_b32_e64 v26, 1.0, 0x1f800000, vcc_lo
	v_mul_f32_e32 v135, v101, v135
	v_cndmask_b32_e64 v137, 0, v27, s29
	v_exp_f32_e32 v143, v141
	v_cndmask_b32_e64 v27, 1.0, 0x1f800000, s31
	v_mul_f32_e32 v24, v24, v138
	s_delay_alu instid0(TRANS32_DEP_2) | instskip(SKIP_1) | instid1(VALU_DEP_2)
	v_mul_f32_e32 v26, v142, v26
	v_cndmask_b32_e64 v135, 0, v135, s28
	v_cndmask_b32_e64 v141, 1.0, v26, s29
	v_mul_f32_e32 v26, v95, v140
	s_delay_alu instid0(TRANS32_DEP_1) | instskip(NEXT) | instid1(VALU_DEP_4)
	v_mul_f32_e32 v27, v143, v27
	v_fma_f32 v25, v25, v138, v135
	s_delay_alu instid0(VALU_DEP_4) | instskip(NEXT) | instid1(VALU_DEP_4)
	v_mul_f32_e32 v24, v24, v141
	v_cndmask_b32_e64 v140, 0, v26, s30
	s_delay_alu instid0(VALU_DEP_4) | instskip(NEXT) | instid1(VALU_DEP_4)
	v_cndmask_b32_e64 v142, 1.0, v27, s30
	v_fma_f32 v25, v25, v141, v137
	s_delay_alu instid0(VALU_DEP_2) | instskip(NEXT) | instid1(VALU_DEP_2)
	v_mul_f32_e32 v24, v24, v142
	v_fma_f32 v25, v25, v142, v140
	s_delay_alu instid0(VALU_DEP_2) | instskip(NEXT) | instid1(VALU_DEP_2)
	v_mov_b32_dpp v27, v24 row_shr:1 row_mask:0xf bank_mask:0xf
	v_mov_b32_dpp v26, v25 row_shr:1 row_mask:0xf bank_mask:0xf
	s_and_saveexec_b32 s31, s2
; %bb.62:                               ;   in Loop: Header=BB91_55 Depth=2
	s_delay_alu instid0(VALU_DEP_2) | instskip(NEXT) | instid1(VALU_DEP_1)
	v_mul_f32_e32 v27, v24, v27
	v_dual_fmac_f32 v25, v24, v26 :: v_dual_mov_b32 v24, v27
; %bb.63:                               ;   in Loop: Header=BB91_55 Depth=2
	s_or_b32 exec_lo, exec_lo, s31
	s_delay_alu instid0(VALU_DEP_1) | instskip(NEXT) | instid1(VALU_DEP_2)
	v_mov_b32_dpp v26, v24 row_shr:2 row_mask:0xf bank_mask:0xf
	v_mov_b32_dpp v27, v25 row_shr:2 row_mask:0xf bank_mask:0xf
	s_and_saveexec_b32 s31, s3
; %bb.64:                               ;   in Loop: Header=BB91_55 Depth=2
	s_delay_alu instid0(VALU_DEP_1) | instskip(NEXT) | instid1(VALU_DEP_3)
	v_fmac_f32_e32 v25, v24, v27
	v_mul_f32_e32 v24, v24, v26
; %bb.65:                               ;   in Loop: Header=BB91_55 Depth=2
	s_or_b32 exec_lo, exec_lo, s31
	s_delay_alu instid0(VALU_DEP_1) | instskip(NEXT) | instid1(VALU_DEP_3)
	v_mov_b32_dpp v26, v24 row_shr:4 row_mask:0xf bank_mask:0xf
	v_mov_b32_dpp v27, v25 row_shr:4 row_mask:0xf bank_mask:0xf
	s_and_saveexec_b32 s31, s4
; %bb.66:                               ;   in Loop: Header=BB91_55 Depth=2
	s_delay_alu instid0(VALU_DEP_1) | instskip(NEXT) | instid1(VALU_DEP_3)
	v_fmac_f32_e32 v25, v24, v27
	v_mul_f32_e32 v24, v24, v26
; %bb.67:                               ;   in Loop: Header=BB91_55 Depth=2
	s_or_b32 exec_lo, exec_lo, s31
	s_delay_alu instid0(VALU_DEP_1) | instskip(NEXT) | instid1(VALU_DEP_3)
	v_mov_b32_dpp v26, v24 row_shr:8 row_mask:0xf bank_mask:0xf
	v_mov_b32_dpp v27, v25 row_shr:8 row_mask:0xf bank_mask:0xf
	s_and_saveexec_b32 s31, s5
; %bb.68:                               ;   in Loop: Header=BB91_55 Depth=2
	s_delay_alu instid0(VALU_DEP_1) | instskip(NEXT) | instid1(VALU_DEP_3)
	v_fmac_f32_e32 v25, v24, v27
	v_mul_f32_e32 v24, v24, v26
; %bb.69:                               ;   in Loop: Header=BB91_55 Depth=2
	s_or_b32 exec_lo, exec_lo, s31
	ds_swizzle_b32 v27, v24 offset:swizzle(BROADCAST,32,15)
	ds_swizzle_b32 v26, v25 offset:swizzle(BROADCAST,32,15)
	s_and_saveexec_b32 s31, s6
	s_cbranch_execz .LBB91_71
; %bb.70:                               ;   in Loop: Header=BB91_55 Depth=2
	s_waitcnt lgkmcnt(1)
	v_mul_f32_e32 v27, v24, v27
	s_waitcnt lgkmcnt(0)
	s_delay_alu instid0(VALU_DEP_1)
	v_dual_fmac_f32 v25, v24, v26 :: v_dual_mov_b32 v24, v27
.LBB91_71:                              ;   in Loop: Header=BB91_55 Depth=2
	s_or_b32 exec_lo, exec_lo, s31
	s_and_saveexec_b32 s31, s7
	s_cbranch_execz .LBB91_73
; %bb.72:                               ;   in Loop: Header=BB91_55 Depth=2
	ds_store_b64 v41, v[24:25] offset:8448
.LBB91_73:                              ;   in Loop: Header=BB91_55 Depth=2
	s_or_b32 exec_lo, exec_lo, s31
	s_waitcnt lgkmcnt(0)
	s_waitcnt_vscnt null, 0x0
	s_barrier
	buffer_gl0_inv
	s_and_saveexec_b32 s31, s8
	s_cbranch_execz .LBB91_77
; %bb.74:                               ;   in Loop: Header=BB91_55 Depth=2
	ds_load_b64 v[26:27], v42 offset:8448
	s_waitcnt lgkmcnt(0)
	v_mov_b32_dpp v145, v26 row_shr:1 row_mask:0xf bank_mask:0xf
	v_mov_b32_dpp v144, v27 row_shr:1 row_mask:0xf bank_mask:0xf
	v_mov_b32_e32 v143, v26
	s_and_saveexec_b32 s33, s9
; %bb.75:                               ;   in Loop: Header=BB91_55 Depth=2
	s_delay_alu instid0(VALU_DEP_3) | instskip(NEXT) | instid1(VALU_DEP_1)
	v_mul_f32_e32 v143, v26, v145
	v_dual_fmac_f32 v27, v26, v144 :: v_dual_mov_b32 v26, v143
; %bb.76:                               ;   in Loop: Header=BB91_55 Depth=2
	s_or_b32 exec_lo, exec_lo, s33
	v_mov_b32_dpp v143, v143 row_shr:2 row_mask:0xf bank_mask:0xf
	s_delay_alu instid0(VALU_DEP_2) | instskip(NEXT) | instid1(VALU_DEP_2)
	v_mov_b32_dpp v144, v27 row_shr:2 row_mask:0xf bank_mask:0xf
	v_mul_f32_e32 v143, v26, v143
	s_delay_alu instid0(VALU_DEP_2) | instskip(NEXT) | instid1(VALU_DEP_2)
	v_fma_f32 v144, v26, v144, v27
	v_cndmask_b32_e64 v26, v26, v143, s10
	s_delay_alu instid0(VALU_DEP_2)
	v_cndmask_b32_e64 v27, v27, v144, s10
	ds_store_b64 v42, v[26:27] offset:8448
.LBB91_77:                              ;   in Loop: Header=BB91_55 Depth=2
	s_or_b32 exec_lo, exec_lo, s31
	s_waitcnt lgkmcnt(0)
	s_barrier
	buffer_gl0_inv
                                        ; implicit-def: $vgpr27
	s_and_saveexec_b32 s31, s12
	s_cbranch_execz .LBB91_79
; %bb.78:                               ;   in Loop: Header=BB91_55 Depth=2
	ds_load_b64 v[26:27], v41 offset:8440
	s_waitcnt lgkmcnt(0)
	v_mul_f32_e32 v143, v24, v26
	s_delay_alu instid0(VALU_DEP_1)
	v_dual_fmac_f32 v25, v24, v27 :: v_dual_mov_b32 v24, v143
.LBB91_79:                              ;   in Loop: Header=BB91_55 Depth=2
	s_or_b32 exec_lo, exec_lo, s31
	ds_bpermute_b32 v143, v43, v24
	ds_bpermute_b32 v144, v43, v25
	s_and_saveexec_b32 s31, s11
	s_cbranch_execz .LBB91_83
; %bb.80:                               ;   in Loop: Header=BB91_55 Depth=2
	ds_load_b64 v[24:25], v34 offset:8472
	s_and_saveexec_b32 s33, s13
	s_cbranch_execz .LBB91_82
; %bb.81:                               ;   in Loop: Header=BB91_55 Depth=2
	ds_store_b64 v34, v[32:33] offset:8472
.LBB91_82:                              ;   in Loop: Header=BB91_55 Depth=2
	s_or_b32 exec_lo, exec_lo, s33
	s_waitcnt lgkmcnt(0)
	v_fmac_f32_e32 v25, v33, v24
	s_delay_alu instid0(VALU_DEP_1)
	v_dual_mul_f32 v32, v32, v24 :: v_dual_mov_b32 v33, v25
.LBB91_83:                              ;   in Loop: Header=BB91_55 Depth=2
	s_or_b32 exec_lo, exec_lo, s31
	s_waitcnt lgkmcnt(0)
	s_barrier
	buffer_gl0_inv
	ds_load_b32 v24, v34 offset:8476
	s_and_saveexec_b32 s31, s13
	s_cbranch_execz .LBB91_54
; %bb.84:                               ;   in Loop: Header=BB91_55 Depth=2
	v_mov_b32_e32 v25, s75
	s_and_not1_b32 vcc_lo, exec_lo, s73
	ds_store_b64 v25, v[32:33]
	s_cbranch_vccnz .LBB91_54
; %bb.85:                               ;   in Loop: Header=BB91_55 Depth=2
	s_mov_b32 s49, s53
	v_cvt_f16_f32_e32 v25, v33
	s_lshl_b64 s[76:77], s[48:49], 1
	s_delay_alu instid0(SALU_CYCLE_1)
	s_add_u32 s76, s64, s76
	s_addc_u32 s77, s65, s77
	global_store_b16 v34, v25, s[76:77]
	s_branch .LBB91_54
.LBB91_86:
	s_nop 0
	s_sendmsg sendmsg(MSG_DEALLOC_VGPRS)
	s_endpgm
	.section	.rodata,"a",@progbits
	.p2align	6, 0x0
	.amdhsa_kernel _Z25selective_scan_fwd_kernelI32Selective_Scan_fwd_kernel_traitsILi128ELi16ELi1ELb1ELb1ELb1ELb0ELb0EN3c104HalfEfS2_EEv13SSMParamsBase
		.amdhsa_group_segment_fixed_size 0
		.amdhsa_private_segment_fixed_size 0
		.amdhsa_kernarg_size 248
		.amdhsa_user_sgpr_count 14
		.amdhsa_user_sgpr_dispatch_ptr 0
		.amdhsa_user_sgpr_queue_ptr 0
		.amdhsa_user_sgpr_kernarg_segment_ptr 1
		.amdhsa_user_sgpr_dispatch_id 0
		.amdhsa_user_sgpr_private_segment_size 0
		.amdhsa_wavefront_size32 1
		.amdhsa_uses_dynamic_stack 0
		.amdhsa_enable_private_segment 0
		.amdhsa_system_sgpr_workgroup_id_x 1
		.amdhsa_system_sgpr_workgroup_id_y 1
		.amdhsa_system_sgpr_workgroup_id_z 0
		.amdhsa_system_sgpr_workgroup_info 0
		.amdhsa_system_vgpr_workitem_id 0
		.amdhsa_next_free_vgpr 146
		.amdhsa_next_free_sgpr 80
		.amdhsa_reserve_vcc 1
		.amdhsa_float_round_mode_32 0
		.amdhsa_float_round_mode_16_64 0
		.amdhsa_float_denorm_mode_32 3
		.amdhsa_float_denorm_mode_16_64 3
		.amdhsa_dx10_clamp 1
		.amdhsa_ieee_mode 1
		.amdhsa_fp16_overflow 0
		.amdhsa_workgroup_processor_mode 1
		.amdhsa_memory_ordered 1
		.amdhsa_forward_progress 0
		.amdhsa_shared_vgpr_count 0
		.amdhsa_exception_fp_ieee_invalid_op 0
		.amdhsa_exception_fp_denorm_src 0
		.amdhsa_exception_fp_ieee_div_zero 0
		.amdhsa_exception_fp_ieee_overflow 0
		.amdhsa_exception_fp_ieee_underflow 0
		.amdhsa_exception_fp_ieee_inexact 0
		.amdhsa_exception_int_div_zero 0
	.end_amdhsa_kernel
	.section	.text._Z25selective_scan_fwd_kernelI32Selective_Scan_fwd_kernel_traitsILi128ELi16ELi1ELb1ELb1ELb1ELb0ELb0EN3c104HalfEfS2_EEv13SSMParamsBase,"axG",@progbits,_Z25selective_scan_fwd_kernelI32Selective_Scan_fwd_kernel_traitsILi128ELi16ELi1ELb1ELb1ELb1ELb0ELb0EN3c104HalfEfS2_EEv13SSMParamsBase,comdat
.Lfunc_end91:
	.size	_Z25selective_scan_fwd_kernelI32Selective_Scan_fwd_kernel_traitsILi128ELi16ELi1ELb1ELb1ELb1ELb0ELb0EN3c104HalfEfS2_EEv13SSMParamsBase, .Lfunc_end91-_Z25selective_scan_fwd_kernelI32Selective_Scan_fwd_kernel_traitsILi128ELi16ELi1ELb1ELb1ELb1ELb0ELb0EN3c104HalfEfS2_EEv13SSMParamsBase
                                        ; -- End function
	.section	.AMDGPU.csdata,"",@progbits
; Kernel info:
; codeLenInByte = 17792
; NumSgprs: 82
; NumVgprs: 146
; ScratchSize: 0
; MemoryBound: 1
; FloatMode: 240
; IeeeMode: 1
; LDSByteSize: 0 bytes/workgroup (compile time only)
; SGPRBlocks: 10
; VGPRBlocks: 18
; NumSGPRsForWavesPerEU: 82
; NumVGPRsForWavesPerEU: 146
; Occupancy: 9
; WaveLimiterHint : 1
; COMPUTE_PGM_RSRC2:SCRATCH_EN: 0
; COMPUTE_PGM_RSRC2:USER_SGPR: 14
; COMPUTE_PGM_RSRC2:TRAP_HANDLER: 0
; COMPUTE_PGM_RSRC2:TGID_X_EN: 1
; COMPUTE_PGM_RSRC2:TGID_Y_EN: 1
; COMPUTE_PGM_RSRC2:TGID_Z_EN: 0
; COMPUTE_PGM_RSRC2:TIDIG_COMP_CNT: 0
	.section	.text._Z25selective_scan_fwd_kernelI32Selective_Scan_fwd_kernel_traitsILi128ELi16ELi1ELb0ELb1ELb1ELb1ELb1EN3c104HalfEfS2_EEv13SSMParamsBase,"axG",@progbits,_Z25selective_scan_fwd_kernelI32Selective_Scan_fwd_kernel_traitsILi128ELi16ELi1ELb0ELb1ELb1ELb1ELb1EN3c104HalfEfS2_EEv13SSMParamsBase,comdat
	.protected	_Z25selective_scan_fwd_kernelI32Selective_Scan_fwd_kernel_traitsILi128ELi16ELi1ELb0ELb1ELb1ELb1ELb1EN3c104HalfEfS2_EEv13SSMParamsBase ; -- Begin function _Z25selective_scan_fwd_kernelI32Selective_Scan_fwd_kernel_traitsILi128ELi16ELi1ELb0ELb1ELb1ELb1ELb1EN3c104HalfEfS2_EEv13SSMParamsBase
	.globl	_Z25selective_scan_fwd_kernelI32Selective_Scan_fwd_kernel_traitsILi128ELi16ELi1ELb0ELb1ELb1ELb1ELb1EN3c104HalfEfS2_EEv13SSMParamsBase
	.p2align	8
	.type	_Z25selective_scan_fwd_kernelI32Selective_Scan_fwd_kernel_traitsILi128ELi16ELi1ELb0ELb1ELb1ELb1ELb1EN3c104HalfEfS2_EEv13SSMParamsBase,@function
_Z25selective_scan_fwd_kernelI32Selective_Scan_fwd_kernel_traitsILi128ELi16ELi1ELb0ELb1ELb1ELb1ELb1EN3c104HalfEfS2_EEv13SSMParamsBase: ; @_Z25selective_scan_fwd_kernelI32Selective_Scan_fwd_kernel_traitsILi128ELi16ELi1ELb0ELb1ELb1ELb1ELb1EN3c104HalfEfS2_EEv13SSMParamsBase
; %bb.0:
	s_clause 0x2
	s_load_b32 s11, s[0:1], 0x18
	s_load_b256 s[36:43], s[0:1], 0xc8
	s_load_b128 s[4:7], s[0:1], 0xe8
	s_mov_b32 s34, s15
	s_ashr_i32 s15, s14, 31
	s_mov_b32 s66, 0
	s_lshl_b64 s[8:9], s[14:15], 2
	s_waitcnt lgkmcnt(0)
	s_abs_i32 s10, s11
	s_add_u32 s2, s42, s8
	v_cvt_f32_u32_e32 v1, s10
	s_addc_u32 s3, s43, s9
	s_cmp_eq_u64 s[6:7], 0
	s_delay_alu instid0(VALU_DEP_1) | instskip(SKIP_2) | instid1(VALU_DEP_1)
	v_rcp_iflag_f32_e32 v1, v1
	s_waitcnt_depctr 0xfff
	v_mul_f32_e32 v1, 0x4f7ffffe, v1
	v_cvt_u32_f32_e32 v1, v1
	s_delay_alu instid0(VALU_DEP_1)
	v_readfirstlane_b32 s12, v1
	s_cbranch_scc1 .LBB92_2
; %bb.1:
	v_mov_b32_e32 v1, 0
	s_add_u32 s6, s6, s14
	s_addc_u32 s7, s7, s15
	global_load_u8 v1, v1, s[6:7]
	s_waitcnt vmcnt(0)
	v_and_b32_e32 v1, 1, v1
	s_delay_alu instid0(VALU_DEP_1)
	v_cmp_eq_u32_e64 s66, 1, v1
.LBB92_2:
	s_load_b64 s[6:7], s[0:1], 0x20
	s_cmp_eq_u64 s[4:5], 0
	s_cbranch_scc1 .LBB92_4
; %bb.3:
	s_add_u32 s4, s4, s8
	s_addc_u32 s5, s5, s9
	s_load_b32 s14, s[4:5], 0x0
	s_waitcnt lgkmcnt(0)
	s_ashr_i32 s15, s14, 31
.LBB92_4:
	s_waitcnt lgkmcnt(0)
	s_cmp_eq_u64 s[6:7], s[14:15]
	s_cbranch_scc1 .LBB92_302
; %bb.5:
	s_load_b512 s[16:31], s[0:1], 0x88
	s_load_b64 s[42:43], s[2:3], 0x0
	s_mov_b32 s67, 0
	s_mov_b32 s68, 0
	s_waitcnt lgkmcnt(0)
	s_cmp_eq_u64 s[22:23], 0
	s_cbranch_scc1 .LBB92_7
; %bb.6:
	s_ashr_i32 s35, s34, 31
	s_delay_alu instid0(SALU_CYCLE_1) | instskip(NEXT) | instid1(SALU_CYCLE_1)
	s_lshl_b64 s[2:3], s[34:35], 2
	s_add_u32 s2, s22, s2
	s_addc_u32 s3, s23, s3
	s_load_b32 s68, s[2:3], 0x0
.LBB92_7:
	s_cmp_eq_u64 s[28:29], 0
	s_cbranch_scc1 .LBB92_9
; %bb.8:
	s_ashr_i32 s35, s34, 31
	s_delay_alu instid0(SALU_CYCLE_1) | instskip(NEXT) | instid1(SALU_CYCLE_1)
	s_lshl_b64 s[2:3], s[34:35], 2
	s_add_u32 s2, s28, s2
	s_addc_u32 s3, s29, s3
	s_load_b32 s67, s[2:3], 0x0
.LBB92_9:
	s_sub_i32 s69, s43, s42
	s_delay_alu instid0(SALU_CYCLE_1)
	s_cmp_lt_i32 s69, 1
	s_cbranch_scc1 .LBB92_302
; %bb.10:
	s_sub_i32 s2, 0, s10
	s_load_b256 s[48:55], s[0:1], 0x4c
	s_mul_i32 s2, s2, s12
	s_abs_i32 s3, s34
	s_mul_hi_u32 s2, s12, s2
	s_ashr_i32 s5, s11, 31
	s_add_i32 s12, s12, s2
	s_ashr_i32 s2, s34, 31
	s_mul_hi_u32 s4, s3, s12
	s_xor_b32 s5, s2, s5
	s_mul_i32 s6, s4, s10
	s_load_b256 s[56:63], s[0:1], 0x2c
	s_sub_i32 s2, s3, s6
	s_add_i32 s3, s4, 1
	s_sub_i32 s6, s2, s10
	s_cmp_ge_u32 s2, s10
	s_mov_b32 s65, 0
	s_cselect_b32 s3, s3, s4
	s_cselect_b32 s2, s6, s2
	s_add_i32 s4, s3, 1
	s_cmp_ge_u32 s2, s10
	s_waitcnt lgkmcnt(0)
	s_mul_i32 s64, s42, s50
	s_cselect_b32 s4, s4, s3
	s_lshl_b64 s[2:3], s[64:65], 1
	s_xor_b32 s4, s4, s5
	s_mul_i32 s64, s51, s34
	s_sub_i32 s6, s4, s5
	s_add_u32 s4, s24, s2
	s_addc_u32 s5, s25, s3
	s_lshl_b64 s[2:3], s[64:65], 1
	s_mul_i32 s64, s42, s52
	s_add_u32 s63, s4, s2
	s_addc_u32 s70, s5, s3
	s_lshl_b64 s[2:3], s[64:65], 1
	s_mul_i32 s64, s53, s34
	;; [unrolled: 4-line block ×3, first 2 shown]
	s_add_u32 s71, s4, s2
	s_addc_u32 s56, s5, s3
	s_load_b64 s[4:5], s[0:1], 0x7c
	v_dual_mov_b32 v21, 0 :: v_dual_lshlrev_b32 v18, 4, v0
	s_lshl_b64 s[2:3], s[64:65], 2
	s_mul_i32 s64, s42, s58
	s_add_u32 s72, s16, s2
	v_mbcnt_lo_u32_b32 v19, -1, 0
	v_and_b32_e32 v1, 0x600, v18
	s_addc_u32 s73, s17, s3
	s_lshl_b64 s[2:3], s[64:65], 1
	s_mul_i32 s64, s6, s61
	s_add_u32 s7, s18, s2
	s_addc_u32 s8, s19, s3
	s_clause 0x3
	s_load_b128 s[16:19], s[0:1], 0x6c
	s_load_b32 s75, s[0:1], 0x84
	s_load_b32 s78, s[0:1], 0xc
	;; [unrolled: 1-line block ×3, first 2 shown]
	v_or_b32_e32 v20, v19, v1
	s_lshl_b64 s[2:3], s[64:65], 1
	s_mul_i32 s64, s42, s62
	s_add_u32 s61, s7, s2
	s_addc_u32 s62, s8, s3
	s_lshl_b64 s[2:3], s[64:65], 1
	s_mul_i32 s64, s6, s49
	v_or_b32_e32 v24, 0x60, v20
	v_and_b32_e32 v14, 0x60, v0
	s_add_u32 s7, s20, s2
	s_addc_u32 s6, s21, s3
	s_lshl_b64 s[2:3], s[64:65], 1
	s_waitcnt lgkmcnt(0)
	s_mul_i32 s64, s14, s4
	s_add_u32 s49, s7, s2
	s_addc_u32 s74, s6, s3
	s_lshl_b64 s[2:3], s[64:65], 1
	v_or_b32_e32 v26, 0xa0, v20
	v_or_b32_e32 v28, 0xe0, v20
	;; [unrolled: 1-line block ×5, first 2 shown]
	v_lshrrev_b32_e32 v2, 5, v24
	v_or_b32_e32 v36, 0x1e0, v20
	v_or_b32_e32 v16, v19, v14
	s_mul_i32 s64, s5, s34
	s_add_u32 s4, s36, s2
	s_addc_u32 s5, s37, s3
	s_lshl_b64 s[2:3], s[64:65], 1
	v_or_b32_e32 v23, 64, v20
	s_add_u32 s76, s4, s2
	v_or_b32_e32 v25, 0x80, v20
	v_or_b32_e32 v27, 0xc0, v20
	;; [unrolled: 1-line block ×6, first 2 shown]
	v_and_b32_e32 v2, 50, v2
	v_lshrrev_b32_e32 v5, 5, v26
	v_lshrrev_b32_e32 v8, 5, v28
	;; [unrolled: 1-line block ×6, first 2 shown]
	v_lshrrev_b16 v50, 1, v16
	s_addc_u32 s77, s5, s3
	s_add_i32 s2, s69, 0x7ff
	v_lshrrev_b32_e32 v3, 5, v1
	s_lshr_b32 s79, s2, 11
	s_bitcmp1_b32 s0, 0
	v_lshrrev_b32_e32 v4, 5, v23
	v_lshrrev_b32_e32 v6, 5, v25
	v_add_lshl_u32 v2, v2, v20, 1
	v_and_b32_e32 v5, 52, v5
	v_lshrrev_b32_e32 v7, 5, v27
	v_and_b32_e32 v8, 54, v8
	v_lshrrev_b32_e32 v10, 5, v29
	v_and_b32_e32 v9, 56, v9
	v_lshrrev_b32_e32 v12, 5, v31
	v_and_b32_e32 v11, 58, v11
	v_lshrrev_b32_e32 v13, 5, v33
	v_and_b32_e32 v15, 60, v15
	v_lshrrev_b32_e32 v17, 5, v35
	v_and_b32_e32 v51, 62, v49
	v_lshlrev_b32_e32 v16, 4, v16
	v_and_b32_e32 v52, 62, v50
	s_cselect_b32 s80, -1, 0
	s_cmp_gt_i32 s78, 0
	v_add_lshl_u32 v3, v3, v20, 1
	s_cselect_b32 s81, -1, 0
	s_add_i32 s0, 0, 0x1080
	v_add_lshl_u32 v4, v4, v20, 1
	v_add_lshl_u32 v6, v6, v20, 1
	v_add_nc_u32_e32 v39, 0, v2
	v_add_lshl_u32 v5, v5, v20, 1
	v_add_lshl_u32 v7, v7, v20, 1
	;; [unrolled: 1-line block ×12, first 2 shown]
	v_add_nc_u32_e32 v55, s0, v2
	v_and_b32_e32 v2, 15, v19
	s_and_b32 s1, s69, 0x7ff
	v_add_nc_u32_e32 v51, 0, v67
	v_add_nc_u32_e32 v53, s0, v3
	;; [unrolled: 1-line block ×15, first 2 shown]
	s_cmp_eq_u32 s1, 0
	v_add_nc_u32_e32 v68, s0, v16
	v_cmp_ne_u32_e64 s0, 0, v2
	v_cmp_lt_u32_e64 s1, 1, v2
	v_cmp_lt_u32_e64 s2, 3, v2
	;; [unrolled: 1-line block ×3, first 2 shown]
	v_add_nc_u32_e32 v2, -1, v19
	v_add_nc_u32_e32 v37, 0, v3
	v_lshrrev_b32_e32 v3, 2, v0
	s_mul_i32 s64, s42, s16
	v_add_nc_u32_e32 v41, 0, v5
	v_or_b32_e32 v5, 31, v14
	v_cmp_gt_i32_e32 vcc_lo, 0, v2
	s_cselect_b32 s82, -1, 0
	s_lshl_b64 s[12:13], s[64:65], 1
	v_and_b32_e32 v3, 24, v3
	s_add_i32 s83, s79, -1
	v_cndmask_b32_e32 v2, v2, v19, vcc_lo
	s_mul_i32 s64, s17, s34
	s_add_u32 s16, s30, s12
	s_addc_u32 s13, s31, s13
	s_lshl_b64 s[14:15], s[64:65], 1
	v_cmp_eq_u32_e64 s5, v5, v0
	v_cmp_gt_u32_e64 s6, 4, v0
	v_lshl_add_u32 v70, v0, 3, 0
	v_cmp_gt_u32_e64 s9, 32, v0
	v_cmp_lt_u32_e64 s10, 31, v0
	v_cmp_eq_u32_e64 s11, 0, v0
	s_mul_i32 s64, s42, s54
	v_lshlrev_b32_e32 v0, 1, v19
	s_add_u32 s16, s16, s14
	v_add_nc_u32_e32 v38, 0, v4
	v_and_b32_e32 v4, 16, v19
	v_add_nc_u32_e32 v69, 0, v3
	v_and_b32_e32 v3, 3, v19
	s_addc_u32 s13, s13, s15
	s_lshl_b64 s[14:15], s[64:65], 1
	s_mul_i32 s64, s55, s34
	s_add_u32 s17, s38, s14
	v_lshlrev_b32_e32 v71, 2, v2
	s_addc_u32 s20, s39, s15
	s_lshl_b64 s[14:15], s[64:65], 1
	v_add_co_u32 v2, s16, s16, v0
	s_mul_i32 s64, s42, s18
	v_cmp_ne_u32_e64 s4, 0, v4
	v_cmp_ne_u32_e64 s7, 0, v3
	v_cmp_lt_u32_e64 s8, 1, v3
	v_add_co_ci_u32_e64 v3, null, s13, 0, s16
	s_add_u32 s13, s17, s14
	v_lshlrev_b32_e32 v4, 1, v1
	s_addc_u32 s16, s20, s15
	s_lshl_b64 s[14:15], s[64:65], 1
	s_mul_i32 s64, s19, s34
	s_add_u32 s17, s40, s14
	s_addc_u32 s18, s41, s15
	s_lshl_b64 s[14:15], s[64:65], 1
	v_add_co_u32 v72, vcc_lo, v2, v4
	v_add_co_u32 v2, s13, s13, v0
	s_add_u32 s14, s17, s14
	v_add_co_ci_u32_e32 v73, vcc_lo, 0, v3, vcc_lo
	v_add_co_ci_u32_e64 v3, null, s16, 0, s13
	s_addc_u32 s15, s18, s15
	v_add_co_u32 v0, s13, s14, v0
	s_delay_alu instid0(VALU_DEP_1) | instskip(SKIP_2) | instid1(VALU_DEP_4)
	v_add_co_ci_u32_e64 v5, null, s15, 0, s13
	v_add_co_u32 v74, vcc_lo, v2, v4
	v_add_co_ci_u32_e32 v75, vcc_lo, 0, v3, vcc_lo
	v_add_co_u32 v76, vcc_lo, v0, v4
	v_or_b32_e32 v22, 32, v20
	v_add_nc_u32_e32 v40, 0, v6
	v_add_nc_u32_e32 v42, 0, v7
	;; [unrolled: 1-line block ×11, first 2 shown]
	v_cmp_eq_u32_e64 s12, 0, v19
	v_add_co_ci_u32_e32 v77, vcc_lo, 0, v5, vcc_lo
	v_or_b32_e32 v78, 1, v18
	v_or_b32_e32 v79, 2, v18
	;; [unrolled: 1-line block ×15, first 2 shown]
	v_lshlrev_b32_e32 v93, 1, v1
	s_mov_b32 s84, 0x3e9b6dac
	s_add_i32 s85, 0, 0x2120
	s_mov_b32 s86, 0xbfb8aa3b
	s_mov_b32 s87, 0xb2a5705f
	s_mov_b32 s88, 0
	s_branch .LBB92_12
.LBB92_11:                              ;   in Loop: Header=BB92_12 Depth=1
	s_or_b32 exec_lo, exec_lo, s13
	s_add_u32 s71, s71, 0x1000
	s_addc_u32 s56, s56, 0
	s_add_u32 s63, s63, 0x1000
	s_addc_u32 s70, s70, 0
	;; [unrolled: 2-line block ×4, first 2 shown]
	s_add_i32 s88, s88, 1
	s_delay_alu instid0(SALU_CYCLE_1)
	s_cmp_lg_u32 s88, s79
	s_cbranch_scc0 .LBB92_302
.LBB92_12:                              ; =>This Loop Header: Depth=1
                                        ;     Child Loop BB92_109 Depth 2
	s_waitcnt lgkmcnt(14)
	v_lshlrev_b32_e32 v16, 1, v19
	s_lshl_b32 s50, s88, 11
	s_waitcnt lgkmcnt(0)
	v_mov_b32_e32 v2, 0
	s_sub_i32 s41, s69, s50
	v_add_co_u32 v0, s13, s63, v16
	s_delay_alu instid0(VALU_DEP_1) | instskip(SKIP_1) | instid1(VALU_DEP_3)
	v_add_co_ci_u32_e64 v1, null, s70, 0, s13
	v_cmp_gt_u32_e64 s13, s41, v20
	v_add_co_u32 v0, vcc_lo, v0, v93
	s_delay_alu instid0(VALU_DEP_3)
	v_add_co_ci_u32_e32 v1, vcc_lo, 0, v1, vcc_lo
	s_waitcnt_vscnt null, 0x0
	s_barrier
	buffer_gl0_inv
	s_and_saveexec_b32 s14, s13
	s_cbranch_execz .LBB92_14
; %bb.13:                               ;   in Loop: Header=BB92_12 Depth=1
	global_load_u16 v2, v[0:1], off
.LBB92_14:                              ;   in Loop: Header=BB92_12 Depth=1
	s_or_b32 exec_lo, exec_lo, s14
	v_cmp_gt_u32_e64 s14, s41, v22
	v_dual_mov_b32 v3, 0 :: v_dual_mov_b32 v4, 0
	s_delay_alu instid0(VALU_DEP_2)
	s_and_saveexec_b32 s15, s14
	s_cbranch_execz .LBB92_16
; %bb.15:                               ;   in Loop: Header=BB92_12 Depth=1
	global_load_u16 v4, v[0:1], off offset:64
.LBB92_16:                              ;   in Loop: Header=BB92_12 Depth=1
	s_or_b32 exec_lo, exec_lo, s15
	v_cmp_gt_u32_e64 s15, s41, v23
	s_delay_alu instid0(VALU_DEP_1)
	s_and_saveexec_b32 s16, s15
	s_cbranch_execz .LBB92_18
; %bb.17:                               ;   in Loop: Header=BB92_12 Depth=1
	global_load_u16 v3, v[0:1], off offset:128
.LBB92_18:                              ;   in Loop: Header=BB92_12 Depth=1
	s_or_b32 exec_lo, exec_lo, s16
	v_cmp_gt_u32_e64 s16, s41, v24
	v_dual_mov_b32 v5, 0 :: v_dual_mov_b32 v6, 0
	s_delay_alu instid0(VALU_DEP_2)
	s_and_saveexec_b32 s17, s16
	s_cbranch_execz .LBB92_20
; %bb.19:                               ;   in Loop: Header=BB92_12 Depth=1
	global_load_u16 v6, v[0:1], off offset:192
.LBB92_20:                              ;   in Loop: Header=BB92_12 Depth=1
	s_or_b32 exec_lo, exec_lo, s17
	v_cmp_gt_u32_e64 s17, s41, v25
	s_delay_alu instid0(VALU_DEP_1)
	s_and_saveexec_b32 s18, s17
	s_cbranch_execz .LBB92_22
; %bb.21:                               ;   in Loop: Header=BB92_12 Depth=1
	global_load_u16 v5, v[0:1], off offset:256
.LBB92_22:                              ;   in Loop: Header=BB92_12 Depth=1
	;; [unrolled: 17-line block ×3, first 2 shown]
	s_or_b32 exec_lo, exec_lo, s20
	v_cmp_gt_u32_e64 s20, s41, v28
	v_mov_b32_e32 v9, 0
	v_mov_b32_e32 v11, 0
	s_delay_alu instid0(VALU_DEP_3)
	s_and_saveexec_b32 s21, s20
	s_cbranch_execz .LBB92_28
; %bb.27:                               ;   in Loop: Header=BB92_12 Depth=1
	global_load_u16 v11, v[0:1], off offset:448
.LBB92_28:                              ;   in Loop: Header=BB92_12 Depth=1
	s_or_b32 exec_lo, exec_lo, s21
	v_cmp_gt_u32_e64 s21, s41, v29
	s_delay_alu instid0(VALU_DEP_1)
	s_and_saveexec_b32 s22, s21
	s_cbranch_execz .LBB92_30
; %bb.29:                               ;   in Loop: Header=BB92_12 Depth=1
	global_load_u16 v9, v[0:1], off offset:512
.LBB92_30:                              ;   in Loop: Header=BB92_12 Depth=1
	s_or_b32 exec_lo, exec_lo, s22
	v_cmp_gt_u32_e64 s22, s41, v30
	v_dual_mov_b32 v12, 0 :: v_dual_mov_b32 v13, 0
	s_delay_alu instid0(VALU_DEP_2)
	s_and_saveexec_b32 s23, s22
	s_cbranch_execz .LBB92_32
; %bb.31:                               ;   in Loop: Header=BB92_12 Depth=1
	global_load_u16 v13, v[0:1], off offset:576
.LBB92_32:                              ;   in Loop: Header=BB92_12 Depth=1
	s_or_b32 exec_lo, exec_lo, s23
	v_cmp_gt_u32_e64 s23, s41, v31
	s_delay_alu instid0(VALU_DEP_1)
	s_and_saveexec_b32 s24, s23
	s_cbranch_execz .LBB92_34
; %bb.33:                               ;   in Loop: Header=BB92_12 Depth=1
	global_load_u16 v12, v[0:1], off offset:640
.LBB92_34:                              ;   in Loop: Header=BB92_12 Depth=1
	s_or_b32 exec_lo, exec_lo, s24
	v_cmp_gt_u32_e64 s24, s41, v32
	v_dual_mov_b32 v14, 0 :: v_dual_mov_b32 v15, 0
	s_delay_alu instid0(VALU_DEP_2)
	;; [unrolled: 17-line block ×4, first 2 shown]
	s_and_saveexec_b32 s29, s28
	s_cbranch_execz .LBB92_44
; %bb.43:                               ;   in Loop: Header=BB92_12 Depth=1
	global_load_u16 v95, v[0:1], off offset:960
.LBB92_44:                              ;   in Loop: Header=BB92_12 Depth=1
	s_or_b32 exec_lo, exec_lo, s29
	s_waitcnt vmcnt(0)
	ds_store_b16 v37, v2
	ds_store_b16 v37, v4 offset:64
	ds_store_b16 v38, v3 offset:128
	;; [unrolled: 1-line block ×15, first 2 shown]
	; wave barrier
	ds_load_b128 v[0:3], v52
	ds_load_b128 v[4:7], v52 offset:16
	v_add_co_u32 v8, s29, s71, v16
	s_delay_alu instid0(VALU_DEP_1) | instskip(SKIP_1) | instid1(VALU_DEP_2)
	v_add_co_ci_u32_e64 v9, null, s56, 0, s29
	s_waitcnt lgkmcnt(0)
	v_add_co_u32 v8, vcc_lo, v8, v93
	s_delay_alu instid0(VALU_DEP_2)
	v_add_co_ci_u32_e32 v9, vcc_lo, 0, v9, vcc_lo
	s_barrier
	buffer_gl0_inv
	s_and_saveexec_b32 s29, s13
	s_cbranch_execz .LBB92_46
; %bb.45:                               ;   in Loop: Header=BB92_12 Depth=1
	global_load_u16 v10, v[8:9], off
.LBB92_46:                              ;   in Loop: Header=BB92_12 Depth=1
	s_or_b32 exec_lo, exec_lo, s29
	v_dual_mov_b32 v11, 0 :: v_dual_mov_b32 v12, 0
	s_and_saveexec_b32 s29, s14
	s_cbranch_execz .LBB92_48
; %bb.47:                               ;   in Loop: Header=BB92_12 Depth=1
	global_load_u16 v12, v[8:9], off offset:64
.LBB92_48:                              ;   in Loop: Header=BB92_12 Depth=1
	s_or_b32 exec_lo, exec_lo, s29
	s_and_saveexec_b32 s29, s15
	s_cbranch_execz .LBB92_50
; %bb.49:                               ;   in Loop: Header=BB92_12 Depth=1
	global_load_u16 v11, v[8:9], off offset:128
.LBB92_50:                              ;   in Loop: Header=BB92_12 Depth=1
	s_or_b32 exec_lo, exec_lo, s29
	v_dual_mov_b32 v13, 0 :: v_dual_mov_b32 v14, 0
	s_and_saveexec_b32 s29, s16
	s_cbranch_execz .LBB92_52
; %bb.51:                               ;   in Loop: Header=BB92_12 Depth=1
	global_load_u16 v14, v[8:9], off offset:192
.LBB92_52:                              ;   in Loop: Header=BB92_12 Depth=1
	s_or_b32 exec_lo, exec_lo, s29
	s_and_saveexec_b32 s29, s17
	s_cbranch_execz .LBB92_54
; %bb.53:                               ;   in Loop: Header=BB92_12 Depth=1
	global_load_u16 v13, v[8:9], off offset:256
.LBB92_54:                              ;   in Loop: Header=BB92_12 Depth=1
	s_or_b32 exec_lo, exec_lo, s29
	v_mov_b32_e32 v15, 0
	v_mov_b32_e32 v17, 0
	s_and_saveexec_b32 s29, s18
	s_cbranch_execz .LBB92_56
; %bb.55:                               ;   in Loop: Header=BB92_12 Depth=1
	global_load_u16 v17, v[8:9], off offset:320
.LBB92_56:                              ;   in Loop: Header=BB92_12 Depth=1
	s_or_b32 exec_lo, exec_lo, s29
	s_and_saveexec_b32 s29, s19
	s_cbranch_execz .LBB92_58
; %bb.57:                               ;   in Loop: Header=BB92_12 Depth=1
	global_load_u16 v15, v[8:9], off offset:384
.LBB92_58:                              ;   in Loop: Header=BB92_12 Depth=1
	s_or_b32 exec_lo, exec_lo, s29
	v_dual_mov_b32 v94, 0 :: v_dual_mov_b32 v95, 0
	s_and_saveexec_b32 s29, s20
	s_cbranch_execz .LBB92_60
; %bb.59:                               ;   in Loop: Header=BB92_12 Depth=1
	global_load_u16 v95, v[8:9], off offset:448
.LBB92_60:                              ;   in Loop: Header=BB92_12 Depth=1
	s_or_b32 exec_lo, exec_lo, s29
	s_and_saveexec_b32 s29, s21
	s_cbranch_execz .LBB92_62
; %bb.61:                               ;   in Loop: Header=BB92_12 Depth=1
	global_load_u16 v94, v[8:9], off offset:512
.LBB92_62:                              ;   in Loop: Header=BB92_12 Depth=1
	s_or_b32 exec_lo, exec_lo, s29
	v_dual_mov_b32 v96, 0 :: v_dual_mov_b32 v97, 0
	;; [unrolled: 13-line block ×4, first 2 shown]
	s_and_saveexec_b32 s29, s26
	s_cbranch_execnz .LBB92_269
; %bb.71:                               ;   in Loop: Header=BB92_12 Depth=1
	s_or_b32 exec_lo, exec_lo, s29
	s_and_saveexec_b32 s29, s27
	s_cbranch_execnz .LBB92_270
.LBB92_72:                              ;   in Loop: Header=BB92_12 Depth=1
	s_or_b32 exec_lo, exec_lo, s29
	v_mov_b32_e32 v102, 0
	s_and_saveexec_b32 s29, s28
	s_cbranch_execz .LBB92_74
.LBB92_73:                              ;   in Loop: Header=BB92_12 Depth=1
	global_load_u16 v102, v[8:9], off offset:960
.LBB92_74:                              ;   in Loop: Header=BB92_12 Depth=1
	s_or_b32 exec_lo, exec_lo, s29
	s_waitcnt vmcnt(0)
	ds_store_b16 v37, v10
	ds_store_b16 v37, v12 offset:64
	ds_store_b16 v38, v11 offset:128
	;; [unrolled: 1-line block ×15, first 2 shown]
	; wave barrier
	ds_load_b128 v[12:15], v52
	ds_load_b128 v[8:11], v52 offset:16
	s_waitcnt lgkmcnt(1)
	v_cvt_f32_f16_e32 v17, v12
	s_delay_alu instid0(VALU_DEP_1) | instskip(NEXT) | instid1(VALU_DEP_1)
	v_add_f32_e32 v94, s67, v17
	v_cmp_ge_f32_e32 vcc_lo, 0x41a00000, v94
	s_and_b32 s29, s80, vcc_lo
	s_delay_alu instid0(SALU_CYCLE_1)
	s_and_saveexec_b32 s30, s29
	s_cbranch_execz .LBB92_76
; %bb.75:                               ;   in Loop: Header=BB92_12 Depth=1
	v_mul_f32_e32 v17, 0x3fb8aa3b, v94
	v_cmp_ngt_f32_e32 vcc_lo, 0xc2ce8ed0, v94
	s_delay_alu instid0(VALU_DEP_2) | instskip(SKIP_1) | instid1(VALU_DEP_1)
	v_rndne_f32_e32 v95, v17
	v_fma_f32 v96, 0x3fb8aa3b, v94, -v17
	v_dual_sub_f32 v17, v17, v95 :: v_dual_fmac_f32 v96, 0x32a5705f, v94
	v_cvt_i32_f32_e32 v95, v95
	s_delay_alu instid0(VALU_DEP_2) | instskip(NEXT) | instid1(VALU_DEP_1)
	v_add_f32_e32 v17, v17, v96
	v_exp_f32_e32 v17, v17
	s_waitcnt_depctr 0xfff
	v_ldexp_f32 v17, v17, v95
	s_delay_alu instid0(VALU_DEP_1) | instskip(SKIP_1) | instid1(VALU_DEP_2)
	v_cndmask_b32_e32 v17, 0, v17, vcc_lo
	v_cmp_nlt_f32_e32 vcc_lo, 0x42b17218, v94
	v_cndmask_b32_e32 v17, 0x7f800000, v17, vcc_lo
	s_delay_alu instid0(VALU_DEP_1) | instskip(NEXT) | instid1(VALU_DEP_1)
	v_add_f32_e32 v96, 1.0, v17
	v_cvt_f64_f32_e32 v[94:95], v96
	s_delay_alu instid0(VALU_DEP_1) | instskip(SKIP_1) | instid1(VALU_DEP_1)
	v_frexp_exp_i32_f64_e32 v94, v[94:95]
	v_frexp_mant_f32_e32 v95, v96
	v_cmp_gt_f32_e32 vcc_lo, 0x3f2aaaab, v95
	v_add_f32_e32 v95, -1.0, v96
	s_delay_alu instid0(VALU_DEP_1) | instskip(NEXT) | instid1(VALU_DEP_1)
	v_dual_sub_f32 v98, v95, v96 :: v_dual_sub_f32 v95, v17, v95
	v_add_f32_e32 v98, 1.0, v98
	v_subrev_co_ci_u32_e32 v94, vcc_lo, 0, v94, vcc_lo
	s_delay_alu instid0(VALU_DEP_1) | instskip(SKIP_1) | instid1(VALU_DEP_2)
	v_sub_nc_u32_e32 v97, 0, v94
	v_cvt_f32_i32_e32 v94, v94
	v_ldexp_f32 v96, v96, v97
	v_add_f32_e32 v95, v95, v98
	s_delay_alu instid0(VALU_DEP_1) | instskip(NEXT) | instid1(VALU_DEP_3)
	v_ldexp_f32 v95, v95, v97
	v_add_f32_e32 v99, 1.0, v96
	s_delay_alu instid0(VALU_DEP_1) | instskip(NEXT) | instid1(VALU_DEP_1)
	v_add_f32_e32 v98, -1.0, v99
	v_sub_f32_e32 v98, v96, v98
	v_cmp_eq_f32_e32 vcc_lo, 0x7f800000, v17
	v_cmp_gt_f32_e64 s29, 0x33800000, v17
	s_delay_alu instid0(VALU_DEP_3) | instskip(NEXT) | instid1(VALU_DEP_2)
	v_dual_add_f32 v98, v95, v98 :: v_dual_add_f32 v97, -1.0, v96
	s_or_b32 vcc_lo, s29, vcc_lo
	s_delay_alu instid0(VALU_DEP_1) | instskip(NEXT) | instid1(VALU_DEP_1)
	v_add_f32_e32 v100, 1.0, v97
	v_sub_f32_e32 v96, v96, v100
	s_delay_alu instid0(VALU_DEP_3) | instskip(NEXT) | instid1(VALU_DEP_1)
	v_add_f32_e32 v100, v99, v98
	v_sub_f32_e32 v99, v99, v100
	s_delay_alu instid0(VALU_DEP_3) | instskip(SKIP_1) | instid1(VALU_DEP_2)
	v_add_f32_e32 v95, v95, v96
	v_rcp_f32_e32 v96, v100
	v_add_f32_e32 v98, v98, v99
	s_delay_alu instid0(VALU_DEP_2) | instskip(NEXT) | instid1(VALU_DEP_1)
	v_add_f32_e32 v101, v97, v95
	v_sub_f32_e32 v97, v97, v101
	s_waitcnt_depctr 0xfff
	v_dual_mul_f32 v102, v101, v96 :: v_dual_add_f32 v95, v95, v97
	s_delay_alu instid0(VALU_DEP_1) | instskip(NEXT) | instid1(VALU_DEP_1)
	v_mul_f32_e32 v103, v100, v102
	v_fma_f32 v99, v102, v100, -v103
	s_delay_alu instid0(VALU_DEP_1) | instskip(NEXT) | instid1(VALU_DEP_1)
	v_fmac_f32_e32 v99, v102, v98
	v_add_f32_e32 v104, v103, v99
	s_delay_alu instid0(VALU_DEP_1) | instskip(NEXT) | instid1(VALU_DEP_1)
	v_sub_f32_e32 v105, v101, v104
	v_sub_f32_e32 v101, v101, v105
	;; [unrolled: 1-line block ×3, first 2 shown]
	s_delay_alu instid0(VALU_DEP_2) | instskip(NEXT) | instid1(VALU_DEP_2)
	v_sub_f32_e32 v101, v101, v104
	v_sub_f32_e32 v97, v97, v99
	s_delay_alu instid0(VALU_DEP_2) | instskip(NEXT) | instid1(VALU_DEP_1)
	v_add_f32_e32 v95, v95, v101
	v_add_f32_e32 v95, v97, v95
	s_delay_alu instid0(VALU_DEP_1) | instskip(NEXT) | instid1(VALU_DEP_1)
	v_add_f32_e32 v97, v105, v95
	v_mul_f32_e32 v99, v96, v97
	s_delay_alu instid0(VALU_DEP_1) | instskip(NEXT) | instid1(VALU_DEP_1)
	v_dual_sub_f32 v104, v105, v97 :: v_dual_mul_f32 v101, v100, v99
	v_add_f32_e32 v95, v95, v104
	s_delay_alu instid0(VALU_DEP_2) | instskip(NEXT) | instid1(VALU_DEP_1)
	v_fma_f32 v100, v99, v100, -v101
	v_fmac_f32_e32 v100, v99, v98
	s_delay_alu instid0(VALU_DEP_1) | instskip(NEXT) | instid1(VALU_DEP_1)
	v_add_f32_e32 v98, v101, v100
	v_sub_f32_e32 v103, v97, v98
	v_sub_f32_e32 v101, v98, v101
	s_delay_alu instid0(VALU_DEP_2) | instskip(NEXT) | instid1(VALU_DEP_1)
	v_sub_f32_e32 v97, v97, v103
	v_sub_f32_e32 v97, v97, v98
	s_delay_alu instid0(VALU_DEP_1) | instskip(SKIP_1) | instid1(VALU_DEP_1)
	v_dual_sub_f32 v98, v101, v100 :: v_dual_add_f32 v95, v95, v97
	v_add_f32_e32 v97, v102, v99
	v_dual_add_f32 v95, v98, v95 :: v_dual_sub_f32 v98, v97, v102
	s_delay_alu instid0(VALU_DEP_1) | instskip(NEXT) | instid1(VALU_DEP_1)
	v_add_f32_e32 v95, v103, v95
	v_dual_sub_f32 v98, v99, v98 :: v_dual_mul_f32 v95, v96, v95
	s_delay_alu instid0(VALU_DEP_1) | instskip(NEXT) | instid1(VALU_DEP_1)
	v_add_f32_e32 v95, v98, v95
	v_add_f32_e32 v96, v97, v95
	s_delay_alu instid0(VALU_DEP_1) | instskip(NEXT) | instid1(VALU_DEP_1)
	v_mul_f32_e32 v98, v96, v96
	v_fmaak_f32 v99, s84, v98, 0x3ecc95a3
	v_mul_f32_e32 v100, v96, v98
	s_delay_alu instid0(VALU_DEP_2) | instskip(SKIP_2) | instid1(VALU_DEP_3)
	v_fmaak_f32 v98, v98, v99, 0x3f2aaada
	v_ldexp_f32 v99, v96, 1
	v_sub_f32_e32 v96, v96, v97
	v_mul_f32_e32 v98, v100, v98
	s_delay_alu instid0(VALU_DEP_2) | instskip(NEXT) | instid1(VALU_DEP_2)
	v_dual_mul_f32 v100, 0x3f317218, v94 :: v_dual_sub_f32 v95, v95, v96
	v_add_f32_e32 v97, v99, v98
	s_delay_alu instid0(VALU_DEP_2) | instskip(NEXT) | instid1(VALU_DEP_2)
	v_ldexp_f32 v95, v95, 1
	v_sub_f32_e32 v96, v97, v99
	s_delay_alu instid0(VALU_DEP_4) | instskip(NEXT) | instid1(VALU_DEP_1)
	v_fma_f32 v99, 0x3f317218, v94, -v100
	v_dual_sub_f32 v96, v98, v96 :: v_dual_fmac_f32 v99, 0xb102e308, v94
	s_delay_alu instid0(VALU_DEP_1) | instskip(NEXT) | instid1(VALU_DEP_1)
	v_dual_add_f32 v94, v95, v96 :: v_dual_add_f32 v95, v100, v99
	v_add_f32_e32 v96, v97, v94
	s_delay_alu instid0(VALU_DEP_2) | instskip(NEXT) | instid1(VALU_DEP_2)
	v_sub_f32_e32 v100, v95, v100
	v_dual_add_f32 v98, v95, v96 :: v_dual_sub_f32 v97, v96, v97
	s_delay_alu instid0(VALU_DEP_2) | instskip(NEXT) | instid1(VALU_DEP_2)
	v_sub_f32_e32 v99, v99, v100
	v_sub_f32_e32 v101, v98, v95
	s_delay_alu instid0(VALU_DEP_3) | instskip(NEXT) | instid1(VALU_DEP_2)
	v_sub_f32_e32 v94, v94, v97
	v_sub_f32_e32 v102, v98, v101
	s_delay_alu instid0(VALU_DEP_2) | instskip(NEXT) | instid1(VALU_DEP_2)
	v_dual_sub_f32 v96, v96, v101 :: v_dual_add_f32 v97, v99, v94
	v_sub_f32_e32 v95, v95, v102
	s_delay_alu instid0(VALU_DEP_1) | instskip(NEXT) | instid1(VALU_DEP_3)
	v_add_f32_e32 v95, v96, v95
	v_sub_f32_e32 v96, v97, v99
	s_delay_alu instid0(VALU_DEP_2) | instskip(NEXT) | instid1(VALU_DEP_2)
	v_add_f32_e32 v95, v97, v95
	v_sub_f32_e32 v97, v97, v96
	v_sub_f32_e32 v94, v94, v96
	s_delay_alu instid0(VALU_DEP_2) | instskip(NEXT) | instid1(VALU_DEP_1)
	v_dual_add_f32 v100, v98, v95 :: v_dual_sub_f32 v97, v99, v97
	v_sub_f32_e32 v96, v100, v98
	s_delay_alu instid0(VALU_DEP_1) | instskip(NEXT) | instid1(VALU_DEP_1)
	v_dual_add_f32 v94, v94, v97 :: v_dual_sub_f32 v95, v95, v96
	v_add_f32_e32 v94, v94, v95
	s_delay_alu instid0(VALU_DEP_1) | instskip(NEXT) | instid1(VALU_DEP_1)
	v_add_f32_e32 v94, v100, v94
	v_cndmask_b32_e32 v94, v94, v17, vcc_lo
.LBB92_76:                              ;   in Loop: Header=BB92_12 Depth=1
	s_or_b32 exec_lo, exec_lo, s30
	v_lshrrev_b32_e32 v12, 16, v12
	s_delay_alu instid0(VALU_DEP_1) | instskip(NEXT) | instid1(VALU_DEP_1)
	v_cvt_f32_f16_e32 v12, v12
	v_add_f32_e32 v95, s67, v12
	s_delay_alu instid0(VALU_DEP_1) | instskip(SKIP_1) | instid1(SALU_CYCLE_1)
	v_cmp_ge_f32_e32 vcc_lo, 0x41a00000, v95
	s_and_b32 s29, s80, vcc_lo
	s_and_saveexec_b32 s30, s29
	s_cbranch_execz .LBB92_78
; %bb.77:                               ;   in Loop: Header=BB92_12 Depth=1
	v_mul_f32_e32 v12, 0x3fb8aa3b, v95
	v_cmp_ngt_f32_e32 vcc_lo, 0xc2ce8ed0, v95
	s_delay_alu instid0(VALU_DEP_2) | instskip(SKIP_1) | instid1(VALU_DEP_2)
	v_rndne_f32_e32 v17, v12
	v_fma_f32 v96, 0x3fb8aa3b, v95, -v12
	v_sub_f32_e32 v12, v12, v17
	s_delay_alu instid0(VALU_DEP_2) | instskip(SKIP_1) | instid1(VALU_DEP_2)
	v_fmac_f32_e32 v96, 0x32a5705f, v95
	v_cvt_i32_f32_e32 v17, v17
	v_add_f32_e32 v12, v12, v96
	s_delay_alu instid0(VALU_DEP_1) | instskip(SKIP_2) | instid1(VALU_DEP_1)
	v_exp_f32_e32 v12, v12
	s_waitcnt_depctr 0xfff
	v_ldexp_f32 v12, v12, v17
	v_cndmask_b32_e32 v12, 0, v12, vcc_lo
	v_cmp_nlt_f32_e32 vcc_lo, 0x42b17218, v95
	s_delay_alu instid0(VALU_DEP_2) | instskip(NEXT) | instid1(VALU_DEP_1)
	v_cndmask_b32_e32 v12, 0x7f800000, v12, vcc_lo
	v_add_f32_e32 v17, 1.0, v12
	s_delay_alu instid0(VALU_DEP_1) | instskip(NEXT) | instid1(VALU_DEP_1)
	v_cvt_f64_f32_e32 v[95:96], v17
	v_frexp_exp_i32_f64_e32 v95, v[95:96]
	v_frexp_mant_f32_e32 v96, v17
	s_delay_alu instid0(VALU_DEP_1) | instskip(SKIP_1) | instid1(VALU_DEP_1)
	v_cmp_gt_f32_e32 vcc_lo, 0x3f2aaaab, v96
	v_add_f32_e32 v96, -1.0, v17
	v_sub_f32_e32 v98, v96, v17
	v_sub_f32_e32 v96, v12, v96
	s_delay_alu instid0(VALU_DEP_2) | instskip(NEXT) | instid1(VALU_DEP_1)
	v_add_f32_e32 v98, 1.0, v98
	v_add_f32_e32 v96, v96, v98
	v_subrev_co_ci_u32_e32 v95, vcc_lo, 0, v95, vcc_lo
	s_delay_alu instid0(VALU_DEP_1) | instskip(SKIP_1) | instid1(VALU_DEP_2)
	v_sub_nc_u32_e32 v97, 0, v95
	v_cvt_f32_i32_e32 v95, v95
	v_ldexp_f32 v17, v17, v97
	v_ldexp_f32 v96, v96, v97
	s_delay_alu instid0(VALU_DEP_2) | instskip(NEXT) | instid1(VALU_DEP_1)
	v_add_f32_e32 v99, 1.0, v17
	v_dual_add_f32 v97, -1.0, v17 :: v_dual_add_f32 v98, -1.0, v99
	s_delay_alu instid0(VALU_DEP_1) | instskip(NEXT) | instid1(VALU_DEP_2)
	v_add_f32_e32 v100, 1.0, v97
	v_sub_f32_e32 v98, v17, v98
	s_delay_alu instid0(VALU_DEP_2) | instskip(NEXT) | instid1(VALU_DEP_1)
	v_sub_f32_e32 v17, v17, v100
	v_add_f32_e32 v17, v96, v17
	s_delay_alu instid0(VALU_DEP_1) | instskip(SKIP_2) | instid1(VALU_DEP_3)
	v_add_f32_e32 v101, v97, v17
	v_cmp_eq_f32_e32 vcc_lo, 0x7f800000, v12
	v_cmp_gt_f32_e64 s29, 0x33800000, v12
	v_dual_sub_f32 v97, v97, v101 :: v_dual_add_f32 v98, v96, v98
	s_delay_alu instid0(VALU_DEP_2) | instskip(NEXT) | instid1(VALU_DEP_1)
	s_or_b32 vcc_lo, s29, vcc_lo
	v_dual_add_f32 v17, v17, v97 :: v_dual_add_f32 v100, v99, v98
	s_delay_alu instid0(VALU_DEP_1) | instskip(SKIP_1) | instid1(VALU_DEP_1)
	v_rcp_f32_e32 v96, v100
	v_sub_f32_e32 v99, v99, v100
	v_add_f32_e32 v98, v98, v99
	s_waitcnt_depctr 0xfff
	v_mul_f32_e32 v102, v101, v96
	s_delay_alu instid0(VALU_DEP_1) | instskip(NEXT) | instid1(VALU_DEP_1)
	v_mul_f32_e32 v103, v100, v102
	v_fma_f32 v99, v102, v100, -v103
	s_delay_alu instid0(VALU_DEP_1) | instskip(NEXT) | instid1(VALU_DEP_1)
	v_fmac_f32_e32 v99, v102, v98
	v_add_f32_e32 v104, v103, v99
	s_delay_alu instid0(VALU_DEP_1) | instskip(SKIP_1) | instid1(VALU_DEP_2)
	v_sub_f32_e32 v105, v101, v104
	v_sub_f32_e32 v97, v104, v103
	;; [unrolled: 1-line block ×3, first 2 shown]
	s_delay_alu instid0(VALU_DEP_2) | instskip(NEXT) | instid1(VALU_DEP_2)
	v_sub_f32_e32 v97, v97, v99
	v_sub_f32_e32 v101, v101, v104
	s_delay_alu instid0(VALU_DEP_1) | instskip(NEXT) | instid1(VALU_DEP_1)
	v_add_f32_e32 v17, v17, v101
	v_add_f32_e32 v17, v97, v17
	s_delay_alu instid0(VALU_DEP_1) | instskip(NEXT) | instid1(VALU_DEP_1)
	v_add_f32_e32 v97, v105, v17
	v_mul_f32_e32 v99, v96, v97
	s_delay_alu instid0(VALU_DEP_1) | instskip(NEXT) | instid1(VALU_DEP_1)
	v_mul_f32_e32 v101, v100, v99
	v_fma_f32 v100, v99, v100, -v101
	s_delay_alu instid0(VALU_DEP_1) | instskip(SKIP_1) | instid1(VALU_DEP_2)
	v_fmac_f32_e32 v100, v99, v98
	v_sub_f32_e32 v104, v105, v97
	v_add_f32_e32 v98, v101, v100
	s_delay_alu instid0(VALU_DEP_2) | instskip(NEXT) | instid1(VALU_DEP_2)
	v_add_f32_e32 v17, v17, v104
	v_sub_f32_e32 v103, v97, v98
	s_delay_alu instid0(VALU_DEP_1) | instskip(NEXT) | instid1(VALU_DEP_1)
	v_sub_f32_e32 v97, v97, v103
	v_sub_f32_e32 v97, v97, v98
	s_delay_alu instid0(VALU_DEP_1) | instskip(SKIP_2) | instid1(VALU_DEP_1)
	v_add_f32_e32 v17, v17, v97
	v_add_f32_e32 v97, v102, v99
	v_sub_f32_e32 v101, v98, v101
	v_sub_f32_e32 v98, v101, v100
	s_delay_alu instid0(VALU_DEP_1) | instskip(NEXT) | instid1(VALU_DEP_1)
	v_dual_add_f32 v17, v98, v17 :: v_dual_sub_f32 v98, v97, v102
	v_add_f32_e32 v17, v103, v17
	s_delay_alu instid0(VALU_DEP_1) | instskip(NEXT) | instid1(VALU_DEP_1)
	v_dual_sub_f32 v98, v99, v98 :: v_dual_mul_f32 v17, v96, v17
	v_add_f32_e32 v17, v98, v17
	s_delay_alu instid0(VALU_DEP_1) | instskip(NEXT) | instid1(VALU_DEP_1)
	v_add_f32_e32 v96, v97, v17
	v_mul_f32_e32 v98, v96, v96
	s_delay_alu instid0(VALU_DEP_1) | instskip(SKIP_1) | instid1(VALU_DEP_2)
	v_fmaak_f32 v99, s84, v98, 0x3ecc95a3
	v_mul_f32_e32 v100, v96, v98
	v_fmaak_f32 v98, v98, v99, 0x3f2aaada
	v_ldexp_f32 v99, v96, 1
	s_delay_alu instid0(VALU_DEP_2) | instskip(SKIP_1) | instid1(VALU_DEP_2)
	v_mul_f32_e32 v98, v100, v98
	v_sub_f32_e32 v96, v96, v97
	v_dual_mul_f32 v100, 0x3f317218, v95 :: v_dual_add_f32 v97, v99, v98
	s_delay_alu instid0(VALU_DEP_2) | instskip(NEXT) | instid1(VALU_DEP_2)
	v_sub_f32_e32 v17, v17, v96
	v_sub_f32_e32 v96, v97, v99
	s_delay_alu instid0(VALU_DEP_3) | instskip(NEXT) | instid1(VALU_DEP_3)
	v_fma_f32 v99, 0x3f317218, v95, -v100
	v_ldexp_f32 v17, v17, 1
	s_delay_alu instid0(VALU_DEP_2) | instskip(NEXT) | instid1(VALU_DEP_1)
	v_dual_sub_f32 v96, v98, v96 :: v_dual_fmac_f32 v99, 0xb102e308, v95
	v_add_f32_e32 v17, v17, v96
	s_delay_alu instid0(VALU_DEP_1) | instskip(NEXT) | instid1(VALU_DEP_1)
	v_dual_add_f32 v95, v100, v99 :: v_dual_add_f32 v96, v97, v17
	v_sub_f32_e32 v100, v95, v100
	s_delay_alu instid0(VALU_DEP_2) | instskip(NEXT) | instid1(VALU_DEP_2)
	v_dual_add_f32 v98, v95, v96 :: v_dual_sub_f32 v97, v96, v97
	v_sub_f32_e32 v99, v99, v100
	s_delay_alu instid0(VALU_DEP_2) | instskip(NEXT) | instid1(VALU_DEP_1)
	v_sub_f32_e32 v101, v98, v95
	v_sub_f32_e32 v102, v98, v101
	;; [unrolled: 1-line block ×4, first 2 shown]
	s_delay_alu instid0(VALU_DEP_1) | instskip(NEXT) | instid1(VALU_DEP_4)
	v_add_f32_e32 v97, v99, v17
	v_sub_f32_e32 v95, v95, v102
	s_delay_alu instid0(VALU_DEP_1) | instskip(NEXT) | instid1(VALU_DEP_3)
	v_add_f32_e32 v95, v96, v95
	v_sub_f32_e32 v96, v97, v99
	s_delay_alu instid0(VALU_DEP_2) | instskip(NEXT) | instid1(VALU_DEP_2)
	v_add_f32_e32 v95, v97, v95
	v_sub_f32_e32 v97, v97, v96
	s_delay_alu instid0(VALU_DEP_2) | instskip(NEXT) | instid1(VALU_DEP_1)
	v_dual_sub_f32 v17, v17, v96 :: v_dual_add_f32 v100, v98, v95
	v_dual_sub_f32 v96, v100, v98 :: v_dual_sub_f32 v97, v99, v97
	s_delay_alu instid0(VALU_DEP_1) | instskip(NEXT) | instid1(VALU_DEP_2)
	v_sub_f32_e32 v95, v95, v96
	v_add_f32_e32 v17, v17, v97
	s_delay_alu instid0(VALU_DEP_1) | instskip(NEXT) | instid1(VALU_DEP_1)
	v_add_f32_e32 v17, v17, v95
	v_add_f32_e32 v17, v100, v17
	s_delay_alu instid0(VALU_DEP_1)
	v_cndmask_b32_e32 v95, v17, v12, vcc_lo
.LBB92_78:                              ;   in Loop: Header=BB92_12 Depth=1
	s_or_b32 exec_lo, exec_lo, s30
	v_cvt_f32_f16_e32 v12, v13
	s_delay_alu instid0(VALU_DEP_1) | instskip(NEXT) | instid1(VALU_DEP_1)
	v_add_f32_e32 v96, s67, v12
	v_cmp_ge_f32_e32 vcc_lo, 0x41a00000, v96
	s_and_b32 s29, s80, vcc_lo
	s_delay_alu instid0(SALU_CYCLE_1)
	s_and_saveexec_b32 s30, s29
	s_cbranch_execz .LBB92_80
; %bb.79:                               ;   in Loop: Header=BB92_12 Depth=1
	v_mul_f32_e32 v12, 0x3fb8aa3b, v96
	v_cmp_ngt_f32_e32 vcc_lo, 0xc2ce8ed0, v96
	s_delay_alu instid0(VALU_DEP_2) | instskip(SKIP_1) | instid1(VALU_DEP_1)
	v_rndne_f32_e32 v17, v12
	v_fma_f32 v97, 0x3fb8aa3b, v96, -v12
	v_dual_sub_f32 v12, v12, v17 :: v_dual_fmac_f32 v97, 0x32a5705f, v96
	v_cvt_i32_f32_e32 v17, v17
	s_delay_alu instid0(VALU_DEP_2) | instskip(NEXT) | instid1(VALU_DEP_1)
	v_add_f32_e32 v12, v12, v97
	v_exp_f32_e32 v12, v12
	s_waitcnt_depctr 0xfff
	v_ldexp_f32 v12, v12, v17
	s_delay_alu instid0(VALU_DEP_1) | instskip(SKIP_1) | instid1(VALU_DEP_2)
	v_cndmask_b32_e32 v12, 0, v12, vcc_lo
	v_cmp_nlt_f32_e32 vcc_lo, 0x42b17218, v96
	v_cndmask_b32_e32 v12, 0x7f800000, v12, vcc_lo
	s_delay_alu instid0(VALU_DEP_1) | instskip(NEXT) | instid1(VALU_DEP_1)
	v_add_f32_e32 v17, 1.0, v12
	v_cvt_f64_f32_e32 v[96:97], v17
	s_delay_alu instid0(VALU_DEP_1) | instskip(SKIP_1) | instid1(VALU_DEP_1)
	v_frexp_exp_i32_f64_e32 v96, v[96:97]
	v_frexp_mant_f32_e32 v97, v17
	v_cmp_gt_f32_e32 vcc_lo, 0x3f2aaaab, v97
	v_add_f32_e32 v97, -1.0, v17
	s_delay_alu instid0(VALU_DEP_1) | instskip(SKIP_1) | instid1(VALU_DEP_2)
	v_sub_f32_e32 v99, v97, v17
	v_sub_f32_e32 v97, v12, v97
	v_add_f32_e32 v99, 1.0, v99
	s_delay_alu instid0(VALU_DEP_1) | instskip(SKIP_3) | instid1(VALU_DEP_2)
	v_add_f32_e32 v97, v97, v99
	v_cmp_gt_f32_e64 s29, 0x33800000, v12
	v_subrev_co_ci_u32_e32 v96, vcc_lo, 0, v96, vcc_lo
	v_cmp_eq_f32_e32 vcc_lo, 0x7f800000, v12
	v_sub_nc_u32_e32 v98, 0, v96
	v_cvt_f32_i32_e32 v96, v96
	s_or_b32 vcc_lo, s29, vcc_lo
	s_delay_alu instid0(VALU_DEP_2) | instskip(SKIP_1) | instid1(VALU_DEP_2)
	v_ldexp_f32 v17, v17, v98
	v_ldexp_f32 v97, v97, v98
	v_add_f32_e32 v100, 1.0, v17
	s_delay_alu instid0(VALU_DEP_1) | instskip(NEXT) | instid1(VALU_DEP_1)
	v_dual_add_f32 v98, -1.0, v17 :: v_dual_add_f32 v99, -1.0, v100
	v_add_f32_e32 v101, 1.0, v98
	s_delay_alu instid0(VALU_DEP_2) | instskip(NEXT) | instid1(VALU_DEP_2)
	v_sub_f32_e32 v99, v17, v99
	v_sub_f32_e32 v17, v17, v101
	s_delay_alu instid0(VALU_DEP_1) | instskip(NEXT) | instid1(VALU_DEP_1)
	v_add_f32_e32 v17, v97, v17
	v_dual_add_f32 v102, v98, v17 :: v_dual_add_f32 v99, v97, v99
	s_delay_alu instid0(VALU_DEP_1) | instskip(NEXT) | instid1(VALU_DEP_1)
	v_dual_sub_f32 v98, v98, v102 :: v_dual_add_f32 v101, v100, v99
	v_rcp_f32_e32 v97, v101
	v_sub_f32_e32 v100, v100, v101
	s_delay_alu instid0(VALU_DEP_1) | instskip(SKIP_2) | instid1(VALU_DEP_1)
	v_add_f32_e32 v99, v99, v100
	s_waitcnt_depctr 0xfff
	v_mul_f32_e32 v103, v102, v97
	v_mul_f32_e32 v104, v101, v103
	s_delay_alu instid0(VALU_DEP_1) | instskip(NEXT) | instid1(VALU_DEP_1)
	v_fma_f32 v100, v103, v101, -v104
	v_fmac_f32_e32 v100, v103, v99
	s_delay_alu instid0(VALU_DEP_1) | instskip(NEXT) | instid1(VALU_DEP_1)
	v_add_f32_e32 v105, v104, v100
	v_sub_f32_e32 v106, v102, v105
	s_delay_alu instid0(VALU_DEP_1) | instskip(SKIP_2) | instid1(VALU_DEP_3)
	v_sub_f32_e32 v102, v102, v106
	v_add_f32_e32 v17, v17, v98
	v_sub_f32_e32 v98, v105, v104
	v_sub_f32_e32 v102, v102, v105
	s_delay_alu instid0(VALU_DEP_1) | instskip(NEXT) | instid1(VALU_DEP_1)
	v_dual_sub_f32 v98, v98, v100 :: v_dual_add_f32 v17, v17, v102
	v_add_f32_e32 v17, v98, v17
	s_delay_alu instid0(VALU_DEP_1) | instskip(NEXT) | instid1(VALU_DEP_1)
	v_add_f32_e32 v98, v106, v17
	v_mul_f32_e32 v100, v97, v98
	s_delay_alu instid0(VALU_DEP_1) | instskip(NEXT) | instid1(VALU_DEP_1)
	v_dual_sub_f32 v105, v106, v98 :: v_dual_mul_f32 v102, v101, v100
	v_add_f32_e32 v17, v17, v105
	s_delay_alu instid0(VALU_DEP_2) | instskip(NEXT) | instid1(VALU_DEP_1)
	v_fma_f32 v101, v100, v101, -v102
	v_fmac_f32_e32 v101, v100, v99
	s_delay_alu instid0(VALU_DEP_1) | instskip(NEXT) | instid1(VALU_DEP_1)
	v_add_f32_e32 v99, v102, v101
	v_sub_f32_e32 v104, v98, v99
	s_delay_alu instid0(VALU_DEP_1) | instskip(NEXT) | instid1(VALU_DEP_1)
	v_sub_f32_e32 v98, v98, v104
	v_sub_f32_e32 v98, v98, v99
	s_delay_alu instid0(VALU_DEP_1) | instskip(SKIP_1) | instid1(VALU_DEP_1)
	v_dual_add_f32 v17, v17, v98 :: v_dual_add_f32 v98, v103, v100
	v_sub_f32_e32 v102, v99, v102
	v_sub_f32_e32 v99, v102, v101
	s_delay_alu instid0(VALU_DEP_1) | instskip(NEXT) | instid1(VALU_DEP_4)
	v_add_f32_e32 v17, v99, v17
	v_sub_f32_e32 v99, v98, v103
	s_delay_alu instid0(VALU_DEP_2) | instskip(NEXT) | instid1(VALU_DEP_2)
	v_add_f32_e32 v17, v104, v17
	v_sub_f32_e32 v99, v100, v99
	s_delay_alu instid0(VALU_DEP_2) | instskip(NEXT) | instid1(VALU_DEP_1)
	v_mul_f32_e32 v17, v97, v17
	v_add_f32_e32 v17, v99, v17
	s_delay_alu instid0(VALU_DEP_1) | instskip(NEXT) | instid1(VALU_DEP_1)
	v_add_f32_e32 v97, v98, v17
	v_mul_f32_e32 v99, v97, v97
	s_delay_alu instid0(VALU_DEP_1) | instskip(SKIP_1) | instid1(VALU_DEP_2)
	v_fmaak_f32 v100, s84, v99, 0x3ecc95a3
	v_mul_f32_e32 v101, v97, v99
	v_fmaak_f32 v99, v99, v100, 0x3f2aaada
	v_ldexp_f32 v100, v97, 1
	v_sub_f32_e32 v97, v97, v98
	s_delay_alu instid0(VALU_DEP_3) | instskip(SKIP_1) | instid1(VALU_DEP_2)
	v_mul_f32_e32 v99, v101, v99
	v_mul_f32_e32 v101, 0x3f317218, v96
	v_dual_sub_f32 v17, v17, v97 :: v_dual_add_f32 v98, v100, v99
	s_delay_alu instid0(VALU_DEP_1) | instskip(NEXT) | instid1(VALU_DEP_2)
	v_ldexp_f32 v17, v17, 1
	v_sub_f32_e32 v97, v98, v100
	s_delay_alu instid0(VALU_DEP_4) | instskip(NEXT) | instid1(VALU_DEP_1)
	v_fma_f32 v100, 0x3f317218, v96, -v101
	v_dual_sub_f32 v97, v99, v97 :: v_dual_fmac_f32 v100, 0xb102e308, v96
	s_delay_alu instid0(VALU_DEP_1) | instskip(NEXT) | instid1(VALU_DEP_1)
	v_add_f32_e32 v17, v17, v97
	v_dual_add_f32 v96, v101, v100 :: v_dual_add_f32 v97, v98, v17
	s_delay_alu instid0(VALU_DEP_1) | instskip(NEXT) | instid1(VALU_DEP_2)
	v_sub_f32_e32 v101, v96, v101
	v_dual_add_f32 v99, v96, v97 :: v_dual_sub_f32 v98, v97, v98
	s_delay_alu instid0(VALU_DEP_2) | instskip(NEXT) | instid1(VALU_DEP_2)
	v_sub_f32_e32 v100, v100, v101
	v_dual_sub_f32 v102, v99, v96 :: v_dual_sub_f32 v17, v17, v98
	s_delay_alu instid0(VALU_DEP_1) | instskip(NEXT) | instid1(VALU_DEP_2)
	v_sub_f32_e32 v103, v99, v102
	v_dual_sub_f32 v97, v97, v102 :: v_dual_add_f32 v98, v100, v17
	s_delay_alu instid0(VALU_DEP_2) | instskip(NEXT) | instid1(VALU_DEP_1)
	v_sub_f32_e32 v96, v96, v103
	v_add_f32_e32 v96, v97, v96
	s_delay_alu instid0(VALU_DEP_3) | instskip(NEXT) | instid1(VALU_DEP_2)
	v_sub_f32_e32 v97, v98, v100
	v_add_f32_e32 v96, v98, v96
	s_delay_alu instid0(VALU_DEP_2) | instskip(SKIP_1) | instid1(VALU_DEP_2)
	v_sub_f32_e32 v98, v98, v97
	v_sub_f32_e32 v17, v17, v97
	v_dual_add_f32 v101, v99, v96 :: v_dual_sub_f32 v98, v100, v98
	s_delay_alu instid0(VALU_DEP_1) | instskip(NEXT) | instid1(VALU_DEP_1)
	v_sub_f32_e32 v97, v101, v99
	v_dual_add_f32 v17, v17, v98 :: v_dual_sub_f32 v96, v96, v97
	s_delay_alu instid0(VALU_DEP_1) | instskip(NEXT) | instid1(VALU_DEP_1)
	v_add_f32_e32 v17, v17, v96
	v_add_f32_e32 v17, v101, v17
	s_delay_alu instid0(VALU_DEP_1)
	v_cndmask_b32_e32 v96, v17, v12, vcc_lo
.LBB92_80:                              ;   in Loop: Header=BB92_12 Depth=1
	s_or_b32 exec_lo, exec_lo, s30
	v_lshrrev_b32_e32 v12, 16, v13
	s_delay_alu instid0(VALU_DEP_1) | instskip(NEXT) | instid1(VALU_DEP_1)
	v_cvt_f32_f16_e32 v12, v12
	v_add_f32_e32 v97, s67, v12
	s_delay_alu instid0(VALU_DEP_1) | instskip(SKIP_1) | instid1(SALU_CYCLE_1)
	v_cmp_ge_f32_e32 vcc_lo, 0x41a00000, v97
	s_and_b32 s29, s80, vcc_lo
	s_and_saveexec_b32 s30, s29
	s_cbranch_execz .LBB92_82
; %bb.81:                               ;   in Loop: Header=BB92_12 Depth=1
	v_mul_f32_e32 v12, 0x3fb8aa3b, v97
	v_cmp_ngt_f32_e32 vcc_lo, 0xc2ce8ed0, v97
	s_delay_alu instid0(VALU_DEP_2) | instskip(SKIP_1) | instid1(VALU_DEP_2)
	v_rndne_f32_e32 v13, v12
	v_fma_f32 v17, 0x3fb8aa3b, v97, -v12
	v_sub_f32_e32 v12, v12, v13
	s_delay_alu instid0(VALU_DEP_2) | instskip(SKIP_1) | instid1(VALU_DEP_2)
	v_fmac_f32_e32 v17, 0x32a5705f, v97
	v_cvt_i32_f32_e32 v13, v13
	v_add_f32_e32 v12, v12, v17
	s_delay_alu instid0(VALU_DEP_1) | instskip(SKIP_2) | instid1(VALU_DEP_1)
	v_exp_f32_e32 v12, v12
	s_waitcnt_depctr 0xfff
	v_ldexp_f32 v12, v12, v13
	v_cndmask_b32_e32 v12, 0, v12, vcc_lo
	v_cmp_nlt_f32_e32 vcc_lo, 0x42b17218, v97
	s_delay_alu instid0(VALU_DEP_2) | instskip(NEXT) | instid1(VALU_DEP_1)
	v_cndmask_b32_e32 v17, 0x7f800000, v12, vcc_lo
	v_add_f32_e32 v97, 1.0, v17
	s_delay_alu instid0(VALU_DEP_1) | instskip(NEXT) | instid1(VALU_DEP_1)
	v_cvt_f64_f32_e32 v[12:13], v97
	v_frexp_exp_i32_f64_e32 v12, v[12:13]
	v_frexp_mant_f32_e32 v13, v97
	s_delay_alu instid0(VALU_DEP_1) | instskip(SKIP_1) | instid1(VALU_DEP_1)
	v_cmp_gt_f32_e32 vcc_lo, 0x3f2aaaab, v13
	v_add_f32_e32 v13, -1.0, v97
	v_sub_f32_e32 v99, v13, v97
	s_delay_alu instid0(VALU_DEP_1) | instskip(SKIP_1) | instid1(VALU_DEP_1)
	v_add_f32_e32 v99, 1.0, v99
	v_subrev_co_ci_u32_e32 v12, vcc_lo, 0, v12, vcc_lo
	v_sub_nc_u32_e32 v98, 0, v12
	v_cvt_f32_i32_e32 v12, v12
	s_delay_alu instid0(VALU_DEP_2) | instskip(NEXT) | instid1(VALU_DEP_1)
	v_ldexp_f32 v97, v97, v98
	v_add_f32_e32 v100, 1.0, v97
	v_sub_f32_e32 v13, v17, v13
	v_cmp_eq_f32_e32 vcc_lo, 0x7f800000, v17
	v_cmp_gt_f32_e64 s29, 0x33800000, v17
	s_delay_alu instid0(VALU_DEP_3) | instskip(SKIP_1) | instid1(VALU_DEP_3)
	v_add_f32_e32 v13, v13, v99
	v_add_f32_e32 v99, -1.0, v100
	s_or_b32 vcc_lo, s29, vcc_lo
	s_delay_alu instid0(VALU_DEP_2) | instskip(NEXT) | instid1(VALU_DEP_2)
	v_ldexp_f32 v13, v13, v98
	v_dual_add_f32 v98, -1.0, v97 :: v_dual_sub_f32 v99, v97, v99
	s_delay_alu instid0(VALU_DEP_1) | instskip(NEXT) | instid1(VALU_DEP_2)
	v_add_f32_e32 v101, 1.0, v98
	v_add_f32_e32 v99, v13, v99
	s_delay_alu instid0(VALU_DEP_2) | instskip(NEXT) | instid1(VALU_DEP_1)
	v_sub_f32_e32 v97, v97, v101
	v_add_f32_e32 v13, v13, v97
	s_delay_alu instid0(VALU_DEP_1) | instskip(NEXT) | instid1(VALU_DEP_1)
	v_dual_add_f32 v102, v98, v13 :: v_dual_add_f32 v101, v100, v99
	v_sub_f32_e32 v98, v98, v102
	s_delay_alu instid0(VALU_DEP_2) | instskip(NEXT) | instid1(VALU_DEP_1)
	v_rcp_f32_e32 v97, v101
	v_dual_sub_f32 v100, v100, v101 :: v_dual_add_f32 v13, v13, v98
	s_delay_alu instid0(VALU_DEP_1) | instskip(SKIP_2) | instid1(VALU_DEP_1)
	v_add_f32_e32 v99, v99, v100
	s_waitcnt_depctr 0xfff
	v_mul_f32_e32 v103, v102, v97
	v_mul_f32_e32 v104, v101, v103
	s_delay_alu instid0(VALU_DEP_1) | instskip(NEXT) | instid1(VALU_DEP_1)
	v_fma_f32 v100, v103, v101, -v104
	v_fmac_f32_e32 v100, v103, v99
	s_delay_alu instid0(VALU_DEP_1) | instskip(NEXT) | instid1(VALU_DEP_1)
	v_add_f32_e32 v105, v104, v100
	v_sub_f32_e32 v106, v102, v105
	v_sub_f32_e32 v98, v105, v104
	s_delay_alu instid0(VALU_DEP_2) | instskip(NEXT) | instid1(VALU_DEP_2)
	v_sub_f32_e32 v102, v102, v106
	v_sub_f32_e32 v98, v98, v100
	s_delay_alu instid0(VALU_DEP_2) | instskip(NEXT) | instid1(VALU_DEP_1)
	v_sub_f32_e32 v102, v102, v105
	v_add_f32_e32 v13, v13, v102
	s_delay_alu instid0(VALU_DEP_1) | instskip(NEXT) | instid1(VALU_DEP_1)
	v_add_f32_e32 v13, v98, v13
	v_add_f32_e32 v98, v106, v13
	s_delay_alu instid0(VALU_DEP_1) | instskip(NEXT) | instid1(VALU_DEP_1)
	v_mul_f32_e32 v100, v97, v98
	v_dual_sub_f32 v105, v106, v98 :: v_dual_mul_f32 v102, v101, v100
	s_delay_alu instid0(VALU_DEP_1) | instskip(NEXT) | instid1(VALU_DEP_1)
	v_fma_f32 v101, v100, v101, -v102
	v_fmac_f32_e32 v101, v100, v99
	s_delay_alu instid0(VALU_DEP_1) | instskip(NEXT) | instid1(VALU_DEP_1)
	v_add_f32_e32 v99, v102, v101
	v_dual_add_f32 v13, v13, v105 :: v_dual_sub_f32 v104, v98, v99
	s_delay_alu instid0(VALU_DEP_1) | instskip(NEXT) | instid1(VALU_DEP_1)
	v_sub_f32_e32 v98, v98, v104
	v_sub_f32_e32 v98, v98, v99
	s_delay_alu instid0(VALU_DEP_1) | instskip(SKIP_1) | instid1(VALU_DEP_1)
	v_dual_add_f32 v13, v13, v98 :: v_dual_add_f32 v98, v103, v100
	v_sub_f32_e32 v102, v99, v102
	v_sub_f32_e32 v99, v102, v101
	s_delay_alu instid0(VALU_DEP_1) | instskip(NEXT) | instid1(VALU_DEP_4)
	v_add_f32_e32 v13, v99, v13
	v_sub_f32_e32 v99, v98, v103
	s_delay_alu instid0(VALU_DEP_2) | instskip(NEXT) | instid1(VALU_DEP_2)
	v_add_f32_e32 v13, v104, v13
	v_sub_f32_e32 v99, v100, v99
	s_delay_alu instid0(VALU_DEP_2) | instskip(NEXT) | instid1(VALU_DEP_1)
	v_mul_f32_e32 v13, v97, v13
	v_add_f32_e32 v13, v99, v13
	s_delay_alu instid0(VALU_DEP_1) | instskip(NEXT) | instid1(VALU_DEP_1)
	v_add_f32_e32 v97, v98, v13
	v_mul_f32_e32 v99, v97, v97
	s_delay_alu instid0(VALU_DEP_1) | instskip(SKIP_1) | instid1(VALU_DEP_2)
	v_fmaak_f32 v100, s84, v99, 0x3ecc95a3
	v_mul_f32_e32 v101, v97, v99
	v_fmaak_f32 v99, v99, v100, 0x3f2aaada
	v_ldexp_f32 v100, v97, 1
	v_sub_f32_e32 v97, v97, v98
	s_delay_alu instid0(VALU_DEP_3) | instskip(SKIP_1) | instid1(VALU_DEP_2)
	v_mul_f32_e32 v99, v101, v99
	v_mul_f32_e32 v101, 0x3f317218, v12
	v_dual_sub_f32 v13, v13, v97 :: v_dual_add_f32 v98, v100, v99
	s_delay_alu instid0(VALU_DEP_1) | instskip(NEXT) | instid1(VALU_DEP_2)
	v_ldexp_f32 v13, v13, 1
	v_sub_f32_e32 v97, v98, v100
	s_delay_alu instid0(VALU_DEP_4) | instskip(NEXT) | instid1(VALU_DEP_1)
	v_fma_f32 v100, 0x3f317218, v12, -v101
	v_dual_sub_f32 v97, v99, v97 :: v_dual_fmac_f32 v100, 0xb102e308, v12
	s_delay_alu instid0(VALU_DEP_1) | instskip(NEXT) | instid1(VALU_DEP_2)
	v_add_f32_e32 v12, v13, v97
	v_add_f32_e32 v13, v101, v100
	s_delay_alu instid0(VALU_DEP_2) | instskip(NEXT) | instid1(VALU_DEP_2)
	v_add_f32_e32 v97, v98, v12
	v_sub_f32_e32 v101, v13, v101
	s_delay_alu instid0(VALU_DEP_2) | instskip(SKIP_1) | instid1(VALU_DEP_3)
	v_add_f32_e32 v99, v13, v97
	v_sub_f32_e32 v98, v97, v98
	v_sub_f32_e32 v100, v100, v101
	s_delay_alu instid0(VALU_DEP_3) | instskip(NEXT) | instid1(VALU_DEP_3)
	v_sub_f32_e32 v102, v99, v13
	v_sub_f32_e32 v12, v12, v98
	s_delay_alu instid0(VALU_DEP_2) | instskip(NEXT) | instid1(VALU_DEP_2)
	v_sub_f32_e32 v103, v99, v102
	v_dual_sub_f32 v97, v97, v102 :: v_dual_add_f32 v98, v100, v12
	s_delay_alu instid0(VALU_DEP_2) | instskip(NEXT) | instid1(VALU_DEP_1)
	v_sub_f32_e32 v13, v13, v103
	v_add_f32_e32 v13, v97, v13
	s_delay_alu instid0(VALU_DEP_3) | instskip(NEXT) | instid1(VALU_DEP_2)
	v_sub_f32_e32 v97, v98, v100
	v_add_f32_e32 v13, v98, v13
	s_delay_alu instid0(VALU_DEP_2) | instskip(SKIP_1) | instid1(VALU_DEP_1)
	v_sub_f32_e32 v12, v12, v97
	v_sub_f32_e32 v98, v98, v97
	v_dual_add_f32 v101, v99, v13 :: v_dual_sub_f32 v98, v100, v98
	s_delay_alu instid0(VALU_DEP_1) | instskip(NEXT) | instid1(VALU_DEP_1)
	v_dual_sub_f32 v97, v101, v99 :: v_dual_add_f32 v12, v12, v98
	v_sub_f32_e32 v13, v13, v97
	s_delay_alu instid0(VALU_DEP_1) | instskip(NEXT) | instid1(VALU_DEP_1)
	v_add_f32_e32 v12, v12, v13
	v_add_f32_e32 v12, v101, v12
	s_delay_alu instid0(VALU_DEP_1)
	v_cndmask_b32_e32 v97, v12, v17, vcc_lo
.LBB92_82:                              ;   in Loop: Header=BB92_12 Depth=1
	s_or_b32 exec_lo, exec_lo, s30
	v_cvt_f32_f16_e32 v12, v14
	s_delay_alu instid0(VALU_DEP_1) | instskip(NEXT) | instid1(VALU_DEP_1)
	v_add_f32_e32 v98, s67, v12
	v_cmp_ge_f32_e32 vcc_lo, 0x41a00000, v98
	s_and_b32 s29, s80, vcc_lo
	s_delay_alu instid0(SALU_CYCLE_1)
	s_and_saveexec_b32 s30, s29
	s_cbranch_execz .LBB92_84
; %bb.83:                               ;   in Loop: Header=BB92_12 Depth=1
	v_mul_f32_e32 v12, 0x3fb8aa3b, v98
	v_cmp_ngt_f32_e32 vcc_lo, 0xc2ce8ed0, v98
	s_delay_alu instid0(VALU_DEP_2) | instskip(SKIP_1) | instid1(VALU_DEP_1)
	v_rndne_f32_e32 v13, v12
	v_fma_f32 v17, 0x3fb8aa3b, v98, -v12
	v_dual_sub_f32 v12, v12, v13 :: v_dual_fmac_f32 v17, 0x32a5705f, v98
	v_cvt_i32_f32_e32 v13, v13
	s_delay_alu instid0(VALU_DEP_2) | instskip(NEXT) | instid1(VALU_DEP_1)
	v_add_f32_e32 v12, v12, v17
	v_exp_f32_e32 v12, v12
	s_waitcnt_depctr 0xfff
	v_ldexp_f32 v12, v12, v13
	s_delay_alu instid0(VALU_DEP_1) | instskip(SKIP_1) | instid1(VALU_DEP_2)
	v_cndmask_b32_e32 v12, 0, v12, vcc_lo
	v_cmp_nlt_f32_e32 vcc_lo, 0x42b17218, v98
	v_cndmask_b32_e32 v17, 0x7f800000, v12, vcc_lo
	s_delay_alu instid0(VALU_DEP_1) | instskip(NEXT) | instid1(VALU_DEP_1)
	v_add_f32_e32 v98, 1.0, v17
	v_cvt_f64_f32_e32 v[12:13], v98
	s_delay_alu instid0(VALU_DEP_1) | instskip(SKIP_1) | instid1(VALU_DEP_1)
	v_frexp_exp_i32_f64_e32 v12, v[12:13]
	v_frexp_mant_f32_e32 v13, v98
	v_cmp_gt_f32_e32 vcc_lo, 0x3f2aaaab, v13
	v_add_f32_e32 v13, -1.0, v98
	s_delay_alu instid0(VALU_DEP_1) | instskip(SKIP_2) | instid1(VALU_DEP_3)
	v_sub_f32_e32 v100, v13, v98
	v_sub_f32_e32 v13, v17, v13
	v_cmp_gt_f32_e64 s29, 0x33800000, v17
	v_add_f32_e32 v100, 1.0, v100
	s_delay_alu instid0(VALU_DEP_1) | instskip(SKIP_2) | instid1(VALU_DEP_2)
	v_add_f32_e32 v13, v13, v100
	v_subrev_co_ci_u32_e32 v12, vcc_lo, 0, v12, vcc_lo
	v_cmp_eq_f32_e32 vcc_lo, 0x7f800000, v17
	v_sub_nc_u32_e32 v99, 0, v12
	v_cvt_f32_i32_e32 v12, v12
	s_or_b32 vcc_lo, s29, vcc_lo
	s_delay_alu instid0(VALU_DEP_2) | instskip(SKIP_1) | instid1(VALU_DEP_2)
	v_ldexp_f32 v98, v98, v99
	v_ldexp_f32 v13, v13, v99
	v_add_f32_e32 v99, -1.0, v98
	s_delay_alu instid0(VALU_DEP_1) | instskip(NEXT) | instid1(VALU_DEP_1)
	v_dual_add_f32 v101, 1.0, v98 :: v_dual_add_f32 v102, 1.0, v99
	v_add_f32_e32 v100, -1.0, v101
	s_delay_alu instid0(VALU_DEP_1) | instskip(NEXT) | instid1(VALU_DEP_3)
	v_sub_f32_e32 v100, v98, v100
	v_sub_f32_e32 v98, v98, v102
	s_delay_alu instid0(VALU_DEP_2) | instskip(NEXT) | instid1(VALU_DEP_2)
	v_add_f32_e32 v100, v13, v100
	v_add_f32_e32 v13, v13, v98
	s_delay_alu instid0(VALU_DEP_1) | instskip(NEXT) | instid1(VALU_DEP_1)
	v_dual_add_f32 v103, v99, v13 :: v_dual_add_f32 v102, v101, v100
	v_sub_f32_e32 v99, v99, v103
	s_delay_alu instid0(VALU_DEP_2) | instskip(SKIP_1) | instid1(VALU_DEP_1)
	v_rcp_f32_e32 v98, v102
	v_sub_f32_e32 v101, v101, v102
	v_dual_add_f32 v13, v13, v99 :: v_dual_add_f32 v100, v100, v101
	s_waitcnt_depctr 0xfff
	v_mul_f32_e32 v104, v103, v98
	s_delay_alu instid0(VALU_DEP_1) | instskip(NEXT) | instid1(VALU_DEP_1)
	v_mul_f32_e32 v105, v102, v104
	v_fma_f32 v101, v104, v102, -v105
	s_delay_alu instid0(VALU_DEP_1) | instskip(NEXT) | instid1(VALU_DEP_1)
	v_fmac_f32_e32 v101, v104, v100
	v_add_f32_e32 v106, v105, v101
	s_delay_alu instid0(VALU_DEP_1) | instskip(SKIP_1) | instid1(VALU_DEP_2)
	v_sub_f32_e32 v107, v103, v106
	v_sub_f32_e32 v99, v106, v105
	;; [unrolled: 1-line block ×3, first 2 shown]
	s_delay_alu instid0(VALU_DEP_2) | instskip(NEXT) | instid1(VALU_DEP_2)
	v_sub_f32_e32 v99, v99, v101
	v_sub_f32_e32 v103, v103, v106
	s_delay_alu instid0(VALU_DEP_1) | instskip(NEXT) | instid1(VALU_DEP_1)
	v_add_f32_e32 v13, v13, v103
	v_add_f32_e32 v13, v99, v13
	s_delay_alu instid0(VALU_DEP_1) | instskip(NEXT) | instid1(VALU_DEP_1)
	v_add_f32_e32 v99, v107, v13
	v_mul_f32_e32 v101, v98, v99
	s_delay_alu instid0(VALU_DEP_1) | instskip(NEXT) | instid1(VALU_DEP_1)
	v_dual_sub_f32 v106, v107, v99 :: v_dual_mul_f32 v103, v102, v101
	v_add_f32_e32 v13, v13, v106
	s_delay_alu instid0(VALU_DEP_2) | instskip(NEXT) | instid1(VALU_DEP_1)
	v_fma_f32 v102, v101, v102, -v103
	v_fmac_f32_e32 v102, v101, v100
	s_delay_alu instid0(VALU_DEP_1) | instskip(NEXT) | instid1(VALU_DEP_1)
	v_add_f32_e32 v100, v103, v102
	v_sub_f32_e32 v105, v99, v100
	s_delay_alu instid0(VALU_DEP_1) | instskip(NEXT) | instid1(VALU_DEP_1)
	v_sub_f32_e32 v99, v99, v105
	v_sub_f32_e32 v99, v99, v100
	s_delay_alu instid0(VALU_DEP_1) | instskip(SKIP_2) | instid1(VALU_DEP_1)
	v_add_f32_e32 v13, v13, v99
	v_add_f32_e32 v99, v104, v101
	v_sub_f32_e32 v103, v100, v103
	v_sub_f32_e32 v100, v103, v102
	s_delay_alu instid0(VALU_DEP_1) | instskip(NEXT) | instid1(VALU_DEP_1)
	v_dual_add_f32 v13, v100, v13 :: v_dual_sub_f32 v100, v99, v104
	v_add_f32_e32 v13, v105, v13
	s_delay_alu instid0(VALU_DEP_1) | instskip(NEXT) | instid1(VALU_DEP_1)
	v_dual_sub_f32 v100, v101, v100 :: v_dual_mul_f32 v13, v98, v13
	v_add_f32_e32 v13, v100, v13
	s_delay_alu instid0(VALU_DEP_1) | instskip(NEXT) | instid1(VALU_DEP_1)
	v_add_f32_e32 v98, v99, v13
	v_mul_f32_e32 v100, v98, v98
	s_delay_alu instid0(VALU_DEP_1) | instskip(SKIP_1) | instid1(VALU_DEP_2)
	v_fmaak_f32 v101, s84, v100, 0x3ecc95a3
	v_mul_f32_e32 v102, v98, v100
	v_fmaak_f32 v100, v100, v101, 0x3f2aaada
	v_ldexp_f32 v101, v98, 1
	v_sub_f32_e32 v98, v98, v99
	s_delay_alu instid0(VALU_DEP_3) | instskip(NEXT) | instid1(VALU_DEP_2)
	v_mul_f32_e32 v100, v102, v100
	v_dual_mul_f32 v102, 0x3f317218, v12 :: v_dual_sub_f32 v13, v13, v98
	s_delay_alu instid0(VALU_DEP_2) | instskip(NEXT) | instid1(VALU_DEP_2)
	v_add_f32_e32 v99, v101, v100
	v_ldexp_f32 v13, v13, 1
	s_delay_alu instid0(VALU_DEP_2) | instskip(NEXT) | instid1(VALU_DEP_4)
	v_sub_f32_e32 v98, v99, v101
	v_fma_f32 v101, 0x3f317218, v12, -v102
	s_delay_alu instid0(VALU_DEP_1) | instskip(NEXT) | instid1(VALU_DEP_1)
	v_dual_sub_f32 v98, v100, v98 :: v_dual_fmac_f32 v101, 0xb102e308, v12
	v_add_f32_e32 v12, v13, v98
	s_delay_alu instid0(VALU_DEP_1) | instskip(NEXT) | instid1(VALU_DEP_1)
	v_add_f32_e32 v98, v99, v12
	v_sub_f32_e32 v99, v98, v99
	s_delay_alu instid0(VALU_DEP_1) | instskip(NEXT) | instid1(VALU_DEP_1)
	v_dual_sub_f32 v12, v12, v99 :: v_dual_add_f32 v13, v102, v101
	v_add_f32_e32 v100, v13, v98
	s_delay_alu instid0(VALU_DEP_1) | instskip(NEXT) | instid1(VALU_DEP_1)
	v_dual_sub_f32 v102, v13, v102 :: v_dual_sub_f32 v103, v100, v13
	v_dual_sub_f32 v101, v101, v102 :: v_dual_sub_f32 v104, v100, v103
	s_delay_alu instid0(VALU_DEP_1) | instskip(NEXT) | instid1(VALU_DEP_2)
	v_dual_sub_f32 v98, v98, v103 :: v_dual_add_f32 v99, v101, v12
	v_sub_f32_e32 v13, v13, v104
	s_delay_alu instid0(VALU_DEP_1) | instskip(NEXT) | instid1(VALU_DEP_3)
	v_add_f32_e32 v13, v98, v13
	v_sub_f32_e32 v98, v99, v101
	s_delay_alu instid0(VALU_DEP_2) | instskip(NEXT) | instid1(VALU_DEP_2)
	v_add_f32_e32 v13, v99, v13
	v_sub_f32_e32 v99, v99, v98
	v_sub_f32_e32 v12, v12, v98
	s_delay_alu instid0(VALU_DEP_2) | instskip(NEXT) | instid1(VALU_DEP_1)
	v_dual_add_f32 v102, v100, v13 :: v_dual_sub_f32 v99, v101, v99
	v_sub_f32_e32 v98, v102, v100
	s_delay_alu instid0(VALU_DEP_1) | instskip(NEXT) | instid1(VALU_DEP_1)
	v_dual_add_f32 v12, v12, v99 :: v_dual_sub_f32 v13, v13, v98
	v_add_f32_e32 v12, v12, v13
	s_delay_alu instid0(VALU_DEP_1) | instskip(NEXT) | instid1(VALU_DEP_1)
	v_add_f32_e32 v12, v102, v12
	v_cndmask_b32_e32 v98, v12, v17, vcc_lo
.LBB92_84:                              ;   in Loop: Header=BB92_12 Depth=1
	s_or_b32 exec_lo, exec_lo, s30
	v_lshrrev_b32_e32 v12, 16, v14
	s_delay_alu instid0(VALU_DEP_1) | instskip(NEXT) | instid1(VALU_DEP_1)
	v_cvt_f32_f16_e32 v12, v12
	v_add_f32_e32 v99, s67, v12
	s_delay_alu instid0(VALU_DEP_1) | instskip(SKIP_1) | instid1(SALU_CYCLE_1)
	v_cmp_ge_f32_e32 vcc_lo, 0x41a00000, v99
	s_and_b32 s29, s80, vcc_lo
	s_and_saveexec_b32 s30, s29
	s_cbranch_execz .LBB92_86
; %bb.85:                               ;   in Loop: Header=BB92_12 Depth=1
	v_mul_f32_e32 v12, 0x3fb8aa3b, v99
	v_cmp_ngt_f32_e32 vcc_lo, 0xc2ce8ed0, v99
	s_delay_alu instid0(VALU_DEP_2) | instskip(SKIP_1) | instid1(VALU_DEP_2)
	v_rndne_f32_e32 v13, v12
	v_fma_f32 v14, 0x3fb8aa3b, v99, -v12
	v_sub_f32_e32 v12, v12, v13
	s_delay_alu instid0(VALU_DEP_2) | instskip(SKIP_1) | instid1(VALU_DEP_2)
	v_fmac_f32_e32 v14, 0x32a5705f, v99
	v_cvt_i32_f32_e32 v13, v13
	v_add_f32_e32 v12, v12, v14
	s_delay_alu instid0(VALU_DEP_1) | instskip(SKIP_2) | instid1(VALU_DEP_1)
	v_exp_f32_e32 v12, v12
	s_waitcnt_depctr 0xfff
	v_ldexp_f32 v12, v12, v13
	v_cndmask_b32_e32 v12, 0, v12, vcc_lo
	v_cmp_nlt_f32_e32 vcc_lo, 0x42b17218, v99
	s_delay_alu instid0(VALU_DEP_2) | instskip(NEXT) | instid1(VALU_DEP_1)
	v_cndmask_b32_e32 v14, 0x7f800000, v12, vcc_lo
	v_add_f32_e32 v17, 1.0, v14
	s_delay_alu instid0(VALU_DEP_1) | instskip(NEXT) | instid1(VALU_DEP_1)
	v_cvt_f64_f32_e32 v[12:13], v17
	v_frexp_exp_i32_f64_e32 v12, v[12:13]
	v_frexp_mant_f32_e32 v13, v17
	s_delay_alu instid0(VALU_DEP_1) | instskip(SKIP_1) | instid1(VALU_DEP_1)
	v_cmp_gt_f32_e32 vcc_lo, 0x3f2aaaab, v13
	v_add_f32_e32 v13, -1.0, v17
	v_sub_f32_e32 v100, v13, v17
	v_sub_f32_e32 v13, v14, v13
	v_subrev_co_ci_u32_e32 v12, vcc_lo, 0, v12, vcc_lo
	s_delay_alu instid0(VALU_DEP_1) | instskip(SKIP_1) | instid1(VALU_DEP_2)
	v_sub_nc_u32_e32 v99, 0, v12
	v_cvt_f32_i32_e32 v12, v12
	v_ldexp_f32 v17, v17, v99
	s_delay_alu instid0(VALU_DEP_1) | instskip(NEXT) | instid1(VALU_DEP_1)
	v_dual_add_f32 v100, 1.0, v100 :: v_dual_add_f32 v101, 1.0, v17
	v_dual_add_f32 v13, v13, v100 :: v_dual_add_f32 v100, -1.0, v101
	s_delay_alu instid0(VALU_DEP_1) | instskip(SKIP_4) | instid1(VALU_DEP_4)
	v_ldexp_f32 v13, v13, v99
	v_add_f32_e32 v99, -1.0, v17
	v_cmp_eq_f32_e32 vcc_lo, 0x7f800000, v14
	v_cmp_gt_f32_e64 s29, 0x33800000, v14
	v_sub_f32_e32 v100, v17, v100
	v_add_f32_e32 v102, 1.0, v99
	s_delay_alu instid0(VALU_DEP_3) | instskip(NEXT) | instid1(VALU_DEP_2)
	s_or_b32 vcc_lo, s29, vcc_lo
	v_add_f32_e32 v100, v13, v100
	s_delay_alu instid0(VALU_DEP_2) | instskip(NEXT) | instid1(VALU_DEP_1)
	v_sub_f32_e32 v17, v17, v102
	v_add_f32_e32 v13, v13, v17
	s_delay_alu instid0(VALU_DEP_1) | instskip(NEXT) | instid1(VALU_DEP_1)
	v_dual_add_f32 v103, v99, v13 :: v_dual_add_f32 v102, v101, v100
	v_sub_f32_e32 v99, v99, v103
	s_delay_alu instid0(VALU_DEP_2) | instskip(SKIP_1) | instid1(VALU_DEP_1)
	v_rcp_f32_e32 v17, v102
	v_sub_f32_e32 v101, v101, v102
	v_dual_add_f32 v13, v13, v99 :: v_dual_add_f32 v100, v100, v101
	s_waitcnt_depctr 0xfff
	v_mul_f32_e32 v104, v103, v17
	s_delay_alu instid0(VALU_DEP_1) | instskip(NEXT) | instid1(VALU_DEP_1)
	v_mul_f32_e32 v105, v102, v104
	v_fma_f32 v101, v104, v102, -v105
	s_delay_alu instid0(VALU_DEP_1) | instskip(NEXT) | instid1(VALU_DEP_1)
	v_fmac_f32_e32 v101, v104, v100
	v_add_f32_e32 v106, v105, v101
	s_delay_alu instid0(VALU_DEP_1) | instskip(NEXT) | instid1(VALU_DEP_1)
	v_sub_f32_e32 v107, v103, v106
	v_sub_f32_e32 v103, v103, v107
	;; [unrolled: 1-line block ×3, first 2 shown]
	s_delay_alu instid0(VALU_DEP_2) | instskip(NEXT) | instid1(VALU_DEP_2)
	v_sub_f32_e32 v103, v103, v106
	v_sub_f32_e32 v99, v99, v101
	s_delay_alu instid0(VALU_DEP_2) | instskip(NEXT) | instid1(VALU_DEP_1)
	v_add_f32_e32 v13, v13, v103
	v_add_f32_e32 v13, v99, v13
	s_delay_alu instid0(VALU_DEP_1) | instskip(NEXT) | instid1(VALU_DEP_1)
	v_add_f32_e32 v99, v107, v13
	v_mul_f32_e32 v101, v17, v99
	s_delay_alu instid0(VALU_DEP_1) | instskip(NEXT) | instid1(VALU_DEP_1)
	v_dual_sub_f32 v106, v107, v99 :: v_dual_mul_f32 v103, v102, v101
	v_add_f32_e32 v13, v13, v106
	s_delay_alu instid0(VALU_DEP_2) | instskip(NEXT) | instid1(VALU_DEP_1)
	v_fma_f32 v102, v101, v102, -v103
	v_fmac_f32_e32 v102, v101, v100
	s_delay_alu instid0(VALU_DEP_1) | instskip(NEXT) | instid1(VALU_DEP_1)
	v_add_f32_e32 v100, v103, v102
	v_sub_f32_e32 v105, v99, v100
	v_sub_f32_e32 v103, v100, v103
	s_delay_alu instid0(VALU_DEP_2) | instskip(NEXT) | instid1(VALU_DEP_1)
	v_sub_f32_e32 v99, v99, v105
	v_sub_f32_e32 v99, v99, v100
	s_delay_alu instid0(VALU_DEP_1) | instskip(SKIP_1) | instid1(VALU_DEP_1)
	v_dual_sub_f32 v100, v103, v102 :: v_dual_add_f32 v13, v13, v99
	v_add_f32_e32 v99, v104, v101
	v_dual_add_f32 v13, v100, v13 :: v_dual_sub_f32 v100, v99, v104
	s_delay_alu instid0(VALU_DEP_1) | instskip(NEXT) | instid1(VALU_DEP_2)
	v_add_f32_e32 v13, v105, v13
	v_sub_f32_e32 v100, v101, v100
	s_delay_alu instid0(VALU_DEP_2) | instskip(NEXT) | instid1(VALU_DEP_1)
	v_mul_f32_e32 v13, v17, v13
	v_add_f32_e32 v13, v100, v13
	s_delay_alu instid0(VALU_DEP_1) | instskip(NEXT) | instid1(VALU_DEP_1)
	v_add_f32_e32 v17, v99, v13
	v_mul_f32_e32 v100, v17, v17
	s_delay_alu instid0(VALU_DEP_1) | instskip(SKIP_1) | instid1(VALU_DEP_2)
	v_fmaak_f32 v101, s84, v100, 0x3ecc95a3
	v_mul_f32_e32 v102, v17, v100
	v_fmaak_f32 v100, v100, v101, 0x3f2aaada
	v_ldexp_f32 v101, v17, 1
	s_delay_alu instid0(VALU_DEP_2) | instskip(NEXT) | instid1(VALU_DEP_1)
	v_dual_sub_f32 v17, v17, v99 :: v_dual_mul_f32 v100, v102, v100
	v_dual_mul_f32 v102, 0x3f317218, v12 :: v_dual_sub_f32 v13, v13, v17
	s_delay_alu instid0(VALU_DEP_2) | instskip(NEXT) | instid1(VALU_DEP_2)
	v_add_f32_e32 v99, v101, v100
	v_ldexp_f32 v13, v13, 1
	s_delay_alu instid0(VALU_DEP_2) | instskip(NEXT) | instid1(VALU_DEP_4)
	v_sub_f32_e32 v17, v99, v101
	v_fma_f32 v101, 0x3f317218, v12, -v102
	s_delay_alu instid0(VALU_DEP_2) | instskip(NEXT) | instid1(VALU_DEP_1)
	v_sub_f32_e32 v17, v100, v17
	v_dual_fmac_f32 v101, 0xb102e308, v12 :: v_dual_add_f32 v12, v13, v17
	s_delay_alu instid0(VALU_DEP_1) | instskip(NEXT) | instid1(VALU_DEP_1)
	v_add_f32_e32 v13, v102, v101
	v_dual_add_f32 v17, v99, v12 :: v_dual_sub_f32 v102, v13, v102
	s_delay_alu instid0(VALU_DEP_1) | instskip(SKIP_1) | instid1(VALU_DEP_3)
	v_add_f32_e32 v100, v13, v17
	v_sub_f32_e32 v99, v17, v99
	v_sub_f32_e32 v101, v101, v102
	s_delay_alu instid0(VALU_DEP_3) | instskip(NEXT) | instid1(VALU_DEP_3)
	v_sub_f32_e32 v103, v100, v13
	v_sub_f32_e32 v12, v12, v99
	s_delay_alu instid0(VALU_DEP_2) | instskip(SKIP_1) | instid1(VALU_DEP_3)
	v_sub_f32_e32 v104, v100, v103
	v_sub_f32_e32 v17, v17, v103
	v_add_f32_e32 v99, v101, v12
	s_delay_alu instid0(VALU_DEP_3) | instskip(NEXT) | instid1(VALU_DEP_1)
	v_sub_f32_e32 v13, v13, v104
	v_add_f32_e32 v13, v17, v13
	s_delay_alu instid0(VALU_DEP_3) | instskip(NEXT) | instid1(VALU_DEP_2)
	v_sub_f32_e32 v17, v99, v101
	v_add_f32_e32 v13, v99, v13
	s_delay_alu instid0(VALU_DEP_2) | instskip(SKIP_1) | instid1(VALU_DEP_2)
	v_sub_f32_e32 v99, v99, v17
	v_sub_f32_e32 v12, v12, v17
	v_dual_add_f32 v102, v100, v13 :: v_dual_sub_f32 v99, v101, v99
	s_delay_alu instid0(VALU_DEP_1) | instskip(NEXT) | instid1(VALU_DEP_1)
	v_dual_sub_f32 v17, v102, v100 :: v_dual_add_f32 v12, v12, v99
	v_sub_f32_e32 v13, v13, v17
	s_delay_alu instid0(VALU_DEP_1) | instskip(NEXT) | instid1(VALU_DEP_1)
	v_add_f32_e32 v12, v12, v13
	v_add_f32_e32 v12, v102, v12
	s_delay_alu instid0(VALU_DEP_1)
	v_cndmask_b32_e32 v99, v12, v14, vcc_lo
.LBB92_86:                              ;   in Loop: Header=BB92_12 Depth=1
	s_or_b32 exec_lo, exec_lo, s30
	v_cvt_f32_f16_e32 v12, v15
	s_delay_alu instid0(VALU_DEP_1) | instskip(NEXT) | instid1(VALU_DEP_1)
	v_add_f32_e32 v100, s67, v12
	v_cmp_ge_f32_e32 vcc_lo, 0x41a00000, v100
	s_and_b32 s29, s80, vcc_lo
	s_delay_alu instid0(SALU_CYCLE_1)
	s_and_saveexec_b32 s30, s29
	s_cbranch_execz .LBB92_88
; %bb.87:                               ;   in Loop: Header=BB92_12 Depth=1
	v_mul_f32_e32 v12, 0x3fb8aa3b, v100
	v_cmp_ngt_f32_e32 vcc_lo, 0xc2ce8ed0, v100
	s_delay_alu instid0(VALU_DEP_2) | instskip(SKIP_1) | instid1(VALU_DEP_2)
	v_rndne_f32_e32 v13, v12
	v_fma_f32 v14, 0x3fb8aa3b, v100, -v12
	v_sub_f32_e32 v12, v12, v13
	s_delay_alu instid0(VALU_DEP_2) | instskip(SKIP_1) | instid1(VALU_DEP_2)
	v_fmac_f32_e32 v14, 0x32a5705f, v100
	v_cvt_i32_f32_e32 v13, v13
	v_add_f32_e32 v12, v12, v14
	s_delay_alu instid0(VALU_DEP_1) | instskip(SKIP_2) | instid1(VALU_DEP_1)
	v_exp_f32_e32 v12, v12
	s_waitcnt_depctr 0xfff
	v_ldexp_f32 v12, v12, v13
	v_cndmask_b32_e32 v12, 0, v12, vcc_lo
	v_cmp_nlt_f32_e32 vcc_lo, 0x42b17218, v100
	s_delay_alu instid0(VALU_DEP_2) | instskip(NEXT) | instid1(VALU_DEP_1)
	v_cndmask_b32_e32 v14, 0x7f800000, v12, vcc_lo
	v_add_f32_e32 v17, 1.0, v14
	s_delay_alu instid0(VALU_DEP_1) | instskip(NEXT) | instid1(VALU_DEP_1)
	v_cvt_f64_f32_e32 v[12:13], v17
	v_frexp_exp_i32_f64_e32 v12, v[12:13]
	v_frexp_mant_f32_e32 v13, v17
	s_delay_alu instid0(VALU_DEP_1) | instskip(SKIP_1) | instid1(VALU_DEP_1)
	v_cmp_gt_f32_e32 vcc_lo, 0x3f2aaaab, v13
	v_add_f32_e32 v13, -1.0, v17
	v_sub_f32_e32 v101, v13, v17
	s_delay_alu instid0(VALU_DEP_1) | instskip(SKIP_2) | instid1(VALU_DEP_2)
	v_add_f32_e32 v101, 1.0, v101
	v_sub_f32_e32 v13, v14, v13
	v_cmp_gt_f32_e64 s29, 0x33800000, v14
	v_add_f32_e32 v13, v13, v101
	v_subrev_co_ci_u32_e32 v12, vcc_lo, 0, v12, vcc_lo
	v_cmp_eq_f32_e32 vcc_lo, 0x7f800000, v14
	s_delay_alu instid0(VALU_DEP_2) | instskip(SKIP_2) | instid1(VALU_DEP_2)
	v_sub_nc_u32_e32 v100, 0, v12
	v_cvt_f32_i32_e32 v12, v12
	s_or_b32 vcc_lo, s29, vcc_lo
	v_ldexp_f32 v17, v17, v100
	v_ldexp_f32 v13, v13, v100
	s_delay_alu instid0(VALU_DEP_2) | instskip(NEXT) | instid1(VALU_DEP_1)
	v_add_f32_e32 v100, -1.0, v17
	v_dual_add_f32 v102, 1.0, v17 :: v_dual_add_f32 v103, 1.0, v100
	s_delay_alu instid0(VALU_DEP_1) | instskip(NEXT) | instid1(VALU_DEP_1)
	v_add_f32_e32 v101, -1.0, v102
	v_sub_f32_e32 v101, v17, v101
	s_delay_alu instid0(VALU_DEP_3) | instskip(NEXT) | instid1(VALU_DEP_2)
	v_sub_f32_e32 v17, v17, v103
	v_add_f32_e32 v101, v13, v101
	s_delay_alu instid0(VALU_DEP_2) | instskip(NEXT) | instid1(VALU_DEP_1)
	v_add_f32_e32 v13, v13, v17
	v_add_f32_e32 v104, v100, v13
	s_delay_alu instid0(VALU_DEP_1) | instskip(NEXT) | instid1(VALU_DEP_1)
	v_dual_sub_f32 v100, v100, v104 :: v_dual_add_f32 v103, v102, v101
	v_add_f32_e32 v13, v13, v100
	s_delay_alu instid0(VALU_DEP_2) | instskip(SKIP_1) | instid1(VALU_DEP_1)
	v_rcp_f32_e32 v17, v103
	v_sub_f32_e32 v102, v102, v103
	v_add_f32_e32 v101, v101, v102
	s_waitcnt_depctr 0xfff
	v_mul_f32_e32 v105, v104, v17
	s_delay_alu instid0(VALU_DEP_1) | instskip(NEXT) | instid1(VALU_DEP_1)
	v_mul_f32_e32 v106, v103, v105
	v_fma_f32 v102, v105, v103, -v106
	s_delay_alu instid0(VALU_DEP_1) | instskip(NEXT) | instid1(VALU_DEP_1)
	v_fmac_f32_e32 v102, v105, v101
	v_add_f32_e32 v107, v106, v102
	s_delay_alu instid0(VALU_DEP_1) | instskip(SKIP_1) | instid1(VALU_DEP_2)
	v_sub_f32_e32 v108, v104, v107
	v_sub_f32_e32 v100, v107, v106
	;; [unrolled: 1-line block ×3, first 2 shown]
	s_delay_alu instid0(VALU_DEP_1) | instskip(NEXT) | instid1(VALU_DEP_1)
	v_sub_f32_e32 v104, v104, v107
	v_dual_sub_f32 v100, v100, v102 :: v_dual_add_f32 v13, v13, v104
	s_delay_alu instid0(VALU_DEP_1) | instskip(NEXT) | instid1(VALU_DEP_1)
	v_add_f32_e32 v13, v100, v13
	v_add_f32_e32 v100, v108, v13
	s_delay_alu instid0(VALU_DEP_1) | instskip(NEXT) | instid1(VALU_DEP_1)
	v_mul_f32_e32 v102, v17, v100
	v_dual_sub_f32 v107, v108, v100 :: v_dual_mul_f32 v104, v103, v102
	s_delay_alu instid0(VALU_DEP_1) | instskip(NEXT) | instid1(VALU_DEP_2)
	v_add_f32_e32 v13, v13, v107
	v_fma_f32 v103, v102, v103, -v104
	s_delay_alu instid0(VALU_DEP_1) | instskip(NEXT) | instid1(VALU_DEP_1)
	v_fmac_f32_e32 v103, v102, v101
	v_add_f32_e32 v101, v104, v103
	s_delay_alu instid0(VALU_DEP_1) | instskip(NEXT) | instid1(VALU_DEP_1)
	v_sub_f32_e32 v106, v100, v101
	v_sub_f32_e32 v100, v100, v106
	s_delay_alu instid0(VALU_DEP_1) | instskip(NEXT) | instid1(VALU_DEP_1)
	v_sub_f32_e32 v100, v100, v101
	v_add_f32_e32 v13, v13, v100
	v_add_f32_e32 v100, v105, v102
	v_sub_f32_e32 v104, v101, v104
	s_delay_alu instid0(VALU_DEP_1) | instskip(NEXT) | instid1(VALU_DEP_1)
	v_sub_f32_e32 v101, v104, v103
	v_add_f32_e32 v13, v101, v13
	s_delay_alu instid0(VALU_DEP_4) | instskip(NEXT) | instid1(VALU_DEP_2)
	v_sub_f32_e32 v101, v100, v105
	v_add_f32_e32 v13, v106, v13
	s_delay_alu instid0(VALU_DEP_2) | instskip(NEXT) | instid1(VALU_DEP_2)
	v_sub_f32_e32 v101, v102, v101
	v_mul_f32_e32 v13, v17, v13
	s_delay_alu instid0(VALU_DEP_1) | instskip(NEXT) | instid1(VALU_DEP_1)
	v_add_f32_e32 v13, v101, v13
	v_add_f32_e32 v17, v100, v13
	s_delay_alu instid0(VALU_DEP_1) | instskip(NEXT) | instid1(VALU_DEP_1)
	v_mul_f32_e32 v101, v17, v17
	v_fmaak_f32 v102, s84, v101, 0x3ecc95a3
	v_mul_f32_e32 v103, v17, v101
	s_delay_alu instid0(VALU_DEP_2) | instskip(SKIP_1) | instid1(VALU_DEP_2)
	v_fmaak_f32 v101, v101, v102, 0x3f2aaada
	v_ldexp_f32 v102, v17, 1
	v_mul_f32_e32 v101, v103, v101
	s_delay_alu instid0(VALU_DEP_1) | instskip(NEXT) | instid1(VALU_DEP_1)
	v_dual_sub_f32 v17, v17, v100 :: v_dual_add_f32 v100, v102, v101
	v_sub_f32_e32 v13, v13, v17
	s_delay_alu instid0(VALU_DEP_2) | instskip(NEXT) | instid1(VALU_DEP_2)
	v_sub_f32_e32 v17, v100, v102
	v_ldexp_f32 v13, v13, 1
	s_delay_alu instid0(VALU_DEP_2) | instskip(SKIP_1) | instid1(VALU_DEP_1)
	v_sub_f32_e32 v17, v101, v17
	v_mul_f32_e32 v103, 0x3f317218, v12
	v_fma_f32 v102, 0x3f317218, v12, -v103
	s_delay_alu instid0(VALU_DEP_1) | instskip(NEXT) | instid1(VALU_DEP_1)
	v_fmac_f32_e32 v102, 0xb102e308, v12
	v_dual_add_f32 v12, v13, v17 :: v_dual_add_f32 v13, v103, v102
	s_delay_alu instid0(VALU_DEP_1) | instskip(NEXT) | instid1(VALU_DEP_1)
	v_add_f32_e32 v17, v100, v12
	v_add_f32_e32 v101, v13, v17
	v_sub_f32_e32 v100, v17, v100
	s_delay_alu instid0(VALU_DEP_2) | instskip(NEXT) | instid1(VALU_DEP_2)
	v_sub_f32_e32 v104, v101, v13
	v_dual_sub_f32 v12, v12, v100 :: v_dual_sub_f32 v103, v13, v103
	s_delay_alu instid0(VALU_DEP_2) | instskip(NEXT) | instid1(VALU_DEP_2)
	v_sub_f32_e32 v105, v101, v104
	v_dual_sub_f32 v17, v17, v104 :: v_dual_sub_f32 v102, v102, v103
	s_delay_alu instid0(VALU_DEP_1) | instskip(NEXT) | instid1(VALU_DEP_1)
	v_dual_sub_f32 v13, v13, v105 :: v_dual_add_f32 v100, v102, v12
	v_add_f32_e32 v13, v17, v13
	s_delay_alu instid0(VALU_DEP_2) | instskip(NEXT) | instid1(VALU_DEP_2)
	v_sub_f32_e32 v17, v100, v102
	v_add_f32_e32 v13, v100, v13
	s_delay_alu instid0(VALU_DEP_2) | instskip(SKIP_1) | instid1(VALU_DEP_2)
	v_sub_f32_e32 v100, v100, v17
	v_sub_f32_e32 v12, v12, v17
	v_dual_add_f32 v103, v101, v13 :: v_dual_sub_f32 v100, v102, v100
	s_delay_alu instid0(VALU_DEP_1) | instskip(NEXT) | instid1(VALU_DEP_1)
	v_dual_sub_f32 v17, v103, v101 :: v_dual_add_f32 v12, v12, v100
	v_sub_f32_e32 v13, v13, v17
	s_delay_alu instid0(VALU_DEP_1) | instskip(NEXT) | instid1(VALU_DEP_1)
	v_add_f32_e32 v12, v12, v13
	v_add_f32_e32 v12, v103, v12
	s_delay_alu instid0(VALU_DEP_1)
	v_cndmask_b32_e32 v100, v12, v14, vcc_lo
.LBB92_88:                              ;   in Loop: Header=BB92_12 Depth=1
	s_or_b32 exec_lo, exec_lo, s30
	v_lshrrev_b32_e32 v12, 16, v15
	s_delay_alu instid0(VALU_DEP_1) | instskip(NEXT) | instid1(VALU_DEP_1)
	v_cvt_f32_f16_e32 v12, v12
	v_add_f32_e32 v101, s67, v12
	s_delay_alu instid0(VALU_DEP_1) | instskip(SKIP_1) | instid1(SALU_CYCLE_1)
	v_cmp_ge_f32_e32 vcc_lo, 0x41a00000, v101
	s_and_b32 s29, s80, vcc_lo
	s_and_saveexec_b32 s30, s29
	s_cbranch_execz .LBB92_90
; %bb.89:                               ;   in Loop: Header=BB92_12 Depth=1
	v_mul_f32_e32 v12, 0x3fb8aa3b, v101
	v_cmp_ngt_f32_e32 vcc_lo, 0xc2ce8ed0, v101
	s_delay_alu instid0(VALU_DEP_2) | instskip(SKIP_1) | instid1(VALU_DEP_2)
	v_rndne_f32_e32 v13, v12
	v_fma_f32 v14, 0x3fb8aa3b, v101, -v12
	v_sub_f32_e32 v12, v12, v13
	s_delay_alu instid0(VALU_DEP_2) | instskip(SKIP_1) | instid1(VALU_DEP_2)
	v_fmac_f32_e32 v14, 0x32a5705f, v101
	v_cvt_i32_f32_e32 v13, v13
	v_add_f32_e32 v12, v12, v14
	s_delay_alu instid0(VALU_DEP_1) | instskip(SKIP_2) | instid1(VALU_DEP_1)
	v_exp_f32_e32 v12, v12
	s_waitcnt_depctr 0xfff
	v_ldexp_f32 v12, v12, v13
	v_cndmask_b32_e32 v12, 0, v12, vcc_lo
	v_cmp_nlt_f32_e32 vcc_lo, 0x42b17218, v101
	s_delay_alu instid0(VALU_DEP_2) | instskip(NEXT) | instid1(VALU_DEP_1)
	v_cndmask_b32_e32 v14, 0x7f800000, v12, vcc_lo
	v_add_f32_e32 v15, 1.0, v14
	s_delay_alu instid0(VALU_DEP_1) | instskip(NEXT) | instid1(VALU_DEP_1)
	v_cvt_f64_f32_e32 v[12:13], v15
	v_frexp_exp_i32_f64_e32 v12, v[12:13]
	v_frexp_mant_f32_e32 v13, v15
	s_delay_alu instid0(VALU_DEP_1) | instskip(SKIP_1) | instid1(VALU_DEP_1)
	v_cmp_gt_f32_e32 vcc_lo, 0x3f2aaaab, v13
	v_add_f32_e32 v13, -1.0, v15
	v_sub_f32_e32 v101, v13, v15
	v_sub_f32_e32 v13, v14, v13
	s_delay_alu instid0(VALU_DEP_2) | instskip(NEXT) | instid1(VALU_DEP_1)
	v_add_f32_e32 v101, 1.0, v101
	v_add_f32_e32 v13, v13, v101
	v_cmp_gt_f32_e64 s29, 0x33800000, v14
	v_subrev_co_ci_u32_e32 v12, vcc_lo, 0, v12, vcc_lo
	v_cmp_eq_f32_e32 vcc_lo, 0x7f800000, v14
	s_delay_alu instid0(VALU_DEP_2) | instskip(SKIP_2) | instid1(VALU_DEP_2)
	v_sub_nc_u32_e32 v17, 0, v12
	v_cvt_f32_i32_e32 v12, v12
	s_or_b32 vcc_lo, s29, vcc_lo
	v_ldexp_f32 v15, v15, v17
	v_ldexp_f32 v13, v13, v17
	s_delay_alu instid0(VALU_DEP_2) | instskip(SKIP_1) | instid1(VALU_DEP_2)
	v_add_f32_e32 v102, 1.0, v15
	v_add_f32_e32 v17, -1.0, v15
	v_add_f32_e32 v101, -1.0, v102
	s_delay_alu instid0(VALU_DEP_2) | instskip(NEXT) | instid1(VALU_DEP_2)
	v_add_f32_e32 v103, 1.0, v17
	v_sub_f32_e32 v101, v15, v101
	s_delay_alu instid0(VALU_DEP_2) | instskip(NEXT) | instid1(VALU_DEP_2)
	v_sub_f32_e32 v15, v15, v103
	v_add_f32_e32 v101, v13, v101
	s_delay_alu instid0(VALU_DEP_2) | instskip(NEXT) | instid1(VALU_DEP_1)
	v_add_f32_e32 v13, v13, v15
	v_add_f32_e32 v104, v17, v13
	s_delay_alu instid0(VALU_DEP_3) | instskip(NEXT) | instid1(VALU_DEP_1)
	v_add_f32_e32 v103, v102, v101
	v_rcp_f32_e32 v15, v103
	v_sub_f32_e32 v102, v102, v103
	s_delay_alu instid0(VALU_DEP_1) | instskip(SKIP_2) | instid1(VALU_DEP_1)
	v_add_f32_e32 v101, v101, v102
	s_waitcnt_depctr 0xfff
	v_mul_f32_e32 v105, v104, v15
	v_dual_mul_f32 v106, v103, v105 :: v_dual_sub_f32 v17, v17, v104
	s_delay_alu instid0(VALU_DEP_1) | instskip(NEXT) | instid1(VALU_DEP_2)
	v_fma_f32 v102, v105, v103, -v106
	v_add_f32_e32 v13, v13, v17
	s_delay_alu instid0(VALU_DEP_2) | instskip(NEXT) | instid1(VALU_DEP_1)
	v_fmac_f32_e32 v102, v105, v101
	v_add_f32_e32 v107, v106, v102
	s_delay_alu instid0(VALU_DEP_1) | instskip(NEXT) | instid1(VALU_DEP_1)
	v_dual_sub_f32 v108, v104, v107 :: v_dual_sub_f32 v17, v107, v106
	v_dual_sub_f32 v104, v104, v108 :: v_dual_sub_f32 v17, v17, v102
	s_delay_alu instid0(VALU_DEP_1) | instskip(NEXT) | instid1(VALU_DEP_1)
	v_sub_f32_e32 v104, v104, v107
	v_add_f32_e32 v13, v13, v104
	s_delay_alu instid0(VALU_DEP_1) | instskip(NEXT) | instid1(VALU_DEP_1)
	v_add_f32_e32 v13, v17, v13
	v_add_f32_e32 v17, v108, v13
	s_delay_alu instid0(VALU_DEP_1) | instskip(NEXT) | instid1(VALU_DEP_1)
	v_mul_f32_e32 v102, v15, v17
	v_dual_sub_f32 v107, v108, v17 :: v_dual_mul_f32 v104, v103, v102
	s_delay_alu instid0(VALU_DEP_1) | instskip(NEXT) | instid1(VALU_DEP_2)
	v_add_f32_e32 v13, v13, v107
	v_fma_f32 v103, v102, v103, -v104
	s_delay_alu instid0(VALU_DEP_1) | instskip(NEXT) | instid1(VALU_DEP_1)
	v_fmac_f32_e32 v103, v102, v101
	v_add_f32_e32 v101, v104, v103
	s_delay_alu instid0(VALU_DEP_1) | instskip(SKIP_1) | instid1(VALU_DEP_2)
	v_sub_f32_e32 v106, v17, v101
	v_sub_f32_e32 v104, v101, v104
	;; [unrolled: 1-line block ×3, first 2 shown]
	s_delay_alu instid0(VALU_DEP_1) | instskip(NEXT) | instid1(VALU_DEP_3)
	v_sub_f32_e32 v17, v17, v101
	v_sub_f32_e32 v101, v104, v103
	s_delay_alu instid0(VALU_DEP_2) | instskip(SKIP_1) | instid1(VALU_DEP_2)
	v_add_f32_e32 v13, v13, v17
	v_add_f32_e32 v17, v105, v102
	;; [unrolled: 1-line block ×3, first 2 shown]
	s_delay_alu instid0(VALU_DEP_2) | instskip(NEXT) | instid1(VALU_DEP_2)
	v_sub_f32_e32 v101, v17, v105
	v_add_f32_e32 v13, v106, v13
	s_delay_alu instid0(VALU_DEP_2) | instskip(NEXT) | instid1(VALU_DEP_2)
	v_sub_f32_e32 v101, v102, v101
	v_mul_f32_e32 v13, v15, v13
	s_delay_alu instid0(VALU_DEP_1) | instskip(NEXT) | instid1(VALU_DEP_1)
	v_add_f32_e32 v13, v101, v13
	v_add_f32_e32 v15, v17, v13
	s_delay_alu instid0(VALU_DEP_1) | instskip(NEXT) | instid1(VALU_DEP_1)
	v_mul_f32_e32 v101, v15, v15
	v_fmaak_f32 v102, s84, v101, 0x3ecc95a3
	v_mul_f32_e32 v103, v15, v101
	s_delay_alu instid0(VALU_DEP_2) | instskip(SKIP_2) | instid1(VALU_DEP_3)
	v_fmaak_f32 v101, v101, v102, 0x3f2aaada
	v_ldexp_f32 v102, v15, 1
	v_sub_f32_e32 v15, v15, v17
	v_mul_f32_e32 v101, v103, v101
	v_mul_f32_e32 v103, 0x3f317218, v12
	s_delay_alu instid0(VALU_DEP_3) | instskip(NEXT) | instid1(VALU_DEP_3)
	v_sub_f32_e32 v13, v13, v15
	v_add_f32_e32 v17, v102, v101
	s_delay_alu instid0(VALU_DEP_2) | instskip(NEXT) | instid1(VALU_DEP_2)
	v_ldexp_f32 v13, v13, 1
	v_sub_f32_e32 v15, v17, v102
	v_fma_f32 v102, 0x3f317218, v12, -v103
	s_delay_alu instid0(VALU_DEP_1) | instskip(NEXT) | instid1(VALU_DEP_1)
	v_dual_sub_f32 v15, v101, v15 :: v_dual_fmac_f32 v102, 0xb102e308, v12
	v_dual_add_f32 v12, v13, v15 :: v_dual_add_f32 v13, v103, v102
	s_delay_alu instid0(VALU_DEP_1) | instskip(NEXT) | instid1(VALU_DEP_1)
	v_add_f32_e32 v15, v17, v12
	v_add_f32_e32 v101, v13, v15
	v_sub_f32_e32 v17, v15, v17
	s_delay_alu instid0(VALU_DEP_2) | instskip(NEXT) | instid1(VALU_DEP_2)
	v_sub_f32_e32 v104, v101, v13
	v_dual_sub_f32 v103, v13, v103 :: v_dual_sub_f32 v12, v12, v17
	s_delay_alu instid0(VALU_DEP_1) | instskip(SKIP_1) | instid1(VALU_DEP_2)
	v_dual_sub_f32 v105, v101, v104 :: v_dual_sub_f32 v102, v102, v103
	v_sub_f32_e32 v15, v15, v104
	v_sub_f32_e32 v13, v13, v105
	s_delay_alu instid0(VALU_DEP_3) | instskip(NEXT) | instid1(VALU_DEP_2)
	v_add_f32_e32 v17, v102, v12
	v_add_f32_e32 v13, v15, v13
	s_delay_alu instid0(VALU_DEP_2) | instskip(NEXT) | instid1(VALU_DEP_2)
	v_sub_f32_e32 v15, v17, v102
	v_add_f32_e32 v13, v17, v13
	s_delay_alu instid0(VALU_DEP_2) | instskip(NEXT) | instid1(VALU_DEP_2)
	v_sub_f32_e32 v17, v17, v15
	v_dual_sub_f32 v12, v12, v15 :: v_dual_add_f32 v103, v101, v13
	s_delay_alu instid0(VALU_DEP_2) | instskip(NEXT) | instid1(VALU_DEP_2)
	v_sub_f32_e32 v17, v102, v17
	v_sub_f32_e32 v15, v103, v101
	s_delay_alu instid0(VALU_DEP_1) | instskip(NEXT) | instid1(VALU_DEP_1)
	v_dual_add_f32 v12, v12, v17 :: v_dual_sub_f32 v13, v13, v15
	v_add_f32_e32 v12, v12, v13
	s_delay_alu instid0(VALU_DEP_1) | instskip(NEXT) | instid1(VALU_DEP_1)
	v_add_f32_e32 v12, v103, v12
	v_cndmask_b32_e32 v101, v12, v14, vcc_lo
.LBB92_90:                              ;   in Loop: Header=BB92_12 Depth=1
	s_or_b32 exec_lo, exec_lo, s30
	s_waitcnt lgkmcnt(0)
	v_cvt_f32_f16_e32 v12, v8
	s_delay_alu instid0(VALU_DEP_1) | instskip(NEXT) | instid1(VALU_DEP_1)
	v_add_f32_e32 v104, s67, v12
	v_cmp_ge_f32_e32 vcc_lo, 0x41a00000, v104
	s_and_b32 s29, s80, vcc_lo
	s_delay_alu instid0(SALU_CYCLE_1)
	s_and_saveexec_b32 s30, s29
	s_cbranch_execz .LBB92_92
; %bb.91:                               ;   in Loop: Header=BB92_12 Depth=1
	v_mul_f32_e32 v12, 0x3fb8aa3b, v104
	v_cmp_ngt_f32_e32 vcc_lo, 0xc2ce8ed0, v104
	s_delay_alu instid0(VALU_DEP_2) | instskip(SKIP_1) | instid1(VALU_DEP_2)
	v_rndne_f32_e32 v13, v12
	v_fma_f32 v14, 0x3fb8aa3b, v104, -v12
	v_sub_f32_e32 v12, v12, v13
	s_delay_alu instid0(VALU_DEP_2) | instskip(SKIP_1) | instid1(VALU_DEP_2)
	v_fmac_f32_e32 v14, 0x32a5705f, v104
	v_cvt_i32_f32_e32 v13, v13
	v_add_f32_e32 v12, v12, v14
	s_delay_alu instid0(VALU_DEP_1) | instskip(SKIP_2) | instid1(VALU_DEP_1)
	v_exp_f32_e32 v12, v12
	s_waitcnt_depctr 0xfff
	v_ldexp_f32 v12, v12, v13
	v_cndmask_b32_e32 v12, 0, v12, vcc_lo
	v_cmp_nlt_f32_e32 vcc_lo, 0x42b17218, v104
	s_delay_alu instid0(VALU_DEP_2) | instskip(NEXT) | instid1(VALU_DEP_1)
	v_cndmask_b32_e32 v14, 0x7f800000, v12, vcc_lo
	v_add_f32_e32 v15, 1.0, v14
	s_delay_alu instid0(VALU_DEP_1) | instskip(NEXT) | instid1(VALU_DEP_1)
	v_cvt_f64_f32_e32 v[12:13], v15
	v_frexp_exp_i32_f64_e32 v12, v[12:13]
	v_frexp_mant_f32_e32 v13, v15
	s_delay_alu instid0(VALU_DEP_1) | instskip(SKIP_1) | instid1(VALU_DEP_1)
	v_cmp_gt_f32_e32 vcc_lo, 0x3f2aaaab, v13
	v_add_f32_e32 v13, -1.0, v15
	v_dual_sub_f32 v102, v13, v15 :: v_dual_sub_f32 v13, v14, v13
	s_delay_alu instid0(VALU_DEP_1) | instskip(NEXT) | instid1(VALU_DEP_1)
	v_add_f32_e32 v102, 1.0, v102
	v_add_f32_e32 v13, v13, v102
	v_subrev_co_ci_u32_e32 v12, vcc_lo, 0, v12, vcc_lo
	s_delay_alu instid0(VALU_DEP_1) | instskip(SKIP_1) | instid1(VALU_DEP_2)
	v_sub_nc_u32_e32 v17, 0, v12
	v_cvt_f32_i32_e32 v12, v12
	v_ldexp_f32 v15, v15, v17
	v_ldexp_f32 v13, v13, v17
	s_delay_alu instid0(VALU_DEP_2) | instskip(SKIP_3) | instid1(VALU_DEP_4)
	v_add_f32_e32 v103, 1.0, v15
	v_add_f32_e32 v17, -1.0, v15
	v_cmp_eq_f32_e32 vcc_lo, 0x7f800000, v14
	v_cmp_gt_f32_e64 s29, 0x33800000, v14
	v_add_f32_e32 v102, -1.0, v103
	s_delay_alu instid0(VALU_DEP_4) | instskip(NEXT) | instid1(VALU_DEP_3)
	v_add_f32_e32 v104, 1.0, v17
	s_or_b32 vcc_lo, s29, vcc_lo
	s_delay_alu instid0(VALU_DEP_2) | instskip(NEXT) | instid1(VALU_DEP_1)
	v_sub_f32_e32 v102, v15, v102
	v_dual_sub_f32 v15, v15, v104 :: v_dual_add_f32 v102, v13, v102
	s_delay_alu instid0(VALU_DEP_1) | instskip(NEXT) | instid1(VALU_DEP_1)
	v_add_f32_e32 v13, v13, v15
	v_dual_add_f32 v105, v17, v13 :: v_dual_add_f32 v104, v103, v102
	s_delay_alu instid0(VALU_DEP_1) | instskip(NEXT) | instid1(VALU_DEP_2)
	v_sub_f32_e32 v17, v17, v105
	v_rcp_f32_e32 v15, v104
	v_sub_f32_e32 v103, v103, v104
	s_delay_alu instid0(VALU_DEP_1) | instskip(SKIP_2) | instid1(VALU_DEP_1)
	v_dual_add_f32 v102, v102, v103 :: v_dual_add_f32 v13, v13, v17
	s_waitcnt_depctr 0xfff
	v_mul_f32_e32 v106, v105, v15
	v_mul_f32_e32 v107, v104, v106
	s_delay_alu instid0(VALU_DEP_1) | instskip(NEXT) | instid1(VALU_DEP_1)
	v_fma_f32 v103, v106, v104, -v107
	v_fmac_f32_e32 v103, v106, v102
	s_delay_alu instid0(VALU_DEP_1) | instskip(NEXT) | instid1(VALU_DEP_1)
	v_add_f32_e32 v108, v107, v103
	v_sub_f32_e32 v109, v105, v108
	s_delay_alu instid0(VALU_DEP_1) | instskip(SKIP_1) | instid1(VALU_DEP_2)
	v_sub_f32_e32 v105, v105, v109
	v_sub_f32_e32 v17, v108, v107
	;; [unrolled: 1-line block ×3, first 2 shown]
	s_delay_alu instid0(VALU_DEP_2) | instskip(NEXT) | instid1(VALU_DEP_2)
	v_sub_f32_e32 v17, v17, v103
	v_add_f32_e32 v13, v13, v105
	s_delay_alu instid0(VALU_DEP_1) | instskip(NEXT) | instid1(VALU_DEP_1)
	v_add_f32_e32 v13, v17, v13
	v_add_f32_e32 v17, v109, v13
	s_delay_alu instid0(VALU_DEP_1) | instskip(NEXT) | instid1(VALU_DEP_1)
	v_mul_f32_e32 v103, v15, v17
	v_dual_sub_f32 v108, v109, v17 :: v_dual_mul_f32 v105, v104, v103
	s_delay_alu instid0(VALU_DEP_1) | instskip(NEXT) | instid1(VALU_DEP_2)
	v_add_f32_e32 v13, v13, v108
	v_fma_f32 v104, v103, v104, -v105
	s_delay_alu instid0(VALU_DEP_1) | instskip(NEXT) | instid1(VALU_DEP_1)
	v_fmac_f32_e32 v104, v103, v102
	v_add_f32_e32 v102, v105, v104
	s_delay_alu instid0(VALU_DEP_1) | instskip(NEXT) | instid1(VALU_DEP_1)
	v_sub_f32_e32 v107, v17, v102
	v_sub_f32_e32 v17, v17, v107
	s_delay_alu instid0(VALU_DEP_1) | instskip(NEXT) | instid1(VALU_DEP_1)
	v_sub_f32_e32 v17, v17, v102
	v_add_f32_e32 v13, v13, v17
	v_add_f32_e32 v17, v106, v103
	v_sub_f32_e32 v105, v102, v105
	s_delay_alu instid0(VALU_DEP_1) | instskip(NEXT) | instid1(VALU_DEP_1)
	v_sub_f32_e32 v102, v105, v104
	v_dual_add_f32 v13, v102, v13 :: v_dual_sub_f32 v102, v17, v106
	s_delay_alu instid0(VALU_DEP_1) | instskip(NEXT) | instid1(VALU_DEP_2)
	v_add_f32_e32 v13, v107, v13
	v_sub_f32_e32 v102, v103, v102
	s_delay_alu instid0(VALU_DEP_2) | instskip(NEXT) | instid1(VALU_DEP_1)
	v_mul_f32_e32 v13, v15, v13
	v_add_f32_e32 v13, v102, v13
	s_delay_alu instid0(VALU_DEP_1) | instskip(NEXT) | instid1(VALU_DEP_1)
	v_add_f32_e32 v15, v17, v13
	v_mul_f32_e32 v102, v15, v15
	s_delay_alu instid0(VALU_DEP_1) | instskip(SKIP_1) | instid1(VALU_DEP_2)
	v_fmaak_f32 v103, s84, v102, 0x3ecc95a3
	v_mul_f32_e32 v104, v15, v102
	v_fmaak_f32 v102, v102, v103, 0x3f2aaada
	v_ldexp_f32 v103, v15, 1
	s_delay_alu instid0(VALU_DEP_2) | instskip(NEXT) | instid1(VALU_DEP_1)
	v_dual_sub_f32 v15, v15, v17 :: v_dual_mul_f32 v102, v104, v102
	v_dual_mul_f32 v104, 0x3f317218, v12 :: v_dual_sub_f32 v13, v13, v15
	s_delay_alu instid0(VALU_DEP_2) | instskip(NEXT) | instid1(VALU_DEP_2)
	v_add_f32_e32 v17, v103, v102
	v_ldexp_f32 v13, v13, 1
	s_delay_alu instid0(VALU_DEP_2) | instskip(NEXT) | instid1(VALU_DEP_4)
	v_sub_f32_e32 v15, v17, v103
	v_fma_f32 v103, 0x3f317218, v12, -v104
	s_delay_alu instid0(VALU_DEP_2) | instskip(NEXT) | instid1(VALU_DEP_1)
	v_sub_f32_e32 v15, v102, v15
	v_dual_fmac_f32 v103, 0xb102e308, v12 :: v_dual_add_f32 v12, v13, v15
	s_delay_alu instid0(VALU_DEP_1) | instskip(NEXT) | instid1(VALU_DEP_2)
	v_add_f32_e32 v13, v104, v103
	v_add_f32_e32 v15, v17, v12
	s_delay_alu instid0(VALU_DEP_2) | instskip(NEXT) | instid1(VALU_DEP_2)
	v_sub_f32_e32 v104, v13, v104
	v_dual_add_f32 v102, v13, v15 :: v_dual_sub_f32 v17, v15, v17
	s_delay_alu instid0(VALU_DEP_2) | instskip(NEXT) | instid1(VALU_DEP_2)
	v_sub_f32_e32 v103, v103, v104
	v_sub_f32_e32 v105, v102, v13
	s_delay_alu instid0(VALU_DEP_3) | instskip(NEXT) | instid1(VALU_DEP_2)
	v_sub_f32_e32 v12, v12, v17
	v_sub_f32_e32 v106, v102, v105
	;; [unrolled: 1-line block ×3, first 2 shown]
	s_delay_alu instid0(VALU_DEP_3) | instskip(NEXT) | instid1(VALU_DEP_3)
	v_add_f32_e32 v17, v103, v12
	v_sub_f32_e32 v13, v13, v106
	s_delay_alu instid0(VALU_DEP_1) | instskip(NEXT) | instid1(VALU_DEP_3)
	v_add_f32_e32 v13, v15, v13
	v_sub_f32_e32 v15, v17, v103
	s_delay_alu instid0(VALU_DEP_2) | instskip(NEXT) | instid1(VALU_DEP_2)
	v_add_f32_e32 v13, v17, v13
	v_sub_f32_e32 v17, v17, v15
	v_sub_f32_e32 v12, v12, v15
	s_delay_alu instid0(VALU_DEP_3) | instskip(NEXT) | instid1(VALU_DEP_3)
	v_add_f32_e32 v104, v102, v13
	v_sub_f32_e32 v17, v103, v17
	s_delay_alu instid0(VALU_DEP_2) | instskip(NEXT) | instid1(VALU_DEP_1)
	v_sub_f32_e32 v15, v104, v102
	v_dual_add_f32 v12, v12, v17 :: v_dual_sub_f32 v13, v13, v15
	s_delay_alu instid0(VALU_DEP_1) | instskip(NEXT) | instid1(VALU_DEP_1)
	v_add_f32_e32 v12, v12, v13
	v_add_f32_e32 v12, v104, v12
	s_delay_alu instid0(VALU_DEP_1)
	v_cndmask_b32_e32 v104, v12, v14, vcc_lo
.LBB92_92:                              ;   in Loop: Header=BB92_12 Depth=1
	s_or_b32 exec_lo, exec_lo, s30
	v_lshrrev_b32_e32 v8, 16, v8
	s_delay_alu instid0(VALU_DEP_1) | instskip(NEXT) | instid1(VALU_DEP_1)
	v_cvt_f32_f16_e32 v8, v8
	v_add_f32_e32 v115, s67, v8
	s_delay_alu instid0(VALU_DEP_1) | instskip(SKIP_1) | instid1(SALU_CYCLE_1)
	v_cmp_ge_f32_e32 vcc_lo, 0x41a00000, v115
	s_and_b32 s29, s80, vcc_lo
	s_and_saveexec_b32 s30, s29
	s_cbranch_execz .LBB92_94
; %bb.93:                               ;   in Loop: Header=BB92_12 Depth=1
	v_mul_f32_e32 v8, 0x3fb8aa3b, v115
	v_cmp_ngt_f32_e32 vcc_lo, 0xc2ce8ed0, v115
	s_delay_alu instid0(VALU_DEP_2) | instskip(SKIP_1) | instid1(VALU_DEP_1)
	v_rndne_f32_e32 v12, v8
	v_fma_f32 v13, 0x3fb8aa3b, v115, -v8
	v_dual_sub_f32 v8, v8, v12 :: v_dual_fmac_f32 v13, 0x32a5705f, v115
	v_cvt_i32_f32_e32 v12, v12
	s_delay_alu instid0(VALU_DEP_2) | instskip(NEXT) | instid1(VALU_DEP_1)
	v_add_f32_e32 v8, v8, v13
	v_exp_f32_e32 v8, v8
	s_waitcnt_depctr 0xfff
	v_ldexp_f32 v8, v8, v12
	s_delay_alu instid0(VALU_DEP_1) | instskip(SKIP_1) | instid1(VALU_DEP_2)
	v_cndmask_b32_e32 v8, 0, v8, vcc_lo
	v_cmp_nlt_f32_e32 vcc_lo, 0x42b17218, v115
	v_cndmask_b32_e32 v8, 0x7f800000, v8, vcc_lo
	s_delay_alu instid0(VALU_DEP_1) | instskip(NEXT) | instid1(VALU_DEP_1)
	v_add_f32_e32 v14, 1.0, v8
	v_cvt_f64_f32_e32 v[12:13], v14
	s_delay_alu instid0(VALU_DEP_1) | instskip(SKIP_1) | instid1(VALU_DEP_1)
	v_frexp_exp_i32_f64_e32 v12, v[12:13]
	v_frexp_mant_f32_e32 v13, v14
	v_cmp_gt_f32_e32 vcc_lo, 0x3f2aaaab, v13
	v_add_f32_e32 v13, -1.0, v14
	s_delay_alu instid0(VALU_DEP_1) | instskip(SKIP_1) | instid1(VALU_DEP_2)
	v_sub_f32_e32 v17, v13, v14
	v_sub_f32_e32 v13, v8, v13
	v_add_f32_e32 v17, 1.0, v17
	s_delay_alu instid0(VALU_DEP_1) | instskip(SKIP_3) | instid1(VALU_DEP_2)
	v_add_f32_e32 v13, v13, v17
	v_cmp_gt_f32_e64 s29, 0x33800000, v8
	v_subrev_co_ci_u32_e32 v12, vcc_lo, 0, v12, vcc_lo
	v_cmp_eq_f32_e32 vcc_lo, 0x7f800000, v8
	v_sub_nc_u32_e32 v15, 0, v12
	v_cvt_f32_i32_e32 v12, v12
	s_or_b32 vcc_lo, s29, vcc_lo
	s_delay_alu instid0(VALU_DEP_2) | instskip(SKIP_1) | instid1(VALU_DEP_2)
	v_ldexp_f32 v14, v14, v15
	v_ldexp_f32 v13, v13, v15
	v_add_f32_e32 v102, 1.0, v14
	v_add_f32_e32 v15, -1.0, v14
	s_delay_alu instid0(VALU_DEP_1) | instskip(NEXT) | instid1(VALU_DEP_3)
	v_add_f32_e32 v103, 1.0, v15
	v_add_f32_e32 v17, -1.0, v102
	s_delay_alu instid0(VALU_DEP_1) | instskip(NEXT) | instid1(VALU_DEP_1)
	v_sub_f32_e32 v17, v14, v17
	v_dual_sub_f32 v14, v14, v103 :: v_dual_add_f32 v17, v13, v17
	s_delay_alu instid0(VALU_DEP_1) | instskip(NEXT) | instid1(VALU_DEP_1)
	v_add_f32_e32 v103, v102, v17
	v_sub_f32_e32 v102, v102, v103
	s_delay_alu instid0(VALU_DEP_1) | instskip(NEXT) | instid1(VALU_DEP_4)
	v_add_f32_e32 v17, v17, v102
	v_add_f32_e32 v13, v13, v14
	v_rcp_f32_e32 v14, v103
	s_delay_alu instid0(VALU_DEP_1) | instskip(SKIP_2) | instid1(VALU_DEP_1)
	v_add_f32_e32 v105, v15, v13
	s_waitcnt_depctr 0xfff
	v_dual_sub_f32 v15, v15, v105 :: v_dual_mul_f32 v106, v105, v14
	v_mul_f32_e32 v107, v103, v106
	s_delay_alu instid0(VALU_DEP_1) | instskip(NEXT) | instid1(VALU_DEP_1)
	v_fma_f32 v102, v106, v103, -v107
	v_dual_fmac_f32 v102, v106, v17 :: v_dual_add_f32 v13, v13, v15
	s_delay_alu instid0(VALU_DEP_1) | instskip(NEXT) | instid1(VALU_DEP_1)
	v_add_f32_e32 v108, v107, v102
	v_sub_f32_e32 v109, v105, v108
	v_sub_f32_e32 v15, v108, v107
	s_delay_alu instid0(VALU_DEP_2) | instskip(NEXT) | instid1(VALU_DEP_2)
	v_sub_f32_e32 v105, v105, v109
	v_sub_f32_e32 v15, v15, v102
	s_delay_alu instid0(VALU_DEP_2) | instskip(NEXT) | instid1(VALU_DEP_1)
	v_sub_f32_e32 v105, v105, v108
	v_add_f32_e32 v13, v13, v105
	s_delay_alu instid0(VALU_DEP_1) | instskip(NEXT) | instid1(VALU_DEP_1)
	v_add_f32_e32 v13, v15, v13
	v_add_f32_e32 v15, v109, v13
	s_delay_alu instid0(VALU_DEP_1) | instskip(NEXT) | instid1(VALU_DEP_1)
	v_mul_f32_e32 v102, v14, v15
	v_dual_sub_f32 v108, v109, v15 :: v_dual_mul_f32 v105, v103, v102
	s_delay_alu instid0(VALU_DEP_1) | instskip(NEXT) | instid1(VALU_DEP_2)
	v_add_f32_e32 v13, v13, v108
	v_fma_f32 v103, v102, v103, -v105
	s_delay_alu instid0(VALU_DEP_1) | instskip(NEXT) | instid1(VALU_DEP_1)
	v_fmac_f32_e32 v103, v102, v17
	v_add_f32_e32 v17, v105, v103
	s_delay_alu instid0(VALU_DEP_1) | instskip(SKIP_1) | instid1(VALU_DEP_2)
	v_sub_f32_e32 v107, v15, v17
	v_sub_f32_e32 v105, v17, v105
	;; [unrolled: 1-line block ×3, first 2 shown]
	s_delay_alu instid0(VALU_DEP_1) | instskip(NEXT) | instid1(VALU_DEP_3)
	v_sub_f32_e32 v15, v15, v17
	v_sub_f32_e32 v17, v105, v103
	s_delay_alu instid0(VALU_DEP_2) | instskip(SKIP_1) | instid1(VALU_DEP_2)
	v_add_f32_e32 v13, v13, v15
	v_add_f32_e32 v15, v106, v102
	;; [unrolled: 1-line block ×3, first 2 shown]
	s_delay_alu instid0(VALU_DEP_2) | instskip(NEXT) | instid1(VALU_DEP_2)
	v_sub_f32_e32 v17, v15, v106
	v_add_f32_e32 v13, v107, v13
	s_delay_alu instid0(VALU_DEP_2) | instskip(NEXT) | instid1(VALU_DEP_2)
	v_sub_f32_e32 v17, v102, v17
	v_mul_f32_e32 v13, v14, v13
	s_delay_alu instid0(VALU_DEP_1) | instskip(NEXT) | instid1(VALU_DEP_1)
	v_add_f32_e32 v13, v17, v13
	v_add_f32_e32 v14, v15, v13
	s_delay_alu instid0(VALU_DEP_1) | instskip(NEXT) | instid1(VALU_DEP_1)
	v_mul_f32_e32 v17, v14, v14
	v_fmaak_f32 v102, s84, v17, 0x3ecc95a3
	v_mul_f32_e32 v103, v14, v17
	s_delay_alu instid0(VALU_DEP_2) | instskip(SKIP_1) | instid1(VALU_DEP_2)
	v_fmaak_f32 v17, v17, v102, 0x3f2aaada
	v_ldexp_f32 v102, v14, 1
	v_dual_sub_f32 v14, v14, v15 :: v_dual_mul_f32 v17, v103, v17
	v_mul_f32_e32 v103, 0x3f317218, v12
	s_delay_alu instid0(VALU_DEP_2) | instskip(NEXT) | instid1(VALU_DEP_3)
	v_sub_f32_e32 v13, v13, v14
	v_add_f32_e32 v15, v102, v17
	s_delay_alu instid0(VALU_DEP_2) | instskip(NEXT) | instid1(VALU_DEP_2)
	v_ldexp_f32 v13, v13, 1
	v_sub_f32_e32 v14, v15, v102
	v_fma_f32 v102, 0x3f317218, v12, -v103
	s_delay_alu instid0(VALU_DEP_2) | instskip(NEXT) | instid1(VALU_DEP_2)
	v_sub_f32_e32 v14, v17, v14
	v_fmac_f32_e32 v102, 0xb102e308, v12
	s_delay_alu instid0(VALU_DEP_2) | instskip(NEXT) | instid1(VALU_DEP_2)
	v_add_f32_e32 v12, v13, v14
	v_add_f32_e32 v13, v103, v102
	s_delay_alu instid0(VALU_DEP_1) | instskip(NEXT) | instid1(VALU_DEP_1)
	v_dual_add_f32 v14, v15, v12 :: v_dual_sub_f32 v103, v13, v103
	v_add_f32_e32 v17, v13, v14
	v_sub_f32_e32 v15, v14, v15
	s_delay_alu instid0(VALU_DEP_2) | instskip(NEXT) | instid1(VALU_DEP_2)
	v_dual_sub_f32 v102, v102, v103 :: v_dual_sub_f32 v105, v17, v13
	v_sub_f32_e32 v12, v12, v15
	s_delay_alu instid0(VALU_DEP_2) | instskip(SKIP_1) | instid1(VALU_DEP_3)
	v_sub_f32_e32 v106, v17, v105
	v_sub_f32_e32 v14, v14, v105
	v_add_f32_e32 v15, v102, v12
	s_delay_alu instid0(VALU_DEP_3) | instskip(NEXT) | instid1(VALU_DEP_1)
	v_sub_f32_e32 v13, v13, v106
	v_dual_add_f32 v13, v14, v13 :: v_dual_sub_f32 v14, v15, v102
	s_delay_alu instid0(VALU_DEP_1) | instskip(NEXT) | instid1(VALU_DEP_2)
	v_add_f32_e32 v13, v15, v13
	v_sub_f32_e32 v15, v15, v14
	s_delay_alu instid0(VALU_DEP_2) | instskip(NEXT) | instid1(VALU_DEP_1)
	v_dual_sub_f32 v12, v12, v14 :: v_dual_add_f32 v103, v17, v13
	v_dual_sub_f32 v15, v102, v15 :: v_dual_sub_f32 v14, v103, v17
	s_delay_alu instid0(VALU_DEP_1) | instskip(NEXT) | instid1(VALU_DEP_1)
	v_dual_add_f32 v12, v12, v15 :: v_dual_sub_f32 v13, v13, v14
	v_add_f32_e32 v12, v12, v13
	s_delay_alu instid0(VALU_DEP_1) | instskip(NEXT) | instid1(VALU_DEP_1)
	v_add_f32_e32 v12, v103, v12
	v_cndmask_b32_e32 v115, v12, v8, vcc_lo
.LBB92_94:                              ;   in Loop: Header=BB92_12 Depth=1
	s_or_b32 exec_lo, exec_lo, s30
	v_cvt_f32_f16_e32 v8, v9
	s_delay_alu instid0(VALU_DEP_1) | instskip(NEXT) | instid1(VALU_DEP_1)
	v_add_f32_e32 v118, s67, v8
	v_cmp_ge_f32_e32 vcc_lo, 0x41a00000, v118
	s_and_b32 s29, s80, vcc_lo
	s_delay_alu instid0(SALU_CYCLE_1)
	s_and_saveexec_b32 s30, s29
	s_cbranch_execz .LBB92_96
; %bb.95:                               ;   in Loop: Header=BB92_12 Depth=1
	v_mul_f32_e32 v8, 0x3fb8aa3b, v118
	v_cmp_ngt_f32_e32 vcc_lo, 0xc2ce8ed0, v118
	s_delay_alu instid0(VALU_DEP_2) | instskip(SKIP_1) | instid1(VALU_DEP_1)
	v_rndne_f32_e32 v12, v8
	v_fma_f32 v13, 0x3fb8aa3b, v118, -v8
	v_dual_sub_f32 v8, v8, v12 :: v_dual_fmac_f32 v13, 0x32a5705f, v118
	v_cvt_i32_f32_e32 v12, v12
	s_delay_alu instid0(VALU_DEP_2) | instskip(NEXT) | instid1(VALU_DEP_1)
	v_add_f32_e32 v8, v8, v13
	v_exp_f32_e32 v8, v8
	s_waitcnt_depctr 0xfff
	v_ldexp_f32 v8, v8, v12
	s_delay_alu instid0(VALU_DEP_1) | instskip(SKIP_1) | instid1(VALU_DEP_2)
	v_cndmask_b32_e32 v8, 0, v8, vcc_lo
	v_cmp_nlt_f32_e32 vcc_lo, 0x42b17218, v118
	v_cndmask_b32_e32 v8, 0x7f800000, v8, vcc_lo
	s_delay_alu instid0(VALU_DEP_1) | instskip(NEXT) | instid1(VALU_DEP_1)
	v_add_f32_e32 v14, 1.0, v8
	v_cvt_f64_f32_e32 v[12:13], v14
	s_delay_alu instid0(VALU_DEP_1) | instskip(SKIP_1) | instid1(VALU_DEP_1)
	v_frexp_exp_i32_f64_e32 v12, v[12:13]
	v_frexp_mant_f32_e32 v13, v14
	v_cmp_gt_f32_e32 vcc_lo, 0x3f2aaaab, v13
	v_add_f32_e32 v13, -1.0, v14
	s_delay_alu instid0(VALU_DEP_1) | instskip(SKIP_1) | instid1(VALU_DEP_2)
	v_sub_f32_e32 v17, v13, v14
	v_sub_f32_e32 v13, v8, v13
	v_add_f32_e32 v17, 1.0, v17
	s_delay_alu instid0(VALU_DEP_1) | instskip(SKIP_3) | instid1(VALU_DEP_2)
	v_add_f32_e32 v13, v13, v17
	v_cmp_gt_f32_e64 s29, 0x33800000, v8
	v_subrev_co_ci_u32_e32 v12, vcc_lo, 0, v12, vcc_lo
	v_cmp_eq_f32_e32 vcc_lo, 0x7f800000, v8
	v_sub_nc_u32_e32 v15, 0, v12
	v_cvt_f32_i32_e32 v12, v12
	s_or_b32 vcc_lo, s29, vcc_lo
	s_delay_alu instid0(VALU_DEP_2) | instskip(SKIP_1) | instid1(VALU_DEP_2)
	v_ldexp_f32 v14, v14, v15
	v_ldexp_f32 v13, v13, v15
	v_add_f32_e32 v102, 1.0, v14
	v_add_f32_e32 v15, -1.0, v14
	s_delay_alu instid0(VALU_DEP_1) | instskip(NEXT) | instid1(VALU_DEP_3)
	v_add_f32_e32 v103, 1.0, v15
	v_add_f32_e32 v17, -1.0, v102
	s_delay_alu instid0(VALU_DEP_1) | instskip(NEXT) | instid1(VALU_DEP_1)
	v_sub_f32_e32 v17, v14, v17
	v_dual_sub_f32 v14, v14, v103 :: v_dual_add_f32 v17, v13, v17
	s_delay_alu instid0(VALU_DEP_1) | instskip(NEXT) | instid1(VALU_DEP_1)
	v_add_f32_e32 v103, v102, v17
	v_sub_f32_e32 v102, v102, v103
	s_delay_alu instid0(VALU_DEP_1) | instskip(NEXT) | instid1(VALU_DEP_4)
	v_add_f32_e32 v17, v17, v102
	v_add_f32_e32 v13, v13, v14
	v_rcp_f32_e32 v14, v103
	s_delay_alu instid0(VALU_DEP_1) | instskip(SKIP_2) | instid1(VALU_DEP_1)
	v_add_f32_e32 v105, v15, v13
	s_waitcnt_depctr 0xfff
	v_dual_sub_f32 v15, v15, v105 :: v_dual_mul_f32 v106, v105, v14
	v_mul_f32_e32 v107, v103, v106
	s_delay_alu instid0(VALU_DEP_1) | instskip(NEXT) | instid1(VALU_DEP_1)
	v_fma_f32 v102, v106, v103, -v107
	v_dual_fmac_f32 v102, v106, v17 :: v_dual_add_f32 v13, v13, v15
	s_delay_alu instid0(VALU_DEP_1) | instskip(NEXT) | instid1(VALU_DEP_1)
	v_add_f32_e32 v108, v107, v102
	v_sub_f32_e32 v109, v105, v108
	v_sub_f32_e32 v15, v108, v107
	s_delay_alu instid0(VALU_DEP_2) | instskip(NEXT) | instid1(VALU_DEP_2)
	v_sub_f32_e32 v105, v105, v109
	v_sub_f32_e32 v15, v15, v102
	s_delay_alu instid0(VALU_DEP_2) | instskip(NEXT) | instid1(VALU_DEP_1)
	v_sub_f32_e32 v105, v105, v108
	v_add_f32_e32 v13, v13, v105
	s_delay_alu instid0(VALU_DEP_1) | instskip(NEXT) | instid1(VALU_DEP_1)
	v_add_f32_e32 v13, v15, v13
	v_add_f32_e32 v15, v109, v13
	s_delay_alu instid0(VALU_DEP_1) | instskip(NEXT) | instid1(VALU_DEP_1)
	v_mul_f32_e32 v102, v14, v15
	v_dual_sub_f32 v108, v109, v15 :: v_dual_mul_f32 v105, v103, v102
	s_delay_alu instid0(VALU_DEP_1) | instskip(NEXT) | instid1(VALU_DEP_2)
	v_add_f32_e32 v13, v13, v108
	v_fma_f32 v103, v102, v103, -v105
	s_delay_alu instid0(VALU_DEP_1) | instskip(NEXT) | instid1(VALU_DEP_1)
	v_fmac_f32_e32 v103, v102, v17
	v_add_f32_e32 v17, v105, v103
	s_delay_alu instid0(VALU_DEP_1) | instskip(SKIP_1) | instid1(VALU_DEP_2)
	v_sub_f32_e32 v107, v15, v17
	v_sub_f32_e32 v105, v17, v105
	;; [unrolled: 1-line block ×3, first 2 shown]
	s_delay_alu instid0(VALU_DEP_1) | instskip(NEXT) | instid1(VALU_DEP_3)
	v_sub_f32_e32 v15, v15, v17
	v_sub_f32_e32 v17, v105, v103
	s_delay_alu instid0(VALU_DEP_2) | instskip(SKIP_1) | instid1(VALU_DEP_2)
	v_add_f32_e32 v13, v13, v15
	v_add_f32_e32 v15, v106, v102
	;; [unrolled: 1-line block ×3, first 2 shown]
	s_delay_alu instid0(VALU_DEP_2) | instskip(NEXT) | instid1(VALU_DEP_2)
	v_sub_f32_e32 v17, v15, v106
	v_add_f32_e32 v13, v107, v13
	s_delay_alu instid0(VALU_DEP_2) | instskip(NEXT) | instid1(VALU_DEP_2)
	v_sub_f32_e32 v17, v102, v17
	v_mul_f32_e32 v13, v14, v13
	s_delay_alu instid0(VALU_DEP_1) | instskip(NEXT) | instid1(VALU_DEP_1)
	v_add_f32_e32 v13, v17, v13
	v_add_f32_e32 v14, v15, v13
	s_delay_alu instid0(VALU_DEP_1) | instskip(NEXT) | instid1(VALU_DEP_1)
	v_mul_f32_e32 v17, v14, v14
	v_fmaak_f32 v102, s84, v17, 0x3ecc95a3
	v_mul_f32_e32 v103, v14, v17
	s_delay_alu instid0(VALU_DEP_2) | instskip(SKIP_1) | instid1(VALU_DEP_2)
	v_fmaak_f32 v17, v17, v102, 0x3f2aaada
	v_ldexp_f32 v102, v14, 1
	v_dual_sub_f32 v14, v14, v15 :: v_dual_mul_f32 v17, v103, v17
	v_mul_f32_e32 v103, 0x3f317218, v12
	s_delay_alu instid0(VALU_DEP_2) | instskip(NEXT) | instid1(VALU_DEP_3)
	v_sub_f32_e32 v13, v13, v14
	v_add_f32_e32 v15, v102, v17
	s_delay_alu instid0(VALU_DEP_2) | instskip(NEXT) | instid1(VALU_DEP_2)
	v_ldexp_f32 v13, v13, 1
	v_sub_f32_e32 v14, v15, v102
	v_fma_f32 v102, 0x3f317218, v12, -v103
	s_delay_alu instid0(VALU_DEP_2) | instskip(NEXT) | instid1(VALU_DEP_2)
	v_sub_f32_e32 v14, v17, v14
	v_fmac_f32_e32 v102, 0xb102e308, v12
	s_delay_alu instid0(VALU_DEP_2) | instskip(NEXT) | instid1(VALU_DEP_2)
	v_add_f32_e32 v12, v13, v14
	v_add_f32_e32 v13, v103, v102
	s_delay_alu instid0(VALU_DEP_1) | instskip(NEXT) | instid1(VALU_DEP_1)
	v_dual_add_f32 v14, v15, v12 :: v_dual_sub_f32 v103, v13, v103
	v_add_f32_e32 v17, v13, v14
	v_sub_f32_e32 v15, v14, v15
	s_delay_alu instid0(VALU_DEP_2) | instskip(NEXT) | instid1(VALU_DEP_2)
	v_dual_sub_f32 v102, v102, v103 :: v_dual_sub_f32 v105, v17, v13
	v_sub_f32_e32 v12, v12, v15
	s_delay_alu instid0(VALU_DEP_2) | instskip(SKIP_1) | instid1(VALU_DEP_3)
	v_sub_f32_e32 v106, v17, v105
	v_sub_f32_e32 v14, v14, v105
	v_add_f32_e32 v15, v102, v12
	s_delay_alu instid0(VALU_DEP_3) | instskip(NEXT) | instid1(VALU_DEP_1)
	v_sub_f32_e32 v13, v13, v106
	v_dual_add_f32 v13, v14, v13 :: v_dual_sub_f32 v14, v15, v102
	s_delay_alu instid0(VALU_DEP_1) | instskip(NEXT) | instid1(VALU_DEP_2)
	v_add_f32_e32 v13, v15, v13
	v_sub_f32_e32 v15, v15, v14
	s_delay_alu instid0(VALU_DEP_2) | instskip(NEXT) | instid1(VALU_DEP_1)
	v_dual_sub_f32 v12, v12, v14 :: v_dual_add_f32 v103, v17, v13
	v_dual_sub_f32 v15, v102, v15 :: v_dual_sub_f32 v14, v103, v17
	s_delay_alu instid0(VALU_DEP_1) | instskip(NEXT) | instid1(VALU_DEP_1)
	v_dual_add_f32 v12, v12, v15 :: v_dual_sub_f32 v13, v13, v14
	v_add_f32_e32 v12, v12, v13
	s_delay_alu instid0(VALU_DEP_1) | instskip(NEXT) | instid1(VALU_DEP_1)
	v_add_f32_e32 v12, v103, v12
	v_cndmask_b32_e32 v118, v12, v8, vcc_lo
.LBB92_96:                              ;   in Loop: Header=BB92_12 Depth=1
	s_or_b32 exec_lo, exec_lo, s30
	v_lshrrev_b32_e32 v8, 16, v9
	s_delay_alu instid0(VALU_DEP_1) | instskip(NEXT) | instid1(VALU_DEP_1)
	v_cvt_f32_f16_e32 v8, v8
	v_add_f32_e32 v121, s67, v8
	s_delay_alu instid0(VALU_DEP_1) | instskip(SKIP_1) | instid1(SALU_CYCLE_1)
	v_cmp_ge_f32_e32 vcc_lo, 0x41a00000, v121
	s_and_b32 s29, s80, vcc_lo
	s_and_saveexec_b32 s30, s29
	s_cbranch_execz .LBB92_98
; %bb.97:                               ;   in Loop: Header=BB92_12 Depth=1
	v_mul_f32_e32 v8, 0x3fb8aa3b, v121
	v_cmp_ngt_f32_e32 vcc_lo, 0xc2ce8ed0, v121
	s_delay_alu instid0(VALU_DEP_2) | instskip(SKIP_1) | instid1(VALU_DEP_2)
	v_rndne_f32_e32 v9, v8
	v_fma_f32 v12, 0x3fb8aa3b, v121, -v8
	v_sub_f32_e32 v8, v8, v9
	s_delay_alu instid0(VALU_DEP_2) | instskip(SKIP_1) | instid1(VALU_DEP_2)
	v_fmac_f32_e32 v12, 0x32a5705f, v121
	v_cvt_i32_f32_e32 v9, v9
	v_add_f32_e32 v8, v8, v12
	s_delay_alu instid0(VALU_DEP_1) | instskip(SKIP_2) | instid1(VALU_DEP_1)
	v_exp_f32_e32 v8, v8
	s_waitcnt_depctr 0xfff
	v_ldexp_f32 v8, v8, v9
	v_cndmask_b32_e32 v8, 0, v8, vcc_lo
	v_cmp_nlt_f32_e32 vcc_lo, 0x42b17218, v121
	s_delay_alu instid0(VALU_DEP_2) | instskip(NEXT) | instid1(VALU_DEP_1)
	v_cndmask_b32_e32 v12, 0x7f800000, v8, vcc_lo
	v_add_f32_e32 v13, 1.0, v12
	s_delay_alu instid0(VALU_DEP_1) | instskip(NEXT) | instid1(VALU_DEP_1)
	v_cvt_f64_f32_e32 v[8:9], v13
	v_frexp_exp_i32_f64_e32 v8, v[8:9]
	v_frexp_mant_f32_e32 v9, v13
	s_delay_alu instid0(VALU_DEP_1) | instskip(SKIP_1) | instid1(VALU_DEP_1)
	v_cmp_gt_f32_e32 vcc_lo, 0x3f2aaaab, v9
	v_add_f32_e32 v9, -1.0, v13
	v_sub_f32_e32 v15, v9, v13
	s_delay_alu instid0(VALU_DEP_1) | instskip(SKIP_1) | instid1(VALU_DEP_1)
	v_add_f32_e32 v15, 1.0, v15
	v_subrev_co_ci_u32_e32 v8, vcc_lo, 0, v8, vcc_lo
	v_sub_nc_u32_e32 v14, 0, v8
	v_cvt_f32_i32_e32 v8, v8
	s_delay_alu instid0(VALU_DEP_2) | instskip(NEXT) | instid1(VALU_DEP_1)
	v_ldexp_f32 v13, v13, v14
	v_add_f32_e32 v17, 1.0, v13
	v_sub_f32_e32 v9, v12, v9
	v_cmp_eq_f32_e32 vcc_lo, 0x7f800000, v12
	v_cmp_gt_f32_e64 s29, 0x33800000, v12
	s_delay_alu instid0(VALU_DEP_3) | instskip(SKIP_1) | instid1(VALU_DEP_3)
	v_add_f32_e32 v9, v9, v15
	v_add_f32_e32 v15, -1.0, v17
	s_or_b32 vcc_lo, s29, vcc_lo
	s_delay_alu instid0(VALU_DEP_2) | instskip(NEXT) | instid1(VALU_DEP_2)
	v_ldexp_f32 v9, v9, v14
	v_dual_add_f32 v14, -1.0, v13 :: v_dual_sub_f32 v15, v13, v15
	s_delay_alu instid0(VALU_DEP_1) | instskip(NEXT) | instid1(VALU_DEP_1)
	v_dual_add_f32 v102, 1.0, v14 :: v_dual_add_f32 v15, v9, v15
	v_sub_f32_e32 v13, v13, v102
	s_delay_alu instid0(VALU_DEP_1) | instskip(NEXT) | instid1(VALU_DEP_1)
	v_add_f32_e32 v9, v9, v13
	v_dual_add_f32 v102, v17, v15 :: v_dual_add_f32 v103, v14, v9
	s_delay_alu instid0(VALU_DEP_1) | instskip(NEXT) | instid1(VALU_DEP_1)
	v_rcp_f32_e32 v13, v102
	v_dual_sub_f32 v17, v17, v102 :: v_dual_sub_f32 v14, v14, v103
	s_delay_alu instid0(VALU_DEP_1) | instskip(SKIP_2) | instid1(VALU_DEP_1)
	v_add_f32_e32 v9, v9, v14
	s_waitcnt_depctr 0xfff
	v_mul_f32_e32 v105, v103, v13
	v_mul_f32_e32 v106, v102, v105
	v_add_f32_e32 v15, v15, v17
	s_delay_alu instid0(VALU_DEP_2) | instskip(NEXT) | instid1(VALU_DEP_1)
	v_fma_f32 v17, v105, v102, -v106
	v_fmac_f32_e32 v17, v105, v15
	s_delay_alu instid0(VALU_DEP_1) | instskip(NEXT) | instid1(VALU_DEP_1)
	v_add_f32_e32 v107, v106, v17
	v_sub_f32_e32 v108, v103, v107
	v_sub_f32_e32 v14, v107, v106
	s_delay_alu instid0(VALU_DEP_1) | instskip(NEXT) | instid1(VALU_DEP_1)
	v_dual_sub_f32 v103, v103, v108 :: v_dual_sub_f32 v14, v14, v17
	v_sub_f32_e32 v103, v103, v107
	s_delay_alu instid0(VALU_DEP_1) | instskip(NEXT) | instid1(VALU_DEP_1)
	v_add_f32_e32 v9, v9, v103
	v_add_f32_e32 v9, v14, v9
	s_delay_alu instid0(VALU_DEP_1) | instskip(NEXT) | instid1(VALU_DEP_1)
	v_add_f32_e32 v14, v108, v9
	v_mul_f32_e32 v17, v13, v14
	v_sub_f32_e32 v107, v108, v14
	s_delay_alu instid0(VALU_DEP_2) | instskip(NEXT) | instid1(VALU_DEP_2)
	v_mul_f32_e32 v103, v102, v17
	v_add_f32_e32 v9, v9, v107
	s_delay_alu instid0(VALU_DEP_2) | instskip(NEXT) | instid1(VALU_DEP_1)
	v_fma_f32 v102, v17, v102, -v103
	v_fmac_f32_e32 v102, v17, v15
	s_delay_alu instid0(VALU_DEP_1) | instskip(NEXT) | instid1(VALU_DEP_1)
	v_add_f32_e32 v15, v103, v102
	v_sub_f32_e32 v106, v14, v15
	s_delay_alu instid0(VALU_DEP_1) | instskip(NEXT) | instid1(VALU_DEP_1)
	v_dual_sub_f32 v103, v15, v103 :: v_dual_sub_f32 v14, v14, v106
	v_dual_sub_f32 v14, v14, v15 :: v_dual_sub_f32 v15, v103, v102
	s_delay_alu instid0(VALU_DEP_1) | instskip(SKIP_1) | instid1(VALU_DEP_2)
	v_add_f32_e32 v9, v9, v14
	v_add_f32_e32 v14, v105, v17
	;; [unrolled: 1-line block ×3, first 2 shown]
	s_delay_alu instid0(VALU_DEP_2) | instskip(NEXT) | instid1(VALU_DEP_2)
	v_sub_f32_e32 v15, v14, v105
	v_add_f32_e32 v9, v106, v9
	s_delay_alu instid0(VALU_DEP_2) | instskip(NEXT) | instid1(VALU_DEP_2)
	v_sub_f32_e32 v15, v17, v15
	v_mul_f32_e32 v9, v13, v9
	s_delay_alu instid0(VALU_DEP_1) | instskip(NEXT) | instid1(VALU_DEP_1)
	v_add_f32_e32 v9, v15, v9
	v_add_f32_e32 v13, v14, v9
	s_delay_alu instid0(VALU_DEP_1) | instskip(NEXT) | instid1(VALU_DEP_1)
	v_mul_f32_e32 v15, v13, v13
	v_fmaak_f32 v17, s84, v15, 0x3ecc95a3
	s_delay_alu instid0(VALU_DEP_1) | instskip(SKIP_2) | instid1(VALU_DEP_3)
	v_dual_mul_f32 v102, v13, v15 :: v_dual_fmaak_f32 v15, v15, v17, 0x3f2aaada
	v_ldexp_f32 v17, v13, 1
	v_sub_f32_e32 v13, v13, v14
	v_dual_mul_f32 v15, v102, v15 :: v_dual_mul_f32 v102, 0x3f317218, v8
	s_delay_alu instid0(VALU_DEP_2) | instskip(NEXT) | instid1(VALU_DEP_2)
	v_sub_f32_e32 v9, v9, v13
	v_add_f32_e32 v14, v17, v15
	s_delay_alu instid0(VALU_DEP_2) | instskip(NEXT) | instid1(VALU_DEP_2)
	v_ldexp_f32 v9, v9, 1
	v_sub_f32_e32 v13, v14, v17
	v_fma_f32 v17, 0x3f317218, v8, -v102
	s_delay_alu instid0(VALU_DEP_2) | instskip(NEXT) | instid1(VALU_DEP_1)
	v_sub_f32_e32 v13, v15, v13
	v_dual_fmac_f32 v17, 0xb102e308, v8 :: v_dual_add_f32 v8, v9, v13
	s_delay_alu instid0(VALU_DEP_1) | instskip(NEXT) | instid1(VALU_DEP_1)
	v_add_f32_e32 v9, v102, v17
	v_dual_add_f32 v13, v14, v8 :: v_dual_sub_f32 v102, v9, v102
	s_delay_alu instid0(VALU_DEP_1) | instskip(SKIP_1) | instid1(VALU_DEP_3)
	v_add_f32_e32 v15, v9, v13
	v_sub_f32_e32 v14, v13, v14
	v_sub_f32_e32 v17, v17, v102
	s_delay_alu instid0(VALU_DEP_2) | instskip(NEXT) | instid1(VALU_DEP_1)
	v_dual_sub_f32 v103, v15, v9 :: v_dual_sub_f32 v8, v8, v14
	v_sub_f32_e32 v105, v15, v103
	v_sub_f32_e32 v13, v13, v103
	s_delay_alu instid0(VALU_DEP_3) | instskip(NEXT) | instid1(VALU_DEP_3)
	v_add_f32_e32 v14, v17, v8
	v_sub_f32_e32 v9, v9, v105
	s_delay_alu instid0(VALU_DEP_1) | instskip(NEXT) | instid1(VALU_DEP_3)
	v_add_f32_e32 v9, v13, v9
	v_sub_f32_e32 v13, v14, v17
	s_delay_alu instid0(VALU_DEP_2) | instskip(NEXT) | instid1(VALU_DEP_2)
	v_add_f32_e32 v9, v14, v9
	v_sub_f32_e32 v14, v14, v13
	v_sub_f32_e32 v8, v8, v13
	s_delay_alu instid0(VALU_DEP_3) | instskip(NEXT) | instid1(VALU_DEP_1)
	v_add_f32_e32 v102, v15, v9
	v_dual_sub_f32 v14, v17, v14 :: v_dual_sub_f32 v13, v102, v15
	s_delay_alu instid0(VALU_DEP_1) | instskip(NEXT) | instid1(VALU_DEP_1)
	v_dual_add_f32 v8, v8, v14 :: v_dual_sub_f32 v9, v9, v13
	v_add_f32_e32 v8, v8, v9
	s_delay_alu instid0(VALU_DEP_1) | instskip(NEXT) | instid1(VALU_DEP_1)
	v_add_f32_e32 v8, v102, v8
	v_cndmask_b32_e32 v121, v8, v12, vcc_lo
.LBB92_98:                              ;   in Loop: Header=BB92_12 Depth=1
	s_or_b32 exec_lo, exec_lo, s30
	v_cvt_f32_f16_e32 v8, v10
	s_delay_alu instid0(VALU_DEP_1) | instskip(NEXT) | instid1(VALU_DEP_1)
	v_add_f32_e32 v122, s67, v8
	v_cmp_ge_f32_e32 vcc_lo, 0x41a00000, v122
	s_and_b32 s29, s80, vcc_lo
	s_delay_alu instid0(SALU_CYCLE_1)
	s_and_saveexec_b32 s30, s29
	s_cbranch_execz .LBB92_100
; %bb.99:                               ;   in Loop: Header=BB92_12 Depth=1
	v_mul_f32_e32 v8, 0x3fb8aa3b, v122
	v_cmp_ngt_f32_e32 vcc_lo, 0xc2ce8ed0, v122
	s_delay_alu instid0(VALU_DEP_2) | instskip(SKIP_1) | instid1(VALU_DEP_2)
	v_rndne_f32_e32 v9, v8
	v_fma_f32 v12, 0x3fb8aa3b, v122, -v8
	v_sub_f32_e32 v8, v8, v9
	s_delay_alu instid0(VALU_DEP_2) | instskip(SKIP_1) | instid1(VALU_DEP_2)
	v_fmac_f32_e32 v12, 0x32a5705f, v122
	v_cvt_i32_f32_e32 v9, v9
	v_add_f32_e32 v8, v8, v12
	s_delay_alu instid0(VALU_DEP_1) | instskip(SKIP_2) | instid1(VALU_DEP_1)
	v_exp_f32_e32 v8, v8
	s_waitcnt_depctr 0xfff
	v_ldexp_f32 v8, v8, v9
	v_cndmask_b32_e32 v8, 0, v8, vcc_lo
	v_cmp_nlt_f32_e32 vcc_lo, 0x42b17218, v122
	s_delay_alu instid0(VALU_DEP_2) | instskip(NEXT) | instid1(VALU_DEP_1)
	v_cndmask_b32_e32 v12, 0x7f800000, v8, vcc_lo
	v_add_f32_e32 v13, 1.0, v12
	s_delay_alu instid0(VALU_DEP_1) | instskip(NEXT) | instid1(VALU_DEP_1)
	v_cvt_f64_f32_e32 v[8:9], v13
	v_frexp_exp_i32_f64_e32 v8, v[8:9]
	v_frexp_mant_f32_e32 v9, v13
	s_delay_alu instid0(VALU_DEP_1) | instskip(SKIP_1) | instid1(VALU_DEP_1)
	v_cmp_gt_f32_e32 vcc_lo, 0x3f2aaaab, v9
	v_add_f32_e32 v9, -1.0, v13
	v_sub_f32_e32 v15, v9, v13
	s_delay_alu instid0(VALU_DEP_1) | instskip(SKIP_1) | instid1(VALU_DEP_1)
	v_add_f32_e32 v15, 1.0, v15
	v_subrev_co_ci_u32_e32 v8, vcc_lo, 0, v8, vcc_lo
	v_sub_nc_u32_e32 v14, 0, v8
	v_cvt_f32_i32_e32 v8, v8
	s_delay_alu instid0(VALU_DEP_2) | instskip(NEXT) | instid1(VALU_DEP_1)
	v_ldexp_f32 v13, v13, v14
	v_add_f32_e32 v17, 1.0, v13
	v_sub_f32_e32 v9, v12, v9
	v_cmp_eq_f32_e32 vcc_lo, 0x7f800000, v12
	v_cmp_gt_f32_e64 s29, 0x33800000, v12
	s_delay_alu instid0(VALU_DEP_3) | instskip(NEXT) | instid1(VALU_DEP_2)
	v_add_f32_e32 v9, v9, v15
	s_or_b32 vcc_lo, s29, vcc_lo
	s_delay_alu instid0(VALU_DEP_1) | instskip(SKIP_1) | instid1(VALU_DEP_1)
	v_ldexp_f32 v9, v9, v14
	v_add_f32_e32 v14, -1.0, v13
	v_dual_add_f32 v15, -1.0, v17 :: v_dual_add_f32 v102, 1.0, v14
	s_delay_alu instid0(VALU_DEP_1) | instskip(NEXT) | instid1(VALU_DEP_2)
	v_sub_f32_e32 v15, v13, v15
	v_sub_f32_e32 v13, v13, v102
	s_delay_alu instid0(VALU_DEP_2) | instskip(NEXT) | instid1(VALU_DEP_2)
	v_add_f32_e32 v15, v9, v15
	v_add_f32_e32 v9, v9, v13
	s_delay_alu instid0(VALU_DEP_1) | instskip(NEXT) | instid1(VALU_DEP_1)
	v_dual_add_f32 v102, v17, v15 :: v_dual_add_f32 v103, v14, v9
	v_rcp_f32_e32 v13, v102
	s_delay_alu instid0(VALU_DEP_1) | instskip(NEXT) | instid1(VALU_DEP_1)
	v_dual_sub_f32 v17, v17, v102 :: v_dual_sub_f32 v14, v14, v103
	v_add_f32_e32 v15, v15, v17
	s_delay_alu instid0(VALU_DEP_2) | instskip(SKIP_2) | instid1(VALU_DEP_1)
	v_add_f32_e32 v9, v9, v14
	s_waitcnt_depctr 0xfff
	v_mul_f32_e32 v105, v103, v13
	v_mul_f32_e32 v106, v102, v105
	s_delay_alu instid0(VALU_DEP_1) | instskip(NEXT) | instid1(VALU_DEP_1)
	v_fma_f32 v17, v105, v102, -v106
	v_fmac_f32_e32 v17, v105, v15
	s_delay_alu instid0(VALU_DEP_1) | instskip(NEXT) | instid1(VALU_DEP_1)
	v_add_f32_e32 v107, v106, v17
	v_sub_f32_e32 v108, v103, v107
	v_sub_f32_e32 v14, v107, v106
	s_delay_alu instid0(VALU_DEP_1) | instskip(NEXT) | instid1(VALU_DEP_1)
	v_dual_sub_f32 v103, v103, v108 :: v_dual_sub_f32 v14, v14, v17
	v_sub_f32_e32 v103, v103, v107
	s_delay_alu instid0(VALU_DEP_1) | instskip(NEXT) | instid1(VALU_DEP_1)
	v_add_f32_e32 v9, v9, v103
	v_add_f32_e32 v9, v14, v9
	s_delay_alu instid0(VALU_DEP_1) | instskip(NEXT) | instid1(VALU_DEP_1)
	v_add_f32_e32 v14, v108, v9
	v_mul_f32_e32 v17, v13, v14
	v_sub_f32_e32 v107, v108, v14
	s_delay_alu instid0(VALU_DEP_2) | instskip(NEXT) | instid1(VALU_DEP_2)
	v_mul_f32_e32 v103, v102, v17
	v_add_f32_e32 v9, v9, v107
	s_delay_alu instid0(VALU_DEP_2) | instskip(NEXT) | instid1(VALU_DEP_1)
	v_fma_f32 v102, v17, v102, -v103
	v_fmac_f32_e32 v102, v17, v15
	s_delay_alu instid0(VALU_DEP_1) | instskip(NEXT) | instid1(VALU_DEP_1)
	v_add_f32_e32 v15, v103, v102
	v_sub_f32_e32 v106, v14, v15
	s_delay_alu instid0(VALU_DEP_1) | instskip(NEXT) | instid1(VALU_DEP_1)
	v_dual_sub_f32 v103, v15, v103 :: v_dual_sub_f32 v14, v14, v106
	v_dual_sub_f32 v14, v14, v15 :: v_dual_sub_f32 v15, v103, v102
	s_delay_alu instid0(VALU_DEP_1) | instskip(SKIP_1) | instid1(VALU_DEP_2)
	v_add_f32_e32 v9, v9, v14
	v_add_f32_e32 v14, v105, v17
	;; [unrolled: 1-line block ×3, first 2 shown]
	s_delay_alu instid0(VALU_DEP_2) | instskip(NEXT) | instid1(VALU_DEP_2)
	v_sub_f32_e32 v15, v14, v105
	v_add_f32_e32 v9, v106, v9
	s_delay_alu instid0(VALU_DEP_2) | instskip(NEXT) | instid1(VALU_DEP_2)
	v_sub_f32_e32 v15, v17, v15
	v_mul_f32_e32 v9, v13, v9
	s_delay_alu instid0(VALU_DEP_1) | instskip(NEXT) | instid1(VALU_DEP_1)
	v_add_f32_e32 v9, v15, v9
	v_add_f32_e32 v13, v14, v9
	s_delay_alu instid0(VALU_DEP_1) | instskip(NEXT) | instid1(VALU_DEP_1)
	v_mul_f32_e32 v15, v13, v13
	v_fmaak_f32 v17, s84, v15, 0x3ecc95a3
	s_delay_alu instid0(VALU_DEP_1) | instskip(SKIP_2) | instid1(VALU_DEP_3)
	v_dual_mul_f32 v102, v13, v15 :: v_dual_fmaak_f32 v15, v15, v17, 0x3f2aaada
	v_ldexp_f32 v17, v13, 1
	v_sub_f32_e32 v13, v13, v14
	v_dual_mul_f32 v15, v102, v15 :: v_dual_mul_f32 v102, 0x3f317218, v8
	s_delay_alu instid0(VALU_DEP_2) | instskip(NEXT) | instid1(VALU_DEP_2)
	v_sub_f32_e32 v9, v9, v13
	v_add_f32_e32 v14, v17, v15
	s_delay_alu instid0(VALU_DEP_2) | instskip(NEXT) | instid1(VALU_DEP_2)
	v_ldexp_f32 v9, v9, 1
	v_sub_f32_e32 v13, v14, v17
	v_fma_f32 v17, 0x3f317218, v8, -v102
	s_delay_alu instid0(VALU_DEP_2) | instskip(NEXT) | instid1(VALU_DEP_1)
	v_sub_f32_e32 v13, v15, v13
	v_dual_fmac_f32 v17, 0xb102e308, v8 :: v_dual_add_f32 v8, v9, v13
	s_delay_alu instid0(VALU_DEP_1) | instskip(NEXT) | instid1(VALU_DEP_1)
	v_add_f32_e32 v9, v102, v17
	v_dual_add_f32 v13, v14, v8 :: v_dual_sub_f32 v102, v9, v102
	s_delay_alu instid0(VALU_DEP_1) | instskip(SKIP_1) | instid1(VALU_DEP_3)
	v_add_f32_e32 v15, v9, v13
	v_sub_f32_e32 v14, v13, v14
	v_sub_f32_e32 v17, v17, v102
	s_delay_alu instid0(VALU_DEP_2) | instskip(NEXT) | instid1(VALU_DEP_1)
	v_dual_sub_f32 v103, v15, v9 :: v_dual_sub_f32 v8, v8, v14
	v_sub_f32_e32 v105, v15, v103
	v_sub_f32_e32 v13, v13, v103
	s_delay_alu instid0(VALU_DEP_3) | instskip(NEXT) | instid1(VALU_DEP_3)
	v_add_f32_e32 v14, v17, v8
	v_sub_f32_e32 v9, v9, v105
	s_delay_alu instid0(VALU_DEP_1) | instskip(NEXT) | instid1(VALU_DEP_3)
	v_add_f32_e32 v9, v13, v9
	v_sub_f32_e32 v13, v14, v17
	s_delay_alu instid0(VALU_DEP_2) | instskip(NEXT) | instid1(VALU_DEP_2)
	v_add_f32_e32 v9, v14, v9
	v_sub_f32_e32 v14, v14, v13
	v_sub_f32_e32 v8, v8, v13
	s_delay_alu instid0(VALU_DEP_3) | instskip(NEXT) | instid1(VALU_DEP_1)
	v_add_f32_e32 v102, v15, v9
	v_dual_sub_f32 v14, v17, v14 :: v_dual_sub_f32 v13, v102, v15
	s_delay_alu instid0(VALU_DEP_1) | instskip(NEXT) | instid1(VALU_DEP_1)
	v_dual_add_f32 v8, v8, v14 :: v_dual_sub_f32 v9, v9, v13
	v_add_f32_e32 v8, v8, v9
	s_delay_alu instid0(VALU_DEP_1) | instskip(NEXT) | instid1(VALU_DEP_1)
	v_add_f32_e32 v8, v102, v8
	v_cndmask_b32_e32 v122, v8, v12, vcc_lo
.LBB92_100:                             ;   in Loop: Header=BB92_12 Depth=1
	s_or_b32 exec_lo, exec_lo, s30
	v_lshrrev_b32_e32 v8, 16, v10
	s_delay_alu instid0(VALU_DEP_1) | instskip(NEXT) | instid1(VALU_DEP_1)
	v_cvt_f32_f16_e32 v8, v8
	v_add_f32_e32 v123, s67, v8
	s_delay_alu instid0(VALU_DEP_1) | instskip(SKIP_1) | instid1(SALU_CYCLE_1)
	v_cmp_ge_f32_e32 vcc_lo, 0x41a00000, v123
	s_and_b32 s29, s80, vcc_lo
	s_and_saveexec_b32 s30, s29
	s_cbranch_execz .LBB92_102
; %bb.101:                              ;   in Loop: Header=BB92_12 Depth=1
	v_mul_f32_e32 v8, 0x3fb8aa3b, v123
	v_cmp_ngt_f32_e32 vcc_lo, 0xc2ce8ed0, v123
	s_delay_alu instid0(VALU_DEP_2) | instskip(SKIP_1) | instid1(VALU_DEP_2)
	v_rndne_f32_e32 v9, v8
	v_fma_f32 v10, 0x3fb8aa3b, v123, -v8
	v_sub_f32_e32 v8, v8, v9
	s_delay_alu instid0(VALU_DEP_2) | instskip(SKIP_1) | instid1(VALU_DEP_2)
	v_fmac_f32_e32 v10, 0x32a5705f, v123
	v_cvt_i32_f32_e32 v9, v9
	v_add_f32_e32 v8, v8, v10
	s_delay_alu instid0(VALU_DEP_1) | instskip(SKIP_2) | instid1(VALU_DEP_1)
	v_exp_f32_e32 v8, v8
	s_waitcnt_depctr 0xfff
	v_ldexp_f32 v8, v8, v9
	v_cndmask_b32_e32 v8, 0, v8, vcc_lo
	v_cmp_nlt_f32_e32 vcc_lo, 0x42b17218, v123
	s_delay_alu instid0(VALU_DEP_2) | instskip(NEXT) | instid1(VALU_DEP_1)
	v_cndmask_b32_e32 v10, 0x7f800000, v8, vcc_lo
	v_add_f32_e32 v12, 1.0, v10
	s_delay_alu instid0(VALU_DEP_1) | instskip(NEXT) | instid1(VALU_DEP_1)
	v_cvt_f64_f32_e32 v[8:9], v12
	v_frexp_exp_i32_f64_e32 v8, v[8:9]
	v_frexp_mant_f32_e32 v9, v12
	s_delay_alu instid0(VALU_DEP_1) | instskip(SKIP_1) | instid1(VALU_DEP_1)
	v_cmp_gt_f32_e32 vcc_lo, 0x3f2aaaab, v9
	v_add_f32_e32 v9, -1.0, v12
	v_dual_sub_f32 v14, v9, v12 :: v_dual_sub_f32 v9, v10, v9
	v_subrev_co_ci_u32_e32 v8, vcc_lo, 0, v8, vcc_lo
	s_delay_alu instid0(VALU_DEP_1) | instskip(SKIP_1) | instid1(VALU_DEP_2)
	v_sub_nc_u32_e32 v13, 0, v8
	v_cvt_f32_i32_e32 v8, v8
	v_ldexp_f32 v12, v12, v13
	s_delay_alu instid0(VALU_DEP_1) | instskip(NEXT) | instid1(VALU_DEP_1)
	v_dual_add_f32 v14, 1.0, v14 :: v_dual_add_f32 v15, 1.0, v12
	v_add_f32_e32 v9, v9, v14
	s_delay_alu instid0(VALU_DEP_1) | instskip(NEXT) | instid1(VALU_DEP_3)
	v_ldexp_f32 v9, v9, v13
	v_dual_add_f32 v13, -1.0, v12 :: v_dual_add_f32 v14, -1.0, v15
	s_delay_alu instid0(VALU_DEP_1) | instskip(NEXT) | instid1(VALU_DEP_1)
	v_dual_add_f32 v17, 1.0, v13 :: v_dual_sub_f32 v14, v12, v14
	v_sub_f32_e32 v12, v12, v17
	s_delay_alu instid0(VALU_DEP_2) | instskip(NEXT) | instid1(VALU_DEP_2)
	v_add_f32_e32 v14, v9, v14
	v_add_f32_e32 v9, v9, v12
	s_delay_alu instid0(VALU_DEP_2) | instskip(SKIP_2) | instid1(VALU_DEP_3)
	v_add_f32_e32 v17, v15, v14
	v_cmp_eq_f32_e32 vcc_lo, 0x7f800000, v10
	v_cmp_gt_f32_e64 s29, 0x33800000, v10
	v_rcp_f32_e32 v12, v17
	v_sub_f32_e32 v15, v15, v17
	s_delay_alu instid0(VALU_DEP_2) | instskip(NEXT) | instid1(VALU_DEP_1)
	s_or_b32 vcc_lo, s29, vcc_lo
	v_add_f32_e32 v14, v14, v15
	v_add_f32_e32 v102, v13, v9
	s_waitcnt_depctr 0xfff
	v_mul_f32_e32 v103, v102, v12
	s_delay_alu instid0(VALU_DEP_1) | instskip(NEXT) | instid1(VALU_DEP_1)
	v_mul_f32_e32 v105, v17, v103
	v_fma_f32 v15, v103, v17, -v105
	s_delay_alu instid0(VALU_DEP_1) | instskip(SKIP_1) | instid1(VALU_DEP_2)
	v_fmac_f32_e32 v15, v103, v14
	v_sub_f32_e32 v13, v13, v102
	v_add_f32_e32 v106, v105, v15
	s_delay_alu instid0(VALU_DEP_2) | instskip(NEXT) | instid1(VALU_DEP_2)
	v_add_f32_e32 v9, v9, v13
	v_sub_f32_e32 v107, v102, v106
	v_sub_f32_e32 v13, v106, v105
	s_delay_alu instid0(VALU_DEP_2) | instskip(NEXT) | instid1(VALU_DEP_1)
	v_sub_f32_e32 v102, v102, v107
	v_dual_sub_f32 v13, v13, v15 :: v_dual_sub_f32 v102, v102, v106
	s_delay_alu instid0(VALU_DEP_1) | instskip(NEXT) | instid1(VALU_DEP_1)
	v_add_f32_e32 v9, v9, v102
	v_add_f32_e32 v9, v13, v9
	s_delay_alu instid0(VALU_DEP_1) | instskip(NEXT) | instid1(VALU_DEP_1)
	v_add_f32_e32 v13, v107, v9
	v_mul_f32_e32 v15, v12, v13
	v_sub_f32_e32 v106, v107, v13
	s_delay_alu instid0(VALU_DEP_2) | instskip(NEXT) | instid1(VALU_DEP_1)
	v_mul_f32_e32 v102, v17, v15
	v_fma_f32 v17, v15, v17, -v102
	s_delay_alu instid0(VALU_DEP_1) | instskip(NEXT) | instid1(VALU_DEP_1)
	v_fmac_f32_e32 v17, v15, v14
	v_add_f32_e32 v14, v102, v17
	s_delay_alu instid0(VALU_DEP_1) | instskip(SKIP_2) | instid1(VALU_DEP_3)
	v_sub_f32_e32 v105, v13, v14
	v_sub_f32_e32 v102, v14, v102
	v_add_f32_e32 v9, v9, v106
	v_sub_f32_e32 v13, v13, v105
	s_delay_alu instid0(VALU_DEP_1) | instskip(NEXT) | instid1(VALU_DEP_1)
	v_dual_sub_f32 v13, v13, v14 :: v_dual_sub_f32 v14, v102, v17
	v_add_f32_e32 v9, v9, v13
	v_add_f32_e32 v13, v103, v15
	s_delay_alu instid0(VALU_DEP_1) | instskip(NEXT) | instid1(VALU_DEP_1)
	v_dual_add_f32 v9, v14, v9 :: v_dual_sub_f32 v14, v13, v103
	v_dual_add_f32 v9, v105, v9 :: v_dual_sub_f32 v14, v15, v14
	s_delay_alu instid0(VALU_DEP_1) | instskip(NEXT) | instid1(VALU_DEP_1)
	v_mul_f32_e32 v9, v12, v9
	v_add_f32_e32 v9, v14, v9
	s_delay_alu instid0(VALU_DEP_1) | instskip(NEXT) | instid1(VALU_DEP_1)
	v_add_f32_e32 v12, v13, v9
	v_mul_f32_e32 v14, v12, v12
	s_delay_alu instid0(VALU_DEP_1) | instskip(NEXT) | instid1(VALU_DEP_1)
	v_fmaak_f32 v15, s84, v14, 0x3ecc95a3
	v_dual_mul_f32 v17, v12, v14 :: v_dual_fmaak_f32 v14, v14, v15, 0x3f2aaada
	v_ldexp_f32 v15, v12, 1
	s_delay_alu instid0(VALU_DEP_2) | instskip(SKIP_1) | instid1(VALU_DEP_2)
	v_mul_f32_e32 v14, v17, v14
	v_dual_sub_f32 v12, v12, v13 :: v_dual_mul_f32 v17, 0x3f317218, v8
	v_add_f32_e32 v13, v15, v14
	s_delay_alu instid0(VALU_DEP_2) | instskip(NEXT) | instid1(VALU_DEP_2)
	v_sub_f32_e32 v9, v9, v12
	v_sub_f32_e32 v12, v13, v15
	s_delay_alu instid0(VALU_DEP_4) | instskip(NEXT) | instid1(VALU_DEP_3)
	v_fma_f32 v15, 0x3f317218, v8, -v17
	v_ldexp_f32 v9, v9, 1
	s_delay_alu instid0(VALU_DEP_3) | instskip(NEXT) | instid1(VALU_DEP_3)
	v_sub_f32_e32 v12, v14, v12
	v_fmac_f32_e32 v15, 0xb102e308, v8
	s_delay_alu instid0(VALU_DEP_2) | instskip(NEXT) | instid1(VALU_DEP_1)
	v_add_f32_e32 v8, v9, v12
	v_add_f32_e32 v12, v13, v8
	s_delay_alu instid0(VALU_DEP_1) | instskip(NEXT) | instid1(VALU_DEP_1)
	v_sub_f32_e32 v13, v12, v13
	v_dual_sub_f32 v8, v8, v13 :: v_dual_add_f32 v9, v17, v15
	s_delay_alu instid0(VALU_DEP_1) | instskip(NEXT) | instid1(VALU_DEP_1)
	v_add_f32_e32 v14, v9, v12
	v_sub_f32_e32 v102, v14, v9
	s_delay_alu instid0(VALU_DEP_1) | instskip(NEXT) | instid1(VALU_DEP_1)
	v_dual_sub_f32 v17, v9, v17 :: v_dual_sub_f32 v12, v12, v102
	v_sub_f32_e32 v15, v15, v17
	s_delay_alu instid0(VALU_DEP_1) | instskip(SKIP_1) | instid1(VALU_DEP_1)
	v_add_f32_e32 v13, v15, v8
	v_sub_f32_e32 v103, v14, v102
	v_sub_f32_e32 v9, v9, v103
	s_delay_alu instid0(VALU_DEP_1) | instskip(NEXT) | instid1(VALU_DEP_1)
	v_dual_add_f32 v9, v12, v9 :: v_dual_sub_f32 v12, v13, v15
	v_add_f32_e32 v9, v13, v9
	s_delay_alu instid0(VALU_DEP_2) | instskip(NEXT) | instid1(VALU_DEP_2)
	v_sub_f32_e32 v13, v13, v12
	v_dual_sub_f32 v8, v8, v12 :: v_dual_add_f32 v17, v14, v9
	s_delay_alu instid0(VALU_DEP_1) | instskip(NEXT) | instid1(VALU_DEP_1)
	v_dual_sub_f32 v13, v15, v13 :: v_dual_sub_f32 v12, v17, v14
	v_dual_add_f32 v8, v8, v13 :: v_dual_sub_f32 v9, v9, v12
	s_delay_alu instid0(VALU_DEP_1) | instskip(NEXT) | instid1(VALU_DEP_1)
	v_add_f32_e32 v8, v8, v9
	v_add_f32_e32 v8, v17, v8
	s_delay_alu instid0(VALU_DEP_1)
	v_cndmask_b32_e32 v123, v8, v10, vcc_lo
.LBB92_102:                             ;   in Loop: Header=BB92_12 Depth=1
	s_or_b32 exec_lo, exec_lo, s30
	v_cvt_f32_f16_e32 v8, v11
	s_delay_alu instid0(VALU_DEP_1) | instskip(NEXT) | instid1(VALU_DEP_1)
	v_add_f32_e32 v124, s67, v8
	v_cmp_ge_f32_e32 vcc_lo, 0x41a00000, v124
	s_and_b32 s29, s80, vcc_lo
	s_delay_alu instid0(SALU_CYCLE_1)
	s_and_saveexec_b32 s30, s29
	s_cbranch_execz .LBB92_104
; %bb.103:                              ;   in Loop: Header=BB92_12 Depth=1
	v_mul_f32_e32 v8, 0x3fb8aa3b, v124
	v_cmp_ngt_f32_e32 vcc_lo, 0xc2ce8ed0, v124
	s_delay_alu instid0(VALU_DEP_2) | instskip(SKIP_1) | instid1(VALU_DEP_2)
	v_rndne_f32_e32 v9, v8
	v_fma_f32 v10, 0x3fb8aa3b, v124, -v8
	v_sub_f32_e32 v8, v8, v9
	s_delay_alu instid0(VALU_DEP_2) | instskip(SKIP_1) | instid1(VALU_DEP_2)
	v_fmac_f32_e32 v10, 0x32a5705f, v124
	v_cvt_i32_f32_e32 v9, v9
	v_add_f32_e32 v8, v8, v10
	s_delay_alu instid0(VALU_DEP_1) | instskip(SKIP_2) | instid1(VALU_DEP_1)
	v_exp_f32_e32 v8, v8
	s_waitcnt_depctr 0xfff
	v_ldexp_f32 v8, v8, v9
	v_cndmask_b32_e32 v8, 0, v8, vcc_lo
	v_cmp_nlt_f32_e32 vcc_lo, 0x42b17218, v124
	s_delay_alu instid0(VALU_DEP_2) | instskip(NEXT) | instid1(VALU_DEP_1)
	v_cndmask_b32_e32 v10, 0x7f800000, v8, vcc_lo
	v_add_f32_e32 v12, 1.0, v10
	s_delay_alu instid0(VALU_DEP_1) | instskip(NEXT) | instid1(VALU_DEP_1)
	v_cvt_f64_f32_e32 v[8:9], v12
	v_frexp_exp_i32_f64_e32 v8, v[8:9]
	v_frexp_mant_f32_e32 v9, v12
	s_delay_alu instid0(VALU_DEP_1) | instskip(SKIP_1) | instid1(VALU_DEP_1)
	v_cmp_gt_f32_e32 vcc_lo, 0x3f2aaaab, v9
	v_add_f32_e32 v9, -1.0, v12
	v_dual_sub_f32 v14, v9, v12 :: v_dual_sub_f32 v9, v10, v9
	v_subrev_co_ci_u32_e32 v8, vcc_lo, 0, v8, vcc_lo
	s_delay_alu instid0(VALU_DEP_1) | instskip(SKIP_1) | instid1(VALU_DEP_2)
	v_sub_nc_u32_e32 v13, 0, v8
	v_cvt_f32_i32_e32 v8, v8
	v_ldexp_f32 v12, v12, v13
	s_delay_alu instid0(VALU_DEP_1) | instskip(NEXT) | instid1(VALU_DEP_1)
	v_dual_add_f32 v14, 1.0, v14 :: v_dual_add_f32 v15, 1.0, v12
	v_add_f32_e32 v9, v9, v14
	s_delay_alu instid0(VALU_DEP_1) | instskip(NEXT) | instid1(VALU_DEP_3)
	v_ldexp_f32 v9, v9, v13
	v_dual_add_f32 v13, -1.0, v12 :: v_dual_add_f32 v14, -1.0, v15
	s_delay_alu instid0(VALU_DEP_1) | instskip(NEXT) | instid1(VALU_DEP_1)
	v_dual_add_f32 v17, 1.0, v13 :: v_dual_sub_f32 v14, v12, v14
	v_sub_f32_e32 v12, v12, v17
	s_delay_alu instid0(VALU_DEP_2) | instskip(NEXT) | instid1(VALU_DEP_2)
	v_add_f32_e32 v14, v9, v14
	v_add_f32_e32 v9, v9, v12
	s_delay_alu instid0(VALU_DEP_2) | instskip(SKIP_2) | instid1(VALU_DEP_3)
	v_add_f32_e32 v17, v15, v14
	v_cmp_eq_f32_e32 vcc_lo, 0x7f800000, v10
	v_cmp_gt_f32_e64 s29, 0x33800000, v10
	v_rcp_f32_e32 v12, v17
	v_sub_f32_e32 v15, v15, v17
	s_delay_alu instid0(VALU_DEP_2) | instskip(NEXT) | instid1(VALU_DEP_1)
	s_or_b32 vcc_lo, s29, vcc_lo
	v_add_f32_e32 v14, v14, v15
	v_add_f32_e32 v102, v13, v9
	s_waitcnt_depctr 0xfff
	v_mul_f32_e32 v103, v102, v12
	s_delay_alu instid0(VALU_DEP_1) | instskip(NEXT) | instid1(VALU_DEP_1)
	v_mul_f32_e32 v105, v17, v103
	v_fma_f32 v15, v103, v17, -v105
	s_delay_alu instid0(VALU_DEP_1) | instskip(SKIP_1) | instid1(VALU_DEP_2)
	v_fmac_f32_e32 v15, v103, v14
	v_sub_f32_e32 v13, v13, v102
	v_add_f32_e32 v106, v105, v15
	s_delay_alu instid0(VALU_DEP_2) | instskip(NEXT) | instid1(VALU_DEP_2)
	v_add_f32_e32 v9, v9, v13
	v_sub_f32_e32 v107, v102, v106
	v_sub_f32_e32 v13, v106, v105
	s_delay_alu instid0(VALU_DEP_2) | instskip(NEXT) | instid1(VALU_DEP_1)
	v_sub_f32_e32 v102, v102, v107
	v_dual_sub_f32 v13, v13, v15 :: v_dual_sub_f32 v102, v102, v106
	s_delay_alu instid0(VALU_DEP_1) | instskip(NEXT) | instid1(VALU_DEP_1)
	v_add_f32_e32 v9, v9, v102
	v_add_f32_e32 v9, v13, v9
	s_delay_alu instid0(VALU_DEP_1) | instskip(NEXT) | instid1(VALU_DEP_1)
	v_add_f32_e32 v13, v107, v9
	v_mul_f32_e32 v15, v12, v13
	v_sub_f32_e32 v106, v107, v13
	s_delay_alu instid0(VALU_DEP_2) | instskip(NEXT) | instid1(VALU_DEP_1)
	v_mul_f32_e32 v102, v17, v15
	v_fma_f32 v17, v15, v17, -v102
	s_delay_alu instid0(VALU_DEP_1) | instskip(NEXT) | instid1(VALU_DEP_1)
	v_fmac_f32_e32 v17, v15, v14
	v_add_f32_e32 v14, v102, v17
	s_delay_alu instid0(VALU_DEP_1) | instskip(SKIP_2) | instid1(VALU_DEP_3)
	v_sub_f32_e32 v105, v13, v14
	v_sub_f32_e32 v102, v14, v102
	v_add_f32_e32 v9, v9, v106
	v_sub_f32_e32 v13, v13, v105
	s_delay_alu instid0(VALU_DEP_1) | instskip(NEXT) | instid1(VALU_DEP_1)
	v_dual_sub_f32 v13, v13, v14 :: v_dual_sub_f32 v14, v102, v17
	v_add_f32_e32 v9, v9, v13
	v_add_f32_e32 v13, v103, v15
	s_delay_alu instid0(VALU_DEP_1) | instskip(NEXT) | instid1(VALU_DEP_1)
	v_dual_add_f32 v9, v14, v9 :: v_dual_sub_f32 v14, v13, v103
	v_dual_add_f32 v9, v105, v9 :: v_dual_sub_f32 v14, v15, v14
	s_delay_alu instid0(VALU_DEP_1) | instskip(NEXT) | instid1(VALU_DEP_1)
	v_mul_f32_e32 v9, v12, v9
	v_add_f32_e32 v9, v14, v9
	s_delay_alu instid0(VALU_DEP_1) | instskip(NEXT) | instid1(VALU_DEP_1)
	v_add_f32_e32 v12, v13, v9
	v_mul_f32_e32 v14, v12, v12
	s_delay_alu instid0(VALU_DEP_1) | instskip(NEXT) | instid1(VALU_DEP_1)
	v_fmaak_f32 v15, s84, v14, 0x3ecc95a3
	v_dual_mul_f32 v17, v12, v14 :: v_dual_fmaak_f32 v14, v14, v15, 0x3f2aaada
	v_ldexp_f32 v15, v12, 1
	s_delay_alu instid0(VALU_DEP_2) | instskip(SKIP_1) | instid1(VALU_DEP_2)
	v_mul_f32_e32 v14, v17, v14
	v_dual_sub_f32 v12, v12, v13 :: v_dual_mul_f32 v17, 0x3f317218, v8
	v_add_f32_e32 v13, v15, v14
	s_delay_alu instid0(VALU_DEP_2) | instskip(NEXT) | instid1(VALU_DEP_2)
	v_sub_f32_e32 v9, v9, v12
	v_sub_f32_e32 v12, v13, v15
	s_delay_alu instid0(VALU_DEP_4) | instskip(NEXT) | instid1(VALU_DEP_3)
	v_fma_f32 v15, 0x3f317218, v8, -v17
	v_ldexp_f32 v9, v9, 1
	s_delay_alu instid0(VALU_DEP_3) | instskip(NEXT) | instid1(VALU_DEP_3)
	v_sub_f32_e32 v12, v14, v12
	v_fmac_f32_e32 v15, 0xb102e308, v8
	s_delay_alu instid0(VALU_DEP_2) | instskip(NEXT) | instid1(VALU_DEP_1)
	v_add_f32_e32 v8, v9, v12
	v_add_f32_e32 v12, v13, v8
	s_delay_alu instid0(VALU_DEP_1) | instskip(NEXT) | instid1(VALU_DEP_1)
	v_sub_f32_e32 v13, v12, v13
	v_dual_sub_f32 v8, v8, v13 :: v_dual_add_f32 v9, v17, v15
	s_delay_alu instid0(VALU_DEP_1) | instskip(NEXT) | instid1(VALU_DEP_1)
	v_add_f32_e32 v14, v9, v12
	v_sub_f32_e32 v102, v14, v9
	s_delay_alu instid0(VALU_DEP_1) | instskip(NEXT) | instid1(VALU_DEP_1)
	v_dual_sub_f32 v17, v9, v17 :: v_dual_sub_f32 v12, v12, v102
	v_sub_f32_e32 v15, v15, v17
	s_delay_alu instid0(VALU_DEP_1) | instskip(SKIP_1) | instid1(VALU_DEP_1)
	v_add_f32_e32 v13, v15, v8
	v_sub_f32_e32 v103, v14, v102
	v_sub_f32_e32 v9, v9, v103
	s_delay_alu instid0(VALU_DEP_1) | instskip(NEXT) | instid1(VALU_DEP_1)
	v_dual_add_f32 v9, v12, v9 :: v_dual_sub_f32 v12, v13, v15
	v_add_f32_e32 v9, v13, v9
	s_delay_alu instid0(VALU_DEP_2) | instskip(NEXT) | instid1(VALU_DEP_2)
	v_sub_f32_e32 v13, v13, v12
	v_dual_sub_f32 v8, v8, v12 :: v_dual_add_f32 v17, v14, v9
	s_delay_alu instid0(VALU_DEP_1) | instskip(NEXT) | instid1(VALU_DEP_1)
	v_dual_sub_f32 v13, v15, v13 :: v_dual_sub_f32 v12, v17, v14
	v_dual_add_f32 v8, v8, v13 :: v_dual_sub_f32 v9, v9, v12
	s_delay_alu instid0(VALU_DEP_1) | instskip(NEXT) | instid1(VALU_DEP_1)
	v_add_f32_e32 v8, v8, v9
	v_add_f32_e32 v8, v17, v8
	s_delay_alu instid0(VALU_DEP_1)
	v_cndmask_b32_e32 v124, v8, v10, vcc_lo
.LBB92_104:                             ;   in Loop: Header=BB92_12 Depth=1
	s_or_b32 exec_lo, exec_lo, s30
	v_lshrrev_b32_e32 v8, 16, v11
	s_delay_alu instid0(VALU_DEP_1) | instskip(NEXT) | instid1(VALU_DEP_1)
	v_cvt_f32_f16_e32 v8, v8
	v_add_f32_e32 v125, s67, v8
	s_delay_alu instid0(VALU_DEP_1) | instskip(SKIP_1) | instid1(SALU_CYCLE_1)
	v_cmp_ge_f32_e32 vcc_lo, 0x41a00000, v125
	s_and_b32 s29, s80, vcc_lo
	s_and_saveexec_b32 s30, s29
	s_cbranch_execz .LBB92_106
; %bb.105:                              ;   in Loop: Header=BB92_12 Depth=1
	v_mul_f32_e32 v8, 0x3fb8aa3b, v125
	v_cmp_ngt_f32_e32 vcc_lo, 0xc2ce8ed0, v125
	s_delay_alu instid0(VALU_DEP_2) | instskip(SKIP_1) | instid1(VALU_DEP_2)
	v_rndne_f32_e32 v9, v8
	v_fma_f32 v10, 0x3fb8aa3b, v125, -v8
	v_sub_f32_e32 v8, v8, v9
	s_delay_alu instid0(VALU_DEP_2) | instskip(SKIP_1) | instid1(VALU_DEP_2)
	v_fmac_f32_e32 v10, 0x32a5705f, v125
	v_cvt_i32_f32_e32 v9, v9
	v_add_f32_e32 v8, v8, v10
	s_delay_alu instid0(VALU_DEP_1) | instskip(SKIP_2) | instid1(VALU_DEP_1)
	v_exp_f32_e32 v8, v8
	s_waitcnt_depctr 0xfff
	v_ldexp_f32 v8, v8, v9
	v_cndmask_b32_e32 v8, 0, v8, vcc_lo
	v_cmp_nlt_f32_e32 vcc_lo, 0x42b17218, v125
	s_delay_alu instid0(VALU_DEP_2) | instskip(NEXT) | instid1(VALU_DEP_1)
	v_cndmask_b32_e32 v10, 0x7f800000, v8, vcc_lo
	v_add_f32_e32 v11, 1.0, v10
	s_delay_alu instid0(VALU_DEP_1) | instskip(NEXT) | instid1(VALU_DEP_1)
	v_cvt_f64_f32_e32 v[8:9], v11
	v_frexp_exp_i32_f64_e32 v8, v[8:9]
	v_frexp_mant_f32_e32 v9, v11
	s_delay_alu instid0(VALU_DEP_1) | instskip(SKIP_1) | instid1(VALU_DEP_1)
	v_cmp_gt_f32_e32 vcc_lo, 0x3f2aaaab, v9
	v_add_f32_e32 v9, -1.0, v11
	v_sub_f32_e32 v13, v9, v11
	v_sub_f32_e32 v9, v10, v9
	s_delay_alu instid0(VALU_DEP_2) | instskip(NEXT) | instid1(VALU_DEP_1)
	v_add_f32_e32 v13, 1.0, v13
	v_add_f32_e32 v9, v9, v13
	v_cmp_gt_f32_e64 s29, 0x33800000, v10
	v_subrev_co_ci_u32_e32 v8, vcc_lo, 0, v8, vcc_lo
	v_cmp_eq_f32_e32 vcc_lo, 0x7f800000, v10
	s_delay_alu instid0(VALU_DEP_2) | instskip(SKIP_2) | instid1(VALU_DEP_2)
	v_sub_nc_u32_e32 v12, 0, v8
	v_cvt_f32_i32_e32 v8, v8
	s_or_b32 vcc_lo, s29, vcc_lo
	v_ldexp_f32 v11, v11, v12
	v_ldexp_f32 v9, v9, v12
	s_delay_alu instid0(VALU_DEP_2) | instskip(NEXT) | instid1(VALU_DEP_1)
	v_add_f32_e32 v14, 1.0, v11
	v_dual_add_f32 v12, -1.0, v11 :: v_dual_add_f32 v13, -1.0, v14
	s_delay_alu instid0(VALU_DEP_1) | instskip(NEXT) | instid1(VALU_DEP_2)
	v_add_f32_e32 v15, 1.0, v12
	v_sub_f32_e32 v13, v11, v13
	s_delay_alu instid0(VALU_DEP_2) | instskip(NEXT) | instid1(VALU_DEP_2)
	v_sub_f32_e32 v11, v11, v15
	v_add_f32_e32 v13, v9, v13
	s_delay_alu instid0(VALU_DEP_2) | instskip(NEXT) | instid1(VALU_DEP_2)
	v_add_f32_e32 v9, v9, v11
	v_add_f32_e32 v15, v14, v13
	s_delay_alu instid0(VALU_DEP_1) | instskip(NEXT) | instid1(VALU_DEP_2)
	v_rcp_f32_e32 v11, v15
	v_dual_add_f32 v17, v12, v9 :: v_dual_sub_f32 v14, v14, v15
	s_delay_alu instid0(VALU_DEP_1) | instskip(SKIP_2) | instid1(VALU_DEP_1)
	v_dual_sub_f32 v12, v12, v17 :: v_dual_add_f32 v13, v13, v14
	s_waitcnt_depctr 0xfff
	v_mul_f32_e32 v102, v17, v11
	v_mul_f32_e32 v103, v15, v102
	s_delay_alu instid0(VALU_DEP_1) | instskip(NEXT) | instid1(VALU_DEP_1)
	v_fma_f32 v14, v102, v15, -v103
	v_dual_fmac_f32 v14, v102, v13 :: v_dual_add_f32 v9, v9, v12
	s_delay_alu instid0(VALU_DEP_1) | instskip(NEXT) | instid1(VALU_DEP_1)
	v_add_f32_e32 v105, v103, v14
	v_sub_f32_e32 v106, v17, v105
	v_sub_f32_e32 v12, v105, v103
	s_delay_alu instid0(VALU_DEP_2) | instskip(NEXT) | instid1(VALU_DEP_1)
	v_sub_f32_e32 v17, v17, v106
	v_dual_sub_f32 v12, v12, v14 :: v_dual_sub_f32 v17, v17, v105
	s_delay_alu instid0(VALU_DEP_1) | instskip(NEXT) | instid1(VALU_DEP_1)
	v_add_f32_e32 v9, v9, v17
	v_add_f32_e32 v9, v12, v9
	s_delay_alu instid0(VALU_DEP_1) | instskip(NEXT) | instid1(VALU_DEP_1)
	v_add_f32_e32 v12, v106, v9
	v_mul_f32_e32 v14, v11, v12
	v_sub_f32_e32 v105, v106, v12
	s_delay_alu instid0(VALU_DEP_2) | instskip(NEXT) | instid1(VALU_DEP_2)
	v_mul_f32_e32 v17, v15, v14
	v_add_f32_e32 v9, v9, v105
	s_delay_alu instid0(VALU_DEP_2) | instskip(NEXT) | instid1(VALU_DEP_1)
	v_fma_f32 v15, v14, v15, -v17
	v_fmac_f32_e32 v15, v14, v13
	s_delay_alu instid0(VALU_DEP_1) | instskip(NEXT) | instid1(VALU_DEP_1)
	v_add_f32_e32 v13, v17, v15
	v_sub_f32_e32 v103, v12, v13
	s_delay_alu instid0(VALU_DEP_1) | instskip(NEXT) | instid1(VALU_DEP_1)
	v_dual_sub_f32 v17, v13, v17 :: v_dual_sub_f32 v12, v12, v103
	v_dual_sub_f32 v12, v12, v13 :: v_dual_sub_f32 v13, v17, v15
	s_delay_alu instid0(VALU_DEP_1) | instskip(NEXT) | instid1(VALU_DEP_1)
	v_dual_add_f32 v9, v9, v12 :: v_dual_add_f32 v12, v102, v14
	v_add_f32_e32 v9, v13, v9
	s_delay_alu instid0(VALU_DEP_2) | instskip(NEXT) | instid1(VALU_DEP_2)
	v_sub_f32_e32 v13, v12, v102
	v_add_f32_e32 v9, v103, v9
	s_delay_alu instid0(VALU_DEP_2) | instskip(NEXT) | instid1(VALU_DEP_2)
	v_sub_f32_e32 v13, v14, v13
	v_mul_f32_e32 v9, v11, v9
	s_delay_alu instid0(VALU_DEP_1) | instskip(NEXT) | instid1(VALU_DEP_1)
	v_add_f32_e32 v9, v13, v9
	v_add_f32_e32 v11, v12, v9
	s_delay_alu instid0(VALU_DEP_1) | instskip(NEXT) | instid1(VALU_DEP_1)
	v_mul_f32_e32 v13, v11, v11
	v_fmaak_f32 v14, s84, v13, 0x3ecc95a3
	v_mul_f32_e32 v15, v11, v13
	s_delay_alu instid0(VALU_DEP_2) | instskip(SKIP_2) | instid1(VALU_DEP_3)
	v_fmaak_f32 v13, v13, v14, 0x3f2aaada
	v_ldexp_f32 v14, v11, 1
	v_sub_f32_e32 v11, v11, v12
	v_mul_f32_e32 v13, v15, v13
	v_mul_f32_e32 v15, 0x3f317218, v8
	s_delay_alu instid0(VALU_DEP_2) | instskip(NEXT) | instid1(VALU_DEP_1)
	v_dual_sub_f32 v9, v9, v11 :: v_dual_add_f32 v12, v14, v13
	v_ldexp_f32 v9, v9, 1
	s_delay_alu instid0(VALU_DEP_2) | instskip(NEXT) | instid1(VALU_DEP_4)
	v_sub_f32_e32 v11, v12, v14
	v_fma_f32 v14, 0x3f317218, v8, -v15
	s_delay_alu instid0(VALU_DEP_1) | instskip(NEXT) | instid1(VALU_DEP_1)
	v_dual_sub_f32 v11, v13, v11 :: v_dual_fmac_f32 v14, 0xb102e308, v8
	v_dual_add_f32 v8, v9, v11 :: v_dual_add_f32 v9, v15, v14
	s_delay_alu instid0(VALU_DEP_1) | instskip(NEXT) | instid1(VALU_DEP_2)
	v_add_f32_e32 v11, v12, v8
	v_sub_f32_e32 v15, v9, v15
	s_delay_alu instid0(VALU_DEP_2) | instskip(NEXT) | instid1(VALU_DEP_1)
	v_dual_add_f32 v13, v9, v11 :: v_dual_sub_f32 v12, v11, v12
	v_dual_sub_f32 v14, v14, v15 :: v_dual_sub_f32 v17, v13, v9
	s_delay_alu instid0(VALU_DEP_2) | instskip(NEXT) | instid1(VALU_DEP_2)
	v_sub_f32_e32 v8, v8, v12
	v_sub_f32_e32 v102, v13, v17
	s_delay_alu instid0(VALU_DEP_2) | instskip(NEXT) | instid1(VALU_DEP_2)
	v_dual_sub_f32 v11, v11, v17 :: v_dual_add_f32 v12, v14, v8
	v_sub_f32_e32 v9, v9, v102
	s_delay_alu instid0(VALU_DEP_1) | instskip(NEXT) | instid1(VALU_DEP_3)
	v_add_f32_e32 v9, v11, v9
	v_sub_f32_e32 v11, v12, v14
	s_delay_alu instid0(VALU_DEP_2) | instskip(NEXT) | instid1(VALU_DEP_2)
	v_add_f32_e32 v9, v12, v9
	v_sub_f32_e32 v12, v12, v11
	s_delay_alu instid0(VALU_DEP_2) | instskip(NEXT) | instid1(VALU_DEP_1)
	v_dual_sub_f32 v8, v8, v11 :: v_dual_add_f32 v15, v13, v9
	v_dual_sub_f32 v12, v14, v12 :: v_dual_sub_f32 v11, v15, v13
	s_delay_alu instid0(VALU_DEP_1) | instskip(NEXT) | instid1(VALU_DEP_1)
	v_dual_add_f32 v8, v8, v12 :: v_dual_sub_f32 v9, v9, v11
	v_add_f32_e32 v8, v8, v9
	s_delay_alu instid0(VALU_DEP_1) | instskip(NEXT) | instid1(VALU_DEP_1)
	v_add_f32_e32 v8, v15, v8
	v_cndmask_b32_e32 v125, v8, v10, vcc_lo
.LBB92_106:                             ;   in Loop: Header=BB92_12 Depth=1
	s_or_b32 exec_lo, exec_lo, s30
	v_lshrrev_b32_e32 v9, 16, v6
	v_lshrrev_b32_e32 v10, 16, v7
	;; [unrolled: 1-line block ×6, first 2 shown]
	v_cvt_f32_f16_e32 v8, v7
	v_cvt_f32_f16_e32 v7, v9
	;; [unrolled: 1-line block ×7, first 2 shown]
	v_lshrrev_b32_e32 v14, 16, v1
	v_lshrrev_b32_e32 v15, 16, v0
	v_cvt_f32_f16_e32 v6, v6
	v_cvt_f32_f16_e32 v5, v5
	;; [unrolled: 1-line block ×9, first 2 shown]
	v_dual_mul_f32 v106, s68, v8 :: v_dual_mul_f32 v107, s68, v6
	v_dual_mul_f32 v102, s68, v7 :: v_dual_mul_f32 v103, s68, v9
	;; [unrolled: 1-line block ×7, first 2 shown]
	v_mul_f32_e32 v113, s68, v15
	v_mul_f32_e32 v112, s68, v11
	s_and_b32 vcc_lo, exec_lo, s81
	s_barrier
	buffer_gl0_inv
	s_cbranch_vccz .LBB92_204
; %bb.107:                              ;   in Loop: Header=BB92_12 Depth=1
	v_dual_mul_f32 v126, v125, v11 :: v_dual_mul_f32 v131, v124, v8
	v_add_co_u32 v11, s29, s61, v16
	s_delay_alu instid0(VALU_DEP_1) | instskip(SKIP_1) | instid1(VALU_DEP_1)
	v_add_co_ci_u32_e64 v17, null, s62, 0, s29
	v_add_co_u32 v16, s29, s49, v16
	v_add_co_ci_u32_e64 v130, null, s74, 0, s29
	s_delay_alu instid0(VALU_DEP_4) | instskip(NEXT) | instid1(VALU_DEP_4)
	v_add_co_u32 v127, vcc_lo, v11, v93
	v_add_co_ci_u32_e32 v128, vcc_lo, 0, v17, vcc_lo
	s_delay_alu instid0(VALU_DEP_4) | instskip(NEXT) | instid1(VALU_DEP_4)
	v_add_co_u32 v129, vcc_lo, v16, v93
	v_add_co_ci_u32_e32 v130, vcc_lo, 0, v130, vcc_lo
	v_cmp_gt_u32_e32 vcc_lo, s41, v18
	s_cmp_lg_u32 s88, 0
	v_cmp_gt_u32_e64 s31, s41, v79
	s_cselect_b32 s51, -1, 0
	s_cmp_eq_u32 s88, s83
	v_cmp_gt_u32_e64 s33, s41, v80
	s_cselect_b32 s89, -1, 0
	s_or_b32 s29, s82, vcc_lo
	v_cmp_gt_u32_e32 vcc_lo, s41, v78
	v_cmp_gt_u32_e64 s34, s41, v81
	v_cmp_gt_u32_e64 s35, s41, v82
	;; [unrolled: 1-line block ×4, first 2 shown]
	s_or_b32 s30, s82, vcc_lo
	v_cmp_gt_u32_e32 vcc_lo, s41, v83
	v_cmp_gt_u32_e64 s39, s41, v86
	v_cmp_gt_u32_e64 s40, s41, v87
	;; [unrolled: 1-line block ×4, first 2 shown]
	s_or_b32 s36, s82, vcc_lo
	v_cmp_gt_u32_e32 vcc_lo, s41, v88
	v_cmp_gt_u32_e64 s44, s41, v91
	v_cmp_gt_u32_e64 s45, s41, v92
	v_dual_mul_f32 v132, v123, v7 :: v_dual_mul_f32 v133, v122, v6
	v_dual_mul_f32 v134, v121, v9 :: v_dual_mul_f32 v137, v104, v4
	;; [unrolled: 1-line block ×7, first 2 shown]
	s_mov_b32 s64, 0
	s_or_b32 s31, s82, s31
	s_or_b32 s33, s82, s33
	;; [unrolled: 1-line block ×8, first 2 shown]
	s_or_b32 s41, s82, vcc_lo
	s_or_b32 s42, s82, s42
	s_or_b32 s43, s82, s43
	;; [unrolled: 1-line block ×4, first 2 shown]
	s_mov_b32 s52, s64
	s_mov_b32 s54, s64
	;; [unrolled: 1-line block ×5, first 2 shown]
	s_branch .LBB92_109
.LBB92_108:                             ;   in Loop: Header=BB92_109 Depth=2
	s_or_b32 exec_lo, exec_lo, s46
	v_cndmask_b32_e64 v9, v175, v11, s12
	v_cndmask_b32_e64 v10, v174, v10, s12
	s_add_i32 s90, s90, -1
	s_add_i32 s91, s91, 8
	s_add_i32 s58, s58, s75
	v_fma_f32 v9, v9, v146, v15
	v_mul_f32_e32 v10, v10, v146
	s_add_i32 s54, s54, s48
	s_add_i32 s52, s52, s60
	s_add_i32 s64, s64, s57
	v_cndmask_b32_e64 v9, v9, v15, s11
	v_cndmask_b32_e64 v10, v10, v146, s11
	s_cmp_eq_u32 s90, 0
	s_waitcnt lgkmcnt(0)
	s_delay_alu instid0(VALU_DEP_1) | instskip(NEXT) | instid1(VALU_DEP_1)
	v_fmac_f32_e32 v9, v8, v10
	v_fmac_f32_e32 v12, v9, v148
	s_delay_alu instid0(VALU_DEP_1) | instskip(NEXT) | instid1(VALU_DEP_1)
	v_fmac_f32_e32 v13, v12, v150
	v_fmac_f32_e32 v14, v13, v152
	v_fma_mix_f32 v120, v9, v4, v120 op_sel_hi:[0,1,0]
	s_delay_alu instid0(VALU_DEP_2) | instskip(SKIP_2) | instid1(VALU_DEP_3)
	v_fmac_f32_e32 v147, v14, v154
	v_fma_mix_f32 v113, v12, v4, v113 op_sel:[0,1,0] op_sel_hi:[0,1,0]
	v_fma_mix_f32 v114, v14, v5, v114 op_sel:[0,1,0] op_sel_hi:[0,1,0]
	v_fmac_f32_e32 v149, v147, v155
	v_fma_mix_f32 v117, v147, v6, v117 op_sel_hi:[0,1,0]
	s_delay_alu instid0(VALU_DEP_2) | instskip(SKIP_1) | instid1(VALU_DEP_2)
	v_fmac_f32_e32 v151, v149, v157
	v_fma_mix_f32 v110, v149, v6, v110 op_sel:[0,1,0] op_sel_hi:[0,1,0]
	v_fmac_f32_e32 v153, v151, v160
	s_delay_alu instid0(VALU_DEP_1) | instskip(SKIP_1) | instid1(VALU_DEP_2)
	v_fmac_f32_e32 v156, v153, v161
	v_fma_mix_f32 v119, v13, v5, v119 op_sel_hi:[0,1,0]
	v_fmac_f32_e32 v158, v156, v162
	v_fma_mix_f32 v116, v151, v7, v116 op_sel_hi:[0,1,0]
	v_fma_mix_f32 v111, v156, v0, v111 op_sel_hi:[0,1,0]
	s_delay_alu instid0(VALU_DEP_3) | instskip(SKIP_1) | instid1(VALU_DEP_2)
	v_fmac_f32_e32 v159, v158, v163
	v_fma_mix_f32 v105, v158, v0, v105 op_sel:[0,1,0] op_sel_hi:[0,1,0]
	v_fmac_f32_e32 v164, v159, v170
	v_fma_mix_f32 v108, v159, v1, v108 op_sel_hi:[0,1,0]
	s_delay_alu instid0(VALU_DEP_2) | instskip(NEXT) | instid1(VALU_DEP_1)
	v_fmac_f32_e32 v165, v164, v167
	v_fmac_f32_e32 v166, v165, v169
	v_fma_mix_f32 v109, v153, v7, v109 op_sel:[0,1,0] op_sel_hi:[0,1,0]
	s_delay_alu instid0(VALU_DEP_2) | instskip(SKIP_2) | instid1(VALU_DEP_3)
	v_fmac_f32_e32 v168, v166, v172
	v_fma_mix_f32 v107, v165, v2, v107 op_sel_hi:[0,1,0]
	v_fma_mix_f32 v102, v166, v2, v102 op_sel:[0,1,0] op_sel_hi:[0,1,0]
	v_fmac_f32_e32 v171, v168, v173
	v_fma_mix_f32 v103, v164, v1, v103 op_sel:[0,1,0] op_sel_hi:[0,1,0]
	v_fma_mix_f32 v106, v168, v3, v106 op_sel_hi:[0,1,0]
	s_delay_alu instid0(VALU_DEP_3)
	v_fma_mix_f32 v112, v171, v3, v112 op_sel:[0,1,0] op_sel_hi:[0,1,0]
	s_cbranch_scc1 .LBB92_204
.LBB92_109:                             ;   Parent Loop BB92_12 Depth=1
                                        ; =>  This Inner Loop Header: Depth=2
	s_lshl_b64 s[46:47], s[64:65], 2
	s_mov_b32 s53, s65
	s_add_u32 s46, s72, s46
	s_addc_u32 s47, s73, s47
	v_dual_mov_b32 v2, 0 :: v_dual_mov_b32 v3, 0
	global_load_b32 v146, v21, s[46:47]
	s_lshl_b64 s[46:47], s[52:53], 1
	s_delay_alu instid0(SALU_CYCLE_1)
	v_add_co_u32 v0, vcc_lo, v127, s46
	v_add_co_ci_u32_e32 v1, vcc_lo, s47, v128, vcc_lo
	s_and_saveexec_b32 s46, s13
	s_cbranch_execnz .LBB92_145
; %bb.110:                              ;   in Loop: Header=BB92_109 Depth=2
	s_or_b32 exec_lo, exec_lo, s46
	s_and_saveexec_b32 s46, s14
	s_cbranch_execnz .LBB92_146
.LBB92_111:                             ;   in Loop: Header=BB92_109 Depth=2
	s_or_b32 exec_lo, exec_lo, s46
	v_mov_b32_e32 v4, 0
	s_and_saveexec_b32 s46, s15
	s_cbranch_execnz .LBB92_147
.LBB92_112:                             ;   in Loop: Header=BB92_109 Depth=2
	s_or_b32 exec_lo, exec_lo, s46
	s_and_saveexec_b32 s46, s16
	s_cbranch_execnz .LBB92_148
.LBB92_113:                             ;   in Loop: Header=BB92_109 Depth=2
	s_or_b32 exec_lo, exec_lo, s46
	v_mov_b32_e32 v5, 0
	s_and_saveexec_b32 s46, s17
	s_cbranch_execnz .LBB92_149
.LBB92_114:                             ;   in Loop: Header=BB92_109 Depth=2
	s_or_b32 exec_lo, exec_lo, s46
	s_and_saveexec_b32 s46, s18
	s_cbranch_execnz .LBB92_150
.LBB92_115:                             ;   in Loop: Header=BB92_109 Depth=2
	s_or_b32 exec_lo, exec_lo, s46
	v_mov_b32_e32 v6, 0
	s_and_saveexec_b32 s46, s19
	s_cbranch_execnz .LBB92_151
.LBB92_116:                             ;   in Loop: Header=BB92_109 Depth=2
	s_or_b32 exec_lo, exec_lo, s46
	s_and_saveexec_b32 s46, s20
	s_cbranch_execnz .LBB92_152
.LBB92_117:                             ;   in Loop: Header=BB92_109 Depth=2
	s_or_b32 exec_lo, exec_lo, s46
	v_mov_b32_e32 v7, 0
	s_and_saveexec_b32 s46, s21
	s_cbranch_execnz .LBB92_153
.LBB92_118:                             ;   in Loop: Header=BB92_109 Depth=2
	s_or_b32 exec_lo, exec_lo, s46
	s_and_saveexec_b32 s46, s22
	s_cbranch_execnz .LBB92_154
.LBB92_119:                             ;   in Loop: Header=BB92_109 Depth=2
	s_or_b32 exec_lo, exec_lo, s46
	v_mov_b32_e32 v8, 0
	s_and_saveexec_b32 s46, s23
	s_cbranch_execnz .LBB92_155
.LBB92_120:                             ;   in Loop: Header=BB92_109 Depth=2
	s_or_b32 exec_lo, exec_lo, s46
	s_and_saveexec_b32 s46, s24
	s_cbranch_execnz .LBB92_156
.LBB92_121:                             ;   in Loop: Header=BB92_109 Depth=2
	s_or_b32 exec_lo, exec_lo, s46
	v_mov_b32_e32 v9, 0
	s_and_saveexec_b32 s46, s25
	s_cbranch_execnz .LBB92_157
.LBB92_122:                             ;   in Loop: Header=BB92_109 Depth=2
	s_or_b32 exec_lo, exec_lo, s46
	s_and_saveexec_b32 s46, s26
	s_cbranch_execnz .LBB92_158
.LBB92_123:                             ;   in Loop: Header=BB92_109 Depth=2
	s_or_b32 exec_lo, exec_lo, s46
	v_mov_b32_e32 v10, 0
	s_and_saveexec_b32 s46, s27
	s_cbranch_execnz .LBB92_159
.LBB92_124:                             ;   in Loop: Header=BB92_109 Depth=2
	s_or_b32 exec_lo, exec_lo, s46
	s_and_saveexec_b32 s46, s28
	s_cbranch_execz .LBB92_126
.LBB92_125:                             ;   in Loop: Header=BB92_109 Depth=2
	global_load_u16 v0, v[0:1], off offset:960
	s_waitcnt vmcnt(0)
	v_lshl_or_b32 v10, v0, 16, v10
.LBB92_126:                             ;   in Loop: Header=BB92_109 Depth=2
	s_or_b32 exec_lo, exec_lo, s46
	s_waitcnt vmcnt(0)
	ds_store_b16 v37, v3
	ds_store_b16 v37, v2 offset:64
	ds_store_b16 v38, v4 offset:128
	ds_store_b16_d16_hi v39, v4 offset:192
	ds_store_b16 v40, v5 offset:256
	ds_store_b16_d16_hi v41, v5 offset:320
	;; [unrolled: 2-line block ×7, first 2 shown]
	; wave barrier
	ds_load_b128 v[12:15], v52
	ds_load_b128 v[8:11], v52 offset:16
	s_mov_b32 s55, s65
	v_dual_mov_b32 v2, 0 :: v_dual_mov_b32 v3, 0
	s_lshl_b64 s[46:47], s[54:55], 1
	s_delay_alu instid0(SALU_CYCLE_1)
	v_add_co_u32 v0, vcc_lo, v129, s46
	v_add_co_ci_u32_e32 v1, vcc_lo, s47, v130, vcc_lo
	s_and_saveexec_b32 s46, s13
	s_cbranch_execnz .LBB92_160
; %bb.127:                              ;   in Loop: Header=BB92_109 Depth=2
	s_or_b32 exec_lo, exec_lo, s46
	s_and_saveexec_b32 s46, s14
	s_cbranch_execnz .LBB92_161
.LBB92_128:                             ;   in Loop: Header=BB92_109 Depth=2
	s_or_b32 exec_lo, exec_lo, s46
	v_mov_b32_e32 v4, 0
	s_and_saveexec_b32 s46, s15
	s_cbranch_execnz .LBB92_162
.LBB92_129:                             ;   in Loop: Header=BB92_109 Depth=2
	s_or_b32 exec_lo, exec_lo, s46
	s_and_saveexec_b32 s46, s16
	s_cbranch_execnz .LBB92_163
.LBB92_130:                             ;   in Loop: Header=BB92_109 Depth=2
	s_or_b32 exec_lo, exec_lo, s46
	v_mov_b32_e32 v5, 0
	s_and_saveexec_b32 s46, s17
	s_cbranch_execnz .LBB92_164
.LBB92_131:                             ;   in Loop: Header=BB92_109 Depth=2
	s_or_b32 exec_lo, exec_lo, s46
	s_and_saveexec_b32 s46, s18
	s_cbranch_execnz .LBB92_165
.LBB92_132:                             ;   in Loop: Header=BB92_109 Depth=2
	s_or_b32 exec_lo, exec_lo, s46
	v_mov_b32_e32 v6, 0
	s_and_saveexec_b32 s46, s19
	s_cbranch_execnz .LBB92_166
.LBB92_133:                             ;   in Loop: Header=BB92_109 Depth=2
	s_or_b32 exec_lo, exec_lo, s46
	s_and_saveexec_b32 s46, s20
	s_cbranch_execnz .LBB92_167
.LBB92_134:                             ;   in Loop: Header=BB92_109 Depth=2
	s_or_b32 exec_lo, exec_lo, s46
	v_mov_b32_e32 v7, 0
	s_and_saveexec_b32 s46, s21
	s_cbranch_execnz .LBB92_168
.LBB92_135:                             ;   in Loop: Header=BB92_109 Depth=2
	s_or_b32 exec_lo, exec_lo, s46
	s_and_saveexec_b32 s46, s22
	s_cbranch_execnz .LBB92_169
.LBB92_136:                             ;   in Loop: Header=BB92_109 Depth=2
	s_or_b32 exec_lo, exec_lo, s46
	v_mov_b32_e32 v16, 0
	s_and_saveexec_b32 s46, s23
	s_cbranch_execnz .LBB92_170
.LBB92_137:                             ;   in Loop: Header=BB92_109 Depth=2
	s_or_b32 exec_lo, exec_lo, s46
	s_and_saveexec_b32 s46, s24
	s_cbranch_execnz .LBB92_171
.LBB92_138:                             ;   in Loop: Header=BB92_109 Depth=2
	s_or_b32 exec_lo, exec_lo, s46
	v_mov_b32_e32 v17, 0
	s_and_saveexec_b32 s46, s25
	s_cbranch_execnz .LBB92_172
.LBB92_139:                             ;   in Loop: Header=BB92_109 Depth=2
	s_or_b32 exec_lo, exec_lo, s46
	s_and_saveexec_b32 s46, s26
	s_cbranch_execnz .LBB92_173
.LBB92_140:                             ;   in Loop: Header=BB92_109 Depth=2
	s_or_b32 exec_lo, exec_lo, s46
	v_mov_b32_e32 v147, 0
	s_and_saveexec_b32 s46, s27
	s_cbranch_execnz .LBB92_174
.LBB92_141:                             ;   in Loop: Header=BB92_109 Depth=2
	s_or_b32 exec_lo, exec_lo, s46
	s_and_saveexec_b32 s46, s28
	s_cbranch_execz .LBB92_143
.LBB92_142:                             ;   in Loop: Header=BB92_109 Depth=2
	global_load_u16 v0, v[0:1], off offset:960
	s_waitcnt vmcnt(0)
	v_lshl_or_b32 v147, v0, 16, v147
.LBB92_143:                             ;   in Loop: Header=BB92_109 Depth=2
	s_or_b32 exec_lo, exec_lo, s46
	s_waitcnt vmcnt(0)
	ds_store_b16 v37, v3 offset:4224
	ds_store_b16 v53, v2 offset:64
	;; [unrolled: 1-line block ×3, first 2 shown]
	ds_store_b16_d16_hi v55, v4 offset:192
	ds_store_b16 v56, v5 offset:256
	ds_store_b16_d16_hi v57, v5 offset:320
	ds_store_b16 v58, v6 offset:384
	;; [unrolled: 2-line block ×6, first 2 shown]
	ds_store_b16_d16_hi v67, v147 offset:960
	; wave barrier
	ds_load_b128 v[4:7], v52 offset:4224
	ds_load_b128 v[0:3], v68 offset:16
	s_and_not1_b32 vcc_lo, exec_lo, s51
	s_cbranch_vccnz .LBB92_175
; %bb.144:                              ;   in Loop: Header=BB92_109 Depth=2
	v_mov_b32_e32 v16, s91
	ds_load_b64 v[16:17], v16
	s_cbranch_execz .LBB92_176
	s_branch .LBB92_179
.LBB92_145:                             ;   in Loop: Header=BB92_109 Depth=2
	global_load_u16 v3, v[0:1], off
	s_or_b32 exec_lo, exec_lo, s46
	s_and_saveexec_b32 s46, s14
	s_cbranch_execz .LBB92_111
.LBB92_146:                             ;   in Loop: Header=BB92_109 Depth=2
	global_load_u16 v2, v[0:1], off offset:64
	s_or_b32 exec_lo, exec_lo, s46
	v_mov_b32_e32 v4, 0
	s_and_saveexec_b32 s46, s15
	s_cbranch_execz .LBB92_112
.LBB92_147:                             ;   in Loop: Header=BB92_109 Depth=2
	global_load_u16 v4, v[0:1], off offset:128
	s_or_b32 exec_lo, exec_lo, s46
	s_and_saveexec_b32 s46, s16
	s_cbranch_execz .LBB92_113
.LBB92_148:                             ;   in Loop: Header=BB92_109 Depth=2
	global_load_u16 v5, v[0:1], off offset:192
	s_waitcnt vmcnt(0)
	v_lshl_or_b32 v4, v5, 16, v4
	s_or_b32 exec_lo, exec_lo, s46
	v_mov_b32_e32 v5, 0
	s_and_saveexec_b32 s46, s17
	s_cbranch_execz .LBB92_114
.LBB92_149:                             ;   in Loop: Header=BB92_109 Depth=2
	global_load_u16 v5, v[0:1], off offset:256
	s_or_b32 exec_lo, exec_lo, s46
	s_and_saveexec_b32 s46, s18
	s_cbranch_execz .LBB92_115
.LBB92_150:                             ;   in Loop: Header=BB92_109 Depth=2
	global_load_u16 v6, v[0:1], off offset:320
	s_waitcnt vmcnt(0)
	v_lshl_or_b32 v5, v6, 16, v5
	s_or_b32 exec_lo, exec_lo, s46
	v_mov_b32_e32 v6, 0
	s_and_saveexec_b32 s46, s19
	s_cbranch_execz .LBB92_116
.LBB92_151:                             ;   in Loop: Header=BB92_109 Depth=2
	global_load_u16 v6, v[0:1], off offset:384
	s_or_b32 exec_lo, exec_lo, s46
	s_and_saveexec_b32 s46, s20
	s_cbranch_execz .LBB92_117
.LBB92_152:                             ;   in Loop: Header=BB92_109 Depth=2
	global_load_u16 v7, v[0:1], off offset:448
	s_waitcnt vmcnt(0)
	v_lshl_or_b32 v6, v7, 16, v6
	s_or_b32 exec_lo, exec_lo, s46
	v_mov_b32_e32 v7, 0
	s_and_saveexec_b32 s46, s21
	s_cbranch_execz .LBB92_118
.LBB92_153:                             ;   in Loop: Header=BB92_109 Depth=2
	global_load_u16 v7, v[0:1], off offset:512
	s_or_b32 exec_lo, exec_lo, s46
	s_and_saveexec_b32 s46, s22
	s_cbranch_execz .LBB92_119
.LBB92_154:                             ;   in Loop: Header=BB92_109 Depth=2
	global_load_u16 v8, v[0:1], off offset:576
	s_waitcnt vmcnt(0)
	v_lshl_or_b32 v7, v8, 16, v7
	s_or_b32 exec_lo, exec_lo, s46
	v_mov_b32_e32 v8, 0
	s_and_saveexec_b32 s46, s23
	s_cbranch_execz .LBB92_120
.LBB92_155:                             ;   in Loop: Header=BB92_109 Depth=2
	global_load_u16 v8, v[0:1], off offset:640
	s_or_b32 exec_lo, exec_lo, s46
	s_and_saveexec_b32 s46, s24
	s_cbranch_execz .LBB92_121
.LBB92_156:                             ;   in Loop: Header=BB92_109 Depth=2
	global_load_u16 v9, v[0:1], off offset:704
	s_waitcnt vmcnt(0)
	v_lshl_or_b32 v8, v9, 16, v8
	s_or_b32 exec_lo, exec_lo, s46
	v_mov_b32_e32 v9, 0
	s_and_saveexec_b32 s46, s25
	s_cbranch_execz .LBB92_122
.LBB92_157:                             ;   in Loop: Header=BB92_109 Depth=2
	global_load_u16 v9, v[0:1], off offset:768
	s_or_b32 exec_lo, exec_lo, s46
	s_and_saveexec_b32 s46, s26
	s_cbranch_execz .LBB92_123
.LBB92_158:                             ;   in Loop: Header=BB92_109 Depth=2
	global_load_u16 v10, v[0:1], off offset:832
	s_waitcnt vmcnt(0)
	v_lshl_or_b32 v9, v10, 16, v9
	s_or_b32 exec_lo, exec_lo, s46
	v_mov_b32_e32 v10, 0
	s_and_saveexec_b32 s46, s27
	s_cbranch_execz .LBB92_124
.LBB92_159:                             ;   in Loop: Header=BB92_109 Depth=2
	global_load_u16 v10, v[0:1], off offset:896
	s_or_b32 exec_lo, exec_lo, s46
	s_and_saveexec_b32 s46, s28
	s_cbranch_execnz .LBB92_125
	s_branch .LBB92_126
.LBB92_160:                             ;   in Loop: Header=BB92_109 Depth=2
	global_load_u16 v3, v[0:1], off
	s_or_b32 exec_lo, exec_lo, s46
	s_and_saveexec_b32 s46, s14
	s_cbranch_execz .LBB92_128
.LBB92_161:                             ;   in Loop: Header=BB92_109 Depth=2
	global_load_u16 v2, v[0:1], off offset:64
	s_or_b32 exec_lo, exec_lo, s46
	v_mov_b32_e32 v4, 0
	s_and_saveexec_b32 s46, s15
	s_cbranch_execz .LBB92_129
.LBB92_162:                             ;   in Loop: Header=BB92_109 Depth=2
	global_load_u16 v4, v[0:1], off offset:128
	s_or_b32 exec_lo, exec_lo, s46
	s_and_saveexec_b32 s46, s16
	s_cbranch_execz .LBB92_130
.LBB92_163:                             ;   in Loop: Header=BB92_109 Depth=2
	global_load_u16 v5, v[0:1], off offset:192
	s_waitcnt vmcnt(0)
	v_lshl_or_b32 v4, v5, 16, v4
	s_or_b32 exec_lo, exec_lo, s46
	v_mov_b32_e32 v5, 0
	s_and_saveexec_b32 s46, s17
	s_cbranch_execz .LBB92_131
.LBB92_164:                             ;   in Loop: Header=BB92_109 Depth=2
	global_load_u16 v5, v[0:1], off offset:256
	s_or_b32 exec_lo, exec_lo, s46
	s_and_saveexec_b32 s46, s18
	s_cbranch_execz .LBB92_132
.LBB92_165:                             ;   in Loop: Header=BB92_109 Depth=2
	global_load_u16 v6, v[0:1], off offset:320
	s_waitcnt vmcnt(0)
	v_lshl_or_b32 v5, v6, 16, v5
	s_or_b32 exec_lo, exec_lo, s46
	v_mov_b32_e32 v6, 0
	s_and_saveexec_b32 s46, s19
	s_cbranch_execz .LBB92_133
.LBB92_166:                             ;   in Loop: Header=BB92_109 Depth=2
	global_load_u16 v6, v[0:1], off offset:384
	s_or_b32 exec_lo, exec_lo, s46
	s_and_saveexec_b32 s46, s20
	s_cbranch_execz .LBB92_134
.LBB92_167:                             ;   in Loop: Header=BB92_109 Depth=2
	global_load_u16 v7, v[0:1], off offset:448
	s_waitcnt vmcnt(0)
	v_lshl_or_b32 v6, v7, 16, v6
	s_or_b32 exec_lo, exec_lo, s46
	v_mov_b32_e32 v7, 0
	s_and_saveexec_b32 s46, s21
	s_cbranch_execz .LBB92_135
.LBB92_168:                             ;   in Loop: Header=BB92_109 Depth=2
	global_load_u16 v7, v[0:1], off offset:512
	s_or_b32 exec_lo, exec_lo, s46
	s_and_saveexec_b32 s46, s22
	s_cbranch_execz .LBB92_136
.LBB92_169:                             ;   in Loop: Header=BB92_109 Depth=2
	global_load_u16 v16, v[0:1], off offset:576
	s_waitcnt vmcnt(0)
	v_lshl_or_b32 v7, v16, 16, v7
	s_or_b32 exec_lo, exec_lo, s46
	v_mov_b32_e32 v16, 0
	s_and_saveexec_b32 s46, s23
	s_cbranch_execz .LBB92_137
.LBB92_170:                             ;   in Loop: Header=BB92_109 Depth=2
	global_load_u16 v16, v[0:1], off offset:640
	s_or_b32 exec_lo, exec_lo, s46
	s_and_saveexec_b32 s46, s24
	s_cbranch_execz .LBB92_138
.LBB92_171:                             ;   in Loop: Header=BB92_109 Depth=2
	global_load_u16 v17, v[0:1], off offset:704
	s_waitcnt vmcnt(0)
	v_lshl_or_b32 v16, v17, 16, v16
	s_or_b32 exec_lo, exec_lo, s46
	v_mov_b32_e32 v17, 0
	s_and_saveexec_b32 s46, s25
	s_cbranch_execz .LBB92_139
.LBB92_172:                             ;   in Loop: Header=BB92_109 Depth=2
	global_load_u16 v17, v[0:1], off offset:768
	s_or_b32 exec_lo, exec_lo, s46
	s_and_saveexec_b32 s46, s26
	s_cbranch_execz .LBB92_140
.LBB92_173:                             ;   in Loop: Header=BB92_109 Depth=2
	global_load_u16 v147, v[0:1], off offset:832
	s_waitcnt vmcnt(0)
	v_lshl_or_b32 v17, v147, 16, v17
	s_or_b32 exec_lo, exec_lo, s46
	v_mov_b32_e32 v147, 0
	s_and_saveexec_b32 s46, s27
	s_cbranch_execz .LBB92_141
.LBB92_174:                             ;   in Loop: Header=BB92_109 Depth=2
	global_load_u16 v147, v[0:1], off offset:896
	s_or_b32 exec_lo, exec_lo, s46
	s_and_saveexec_b32 s46, s28
	s_cbranch_execnz .LBB92_142
	s_branch .LBB92_143
.LBB92_175:                             ;   in Loop: Header=BB92_109 Depth=2
                                        ; implicit-def: $vgpr16
.LBB92_176:                             ;   in Loop: Header=BB92_109 Depth=2
	s_waitcnt lgkmcnt(0)
	v_mov_b32_e32 v17, 0
	s_and_not1_b32 vcc_lo, exec_lo, s66
	s_cbranch_vccnz .LBB92_178
; %bb.177:                              ;   in Loop: Header=BB92_109 Depth=2
	s_mov_b32 s59, s65
	s_delay_alu instid0(SALU_CYCLE_1) | instskip(NEXT) | instid1(SALU_CYCLE_1)
	s_lshl_b64 s[46:47], s[58:59], 1
	s_add_u32 s46, s76, s46
	s_addc_u32 s47, s77, s47
	global_load_u16 v16, v21, s[46:47]
	s_waitcnt vmcnt(0)
	v_cvt_f32_f16_e32 v17, v16
.LBB92_178:                             ;   in Loop: Header=BB92_109 Depth=2
	v_mov_b32_e32 v16, 1.0
.LBB92_179:                             ;   in Loop: Header=BB92_109 Depth=2
	v_mul_f32_e32 v168, 0x3fb8aa3b, v146
	s_waitcnt lgkmcnt(19)
	v_lshrrev_b32_e32 v148, 16, v13
	v_lshrrev_b32_e32 v149, 16, v14
	v_cvt_f32_f16_e32 v13, v13
	v_cvt_f32_f16_e64 v156, v14
	v_mul_f32_e32 v14, v168, v94
	v_lshrrev_b32_e32 v147, 16, v12
	v_lshrrev_b32_e32 v150, 16, v15
	v_mul_f32_e32 v13, v143, v13
	v_cvt_f32_f16_e32 v12, v12
	v_cmp_gt_f32_e32 vcc_lo, 0xc2fc0000, v14
	v_cvt_f32_f16_e64 v157, v15
	v_mul_f32_e32 v15, v168, v95
	v_cvt_f32_f16_e64 v155, v148
	v_mul_f32_e32 v12, v145, v12
	v_cndmask_b32_e64 v14, 0, 0x42800000, vcc_lo
	v_mul_f32_e32 v146, v168, v96
	v_cmp_gt_f32_e64 s46, 0xc2fc0000, v15
	v_cndmask_b32_e64 v148, 1.0, 0x1f800000, vcc_lo
	s_waitcnt lgkmcnt(18)
	v_lshrrev_b32_e32 v151, 16, v8
	v_fmac_f32_e32 v14, v168, v94
	v_cvt_f32_f16_e64 v147, v147
	v_cndmask_b32_e64 v15, 0, 0x42800000, s46
	v_cvt_f32_f16_e64 v158, v150
	v_cmp_gt_f32_e32 vcc_lo, 0xc2fc0000, v146
	v_exp_f32_e32 v14, v14
	v_mul_f32_e32 v146, v168, v97
	v_fmac_f32_e32 v15, v168, v95
	v_cvt_f32_f16_e64 v159, v151
	v_cndmask_b32_e64 v151, 0, 0x42800000, vcc_lo
	v_lshrrev_b32_e32 v152, 16, v9
	v_lshrrev_b32_e32 v153, 16, v10
	;; [unrolled: 1-line block ×3, first 2 shown]
	v_cvt_f32_f16_e32 v9, v9
	v_cvt_f32_f16_e32 v8, v8
	v_mul_f32_e32 v14, v14, v148
	v_exp_f32_e32 v150, v15
	v_cndmask_b32_e64 v15, 0, v12, s29
	v_cndmask_b32_e64 v12, 1.0, 0x1f800000, s46
	v_cmp_gt_f32_e64 s46, 0xc2fc0000, v146
	v_cndmask_b32_e64 v146, 1.0, v14, s29
	v_mul_f32_e32 v14, v144, v147
	v_cvt_f32_f16_e64 v164, v152
	v_cvt_f32_f16_e64 v166, v153
	v_cndmask_b32_e64 v148, 0, 0x42800000, s46
	v_cvt_f32_f16_e64 v171, v154
	v_mul_f32_e32 v147, v150, v12
	v_cndmask_b32_e64 v12, 0, v14, s30
	v_cndmask_b32_e64 v14, 1.0, 0x1f800000, vcc_lo
	v_fmac_f32_e32 v151, v168, v96
	v_fmac_f32_e32 v148, v168, v97
	v_dual_mul_f32 v153, v168, v99 :: v_dual_mul_f32 v158, v138, v158
	v_dual_mul_f32 v154, v168, v100 :: v_dual_mul_f32 v9, v135, v9
	s_delay_alu instid0(VALU_DEP_4)
	v_exp_f32_e32 v150, v151
	v_mul_f32_e32 v151, v168, v98
	v_exp_f32_e32 v152, v148
	v_cndmask_b32_e64 v148, 1.0, v147, s30
	v_cndmask_b32_e64 v147, 1.0, 0x1f800000, s46
	v_cmp_gt_f32_e64 s46, 0xc2fc0000, v153
	v_cvt_f32_f16_e32 v10, v10
	v_cvt_f32_f16_e32 v11, v11
	v_mul_f32_e32 v169, v168, v122
	s_delay_alu instid0(TRANS32_DEP_2) | instskip(SKIP_1) | instid1(TRANS32_DEP_1)
	v_dual_mul_f32 v159, v136, v159 :: v_dual_mul_f32 v14, v150, v14
	v_cndmask_b32_e64 v153, 0, 0x42800000, s46
	v_dual_mul_f32 v147, v152, v147 :: v_dual_mul_f32 v10, v133, v10
	v_cndmask_b32_e64 v13, 0, v13, s31
	s_delay_alu instid0(VALU_DEP_4)
	v_cndmask_b32_e64 v150, 1.0, v14, s31
	v_mul_f32_e32 v14, v142, v155
	v_cmp_gt_f32_e32 vcc_lo, 0xc2fc0000, v151
	v_cndmask_b32_e64 v152, 1.0, v147, s33
	v_dual_fmac_f32 v153, v168, v99 :: v_dual_mul_f32 v8, v137, v8
	v_mul_f32_e32 v155, v168, v101
	v_cndmask_b32_e64 v151, 0, 0x42800000, vcc_lo
	v_cndmask_b32_e64 v147, 1.0, 0x1f800000, vcc_lo
	v_cmp_gt_f32_e32 vcc_lo, 0xc2fc0000, v154
	v_exp_f32_e32 v153, v153
	v_cmp_gt_f32_e64 s47, 0xc2fc0000, v155
	v_fmac_f32_e32 v151, v168, v98
	v_mul_f32_e32 v162, v168, v115
	v_cndmask_b32_e64 v154, 0, 0x42800000, vcc_lo
	v_cvt_f32_f16_e64 v149, v149
	v_cndmask_b32_e64 v155, 0, 0x42800000, s47
	v_exp_f32_e32 v151, v151
	v_cndmask_b32_e64 v14, 0, v14, s33
	v_dual_fmac_f32 v154, v168, v100 :: v_dual_mul_f32 v11, v131, v11
	s_delay_alu instid0(VALU_DEP_3) | instskip(SKIP_2) | instid1(VALU_DEP_4)
	v_fmac_f32_e32 v155, v168, v101
	v_mul_f32_e32 v170, v168, v123
	v_mul_f32_e32 v166, v132, v166
	v_exp_f32_e32 v160, v154
	s_delay_alu instid0(TRANS32_DEP_2)
	v_mul_f32_e32 v151, v151, v147
	v_mul_f32_e32 v147, v141, v156
	v_cndmask_b32_e64 v156, 1.0, 0x1f800000, s46
	v_cmp_gt_f32_e64 s46, 0xc2fc0000, v162
	v_mul_f32_e32 v162, v168, v121
	v_cndmask_b32_e64 v154, 1.0, v151, s34
	v_cndmask_b32_e64 v147, 0, v147, s34
	v_mul_f32_e32 v151, v153, v156
	v_cndmask_b32_e64 v153, 1.0, 0x1f800000, vcc_lo
	v_exp_f32_e32 v156, v155
	v_cndmask_b32_e64 v166, 0, v166, s43
	s_delay_alu instid0(VALU_DEP_3) | instskip(NEXT) | instid1(VALU_DEP_3)
	v_cndmask_b32_e64 v155, 1.0, v151, s35
	v_mul_f32_e32 v153, v160, v153
	v_mul_f32_e32 v151, v139, v157
	v_cndmask_b32_e64 v160, 1.0, 0x1f800000, s47
	s_delay_alu instid0(VALU_DEP_3)
	v_cndmask_b32_e64 v157, 1.0, v153, s36
	v_mul_f32_e32 v161, v168, v104
	v_cndmask_b32_e64 v153, 0, v158, s37
	v_mul_f32_e32 v158, v168, v118
	v_mul_f32_e32 v156, v156, v160
	v_cndmask_b32_e64 v151, 0, v151, s36
	v_cmp_gt_f32_e32 vcc_lo, 0xc2fc0000, v161
	s_delay_alu instid0(VALU_DEP_4) | instskip(NEXT) | instid1(VALU_DEP_4)
	v_cmp_gt_f32_e64 s47, 0xc2fc0000, v158
	v_cndmask_b32_e64 v160, 1.0, v156, s37
	v_cndmask_b32_e64 v161, 0, 0x42800000, vcc_lo
	v_cndmask_b32_e64 v163, 1.0, 0x1f800000, vcc_lo
	s_delay_alu instid0(VALU_DEP_4) | instskip(SKIP_1) | instid1(VALU_DEP_4)
	v_cndmask_b32_e64 v158, 0, 0x42800000, s47
	v_cmp_gt_f32_e32 vcc_lo, 0xc2fc0000, v162
	v_fmac_f32_e32 v161, v168, v104
	s_delay_alu instid0(VALU_DEP_3) | instskip(SKIP_1) | instid1(VALU_DEP_3)
	v_fmac_f32_e32 v158, v168, v118
	v_cndmask_b32_e64 v162, 0, 0x42800000, vcc_lo
	v_exp_f32_e32 v156, v161
	v_cndmask_b32_e64 v161, 0, 0x42800000, s46
	s_delay_alu instid0(VALU_DEP_2) | instskip(NEXT) | instid1(VALU_DEP_2)
	v_fmac_f32_e32 v162, v168, v121
	v_fmac_f32_e32 v161, v168, v115
	s_delay_alu instid0(VALU_DEP_2) | instskip(NEXT) | instid1(VALU_DEP_1)
	v_exp_f32_e32 v167, v162
	v_exp_f32_e32 v165, v161
	s_delay_alu instid0(TRANS32_DEP_3)
	v_mul_f32_e32 v161, v156, v163
	v_cndmask_b32_e64 v156, 0, v8, s38
	v_exp_f32_e32 v8, v158
	v_cndmask_b32_e64 v158, 1.0, 0x1f800000, s46
	v_cndmask_b32_e64 v163, 1.0, 0x1f800000, s47
	v_cmp_gt_f32_e64 s46, 0xc2fc0000, v170
	v_cndmask_b32_e64 v161, 1.0, v161, s38
	s_delay_alu instid0(TRANS32_DEP_2) | instid1(VALU_DEP_4)
	v_mul_f32_e32 v162, v165, v158
	v_cndmask_b32_e64 v165, 1.0, 0x1f800000, vcc_lo
	v_cmp_gt_f32_e32 vcc_lo, 0xc2fc0000, v169
	s_delay_alu instid0(TRANS32_DEP_1)
	v_mul_f32_e32 v8, v8, v163
	v_cndmask_b32_e64 v158, 0, v159, s39
	v_cndmask_b32_e64 v159, 0, v9, s40
	v_mul_f32_e32 v9, v134, v164
	v_fma_f32 v169, v148, v15, v12
	v_cndmask_b32_e64 v163, 1.0, v8, s40
	v_mul_f32_e32 v8, v167, v165
	v_cndmask_b32_e64 v165, 0, 0x42800000, vcc_lo
	v_mul_f32_e32 v167, v148, v146
	v_cndmask_b32_e64 v164, 0, v9, s41
	v_cndmask_b32_e64 v162, 1.0, v162, s39
	v_cndmask_b32_e64 v170, 1.0, v8, s41
	v_fmac_f32_e32 v165, v168, v122
	v_mul_f32_e32 v9, v167, v150
	v_fma_f32 v167, v169, v150, v13
	v_cndmask_b32_e64 v8, 1.0, 0x1f800000, vcc_lo
	v_cndmask_b32_e64 v169, 0, 0x42800000, s46
	v_exp_f32_e32 v165, v165
	v_mul_f32_e32 v149, v140, v149
	v_mul_f32_e32 v9, v9, v152
	v_fma_f32 v167, v167, v152, v14
	v_fmac_f32_e32 v169, v168, v123
	s_delay_alu instid0(VALU_DEP_3) | instskip(NEXT) | instid1(VALU_DEP_3)
	v_mul_f32_e32 v9, v9, v154
	v_fma_f32 v167, v167, v154, v147
	s_delay_alu instid0(VALU_DEP_3) | instskip(NEXT) | instid1(TRANS32_DEP_2)
	v_exp_f32_e32 v169, v169
	v_mul_f32_e32 v8, v165, v8
	v_cndmask_b32_e64 v149, 0, v149, s35
	v_mul_f32_e32 v9, v9, v155
	v_cndmask_b32_e64 v165, 0, v10, s42
	v_cndmask_b32_e64 v10, 1.0, 0x1f800000, s46
	s_delay_alu instid0(VALU_DEP_4)
	v_fma_f32 v172, v167, v155, v149
	v_cndmask_b32_e64 v167, 1.0, v8, s42
	v_mul_f32_e32 v8, v9, v157
	s_delay_alu instid0(TRANS32_DEP_1) | instid1(VALU_DEP_4)
	v_mul_f32_e32 v10, v169, v10
	s_delay_alu instid0(VALU_DEP_4) | instskip(SKIP_1) | instid1(VALU_DEP_4)
	v_fma_f32 v9, v172, v157, v151
	v_mul_f32_e32 v172, v168, v124
	v_mul_f32_e32 v8, v8, v160
	s_delay_alu instid0(VALU_DEP_3) | instskip(NEXT) | instid1(VALU_DEP_3)
	v_fma_f32 v9, v9, v160, v153
	v_cmp_gt_f32_e32 vcc_lo, 0xc2fc0000, v172
	v_mul_f32_e32 v172, v168, v125
	s_delay_alu instid0(VALU_DEP_4) | instskip(NEXT) | instid1(VALU_DEP_4)
	v_mul_f32_e32 v8, v8, v161
	v_fma_f32 v9, v9, v161, v156
	v_cndmask_b32_e64 v169, 0, 0x42800000, vcc_lo
	s_delay_alu instid0(VALU_DEP_4) | instskip(NEXT) | instid1(VALU_DEP_4)
	v_cmp_gt_f32_e64 s46, 0xc2fc0000, v172
	v_mul_f32_e32 v8, v8, v162
	s_delay_alu instid0(VALU_DEP_4) | instskip(NEXT) | instid1(VALU_DEP_4)
	v_fma_f32 v9, v9, v162, v158
	v_fmac_f32_e32 v169, v168, v124
	s_delay_alu instid0(VALU_DEP_4) | instskip(NEXT) | instid1(VALU_DEP_4)
	v_cndmask_b32_e64 v172, 0, 0x42800000, s46
	v_mul_f32_e32 v8, v8, v163
	s_delay_alu instid0(VALU_DEP_4) | instskip(NEXT) | instid1(VALU_DEP_4)
	v_fma_f32 v9, v9, v163, v159
	v_exp_f32_e32 v173, v169
	s_delay_alu instid0(VALU_DEP_3)
	v_fmac_f32_e32 v172, v168, v125
	v_cndmask_b32_e64 v169, 1.0, v10, s43
	v_cndmask_b32_e64 v10, 1.0, 0x1f800000, vcc_lo
	v_mul_f32_e32 v8, v8, v170
	v_fma_f32 v9, v9, v170, v164
	v_exp_f32_e32 v174, v172
	v_cndmask_b32_e64 v168, 0, v11, s44
	v_cndmask_b32_e64 v11, 1.0, 0x1f800000, s46
	v_mul_f32_e32 v8, v8, v167
	v_mul_f32_e32 v10, v173, v10
	v_fma_f32 v9, v9, v167, v165
	s_delay_alu instid0(VALU_DEP_3) | instskip(NEXT) | instid1(VALU_DEP_3)
	v_mul_f32_e32 v8, v8, v169
	v_cndmask_b32_e64 v172, 1.0, v10, s44
	v_mul_f32_e32 v10, v126, v171
	s_delay_alu instid0(TRANS32_DEP_1) | instskip(SKIP_1) | instid1(VALU_DEP_4)
	v_mul_f32_e32 v11, v174, v11
	v_fma_f32 v9, v9, v169, v166
	v_mul_f32_e32 v8, v8, v172
	s_delay_alu instid0(VALU_DEP_4) | instskip(NEXT) | instid1(VALU_DEP_4)
	v_cndmask_b32_e64 v171, 0, v10, s45
	v_cndmask_b32_e64 v173, 1.0, v11, s45
	s_delay_alu instid0(VALU_DEP_4) | instskip(NEXT) | instid1(VALU_DEP_2)
	v_fma_f32 v9, v9, v172, v168
	v_mul_f32_e32 v8, v8, v173
	s_delay_alu instid0(VALU_DEP_2) | instskip(NEXT) | instid1(VALU_DEP_2)
	v_fma_f32 v9, v9, v173, v171
	v_mov_b32_dpp v11, v8 row_shr:1 row_mask:0xf bank_mask:0xf
	s_delay_alu instid0(VALU_DEP_2)
	v_mov_b32_dpp v10, v9 row_shr:1 row_mask:0xf bank_mask:0xf
	s_and_saveexec_b32 s46, s0
; %bb.180:                              ;   in Loop: Header=BB92_109 Depth=2
	s_delay_alu instid0(VALU_DEP_2) | instskip(NEXT) | instid1(VALU_DEP_1)
	v_mul_f32_e32 v11, v8, v11
	v_dual_fmac_f32 v9, v8, v10 :: v_dual_mov_b32 v8, v11
; %bb.181:                              ;   in Loop: Header=BB92_109 Depth=2
	s_or_b32 exec_lo, exec_lo, s46
	s_delay_alu instid0(VALU_DEP_1) | instskip(NEXT) | instid1(VALU_DEP_2)
	v_mov_b32_dpp v10, v8 row_shr:2 row_mask:0xf bank_mask:0xf
	v_mov_b32_dpp v11, v9 row_shr:2 row_mask:0xf bank_mask:0xf
	s_and_saveexec_b32 s46, s1
; %bb.182:                              ;   in Loop: Header=BB92_109 Depth=2
	s_delay_alu instid0(VALU_DEP_1) | instskip(NEXT) | instid1(VALU_DEP_3)
	v_fmac_f32_e32 v9, v8, v11
	v_mul_f32_e32 v8, v8, v10
; %bb.183:                              ;   in Loop: Header=BB92_109 Depth=2
	s_or_b32 exec_lo, exec_lo, s46
	s_delay_alu instid0(VALU_DEP_1) | instskip(NEXT) | instid1(VALU_DEP_3)
	v_mov_b32_dpp v10, v8 row_shr:4 row_mask:0xf bank_mask:0xf
	v_mov_b32_dpp v11, v9 row_shr:4 row_mask:0xf bank_mask:0xf
	s_and_saveexec_b32 s46, s2
; %bb.184:                              ;   in Loop: Header=BB92_109 Depth=2
	s_delay_alu instid0(VALU_DEP_1) | instskip(NEXT) | instid1(VALU_DEP_3)
	v_fmac_f32_e32 v9, v8, v11
	v_mul_f32_e32 v8, v8, v10
; %bb.185:                              ;   in Loop: Header=BB92_109 Depth=2
	s_or_b32 exec_lo, exec_lo, s46
	s_delay_alu instid0(VALU_DEP_1) | instskip(NEXT) | instid1(VALU_DEP_3)
	v_mov_b32_dpp v10, v8 row_shr:8 row_mask:0xf bank_mask:0xf
	v_mov_b32_dpp v11, v9 row_shr:8 row_mask:0xf bank_mask:0xf
	s_and_saveexec_b32 s46, s3
; %bb.186:                              ;   in Loop: Header=BB92_109 Depth=2
	s_delay_alu instid0(VALU_DEP_1) | instskip(NEXT) | instid1(VALU_DEP_3)
	v_fmac_f32_e32 v9, v8, v11
	v_mul_f32_e32 v8, v8, v10
; %bb.187:                              ;   in Loop: Header=BB92_109 Depth=2
	s_or_b32 exec_lo, exec_lo, s46
	ds_swizzle_b32 v11, v8 offset:swizzle(BROADCAST,32,15)
	ds_swizzle_b32 v10, v9 offset:swizzle(BROADCAST,32,15)
	s_and_saveexec_b32 s46, s4
	s_cbranch_execz .LBB92_189
; %bb.188:                              ;   in Loop: Header=BB92_109 Depth=2
	s_waitcnt lgkmcnt(1)
	v_mul_f32_e32 v11, v8, v11
	s_waitcnt lgkmcnt(0)
	s_delay_alu instid0(VALU_DEP_1)
	v_dual_fmac_f32 v9, v8, v10 :: v_dual_mov_b32 v8, v11
.LBB92_189:                             ;   in Loop: Header=BB92_109 Depth=2
	s_or_b32 exec_lo, exec_lo, s46
	s_and_saveexec_b32 s46, s5
	s_cbranch_execz .LBB92_191
; %bb.190:                              ;   in Loop: Header=BB92_109 Depth=2
	ds_store_b64 v69, v[8:9] offset:8448
.LBB92_191:                             ;   in Loop: Header=BB92_109 Depth=2
	s_or_b32 exec_lo, exec_lo, s46
	s_waitcnt lgkmcnt(0)
	s_waitcnt_vscnt null, 0x0
	s_barrier
	buffer_gl0_inv
	s_and_saveexec_b32 s46, s6
	s_cbranch_execz .LBB92_195
; %bb.192:                              ;   in Loop: Header=BB92_109 Depth=2
	ds_load_b64 v[10:11], v70 offset:8448
	s_waitcnt lgkmcnt(0)
	v_mov_b32_dpp v176, v10 row_shr:1 row_mask:0xf bank_mask:0xf
	v_mov_b32_dpp v175, v11 row_shr:1 row_mask:0xf bank_mask:0xf
	v_mov_b32_e32 v174, v10
	s_and_saveexec_b32 s47, s7
; %bb.193:                              ;   in Loop: Header=BB92_109 Depth=2
	s_delay_alu instid0(VALU_DEP_3) | instskip(NEXT) | instid1(VALU_DEP_3)
	v_mul_f32_e32 v174, v10, v176
	v_fmac_f32_e32 v11, v10, v175
	s_delay_alu instid0(VALU_DEP_2)
	v_mov_b32_e32 v10, v174
; %bb.194:                              ;   in Loop: Header=BB92_109 Depth=2
	s_or_b32 exec_lo, exec_lo, s47
	v_mov_b32_dpp v174, v174 row_shr:2 row_mask:0xf bank_mask:0xf
	s_delay_alu instid0(VALU_DEP_3) | instskip(NEXT) | instid1(VALU_DEP_2)
	v_mov_b32_dpp v175, v11 row_shr:2 row_mask:0xf bank_mask:0xf
	v_mul_f32_e32 v174, v10, v174
	s_delay_alu instid0(VALU_DEP_2) | instskip(NEXT) | instid1(VALU_DEP_2)
	v_fma_f32 v175, v10, v175, v11
	v_cndmask_b32_e64 v10, v10, v174, s8
	s_delay_alu instid0(VALU_DEP_2)
	v_cndmask_b32_e64 v11, v11, v175, s8
	ds_store_b64 v70, v[10:11] offset:8448
.LBB92_195:                             ;   in Loop: Header=BB92_109 Depth=2
	s_or_b32 exec_lo, exec_lo, s46
	s_waitcnt lgkmcnt(0)
	s_barrier
	buffer_gl0_inv
                                        ; implicit-def: $vgpr11
	s_and_saveexec_b32 s46, s10
	s_cbranch_execz .LBB92_197
; %bb.196:                              ;   in Loop: Header=BB92_109 Depth=2
	ds_load_b64 v[10:11], v69 offset:8440
	s_waitcnt lgkmcnt(0)
	v_mul_f32_e32 v174, v8, v10
	s_delay_alu instid0(VALU_DEP_1)
	v_dual_fmac_f32 v9, v8, v11 :: v_dual_mov_b32 v8, v174
.LBB92_197:                             ;   in Loop: Header=BB92_109 Depth=2
	s_or_b32 exec_lo, exec_lo, s46
	ds_bpermute_b32 v174, v71, v8
	ds_bpermute_b32 v175, v71, v9
	s_and_saveexec_b32 s46, s9
	s_cbranch_execz .LBB92_201
; %bb.198:                              ;   in Loop: Header=BB92_109 Depth=2
	ds_load_b64 v[8:9], v21 offset:8472
	s_and_saveexec_b32 s47, s11
	s_cbranch_execz .LBB92_200
; %bb.199:                              ;   in Loop: Header=BB92_109 Depth=2
	ds_store_b64 v21, v[16:17] offset:8472
.LBB92_200:                             ;   in Loop: Header=BB92_109 Depth=2
	s_or_b32 exec_lo, exec_lo, s47
	s_waitcnt lgkmcnt(0)
	v_fmac_f32_e32 v9, v17, v8
	s_delay_alu instid0(VALU_DEP_1)
	v_dual_mul_f32 v16, v16, v8 :: v_dual_mov_b32 v17, v9
.LBB92_201:                             ;   in Loop: Header=BB92_109 Depth=2
	s_or_b32 exec_lo, exec_lo, s46
	s_waitcnt lgkmcnt(0)
	s_barrier
	buffer_gl0_inv
	ds_load_b32 v8, v21 offset:8476
	s_and_saveexec_b32 s46, s11
	s_cbranch_execz .LBB92_108
; %bb.202:                              ;   in Loop: Header=BB92_109 Depth=2
	v_mov_b32_e32 v9, s91
	s_and_not1_b32 vcc_lo, exec_lo, s89
	ds_store_b64 v9, v[16:17]
	s_cbranch_vccnz .LBB92_108
; %bb.203:                              ;   in Loop: Header=BB92_109 Depth=2
	s_mov_b32 s59, s65
	v_cvt_f16_f32_e32 v9, v17
	s_lshl_b64 s[92:93], s[58:59], 1
	s_delay_alu instid0(SALU_CYCLE_1)
	s_add_u32 s92, s76, s92
	s_addc_u32 s93, s77, s93
	global_store_b16 v21, v9, s[92:93]
	s_branch .LBB92_108
.LBB92_204:                             ;   in Loop: Header=BB92_12 Depth=1
	v_cvt_f16_f32_e32 v0, v120
	v_cvt_f16_f32_e32 v4, v113
	;; [unrolled: 1-line block ×16, first 2 shown]
	v_pack_b32_f16 v3, v3, v7
	v_pack_b32_f16 v2, v2, v6
	v_pack_b32_f16 v1, v1, v5
	v_pack_b32_f16 v0, v0, v4
	v_pack_b32_f16 v7, v14, v15
	v_pack_b32_f16 v6, v12, v13
	v_pack_b32_f16 v5, v10, v11
	v_pack_b32_f16 v4, v8, v9
	s_waitcnt_vscnt null, 0x0
	s_barrier
	buffer_gl0_inv
	ds_store_b128 v52, v[0:3]
	ds_store_b128 v52, v[4:7] offset:16
	; wave barrier
	ds_load_u16 v16, v37 offset:64
	ds_load_u16 v15, v38 offset:128
	;; [unrolled: 1-line block ×15, first 2 shown]
	s_mov_b32 s51, s65
	s_delay_alu instid0(SALU_CYCLE_1) | instskip(NEXT) | instid1(SALU_CYCLE_1)
	s_lshl_b64 s[34:35], s[50:51], 1
	v_add_co_u32 v0, vcc_lo, v72, s34
	v_add_co_ci_u32_e32 v1, vcc_lo, s35, v73, vcc_lo
	s_and_saveexec_b32 s29, s13
	s_cbranch_execnz .LBB92_271
; %bb.205:                              ;   in Loop: Header=BB92_12 Depth=1
	s_or_b32 exec_lo, exec_lo, s29
	s_and_saveexec_b32 s29, s14
	s_cbranch_execnz .LBB92_272
.LBB92_206:                             ;   in Loop: Header=BB92_12 Depth=1
	s_or_b32 exec_lo, exec_lo, s29
	s_and_saveexec_b32 s29, s15
	s_cbranch_execnz .LBB92_273
.LBB92_207:                             ;   in Loop: Header=BB92_12 Depth=1
	s_or_b32 exec_lo, exec_lo, s29
	s_and_saveexec_b32 s29, s16
	s_cbranch_execnz .LBB92_274
.LBB92_208:                             ;   in Loop: Header=BB92_12 Depth=1
	s_or_b32 exec_lo, exec_lo, s29
	s_and_saveexec_b32 s29, s17
	s_cbranch_execnz .LBB92_275
.LBB92_209:                             ;   in Loop: Header=BB92_12 Depth=1
	s_or_b32 exec_lo, exec_lo, s29
	s_and_saveexec_b32 s29, s18
	s_cbranch_execnz .LBB92_276
.LBB92_210:                             ;   in Loop: Header=BB92_12 Depth=1
	s_or_b32 exec_lo, exec_lo, s29
	s_and_saveexec_b32 s29, s19
	s_cbranch_execnz .LBB92_277
.LBB92_211:                             ;   in Loop: Header=BB92_12 Depth=1
	s_or_b32 exec_lo, exec_lo, s29
	s_and_saveexec_b32 s29, s20
	s_cbranch_execnz .LBB92_278
.LBB92_212:                             ;   in Loop: Header=BB92_12 Depth=1
	s_or_b32 exec_lo, exec_lo, s29
	s_and_saveexec_b32 s29, s21
	s_cbranch_execnz .LBB92_279
.LBB92_213:                             ;   in Loop: Header=BB92_12 Depth=1
	s_or_b32 exec_lo, exec_lo, s29
	s_and_saveexec_b32 s29, s22
	s_cbranch_execnz .LBB92_280
.LBB92_214:                             ;   in Loop: Header=BB92_12 Depth=1
	s_or_b32 exec_lo, exec_lo, s29
	s_and_saveexec_b32 s29, s23
	s_cbranch_execnz .LBB92_281
.LBB92_215:                             ;   in Loop: Header=BB92_12 Depth=1
	s_or_b32 exec_lo, exec_lo, s29
	s_and_saveexec_b32 s29, s24
	s_cbranch_execnz .LBB92_282
.LBB92_216:                             ;   in Loop: Header=BB92_12 Depth=1
	s_or_b32 exec_lo, exec_lo, s29
	s_and_saveexec_b32 s29, s25
	s_cbranch_execnz .LBB92_283
.LBB92_217:                             ;   in Loop: Header=BB92_12 Depth=1
	s_or_b32 exec_lo, exec_lo, s29
	s_and_saveexec_b32 s29, s26
	s_cbranch_execnz .LBB92_284
.LBB92_218:                             ;   in Loop: Header=BB92_12 Depth=1
	s_or_b32 exec_lo, exec_lo, s29
	s_and_saveexec_b32 s29, s27
	s_cbranch_execnz .LBB92_285
.LBB92_219:                             ;   in Loop: Header=BB92_12 Depth=1
	s_or_b32 exec_lo, exec_lo, s29
	s_and_saveexec_b32 s29, s28
	s_cbranch_execz .LBB92_221
.LBB92_220:                             ;   in Loop: Header=BB92_12 Depth=1
	s_waitcnt lgkmcnt(0)
	global_store_b16 v[0:1], v2, off offset:960
.LBB92_221:                             ;   in Loop: Header=BB92_12 Depth=1
	s_or_b32 exec_lo, exec_lo, s29
	v_add_co_u32 v0, vcc_lo, v74, s34
	v_add_co_ci_u32_e32 v1, vcc_lo, s35, v75, vcc_lo
	s_waitcnt lgkmcnt(0)
	v_dual_mov_b32 v2, 0 :: v_dual_mov_b32 v3, 0
	s_waitcnt_vscnt null, 0x0
	s_barrier
	buffer_gl0_inv
	s_and_saveexec_b32 s29, s13
	s_cbranch_execz .LBB92_223
; %bb.222:                              ;   in Loop: Header=BB92_12 Depth=1
	global_load_u16 v3, v[0:1], off
.LBB92_223:                             ;   in Loop: Header=BB92_12 Depth=1
	s_or_b32 exec_lo, exec_lo, s29
	s_and_saveexec_b32 s29, s14
	s_cbranch_execz .LBB92_225
; %bb.224:                              ;   in Loop: Header=BB92_12 Depth=1
	global_load_u16 v2, v[0:1], off offset:64
.LBB92_225:                             ;   in Loop: Header=BB92_12 Depth=1
	s_or_b32 exec_lo, exec_lo, s29
	v_dual_mov_b32 v4, 0 :: v_dual_mov_b32 v5, 0
	s_and_saveexec_b32 s29, s15
	s_cbranch_execz .LBB92_227
; %bb.226:                              ;   in Loop: Header=BB92_12 Depth=1
	global_load_u16 v5, v[0:1], off offset:128
.LBB92_227:                             ;   in Loop: Header=BB92_12 Depth=1
	s_or_b32 exec_lo, exec_lo, s29
	s_and_saveexec_b32 s29, s16
	s_cbranch_execz .LBB92_229
; %bb.228:                              ;   in Loop: Header=BB92_12 Depth=1
	global_load_u16 v4, v[0:1], off offset:192
.LBB92_229:                             ;   in Loop: Header=BB92_12 Depth=1
	s_or_b32 exec_lo, exec_lo, s29
	v_dual_mov_b32 v6, 0 :: v_dual_mov_b32 v7, 0
	s_and_saveexec_b32 s29, s17
	s_cbranch_execz .LBB92_231
; %bb.230:                              ;   in Loop: Header=BB92_12 Depth=1
	global_load_u16 v7, v[0:1], off offset:256
.LBB92_231:                             ;   in Loop: Header=BB92_12 Depth=1
	;; [unrolled: 13-line block ×7, first 2 shown]
	s_or_b32 exec_lo, exec_lo, s29
	s_and_saveexec_b32 s29, s28
	s_cbranch_execz .LBB92_253
; %bb.252:                              ;   in Loop: Header=BB92_12 Depth=1
	global_load_u16 v16, v[0:1], off offset:960
.LBB92_253:                             ;   in Loop: Header=BB92_12 Depth=1
	s_or_b32 exec_lo, exec_lo, s29
	s_waitcnt vmcnt(0)
	ds_store_b16 v37, v3
	ds_store_b16 v37, v2 offset:64
	ds_store_b16 v38, v5 offset:128
	;; [unrolled: 1-line block ×15, first 2 shown]
	; wave barrier
	ds_load_b128 v[4:7], v52
	ds_load_b128 v[0:3], v52 offset:16
	s_waitcnt lgkmcnt(0)
	s_barrier
	buffer_gl0_inv
	v_lshrrev_b32_e32 v8, 16, v4
	v_lshrrev_b32_e32 v9, 16, v5
	v_cvt_f32_f16_e32 v10, v5
	v_cvt_f32_f16_e32 v11, v4
	v_lshrrev_b32_e32 v104, 16, v6
	v_cvt_f32_f16_e32 v8, v8
	v_cvt_f32_f16_e32 v9, v9
	v_mul_f32_e32 v12, 0xbfb8aa3b, v10
	v_mul_f32_e32 v14, 0xbfb8aa3b, v11
	v_cvt_f32_f16_e32 v104, v104
	v_mul_f32_e32 v13, 0xbfb8aa3b, v8
	v_mul_f32_e32 v15, 0xbfb8aa3b, v9
	v_rndne_f32_e32 v16, v12
	v_fma_mix_f32 v17, v5, s86, -v12 op_sel_hi:[1,0,0]
	v_cmp_nlt_f32_e32 vcc_lo, 0x42ce8ed0, v8
	v_rndne_f32_e32 v94, v13
	v_fma_mix_f32 v95, v4, s86, -v13 op_sel:[1,0,0] op_sel_hi:[1,0,0]
	v_fma_mix_f32 v97, v5, s86, -v15 op_sel:[1,0,0] op_sel_hi:[1,0,0]
	v_rndne_f32_e32 v96, v15
	s_delay_alu instid0(VALU_DEP_4) | instskip(NEXT) | instid1(VALU_DEP_4)
	v_dual_sub_f32 v12, v12, v16 :: v_dual_sub_f32 v13, v13, v94
	v_fma_mix_f32 v95, v4, s87, v95 op_sel:[1,0,0] op_sel_hi:[1,0,0]
	s_delay_alu instid0(VALU_DEP_4) | instskip(SKIP_4) | instid1(VALU_DEP_4)
	v_fma_mix_f32 v97, v5, s87, v97 op_sel:[1,0,0] op_sel_hi:[1,0,0]
	v_fma_mix_f32 v5, v5, s87, v17 op_sel_hi:[1,0,0]
	v_rndne_f32_e32 v17, v14
	v_sub_f32_e32 v15, v15, v96
	v_cvt_i32_f32_e32 v16, v16
	v_add_f32_e32 v5, v12, v5
	s_delay_alu instid0(VALU_DEP_4) | instskip(SKIP_2) | instid1(VALU_DEP_4)
	v_dual_sub_f32 v12, v14, v17 :: v_dual_add_f32 v13, v13, v95
	v_fma_mix_f32 v95, v4, s86, -v14 op_sel_hi:[1,0,0]
	v_add_f32_e32 v15, v15, v97
	v_exp_f32_e32 v5, v5
	v_cvt_i32_f32_e32 v17, v17
	s_delay_alu instid0(VALU_DEP_3) | instskip(NEXT) | instid1(VALU_DEP_3)
	v_fma_mix_f32 v4, v4, s87, v95 op_sel_hi:[1,0,0]
	v_exp_f32_e32 v14, v15
	v_cvt_i32_f32_e32 v15, v94
	s_delay_alu instid0(VALU_DEP_2) | instskip(SKIP_2) | instid1(TRANS32_DEP_3)
	v_add_f32_e32 v4, v12, v4
	v_exp_f32_e32 v13, v13
	v_cvt_i32_f32_e32 v12, v96
	v_ldexp_f32 v5, v5, v16
	s_delay_alu instid0(VALU_DEP_3)
	v_exp_f32_e32 v4, v4
	s_delay_alu instid0(TRANS32_DEP_3) | instid1(VALU_DEP_2)
	v_ldexp_f32 v12, v14, v12
	s_waitcnt_depctr 0xfff
	v_ldexp_f32 v13, v13, v15
	v_ldexp_f32 v4, v4, v17
	s_delay_alu instid0(VALU_DEP_2)
	v_cndmask_b32_e32 v13, 0, v13, vcc_lo
	v_cmp_nlt_f32_e32 vcc_lo, 0x42ce8ed0, v9
	v_cndmask_b32_e32 v12, 0, v12, vcc_lo
	v_cmp_nlt_f32_e32 vcc_lo, 0x42ce8ed0, v10
	v_cndmask_b32_e32 v5, 0, v5, vcc_lo
	v_cmp_ngt_f32_e32 vcc_lo, 0xc2b17218, v8
	v_cndmask_b32_e32 v13, 0x7f800000, v13, vcc_lo
	v_cmp_ngt_f32_e32 vcc_lo, 0xc2b17218, v9
	v_cndmask_b32_e32 v12, 0x7f800000, v12, vcc_lo
	v_cmp_ngt_f32_e32 vcc_lo, 0xc2b17218, v10
	s_delay_alu instid0(VALU_DEP_2) | instskip(NEXT) | instid1(VALU_DEP_1)
	v_add_f32_e32 v12, 1.0, v12
	v_div_scale_f32 v15, null, v12, v12, v9
	v_div_scale_f32 v99, s29, v9, v12, v9
	s_delay_alu instid0(VALU_DEP_2) | instskip(SKIP_4) | instid1(VALU_DEP_3)
	v_rcp_f32_e32 v94, v15
	s_waitcnt_depctr 0xfff
	v_fma_f32 v98, -v15, v94, 1.0
	v_cndmask_b32_e32 v5, 0x7f800000, v5, vcc_lo
	v_cmp_nlt_f32_e32 vcc_lo, 0x42ce8ed0, v11
	v_fmac_f32_e32 v94, v98, v94
	s_delay_alu instid0(VALU_DEP_3) | instskip(SKIP_2) | instid1(VALU_DEP_3)
	v_add_f32_e32 v14, 1.0, v5
	v_cndmask_b32_e32 v4, 0, v4, vcc_lo
	v_cmp_ngt_f32_e32 vcc_lo, 0xc2b17218, v11
	v_div_scale_f32 v16, null, v14, v14, v10
	s_delay_alu instid0(VALU_DEP_3) | instskip(NEXT) | instid1(VALU_DEP_2)
	v_cndmask_b32_e32 v4, 0x7f800000, v4, vcc_lo
	v_rcp_f32_e32 v95, v16
	s_delay_alu instid0(VALU_DEP_1) | instskip(NEXT) | instid1(VALU_DEP_1)
	v_dual_add_f32 v96, 1.0, v4 :: v_dual_add_f32 v13, 1.0, v13
	v_div_scale_f32 v101, null, v96, v96, v11
	s_waitcnt_depctr 0xfff
	v_fma_f32 v100, -v16, v95, 1.0
	v_rcp_f32_e32 v122, v101
	s_delay_alu instid0(VALU_DEP_1) | instskip(SKIP_2) | instid1(VALU_DEP_3)
	v_dual_fmac_f32 v95, v100, v95 :: v_dual_mul_f32 v100, v99, v94
	v_div_scale_f32 v5, null, v13, v13, v8
	v_div_scale_f32 v4, vcc_lo, v8, v13, v8
	v_fma_f32 v121, -v15, v100, v99
	s_delay_alu instid0(VALU_DEP_3) | instskip(SKIP_2) | instid1(VALU_DEP_1)
	v_rcp_f32_e32 v17, v5
	s_waitcnt_depctr 0xfff
	v_fma_f32 v97, -v5, v17, 1.0
	v_fmac_f32_e32 v17, v97, v17
	v_div_scale_f32 v97, s30, v10, v14, v10
	s_delay_alu instid0(VALU_DEP_1) | instskip(NEXT) | instid1(VALU_DEP_1)
	v_dual_mul_f32 v98, v4, v17 :: v_dual_mul_f32 v115, v97, v95
	v_fma_f32 v118, -v5, v98, v4
	s_delay_alu instid0(VALU_DEP_2) | instskip(SKIP_1) | instid1(VALU_DEP_3)
	v_fma_f32 v123, -v16, v115, v97
	v_dual_fmac_f32 v100, v121, v94 :: v_dual_mul_f32 v121, 0xbfb8aa3b, v104
	v_fmac_f32_e32 v98, v118, v17
	v_lshrrev_b32_e32 v118, 16, v7
	s_delay_alu instid0(VALU_DEP_4) | instskip(NEXT) | instid1(VALU_DEP_3)
	v_fmac_f32_e32 v115, v123, v95
	v_fma_f32 v4, -v5, v98, v4
	v_fma_f32 v5, -v15, v100, v99
	v_fma_f32 v15, -v101, v122, 1.0
	v_cvt_f32_f16_e32 v99, v118
	v_rndne_f32_e32 v118, v121
	v_div_fmas_f32 v4, v4, v17, v98
	s_mov_b32 vcc_lo, s29
	v_fma_mix_f32 v17, v6, s86, -v121 op_sel:[1,0,0] op_sel_hi:[1,0,0]
	v_div_fmas_f32 v5, v5, v94, v100
	v_fmac_f32_e32 v122, v15, v122
	v_div_fixup_f32 v4, v4, v13, v8
	v_mul_f32_e32 v13, 0xbfb8aa3b, v99
	v_div_scale_f32 v8, s29, v11, v96, v11
	v_div_fixup_f32 v5, v5, v12, v9
	v_sub_f32_e32 v9, v121, v118
	v_fma_mix_f32 v12, v6, s87, v17 op_sel:[1,0,0] op_sel_hi:[1,0,0]
	v_fma_f32 v15, -v16, v115, v97
	v_mul_f32_e32 v16, v8, v122
	s_mov_b32 vcc_lo, s30
	v_rndne_f32_e32 v17, v13
	v_add_f32_e32 v9, v9, v12
	v_cvt_f32_f16_e32 v12, v7
	v_div_fmas_f32 v15, v15, v95, v115
	v_fma_mix_f32 v94, v7, s86, -v13 op_sel:[1,0,0] op_sel_hi:[1,0,0]
	v_fma_f32 v97, -v101, v16, v8
	v_sub_f32_e32 v13, v13, v17
	v_mul_f32_e32 v95, 0xbfb8aa3b, v12
	v_exp_f32_e32 v9, v9
	v_fma_mix_f32 v94, v7, s87, v94 op_sel:[1,0,0] op_sel_hi:[1,0,0]
	v_fmac_f32_e32 v16, v97, v122
	v_cvt_i32_f32_e32 v98, v118
	v_rndne_f32_e32 v100, v95
	v_fma_mix_f32 v115, v7, s86, -v95 op_sel_hi:[1,0,0]
	v_add_f32_e32 v13, v13, v94
	v_cmp_nlt_f32_e32 vcc_lo, 0x42ce8ed0, v104
	v_cvt_i32_f32_e32 v17, v17
	v_sub_f32_e32 v94, v95, v100
	v_fma_mix_f32 v7, v7, s87, v115 op_sel_hi:[1,0,0]
	v_cvt_f32_f16_e32 v95, v6
	v_ldexp_f32 v9, v9, v98
	v_fma_f32 v8, -v101, v16, v8
	v_div_fixup_f32 v10, v15, v14, v10
	v_add_f32_e32 v7, v94, v7
	v_mul_f32_e32 v94, 0xbfb8aa3b, v95
	s_delay_alu instid0(VALU_DEP_2) | instskip(NEXT) | instid1(VALU_DEP_1)
	v_exp_f32_e32 v7, v7
	v_rndne_f32_e32 v97, v94
	v_fma_mix_f32 v98, v6, s86, -v94 op_sel_hi:[1,0,0]
	s_delay_alu instid0(VALU_DEP_2) | instskip(SKIP_1) | instid1(VALU_DEP_2)
	v_sub_f32_e32 v94, v94, v97
	v_exp_f32_e32 v13, v13
	v_fma_mix_f32 v6, v6, s87, v98 op_sel_hi:[1,0,0]
	v_cndmask_b32_e32 v9, 0, v9, vcc_lo
	v_cmp_ngt_f32_e32 vcc_lo, 0xc2b17218, v104
	s_delay_alu instid0(VALU_DEP_3) | instskip(SKIP_1) | instid1(VALU_DEP_4)
	v_add_f32_e32 v6, v94, v6
	v_cvt_i32_f32_e32 v94, v97
	v_cndmask_b32_e32 v9, 0x7f800000, v9, vcc_lo
	v_cmp_nlt_f32_e32 vcc_lo, 0x42ce8ed0, v99
	s_delay_alu instid0(TRANS32_DEP_1) | instskip(SKIP_2) | instid1(VALU_DEP_2)
	v_ldexp_f32 v13, v13, v17
	v_cvt_i32_f32_e32 v17, v100
	v_exp_f32_e32 v6, v6
	v_cndmask_b32_e32 v13, 0, v13, vcc_lo
	v_cmp_ngt_f32_e32 vcc_lo, 0xc2b17218, v99
	s_delay_alu instid0(VALU_DEP_3) | instskip(NEXT) | instid1(VALU_DEP_3)
	v_ldexp_f32 v7, v7, v17
	v_cndmask_b32_e32 v13, 0x7f800000, v13, vcc_lo
	v_cmp_nlt_f32_e32 vcc_lo, 0x42ce8ed0, v12
	s_waitcnt_depctr 0xfff
	v_ldexp_f32 v6, v6, v94
	v_add_f32_e32 v13, 1.0, v13
	v_cndmask_b32_e32 v7, 0, v7, vcc_lo
	v_cmp_ngt_f32_e32 vcc_lo, 0xc2b17218, v12
	s_delay_alu instid0(VALU_DEP_3) | instskip(NEXT) | instid1(VALU_DEP_3)
	v_div_scale_f32 v100, null, v13, v13, v99
	v_cndmask_b32_e32 v7, 0x7f800000, v7, vcc_lo
	s_mov_b32 vcc_lo, s29
	v_cmp_nlt_f32_e64 s29, 0x42ce8ed0, v95
	v_div_fmas_f32 v8, v8, v122, v16
	v_rcp_f32_e32 v16, v100
	v_add_f32_e32 v94, 1.0, v7
	s_delay_alu instid0(VALU_DEP_3) | instskip(SKIP_2) | instid1(VALU_DEP_2)
	v_cndmask_b32_e64 v6, 0, v6, s29
	v_cmp_ngt_f32_e64 s29, 0xc2b17218, v95
	v_div_fixup_f32 v8, v8, v96, v11
	v_cndmask_b32_e64 v6, 0x7f800000, v6, s29
	s_waitcnt_depctr 0xfff
	v_fma_f32 v115, -v100, v16, 1.0
	s_delay_alu instid0(VALU_DEP_1) | instskip(SKIP_1) | instid1(VALU_DEP_1)
	v_dual_add_f32 v11, 1.0, v6 :: v_dual_fmac_f32 v16, v115, v16
	v_div_scale_f32 v115, s29, v99, v13, v99
	v_dual_add_f32 v9, 1.0, v9 :: v_dual_mul_f32 v14, v115, v16
	s_delay_alu instid0(VALU_DEP_1) | instskip(SKIP_1) | instid1(VALU_DEP_3)
	v_div_scale_f32 v98, null, v9, v9, v104
	v_div_scale_f32 v7, vcc_lo, v104, v9, v104
	v_fma_f32 v96, -v100, v14, v115
	s_delay_alu instid0(VALU_DEP_3) | instskip(NEXT) | instid1(VALU_DEP_1)
	v_rcp_f32_e32 v17, v98
	v_fmac_f32_e32 v14, v96, v16
	s_waitcnt_depctr 0xfff
	v_fma_f32 v97, -v98, v17, 1.0
	s_delay_alu instid0(VALU_DEP_1) | instskip(SKIP_1) | instid1(VALU_DEP_2)
	v_fmac_f32_e32 v17, v97, v17
	v_div_scale_f32 v97, null, v94, v94, v12
	v_mul_f32_e32 v101, v7, v17
	s_delay_alu instid0(VALU_DEP_2) | instskip(NEXT) | instid1(VALU_DEP_1)
	v_rcp_f32_e32 v118, v97
	v_fma_f32 v121, -v98, v101, v7
	s_delay_alu instid0(VALU_DEP_1) | instskip(SKIP_3) | instid1(VALU_DEP_2)
	v_fmac_f32_e32 v101, v121, v17
	s_waitcnt_depctr 0xfff
	v_fma_f32 v6, -v97, v118, 1.0
	v_fma_f32 v7, -v98, v101, v7
	v_fmac_f32_e32 v118, v6, v118
	v_div_scale_f32 v98, s30, v12, v94, v12
	v_fma_mixlo_f16 v6, v120, v8, 0
	s_delay_alu instid0(VALU_DEP_4) | instskip(SKIP_1) | instid1(VALU_DEP_4)
	v_div_fmas_f32 v17, v7, v17, v101
	v_fma_f32 v8, -v100, v14, v115
	v_mul_f32_e32 v96, v98, v118
	v_lshrrev_b32_e32 v101, 16, v0
	s_mov_b32 vcc_lo, s29
	v_fma_mixlo_f16 v7, v119, v10, 0
	v_div_fixup_f32 v10, v17, v9, v104
	v_fma_f32 v9, -v97, v96, v98
	v_div_fmas_f32 v8, v8, v16, v14
	v_cvt_f32_f16_e32 v14, v101
	v_lshrrev_b32_e32 v100, 16, v1
	s_mov_b32 vcc_lo, s30
	v_fmac_f32_e32 v96, v9, v118
	v_div_fixup_f32 v13, v8, v13, v99
	v_mul_f32_e32 v8, 0xbfb8aa3b, v14
	v_cvt_f32_f16_e32 v16, v100
	v_cvt_f32_f16_e32 v99, v1
	v_fma_mixhi_f16 v7, v114, v5, 0
	v_fma_mixhi_f16 v6, v113, v4, 0
	v_rndne_f32_e32 v100, v8
	v_fma_mix_f32 v101, v0, s86, -v8 op_sel:[1,0,0] op_sel_hi:[1,0,0]
	s_delay_alu instid0(VALU_DEP_2) | instskip(NEXT) | instid1(VALU_DEP_2)
	v_sub_f32_e32 v8, v8, v100
	v_fma_mix_f32 v101, v0, s87, v101 op_sel:[1,0,0] op_sel_hi:[1,0,0]
	v_cvt_i32_f32_e32 v100, v100
	s_delay_alu instid0(VALU_DEP_2) | instskip(SKIP_2) | instid1(VALU_DEP_3)
	v_add_f32_e32 v8, v8, v101
	v_div_scale_f32 v15, null, v11, v11, v95
	v_div_scale_f32 v9, s29, v95, v11, v95
	v_exp_f32_e32 v8, v8
	s_delay_alu instid0(VALU_DEP_2) | instskip(SKIP_3) | instid1(VALU_DEP_1)
	v_rcp_f32_e32 v121, v15
	s_waitcnt_depctr 0xfff
	v_ldexp_f32 v8, v8, v100
	v_fma_f32 v17, -v15, v121, 1.0
	v_fmac_f32_e32 v121, v17, v121
	v_fma_f32 v17, -v97, v96, v98
	v_mul_f32_e32 v97, 0xbfb8aa3b, v16
	s_delay_alu instid0(VALU_DEP_2) | instskip(NEXT) | instid1(VALU_DEP_2)
	v_div_fmas_f32 v17, v17, v118, v96
	v_rndne_f32_e32 v104, v97
	v_fma_mix_f32 v115, v1, s86, -v97 op_sel:[1,0,0] op_sel_hi:[1,0,0]
	v_cmp_nlt_f32_e32 vcc_lo, 0x42ce8ed0, v14
	s_delay_alu instid0(VALU_DEP_4) | instskip(NEXT) | instid1(VALU_DEP_4)
	v_div_fixup_f32 v12, v17, v94, v12
	v_sub_f32_e32 v97, v97, v104
	s_delay_alu instid0(VALU_DEP_4) | instskip(SKIP_3) | instid1(VALU_DEP_4)
	v_fma_mix_f32 v115, v1, s87, v115 op_sel:[1,0,0] op_sel_hi:[1,0,0]
	v_cndmask_b32_e32 v8, 0, v8, vcc_lo
	v_cvt_i32_f32_e32 v96, v104
	v_cmp_nlt_f32_e32 vcc_lo, 0x42ce8ed0, v16
	v_add_f32_e32 v97, v97, v115
	s_delay_alu instid0(VALU_DEP_1) | instskip(SKIP_2) | instid1(VALU_DEP_1)
	v_exp_f32_e32 v97, v97
	s_waitcnt_depctr 0xfff
	v_ldexp_f32 v96, v97, v96
	v_cndmask_b32_e32 v96, 0, v96, vcc_lo
	v_cmp_ngt_f32_e32 vcc_lo, 0xc2b17218, v14
	v_mul_f32_e32 v98, v9, v121
	v_cndmask_b32_e32 v8, 0x7f800000, v8, vcc_lo
	v_mul_f32_e32 v119, 0xbfb8aa3b, v99
	s_delay_alu instid0(VALU_DEP_3) | instskip(SKIP_1) | instid1(VALU_DEP_4)
	v_fma_f32 v101, -v15, v98, v9
	v_cmp_ngt_f32_e32 vcc_lo, 0xc2b17218, v16
	v_add_f32_e32 v100, 1.0, v8
	s_delay_alu instid0(VALU_DEP_4)
	v_rndne_f32_e32 v120, v119
	v_fma_mix_f32 v122, v1, s86, -v119 op_sel_hi:[1,0,0]
	v_fmac_f32_e32 v98, v101, v121
	v_cndmask_b32_e32 v96, 0x7f800000, v96, vcc_lo
	v_cmp_nlt_f32_e32 vcc_lo, 0x42ce8ed0, v99
	v_sub_f32_e32 v115, v119, v120
	v_fma_mix_f32 v1, v1, s87, v122 op_sel_hi:[1,0,0]
	v_fma_f32 v9, -v15, v98, v9
	v_cvt_f32_f16_e32 v15, v0
	v_cvt_i32_f32_e32 v97, v120
	s_delay_alu instid0(VALU_DEP_4) | instskip(SKIP_1) | instid1(VALU_DEP_4)
	v_dual_add_f32 v96, 1.0, v96 :: v_dual_add_f32 v1, v115, v1
	v_div_scale_f32 v101, null, v100, v100, v14
	v_cmp_nlt_f32_e64 s30, 0x42ce8ed0, v15
	v_cmp_ngt_f32_e64 s31, 0xc2b17218, v15
	s_delay_alu instid0(VALU_DEP_4) | instskip(NEXT) | instid1(VALU_DEP_3)
	v_exp_f32_e32 v1, v1
	v_rcp_f32_e32 v115, v101
	s_waitcnt_depctr 0xfff
	v_ldexp_f32 v1, v1, v97
	v_mul_f32_e32 v97, 0xbfb8aa3b, v15
	s_delay_alu instid0(VALU_DEP_1) | instskip(SKIP_1) | instid1(VALU_DEP_2)
	v_rndne_f32_e32 v8, v97
	v_fma_mix_f32 v104, v0, s86, -v97 op_sel_hi:[1,0,0]
	v_sub_f32_e32 v97, v97, v8
	s_delay_alu instid0(VALU_DEP_2) | instskip(SKIP_3) | instid1(VALU_DEP_4)
	v_fma_mix_f32 v0, v0, s87, v104 op_sel_hi:[1,0,0]
	v_cndmask_b32_e32 v1, 0, v1, vcc_lo
	v_cmp_ngt_f32_e32 vcc_lo, 0xc2b17218, v99
	v_div_scale_f32 v104, null, v96, v96, v16
	v_add_f32_e32 v0, v97, v0
	v_fma_f32 v97, -v101, v115, 1.0
	v_cndmask_b32_e32 v1, 0x7f800000, v1, vcc_lo
	s_mov_b32 vcc_lo, s29
	v_div_scale_f32 v17, s29, v16, v96, v16
	v_div_fmas_f32 v9, v9, v121, v98
	v_exp_f32_e32 v0, v0
	v_rcp_f32_e32 v98, v104
	v_fmac_f32_e32 v115, v97, v115
	v_div_scale_f32 v97, vcc_lo, v14, v100, v14
	v_div_fixup_f32 v9, v9, v11, v95
	v_cvt_i32_f32_e32 v11, v8
	s_delay_alu instid0(VALU_DEP_2)
	v_fma_mixlo_f16 v8, v117, v9, 0
	s_delay_alu instid0(TRANS32_DEP_2) | instid1(VALU_DEP_2)
	v_ldexp_f32 v0, v0, v11
	s_delay_alu instid0(TRANS32_DEP_1) | instskip(SKIP_1) | instid1(VALU_DEP_4)
	v_fma_f32 v119, -v104, v98, 1.0
	v_mul_f32_e32 v11, v97, v115
	v_fma_mixhi_f16 v8, v110, v10, 0
	s_delay_alu instid0(VALU_DEP_4) | instskip(NEXT) | instid1(VALU_DEP_4)
	v_cndmask_b32_e64 v0, 0, v0, s30
	v_fmac_f32_e32 v98, v119, v98
	s_delay_alu instid0(VALU_DEP_4) | instskip(NEXT) | instid1(VALU_DEP_3)
	v_fma_f32 v94, -v101, v11, v97
	v_cndmask_b32_e64 v0, 0x7f800000, v0, s31
	v_add_f32_e32 v1, 1.0, v1
	s_delay_alu instid0(VALU_DEP_4) | instskip(NEXT) | instid1(VALU_DEP_3)
	v_mul_f32_e32 v117, v17, v98
	v_dual_fmac_f32 v11, v94, v115 :: v_dual_add_f32 v0, 1.0, v0
	s_delay_alu instid0(VALU_DEP_3) | instskip(SKIP_1) | instid1(VALU_DEP_4)
	v_div_scale_f32 v118, null, v1, v1, v99
	v_div_scale_f32 v119, s30, v99, v1, v99
	v_fma_f32 v94, -v104, v117, v17
	s_delay_alu instid0(VALU_DEP_3) | instskip(NEXT) | instid1(VALU_DEP_1)
	v_rcp_f32_e32 v95, v118
	v_fmac_f32_e32 v117, v94, v98
	s_delay_alu instid0(VALU_DEP_1) | instskip(SKIP_3) | instid1(VALU_DEP_2)
	v_fma_f32 v17, -v104, v117, v17
	s_waitcnt_depctr 0xfff
	v_fma_f32 v9, -v118, v95, 1.0
	v_lshrrev_b32_e32 v104, 16, v3
	v_fmac_f32_e32 v95, v9, v95
	v_fma_mixlo_f16 v9, v116, v12, 0
	v_fma_f32 v12, -v101, v11, v97
	s_delay_alu instid0(VALU_DEP_4) | instskip(NEXT) | instid1(VALU_DEP_4)
	v_cvt_f32_f16_e32 v104, v104
	v_mul_f32_e32 v120, v119, v95
	s_delay_alu instid0(VALU_DEP_4) | instskip(NEXT) | instid1(VALU_DEP_4)
	v_fma_mixhi_f16 v9, v109, v13, 0
	v_div_fmas_f32 v11, v12, v115, v11
	v_lshrrev_b32_e32 v12, 16, v2
	s_mov_b32 vcc_lo, s29
	v_fma_f32 v94, -v118, v120, v119
	v_div_fmas_f32 v17, v17, v98, v117
	s_mov_b32 vcc_lo, s30
	v_cvt_f32_f16_e32 v12, v12
	v_cvt_f32_f16_e32 v117, v3
	v_fmac_f32_e32 v120, v94, v95
	v_div_scale_f32 v94, null, v0, v0, v15
	s_delay_alu instid0(VALU_DEP_4) | instskip(SKIP_1) | instid1(VALU_DEP_4)
	v_mul_f32_e32 v101, 0xbfb8aa3b, v12
	v_cmp_nlt_f32_e64 s29, 0x42ce8ed0, v12
	v_fma_f32 v98, -v118, v120, v119
	s_delay_alu instid0(VALU_DEP_4)
	v_rcp_f32_e32 v97, v94
	v_mul_f32_e32 v118, 0xbfb8aa3b, v104
	v_fma_mix_f32 v115, v2, s86, -v101 op_sel:[1,0,0] op_sel_hi:[1,0,0]
	v_cvt_f32_f16_e32 v119, v2
	v_div_fmas_f32 v95, v98, v95, v120
	v_rndne_f32_e32 v98, v101
	v_fma_mix_f32 v120, v3, s86, -v118 op_sel:[1,0,0] op_sel_hi:[1,0,0]
	v_fma_mix_f32 v115, v2, s87, v115 op_sel:[1,0,0] op_sel_hi:[1,0,0]
	v_div_scale_f32 v123, vcc_lo, v15, v0, v15
	s_delay_alu instid0(TRANS32_DEP_1)
	v_fma_f32 v116, -v94, v97, 1.0
	v_sub_f32_e32 v101, v101, v98
	v_fma_mix_f32 v120, v3, s87, v120 op_sel:[1,0,0] op_sel_hi:[1,0,0]
	v_cvt_i32_f32_e32 v98, v98
	v_div_fixup_f32 v1, v95, v1, v99
	v_fmac_f32_e32 v97, v116, v97
	v_dual_mul_f32 v116, 0xbfb8aa3b, v117 :: v_dual_add_f32 v101, v101, v115
	v_rndne_f32_e32 v115, v118
	v_div_fixup_f32 v11, v11, v100, v14
	v_div_fixup_f32 v14, v17, v96, v16
	s_delay_alu instid0(VALU_DEP_4)
	v_rndne_f32_e32 v121, v116
	v_fma_mix_f32 v122, v3, s86, -v116 op_sel_hi:[1,0,0]
	v_exp_f32_e32 v101, v101
	v_sub_f32_e32 v118, v118, v115
	v_cvt_i32_f32_e32 v115, v115
	v_sub_f32_e32 v116, v116, v121
	v_fma_mix_f32 v3, v3, s87, v122 op_sel_hi:[1,0,0]
	v_mul_f32_e32 v122, 0xbfb8aa3b, v119
	v_add_f32_e32 v118, v118, v120
	v_fma_mixlo_f16 v1, v108, v1, 0
	s_delay_alu instid0(VALU_DEP_4) | instskip(NEXT) | instid1(VALU_DEP_4)
	v_add_f32_e32 v3, v116, v3
	v_rndne_f32_e32 v116, v122
	v_fma_mix_f32 v120, v2, s86, -v122 op_sel_hi:[1,0,0]
	v_exp_f32_e32 v118, v118
	v_ldexp_f32 v98, v101, v98
	v_exp_f32_e32 v3, v3
	v_sub_f32_e32 v101, v122, v116
	v_fma_mix_f32 v2, v2, s87, v120 op_sel_hi:[1,0,0]
	v_cvt_i32_f32_e32 v120, v121
	v_cndmask_b32_e64 v98, 0, v98, s29
	v_cmp_ngt_f32_e64 s29, 0xc2b17218, v12
	v_fma_mixhi_f16 v1, v103, v14, 0
	v_add_f32_e32 v2, v101, v2
	v_ldexp_f32 v101, v118, v115
	v_cvt_i32_f32_e32 v115, v116
	v_cndmask_b32_e64 v98, 0x7f800000, v98, s29
	v_cmp_nlt_f32_e64 s29, 0x42ce8ed0, v104
	v_ldexp_f32 v3, v3, v120
	v_exp_f32_e32 v2, v2
	s_delay_alu instid0(VALU_DEP_3) | instskip(NEXT) | instid1(VALU_DEP_3)
	v_add_f32_e32 v98, 1.0, v98
	v_cndmask_b32_e64 v101, 0, v101, s29
	v_cmp_nlt_f32_e64 s29, 0x42ce8ed0, v117
	s_delay_alu instid0(VALU_DEP_1)
	v_cndmask_b32_e64 v3, 0, v3, s29
	v_cmp_ngt_f32_e64 s29, 0xc2b17218, v104
	s_waitcnt_depctr 0xfff
	v_ldexp_f32 v2, v2, v115
	v_div_scale_f32 v115, null, v98, v98, v12
	v_cndmask_b32_e64 v101, 0x7f800000, v101, s29
	v_cmp_ngt_f32_e64 s29, 0xc2b17218, v117
	s_delay_alu instid0(VALU_DEP_3) | instskip(NEXT) | instid1(VALU_DEP_2)
	v_rcp_f32_e32 v116, v115
	v_add_f32_e32 v101, 1.0, v101
	s_delay_alu instid0(VALU_DEP_2) | instskip(SKIP_1) | instid1(VALU_DEP_3)
	v_cndmask_b32_e64 v3, 0x7f800000, v3, s29
	v_cmp_nlt_f32_e64 s29, 0x42ce8ed0, v119
	v_div_scale_f32 v118, null, v101, v101, v104
	s_delay_alu instid0(VALU_DEP_2) | instskip(SKIP_1) | instid1(TRANS32_DEP_1)
	v_cndmask_b32_e64 v2, 0, v2, s29
	v_cmp_ngt_f32_e64 s29, 0xc2b17218, v119
	v_fma_f32 v124, -v115, v116, 1.0
	s_delay_alu instid0(VALU_DEP_4) | instskip(NEXT) | instid1(VALU_DEP_2)
	v_rcp_f32_e32 v122, v118
	v_cndmask_b32_e64 v2, 0x7f800000, v2, s29
	s_delay_alu instid0(VALU_DEP_2) | instskip(SKIP_1) | instid1(VALU_DEP_3)
	v_fmac_f32_e32 v116, v124, v116
	v_div_scale_f32 v124, s29, v12, v98, v12
	v_dual_add_f32 v2, 1.0, v2 :: v_dual_mul_f32 v121, v123, v97
	s_waitcnt_depctr 0xfff
	v_fma_f32 v128, -v118, v122, 1.0
	v_mul_f32_e32 v130, v124, v116
	v_div_scale_f32 v127, null, v2, v2, v119
	v_fma_f32 v126, -v94, v121, v123
	s_delay_alu instid0(VALU_DEP_4) | instskip(SKIP_1) | instid1(VALU_DEP_4)
	v_fmac_f32_e32 v122, v128, v122
	v_div_scale_f32 v128, s30, v104, v101, v104
	v_rcp_f32_e32 v129, v127
	s_delay_alu instid0(VALU_DEP_1) | instskip(NEXT) | instid1(VALU_DEP_1)
	v_dual_fmac_f32 v121, v126, v97 :: v_dual_mul_f32 v132, v128, v122
	v_fma_f32 v94, -v94, v121, v123
	v_fma_f32 v123, -v115, v130, v124
	s_waitcnt_depctr 0xfff
	v_fma_f32 v131, -v127, v129, 1.0
	v_div_fmas_f32 v94, v94, v97, v121
	v_fma_f32 v97, -v118, v132, v128
	v_dual_add_f32 v3, 1.0, v3 :: v_dual_fmac_f32 v130, v123, v116
	s_delay_alu instid0(VALU_DEP_4) | instskip(SKIP_1) | instid1(VALU_DEP_4)
	v_fmac_f32_e32 v129, v131, v129
	v_div_scale_f32 v131, s33, v119, v2, v119
	v_fmac_f32_e32 v132, v97, v122
	s_delay_alu instid0(VALU_DEP_4) | instskip(NEXT) | instid1(VALU_DEP_3)
	v_div_scale_f32 v120, null, v3, v3, v117
	v_mul_f32_e32 v123, v131, v129
	v_div_fixup_f32 v0, v94, v0, v15
	v_fma_f32 v15, -v115, v130, v124
	s_delay_alu instid0(VALU_DEP_4)
	v_rcp_f32_e32 v125, v120
	v_fma_f32 v97, -v118, v132, v128
	v_fma_f32 v94, -v127, v123, v131
	s_mov_b32 vcc_lo, s29
	v_fma_mixlo_f16 v0, v111, v0, 0
	v_div_fmas_f32 v15, v15, v116, v130
	s_mov_b32 vcc_lo, s30
	v_fmac_f32_e32 v123, v94, v129
	v_div_fmas_f32 v97, v97, v122, v132
	v_fma_mixhi_f16 v0, v105, v11, 0
	v_fma_f32 v126, -v120, v125, 1.0
	v_div_fixup_f32 v12, v15, v98, v12
	v_fma_f32 v115, -v127, v123, v131
	v_div_fixup_f32 v15, v97, v101, v104
	s_delay_alu instid0(VALU_DEP_4) | instskip(SKIP_1) | instid1(VALU_DEP_1)
	v_fmac_f32_e32 v125, v126, v125
	v_div_scale_f32 v126, s31, v117, v3, v117
	s_mov_b32 vcc_lo, s31
	s_delay_alu instid0(VALU_DEP_1) | instskip(NEXT) | instid1(VALU_DEP_1)
	v_mul_f32_e32 v133, v126, v125
	v_fma_f32 v121, -v120, v133, v126
	s_delay_alu instid0(VALU_DEP_1) | instskip(NEXT) | instid1(VALU_DEP_1)
	v_fmac_f32_e32 v133, v121, v125
	v_fma_f32 v94, -v120, v133, v126
	s_delay_alu instid0(VALU_DEP_1) | instskip(SKIP_2) | instid1(VALU_DEP_2)
	v_div_fmas_f32 v94, v94, v125, v133
	s_mov_b32 vcc_lo, s33
	v_div_fmas_f32 v115, v115, v129, v123
	v_div_fixup_f32 v3, v94, v3, v117
	s_delay_alu instid0(VALU_DEP_2) | instskip(NEXT) | instid1(VALU_DEP_2)
	v_div_fixup_f32 v2, v115, v2, v119
	v_fma_mixlo_f16 v3, v106, v3, 0
	s_delay_alu instid0(VALU_DEP_2) | instskip(NEXT) | instid1(VALU_DEP_2)
	v_fma_mixlo_f16 v2, v107, v2, 0
	v_fma_mixhi_f16 v3, v112, v15, 0
	s_delay_alu instid0(VALU_DEP_2)
	v_fma_mixhi_f16 v2, v102, v12, 0
	ds_store_b128 v52, v[6:9]
	ds_store_b128 v52, v[0:3] offset:16
	; wave barrier
	ds_load_u16 v16, v37 offset:64
	ds_load_u16 v15, v38 offset:128
	;; [unrolled: 1-line block ×15, first 2 shown]
	v_add_co_u32 v0, vcc_lo, v76, s34
	v_add_co_ci_u32_e32 v1, vcc_lo, s35, v77, vcc_lo
	s_and_saveexec_b32 s29, s13
	s_cbranch_execnz .LBB92_286
; %bb.254:                              ;   in Loop: Header=BB92_12 Depth=1
	s_or_b32 exec_lo, exec_lo, s29
	s_and_saveexec_b32 s13, s14
	s_cbranch_execnz .LBB92_287
.LBB92_255:                             ;   in Loop: Header=BB92_12 Depth=1
	s_or_b32 exec_lo, exec_lo, s13
	s_and_saveexec_b32 s13, s15
	s_cbranch_execnz .LBB92_288
.LBB92_256:                             ;   in Loop: Header=BB92_12 Depth=1
	s_or_b32 exec_lo, exec_lo, s13
	s_and_saveexec_b32 s13, s16
	s_cbranch_execnz .LBB92_289
.LBB92_257:                             ;   in Loop: Header=BB92_12 Depth=1
	s_or_b32 exec_lo, exec_lo, s13
	s_and_saveexec_b32 s13, s17
	s_cbranch_execnz .LBB92_290
.LBB92_258:                             ;   in Loop: Header=BB92_12 Depth=1
	s_or_b32 exec_lo, exec_lo, s13
	s_and_saveexec_b32 s13, s18
	s_cbranch_execnz .LBB92_291
.LBB92_259:                             ;   in Loop: Header=BB92_12 Depth=1
	s_or_b32 exec_lo, exec_lo, s13
	s_and_saveexec_b32 s13, s19
	s_cbranch_execnz .LBB92_292
.LBB92_260:                             ;   in Loop: Header=BB92_12 Depth=1
	s_or_b32 exec_lo, exec_lo, s13
	s_and_saveexec_b32 s13, s20
	s_cbranch_execnz .LBB92_293
.LBB92_261:                             ;   in Loop: Header=BB92_12 Depth=1
	s_or_b32 exec_lo, exec_lo, s13
	s_and_saveexec_b32 s13, s21
	s_cbranch_execnz .LBB92_294
.LBB92_262:                             ;   in Loop: Header=BB92_12 Depth=1
	s_or_b32 exec_lo, exec_lo, s13
	s_and_saveexec_b32 s13, s22
	s_cbranch_execnz .LBB92_295
.LBB92_263:                             ;   in Loop: Header=BB92_12 Depth=1
	s_or_b32 exec_lo, exec_lo, s13
	s_and_saveexec_b32 s13, s23
	s_cbranch_execnz .LBB92_296
.LBB92_264:                             ;   in Loop: Header=BB92_12 Depth=1
	s_or_b32 exec_lo, exec_lo, s13
	s_and_saveexec_b32 s13, s24
	s_cbranch_execnz .LBB92_297
.LBB92_265:                             ;   in Loop: Header=BB92_12 Depth=1
	s_or_b32 exec_lo, exec_lo, s13
	s_and_saveexec_b32 s13, s25
	s_cbranch_execnz .LBB92_298
.LBB92_266:                             ;   in Loop: Header=BB92_12 Depth=1
	s_or_b32 exec_lo, exec_lo, s13
	s_and_saveexec_b32 s13, s26
	s_cbranch_execnz .LBB92_299
.LBB92_267:                             ;   in Loop: Header=BB92_12 Depth=1
	s_or_b32 exec_lo, exec_lo, s13
	s_and_saveexec_b32 s13, s27
	s_cbranch_execnz .LBB92_300
.LBB92_268:                             ;   in Loop: Header=BB92_12 Depth=1
	s_or_b32 exec_lo, exec_lo, s13
	s_and_saveexec_b32 s13, s28
	s_cbranch_execz .LBB92_11
	s_branch .LBB92_301
.LBB92_269:                             ;   in Loop: Header=BB92_12 Depth=1
	global_load_u16 v101, v[8:9], off offset:832
	s_or_b32 exec_lo, exec_lo, s29
	s_and_saveexec_b32 s29, s27
	s_cbranch_execz .LBB92_72
.LBB92_270:                             ;   in Loop: Header=BB92_12 Depth=1
	global_load_u16 v100, v[8:9], off offset:896
	s_or_b32 exec_lo, exec_lo, s29
	v_mov_b32_e32 v102, 0
	s_and_saveexec_b32 s29, s28
	s_cbranch_execnz .LBB92_73
	s_branch .LBB92_74
.LBB92_271:                             ;   in Loop: Header=BB92_12 Depth=1
	ds_load_u16 v17, v37
	s_waitcnt lgkmcnt(0)
	global_store_b16 v[0:1], v17, off
	s_or_b32 exec_lo, exec_lo, s29
	s_and_saveexec_b32 s29, s14
	s_cbranch_execz .LBB92_206
.LBB92_272:                             ;   in Loop: Header=BB92_12 Depth=1
	s_waitcnt lgkmcnt(14)
	global_store_b16 v[0:1], v16, off offset:64
	s_or_b32 exec_lo, exec_lo, s29
	s_and_saveexec_b32 s29, s15
	s_cbranch_execz .LBB92_207
.LBB92_273:                             ;   in Loop: Header=BB92_12 Depth=1
	s_waitcnt lgkmcnt(13)
	global_store_b16 v[0:1], v15, off offset:128
	s_or_b32 exec_lo, exec_lo, s29
	s_and_saveexec_b32 s29, s16
	s_cbranch_execz .LBB92_208
.LBB92_274:                             ;   in Loop: Header=BB92_12 Depth=1
	s_waitcnt lgkmcnt(12)
	global_store_b16 v[0:1], v14, off offset:192
	s_or_b32 exec_lo, exec_lo, s29
	s_and_saveexec_b32 s29, s17
	s_cbranch_execz .LBB92_209
.LBB92_275:                             ;   in Loop: Header=BB92_12 Depth=1
	s_waitcnt lgkmcnt(11)
	global_store_b16 v[0:1], v13, off offset:256
	s_or_b32 exec_lo, exec_lo, s29
	s_and_saveexec_b32 s29, s18
	s_cbranch_execz .LBB92_210
.LBB92_276:                             ;   in Loop: Header=BB92_12 Depth=1
	s_waitcnt lgkmcnt(10)
	global_store_b16 v[0:1], v12, off offset:320
	s_or_b32 exec_lo, exec_lo, s29
	s_and_saveexec_b32 s29, s19
	s_cbranch_execz .LBB92_211
.LBB92_277:                             ;   in Loop: Header=BB92_12 Depth=1
	s_waitcnt lgkmcnt(9)
	global_store_b16 v[0:1], v11, off offset:384
	s_or_b32 exec_lo, exec_lo, s29
	s_and_saveexec_b32 s29, s20
	s_cbranch_execz .LBB92_212
.LBB92_278:                             ;   in Loop: Header=BB92_12 Depth=1
	s_waitcnt lgkmcnt(8)
	global_store_b16 v[0:1], v10, off offset:448
	s_or_b32 exec_lo, exec_lo, s29
	s_and_saveexec_b32 s29, s21
	s_cbranch_execz .LBB92_213
.LBB92_279:                             ;   in Loop: Header=BB92_12 Depth=1
	s_waitcnt lgkmcnt(7)
	global_store_b16 v[0:1], v9, off offset:512
	s_or_b32 exec_lo, exec_lo, s29
	s_and_saveexec_b32 s29, s22
	s_cbranch_execz .LBB92_214
.LBB92_280:                             ;   in Loop: Header=BB92_12 Depth=1
	s_waitcnt lgkmcnt(6)
	global_store_b16 v[0:1], v8, off offset:576
	s_or_b32 exec_lo, exec_lo, s29
	s_and_saveexec_b32 s29, s23
	s_cbranch_execz .LBB92_215
.LBB92_281:                             ;   in Loop: Header=BB92_12 Depth=1
	s_waitcnt lgkmcnt(5)
	global_store_b16 v[0:1], v7, off offset:640
	s_or_b32 exec_lo, exec_lo, s29
	s_and_saveexec_b32 s29, s24
	s_cbranch_execz .LBB92_216
.LBB92_282:                             ;   in Loop: Header=BB92_12 Depth=1
	s_waitcnt lgkmcnt(4)
	global_store_b16 v[0:1], v6, off offset:704
	s_or_b32 exec_lo, exec_lo, s29
	s_and_saveexec_b32 s29, s25
	s_cbranch_execz .LBB92_217
.LBB92_283:                             ;   in Loop: Header=BB92_12 Depth=1
	s_waitcnt lgkmcnt(3)
	global_store_b16 v[0:1], v5, off offset:768
	s_or_b32 exec_lo, exec_lo, s29
	s_and_saveexec_b32 s29, s26
	s_cbranch_execz .LBB92_218
.LBB92_284:                             ;   in Loop: Header=BB92_12 Depth=1
	s_waitcnt lgkmcnt(2)
	global_store_b16 v[0:1], v4, off offset:832
	s_or_b32 exec_lo, exec_lo, s29
	s_and_saveexec_b32 s29, s27
	s_cbranch_execz .LBB92_219
.LBB92_285:                             ;   in Loop: Header=BB92_12 Depth=1
	s_waitcnt lgkmcnt(1)
	global_store_b16 v[0:1], v3, off offset:896
	s_or_b32 exec_lo, exec_lo, s29
	s_and_saveexec_b32 s29, s28
	s_cbranch_execnz .LBB92_220
	s_branch .LBB92_221
.LBB92_286:                             ;   in Loop: Header=BB92_12 Depth=1
	ds_load_u16 v17, v37
	s_waitcnt lgkmcnt(0)
	global_store_b16 v[0:1], v17, off
	s_or_b32 exec_lo, exec_lo, s29
	s_and_saveexec_b32 s13, s14
	s_cbranch_execz .LBB92_255
.LBB92_287:                             ;   in Loop: Header=BB92_12 Depth=1
	s_waitcnt lgkmcnt(14)
	global_store_b16 v[0:1], v16, off offset:64
	s_or_b32 exec_lo, exec_lo, s13
	s_and_saveexec_b32 s13, s15
	s_cbranch_execz .LBB92_256
.LBB92_288:                             ;   in Loop: Header=BB92_12 Depth=1
	s_waitcnt lgkmcnt(13)
	global_store_b16 v[0:1], v15, off offset:128
	s_or_b32 exec_lo, exec_lo, s13
	s_and_saveexec_b32 s13, s16
	s_cbranch_execz .LBB92_257
.LBB92_289:                             ;   in Loop: Header=BB92_12 Depth=1
	s_waitcnt lgkmcnt(12)
	global_store_b16 v[0:1], v14, off offset:192
	s_or_b32 exec_lo, exec_lo, s13
	s_and_saveexec_b32 s13, s17
	s_cbranch_execz .LBB92_258
.LBB92_290:                             ;   in Loop: Header=BB92_12 Depth=1
	s_waitcnt lgkmcnt(11)
	global_store_b16 v[0:1], v13, off offset:256
	s_or_b32 exec_lo, exec_lo, s13
	s_and_saveexec_b32 s13, s18
	s_cbranch_execz .LBB92_259
.LBB92_291:                             ;   in Loop: Header=BB92_12 Depth=1
	s_waitcnt lgkmcnt(10)
	global_store_b16 v[0:1], v12, off offset:320
	s_or_b32 exec_lo, exec_lo, s13
	s_and_saveexec_b32 s13, s19
	s_cbranch_execz .LBB92_260
.LBB92_292:                             ;   in Loop: Header=BB92_12 Depth=1
	s_waitcnt lgkmcnt(9)
	global_store_b16 v[0:1], v11, off offset:384
	s_or_b32 exec_lo, exec_lo, s13
	s_and_saveexec_b32 s13, s20
	s_cbranch_execz .LBB92_261
.LBB92_293:                             ;   in Loop: Header=BB92_12 Depth=1
	s_waitcnt lgkmcnt(8)
	global_store_b16 v[0:1], v10, off offset:448
	s_or_b32 exec_lo, exec_lo, s13
	s_and_saveexec_b32 s13, s21
	s_cbranch_execz .LBB92_262
.LBB92_294:                             ;   in Loop: Header=BB92_12 Depth=1
	s_waitcnt lgkmcnt(7)
	global_store_b16 v[0:1], v9, off offset:512
	s_or_b32 exec_lo, exec_lo, s13
	s_and_saveexec_b32 s13, s22
	s_cbranch_execz .LBB92_263
.LBB92_295:                             ;   in Loop: Header=BB92_12 Depth=1
	s_waitcnt lgkmcnt(6)
	global_store_b16 v[0:1], v8, off offset:576
	s_or_b32 exec_lo, exec_lo, s13
	s_and_saveexec_b32 s13, s23
	s_cbranch_execz .LBB92_264
.LBB92_296:                             ;   in Loop: Header=BB92_12 Depth=1
	s_waitcnt lgkmcnt(5)
	global_store_b16 v[0:1], v7, off offset:640
	s_or_b32 exec_lo, exec_lo, s13
	s_and_saveexec_b32 s13, s24
	s_cbranch_execz .LBB92_265
.LBB92_297:                             ;   in Loop: Header=BB92_12 Depth=1
	s_waitcnt lgkmcnt(4)
	global_store_b16 v[0:1], v6, off offset:704
	s_or_b32 exec_lo, exec_lo, s13
	s_and_saveexec_b32 s13, s25
	s_cbranch_execz .LBB92_266
.LBB92_298:                             ;   in Loop: Header=BB92_12 Depth=1
	s_waitcnt lgkmcnt(3)
	global_store_b16 v[0:1], v5, off offset:768
	s_or_b32 exec_lo, exec_lo, s13
	s_and_saveexec_b32 s13, s26
	s_cbranch_execz .LBB92_267
.LBB92_299:                             ;   in Loop: Header=BB92_12 Depth=1
	s_waitcnt lgkmcnt(2)
	global_store_b16 v[0:1], v4, off offset:832
	s_or_b32 exec_lo, exec_lo, s13
	s_and_saveexec_b32 s13, s27
	s_cbranch_execz .LBB92_268
.LBB92_300:                             ;   in Loop: Header=BB92_12 Depth=1
	s_waitcnt lgkmcnt(1)
	global_store_b16 v[0:1], v3, off offset:896
	s_or_b32 exec_lo, exec_lo, s13
	s_and_saveexec_b32 s13, s28
	s_cbranch_execz .LBB92_11
.LBB92_301:                             ;   in Loop: Header=BB92_12 Depth=1
	s_waitcnt lgkmcnt(0)
	global_store_b16 v[0:1], v2, off offset:960
	s_branch .LBB92_11
.LBB92_302:
	s_nop 0
	s_sendmsg sendmsg(MSG_DEALLOC_VGPRS)
	s_endpgm
	.section	.rodata,"a",@progbits
	.p2align	6, 0x0
	.amdhsa_kernel _Z25selective_scan_fwd_kernelI32Selective_Scan_fwd_kernel_traitsILi128ELi16ELi1ELb0ELb1ELb1ELb1ELb1EN3c104HalfEfS2_EEv13SSMParamsBase
		.amdhsa_group_segment_fixed_size 0
		.amdhsa_private_segment_fixed_size 0
		.amdhsa_kernarg_size 248
		.amdhsa_user_sgpr_count 14
		.amdhsa_user_sgpr_dispatch_ptr 0
		.amdhsa_user_sgpr_queue_ptr 0
		.amdhsa_user_sgpr_kernarg_segment_ptr 1
		.amdhsa_user_sgpr_dispatch_id 0
		.amdhsa_user_sgpr_private_segment_size 0
		.amdhsa_wavefront_size32 1
		.amdhsa_uses_dynamic_stack 0
		.amdhsa_enable_private_segment 0
		.amdhsa_system_sgpr_workgroup_id_x 1
		.amdhsa_system_sgpr_workgroup_id_y 1
		.amdhsa_system_sgpr_workgroup_id_z 0
		.amdhsa_system_sgpr_workgroup_info 0
		.amdhsa_system_vgpr_workitem_id 0
		.amdhsa_next_free_vgpr 177
		.amdhsa_next_free_sgpr 94
		.amdhsa_reserve_vcc 1
		.amdhsa_float_round_mode_32 0
		.amdhsa_float_round_mode_16_64 0
		.amdhsa_float_denorm_mode_32 3
		.amdhsa_float_denorm_mode_16_64 3
		.amdhsa_dx10_clamp 1
		.amdhsa_ieee_mode 1
		.amdhsa_fp16_overflow 0
		.amdhsa_workgroup_processor_mode 1
		.amdhsa_memory_ordered 1
		.amdhsa_forward_progress 0
		.amdhsa_shared_vgpr_count 0
		.amdhsa_exception_fp_ieee_invalid_op 0
		.amdhsa_exception_fp_denorm_src 0
		.amdhsa_exception_fp_ieee_div_zero 0
		.amdhsa_exception_fp_ieee_overflow 0
		.amdhsa_exception_fp_ieee_underflow 0
		.amdhsa_exception_fp_ieee_inexact 0
		.amdhsa_exception_int_div_zero 0
	.end_amdhsa_kernel
	.section	.text._Z25selective_scan_fwd_kernelI32Selective_Scan_fwd_kernel_traitsILi128ELi16ELi1ELb0ELb1ELb1ELb1ELb1EN3c104HalfEfS2_EEv13SSMParamsBase,"axG",@progbits,_Z25selective_scan_fwd_kernelI32Selective_Scan_fwd_kernel_traitsILi128ELi16ELi1ELb0ELb1ELb1ELb1ELb1EN3c104HalfEfS2_EEv13SSMParamsBase,comdat
.Lfunc_end92:
	.size	_Z25selective_scan_fwd_kernelI32Selective_Scan_fwd_kernel_traitsILi128ELi16ELi1ELb0ELb1ELb1ELb1ELb1EN3c104HalfEfS2_EEv13SSMParamsBase, .Lfunc_end92-_Z25selective_scan_fwd_kernelI32Selective_Scan_fwd_kernel_traitsILi128ELi16ELi1ELb0ELb1ELb1ELb1ELb1EN3c104HalfEfS2_EEv13SSMParamsBase
                                        ; -- End function
	.section	.AMDGPU.csdata,"",@progbits
; Kernel info:
; codeLenInByte = 26136
; NumSgprs: 96
; NumVgprs: 177
; ScratchSize: 0
; MemoryBound: 0
; FloatMode: 240
; IeeeMode: 1
; LDSByteSize: 0 bytes/workgroup (compile time only)
; SGPRBlocks: 11
; VGPRBlocks: 22
; NumSGPRsForWavesPerEU: 96
; NumVGPRsForWavesPerEU: 177
; Occupancy: 8
; WaveLimiterHint : 1
; COMPUTE_PGM_RSRC2:SCRATCH_EN: 0
; COMPUTE_PGM_RSRC2:USER_SGPR: 14
; COMPUTE_PGM_RSRC2:TRAP_HANDLER: 0
; COMPUTE_PGM_RSRC2:TGID_X_EN: 1
; COMPUTE_PGM_RSRC2:TGID_Y_EN: 1
; COMPUTE_PGM_RSRC2:TGID_Z_EN: 0
; COMPUTE_PGM_RSRC2:TIDIG_COMP_CNT: 0
	.section	.text._Z25selective_scan_fwd_kernelI32Selective_Scan_fwd_kernel_traitsILi128ELi16ELi1ELb0ELb1ELb1ELb1ELb0EN3c104HalfEfS2_EEv13SSMParamsBase,"axG",@progbits,_Z25selective_scan_fwd_kernelI32Selective_Scan_fwd_kernel_traitsILi128ELi16ELi1ELb0ELb1ELb1ELb1ELb0EN3c104HalfEfS2_EEv13SSMParamsBase,comdat
	.protected	_Z25selective_scan_fwd_kernelI32Selective_Scan_fwd_kernel_traitsILi128ELi16ELi1ELb0ELb1ELb1ELb1ELb0EN3c104HalfEfS2_EEv13SSMParamsBase ; -- Begin function _Z25selective_scan_fwd_kernelI32Selective_Scan_fwd_kernel_traitsILi128ELi16ELi1ELb0ELb1ELb1ELb1ELb0EN3c104HalfEfS2_EEv13SSMParamsBase
	.globl	_Z25selective_scan_fwd_kernelI32Selective_Scan_fwd_kernel_traitsILi128ELi16ELi1ELb0ELb1ELb1ELb1ELb0EN3c104HalfEfS2_EEv13SSMParamsBase
	.p2align	8
	.type	_Z25selective_scan_fwd_kernelI32Selective_Scan_fwd_kernel_traitsILi128ELi16ELi1ELb0ELb1ELb1ELb1ELb0EN3c104HalfEfS2_EEv13SSMParamsBase,@function
_Z25selective_scan_fwd_kernelI32Selective_Scan_fwd_kernel_traitsILi128ELi16ELi1ELb0ELb1ELb1ELb1ELb0EN3c104HalfEfS2_EEv13SSMParamsBase: ; @_Z25selective_scan_fwd_kernelI32Selective_Scan_fwd_kernel_traitsILi128ELi16ELi1ELb0ELb1ELb1ELb1ELb0EN3c104HalfEfS2_EEv13SSMParamsBase
; %bb.0:
	s_clause 0x1
	s_load_b32 s9, s[0:1], 0x18
	s_load_b128 s[4:7], s[0:1], 0xe8
	s_mov_b32 s34, s15
	s_mov_b32 s68, 0
	s_waitcnt lgkmcnt(0)
	s_abs_i32 s8, s9
	s_cmp_eq_u64 s[6:7], 0
	v_cvt_f32_u32_e32 v1, s8
	s_delay_alu instid0(VALU_DEP_1) | instskip(SKIP_2) | instid1(VALU_DEP_1)
	v_rcp_iflag_f32_e32 v1, v1
	s_waitcnt_depctr 0xfff
	v_mul_f32_e32 v1, 0x4f7ffffe, v1
	v_cvt_u32_f32_e32 v1, v1
	s_delay_alu instid0(VALU_DEP_1)
	v_readfirstlane_b32 s10, v1
	s_cbranch_scc1 .LBB93_2
; %bb.1:
	v_mov_b32_e32 v1, 0
	s_ashr_i32 s3, s14, 31
	s_add_u32 s2, s6, s14
	s_addc_u32 s3, s7, s3
	global_load_u8 v1, v1, s[2:3]
	s_waitcnt vmcnt(0)
	v_and_b32_e32 v1, 1, v1
	s_delay_alu instid0(VALU_DEP_1)
	v_cmp_eq_u32_e64 s68, 1, v1
.LBB93_2:
	s_load_b64 s[6:7], s[0:1], 0x20
	s_cmp_eq_u64 s[4:5], 0
	s_cbranch_scc1 .LBB93_4
; %bb.3:
	s_ashr_i32 s15, s14, 31
	s_delay_alu instid0(SALU_CYCLE_1) | instskip(NEXT) | instid1(SALU_CYCLE_1)
	s_lshl_b64 s[2:3], s[14:15], 2
	s_add_u32 s2, s4, s2
	s_addc_u32 s3, s5, s3
	s_load_b32 s2, s[2:3], 0x0
	s_waitcnt lgkmcnt(0)
	s_ashr_i32 s3, s2, 31
	s_delay_alu instid0(SALU_CYCLE_1)
	s_cmp_eq_u64 s[6:7], s[2:3]
	s_cbranch_scc0 .LBB93_5
	s_branch .LBB93_302
.LBB93_4:
	s_mov_b32 s2, s14
	s_delay_alu instid0(SALU_CYCLE_1)
	s_ashr_i32 s3, s2, 31
	s_waitcnt lgkmcnt(0)
	s_cmp_eq_u64 s[6:7], s[2:3]
	s_cbranch_scc1 .LBB93_302
.LBB93_5:
	s_clause 0x1
	s_load_b512 s[16:31], s[0:1], 0x88
	s_load_b64 s[64:65], s[0:1], 0x8
	s_mov_b32 s69, 0
	s_mov_b32 s70, 0
	s_waitcnt lgkmcnt(0)
	s_cmp_eq_u64 s[22:23], 0
	s_cbranch_scc1 .LBB93_7
; %bb.6:
	s_ashr_i32 s35, s34, 31
	s_delay_alu instid0(SALU_CYCLE_1) | instskip(NEXT) | instid1(SALU_CYCLE_1)
	s_lshl_b64 s[4:5], s[34:35], 2
	s_add_u32 s4, s22, s4
	s_addc_u32 s5, s23, s5
	s_load_b32 s70, s[4:5], 0x0
.LBB93_7:
	s_cmp_eq_u64 s[28:29], 0
	s_cbranch_scc1 .LBB93_9
; %bb.8:
	s_ashr_i32 s35, s34, 31
	s_delay_alu instid0(SALU_CYCLE_1) | instskip(NEXT) | instid1(SALU_CYCLE_1)
	s_lshl_b64 s[4:5], s[34:35], 2
	s_add_u32 s4, s28, s4
	s_addc_u32 s5, s29, s5
	s_load_b32 s69, s[4:5], 0x0
.LBB93_9:
	s_cmp_lt_i32 s64, 1
	s_cbranch_scc1 .LBB93_302
; %bb.10:
	s_sub_i32 s3, 0, s8
	s_load_b256 s[48:55], s[0:1], 0x4c
	s_mul_i32 s3, s3, s10
	s_abs_i32 s4, s34
	s_mul_hi_u32 s3, s10, s3
	s_ashr_i32 s6, s9, 31
	s_add_i32 s10, s10, s3
	s_ashr_i32 s3, s34, 31
	s_mul_hi_u32 s5, s4, s10
	s_xor_b32 s3, s3, s6
	s_mul_i32 s7, s5, s8
	s_add_i32 s6, s5, 1
	s_sub_i32 s4, s4, s7
	s_load_b256 s[56:63], s[0:1], 0x2c
	s_sub_i32 s7, s4, s8
	s_cmp_ge_u32 s4, s8
	s_mov_b32 s67, 0
	s_cselect_b32 s5, s6, s5
	s_cselect_b32 s4, s7, s4
	s_add_i32 s6, s5, 1
	s_cmp_ge_u32 s4, s8
	s_waitcnt lgkmcnt(0)
	s_mul_i32 s66, s50, s14
	s_cselect_b32 s6, s6, s5
	s_lshl_b64 s[4:5], s[66:67], 1
	s_xor_b32 s6, s6, s3
	s_mul_i32 s66, s51, s34
	s_sub_i32 s3, s6, s3
	s_add_u32 s6, s24, s4
	s_addc_u32 s7, s25, s5
	s_lshl_b64 s[4:5], s[66:67], 1
	s_mul_i32 s66, s52, s14
	s_add_u32 s63, s6, s4
	s_addc_u32 s71, s7, s5
	s_lshl_b64 s[4:5], s[66:67], 1
	s_mul_i32 s66, s53, s34
	;; [unrolled: 4-line block ×4, first 2 shown]
	s_load_b64 s[6:7], s[0:1], 0x7c
	s_add_u32 s73, s16, s4
	s_addc_u32 s74, s17, s5
	s_lshl_b64 s[4:5], s[66:67], 1
	v_dual_mov_b32 v21, 0 :: v_dual_lshlrev_b32 v18, 4, v0
	s_mul_i32 s66, s3, s61
	s_load_b128 s[24:27], s[0:1], 0xc8
	s_add_u32 s8, s18, s4
	s_addc_u32 s9, s19, s5
	s_lshl_b64 s[4:5], s[66:67], 1
	s_mul_i32 s66, s62, s14
	s_add_u32 s61, s8, s4
	v_mbcnt_lo_u32_b32 v19, -1, 0
	v_and_b32_e32 v1, 0x600, v18
	s_addc_u32 s62, s9, s5
	s_lshl_b64 s[4:5], s[66:67], 1
	s_load_b128 s[16:19], s[0:1], 0x6c
	s_add_u32 s8, s20, s4
	s_mul_i32 s66, s3, s49
	s_addc_u32 s3, s21, s5
	s_clause 0x2
	s_load_b32 s49, s[0:1], 0x84
	s_load_b64 s[20:21], s[0:1], 0xd8
	s_load_b32 s0, s[0:1], 0x28
	v_or_b32_e32 v20, v19, v1
	v_and_b32_e32 v14, 0x60, v0
	s_lshl_b64 s[4:5], s[66:67], 1
	s_waitcnt lgkmcnt(0)
	s_mul_i32 s66, s2, s6
	s_add_u32 s75, s8, s4
	v_or_b32_e32 v24, 0x60, v20
	s_addc_u32 s76, s3, s5
	s_lshl_b64 s[2:3], s[66:67], 1
	v_or_b32_e32 v26, 0xa0, v20
	v_or_b32_e32 v28, 0xe0, v20
	;; [unrolled: 1-line block ×5, first 2 shown]
	v_lshrrev_b32_e32 v2, 5, v24
	v_or_b32_e32 v36, 0x1e0, v20
	v_or_b32_e32 v16, v19, v14
	s_mul_i32 s66, s7, s34
	s_add_u32 s4, s24, s2
	s_addc_u32 s5, s25, s3
	s_lshl_b64 s[2:3], s[66:67], 1
	v_or_b32_e32 v23, 64, v20
	s_add_u32 s77, s4, s2
	v_or_b32_e32 v25, 0x80, v20
	v_or_b32_e32 v27, 0xc0, v20
	;; [unrolled: 1-line block ×6, first 2 shown]
	v_and_b32_e32 v2, 50, v2
	v_lshrrev_b32_e32 v5, 5, v26
	v_lshrrev_b32_e32 v8, 5, v28
	;; [unrolled: 1-line block ×6, first 2 shown]
	v_lshrrev_b16 v50, 1, v16
	s_addc_u32 s78, s5, s3
	s_add_i32 s2, s64, 0x7ff
	v_lshrrev_b32_e32 v3, 5, v1
	s_lshr_b32 s79, s2, 11
	s_bitcmp1_b32 s0, 0
	v_lshrrev_b32_e32 v4, 5, v23
	v_lshrrev_b32_e32 v6, 5, v25
	v_add_lshl_u32 v2, v2, v20, 1
	v_and_b32_e32 v5, 52, v5
	v_lshrrev_b32_e32 v7, 5, v27
	v_and_b32_e32 v8, 54, v8
	v_lshrrev_b32_e32 v10, 5, v29
	;; [unrolled: 2-line block ×5, first 2 shown]
	v_and_b32_e32 v51, 62, v49
	v_lshlrev_b32_e32 v16, 4, v16
	v_and_b32_e32 v52, 62, v50
	s_cselect_b32 s80, -1, 0
	s_cmp_gt_i32 s65, 0
	v_add_lshl_u32 v3, v3, v20, 1
	s_cselect_b32 s81, -1, 0
	s_add_i32 s0, 0, 0x1080
	v_add_lshl_u32 v4, v4, v20, 1
	v_add_lshl_u32 v6, v6, v20, 1
	v_add_nc_u32_e32 v39, 0, v2
	v_add_lshl_u32 v5, v5, v20, 1
	v_add_lshl_u32 v7, v7, v20, 1
	;; [unrolled: 1-line block ×12, first 2 shown]
	v_add_nc_u32_e32 v55, s0, v2
	v_and_b32_e32 v2, 15, v19
	s_and_b32 s1, s64, 0x7ff
	v_add_nc_u32_e32 v51, 0, v67
	v_add_nc_u32_e32 v53, s0, v3
	;; [unrolled: 1-line block ×15, first 2 shown]
	s_cmp_eq_u32 s1, 0
	v_add_nc_u32_e32 v68, s0, v16
	v_cmp_ne_u32_e64 s0, 0, v2
	v_cmp_lt_u32_e64 s1, 1, v2
	v_cmp_lt_u32_e64 s2, 3, v2
	;; [unrolled: 1-line block ×3, first 2 shown]
	v_add_nc_u32_e32 v2, -1, v19
	v_add_nc_u32_e32 v37, 0, v3
	v_lshrrev_b32_e32 v3, 2, v0
	s_mul_i32 s66, s16, s14
	v_add_nc_u32_e32 v41, 0, v5
	v_or_b32_e32 v5, 31, v14
	v_cmp_gt_i32_e32 vcc_lo, 0, v2
	s_cselect_b32 s82, -1, 0
	s_lshl_b64 s[12:13], s[66:67], 1
	v_and_b32_e32 v3, 24, v3
	s_add_i32 s83, s79, -1
	v_cndmask_b32_e32 v2, v2, v19, vcc_lo
	s_mul_i32 s66, s17, s34
	s_add_u32 s15, s30, s12
	s_addc_u32 s13, s31, s13
	s_lshl_b64 s[16:17], s[66:67], 1
	v_cmp_eq_u32_e64 s5, v5, v0
	v_cmp_gt_u32_e64 s6, 4, v0
	v_lshl_add_u32 v70, v0, 3, 0
	v_cmp_gt_u32_e64 s9, 32, v0
	v_cmp_lt_u32_e64 s10, 31, v0
	v_cmp_eq_u32_e64 s11, 0, v0
	s_mul_i32 s66, s54, s14
	v_lshlrev_b32_e32 v0, 1, v19
	s_add_u32 s15, s15, s16
	v_add_nc_u32_e32 v38, 0, v4
	v_and_b32_e32 v4, 16, v19
	v_add_nc_u32_e32 v69, 0, v3
	v_and_b32_e32 v3, 3, v19
	s_addc_u32 s13, s13, s17
	s_lshl_b64 s[16:17], s[66:67], 1
	s_mul_i32 s66, s55, s34
	s_add_u32 s22, s26, s16
	v_lshlrev_b32_e32 v71, 2, v2
	s_addc_u32 s23, s27, s17
	s_lshl_b64 s[16:17], s[66:67], 1
	v_add_co_u32 v2, s15, s15, v0
	s_mul_i32 s66, s18, s14
	v_cmp_ne_u32_e64 s4, 0, v4
	v_cmp_ne_u32_e64 s7, 0, v3
	v_cmp_lt_u32_e64 s8, 1, v3
	v_add_co_ci_u32_e64 v3, null, s13, 0, s15
	s_add_u32 s13, s22, s16
	v_lshlrev_b32_e32 v4, 1, v1
	s_addc_u32 s16, s23, s17
	s_lshl_b64 s[14:15], s[66:67], 1
	s_mul_i32 s66, s19, s34
	s_add_u32 s17, s20, s14
	s_addc_u32 s18, s21, s15
	s_lshl_b64 s[14:15], s[66:67], 1
	v_add_co_u32 v72, vcc_lo, v2, v4
	v_add_co_u32 v2, s13, s13, v0
	s_add_u32 s14, s17, s14
	v_add_co_ci_u32_e32 v73, vcc_lo, 0, v3, vcc_lo
	v_add_co_ci_u32_e64 v3, null, s16, 0, s13
	s_addc_u32 s15, s18, s15
	v_add_co_u32 v0, s13, s14, v0
	s_delay_alu instid0(VALU_DEP_1) | instskip(SKIP_2) | instid1(VALU_DEP_4)
	v_add_co_ci_u32_e64 v5, null, s15, 0, s13
	v_add_co_u32 v74, vcc_lo, v2, v4
	v_add_co_ci_u32_e32 v75, vcc_lo, 0, v3, vcc_lo
	v_add_co_u32 v76, vcc_lo, v0, v4
	v_or_b32_e32 v22, 32, v20
	v_add_nc_u32_e32 v40, 0, v6
	v_add_nc_u32_e32 v42, 0, v7
	;; [unrolled: 1-line block ×11, first 2 shown]
	v_cmp_eq_u32_e64 s12, 0, v19
	v_add_co_ci_u32_e32 v77, vcc_lo, 0, v5, vcc_lo
	v_or_b32_e32 v78, 1, v18
	v_or_b32_e32 v79, 2, v18
	;; [unrolled: 1-line block ×15, first 2 shown]
	v_lshlrev_b32_e32 v93, 1, v1
	s_mov_b32 s84, 0x3e9b6dac
	s_add_i32 s85, 0, 0x2120
	s_mov_b32 s86, 0xbfb8aa3b
	s_mov_b32 s87, 0xb2a5705f
	;; [unrolled: 1-line block ×3, first 2 shown]
	s_branch .LBB93_12
.LBB93_11:                              ;   in Loop: Header=BB93_12 Depth=1
	s_or_b32 exec_lo, exec_lo, s13
	s_add_u32 s72, s72, 0x1000
	s_addc_u32 s56, s56, 0
	s_add_u32 s63, s63, 0x1000
	s_addc_u32 s71, s71, 0
	;; [unrolled: 2-line block ×4, first 2 shown]
	s_add_i32 s88, s88, 1
	s_delay_alu instid0(SALU_CYCLE_1)
	s_cmp_lg_u32 s88, s79
	s_cbranch_scc0 .LBB93_302
.LBB93_12:                              ; =>This Loop Header: Depth=1
                                        ;     Child Loop BB93_109 Depth 2
	s_waitcnt lgkmcnt(14)
	v_lshlrev_b32_e32 v16, 1, v19
	s_lshl_b32 s50, s88, 11
	s_waitcnt lgkmcnt(0)
	v_mov_b32_e32 v2, 0
	s_sub_i32 s41, s64, s50
	v_add_co_u32 v0, s13, s63, v16
	s_delay_alu instid0(VALU_DEP_1) | instskip(SKIP_1) | instid1(VALU_DEP_3)
	v_add_co_ci_u32_e64 v1, null, s71, 0, s13
	v_cmp_gt_u32_e64 s13, s41, v20
	v_add_co_u32 v0, vcc_lo, v0, v93
	s_delay_alu instid0(VALU_DEP_3)
	v_add_co_ci_u32_e32 v1, vcc_lo, 0, v1, vcc_lo
	s_waitcnt_vscnt null, 0x0
	s_barrier
	buffer_gl0_inv
	s_and_saveexec_b32 s14, s13
	s_cbranch_execz .LBB93_14
; %bb.13:                               ;   in Loop: Header=BB93_12 Depth=1
	global_load_u16 v2, v[0:1], off
.LBB93_14:                              ;   in Loop: Header=BB93_12 Depth=1
	s_or_b32 exec_lo, exec_lo, s14
	v_cmp_gt_u32_e64 s14, s41, v22
	v_dual_mov_b32 v3, 0 :: v_dual_mov_b32 v4, 0
	s_delay_alu instid0(VALU_DEP_2)
	s_and_saveexec_b32 s15, s14
	s_cbranch_execz .LBB93_16
; %bb.15:                               ;   in Loop: Header=BB93_12 Depth=1
	global_load_u16 v4, v[0:1], off offset:64
.LBB93_16:                              ;   in Loop: Header=BB93_12 Depth=1
	s_or_b32 exec_lo, exec_lo, s15
	v_cmp_gt_u32_e64 s15, s41, v23
	s_delay_alu instid0(VALU_DEP_1)
	s_and_saveexec_b32 s16, s15
	s_cbranch_execz .LBB93_18
; %bb.17:                               ;   in Loop: Header=BB93_12 Depth=1
	global_load_u16 v3, v[0:1], off offset:128
.LBB93_18:                              ;   in Loop: Header=BB93_12 Depth=1
	s_or_b32 exec_lo, exec_lo, s16
	v_cmp_gt_u32_e64 s16, s41, v24
	v_dual_mov_b32 v5, 0 :: v_dual_mov_b32 v6, 0
	s_delay_alu instid0(VALU_DEP_2)
	s_and_saveexec_b32 s17, s16
	s_cbranch_execz .LBB93_20
; %bb.19:                               ;   in Loop: Header=BB93_12 Depth=1
	global_load_u16 v6, v[0:1], off offset:192
.LBB93_20:                              ;   in Loop: Header=BB93_12 Depth=1
	s_or_b32 exec_lo, exec_lo, s17
	v_cmp_gt_u32_e64 s17, s41, v25
	s_delay_alu instid0(VALU_DEP_1)
	s_and_saveexec_b32 s18, s17
	s_cbranch_execz .LBB93_22
; %bb.21:                               ;   in Loop: Header=BB93_12 Depth=1
	global_load_u16 v5, v[0:1], off offset:256
.LBB93_22:                              ;   in Loop: Header=BB93_12 Depth=1
	;; [unrolled: 17-line block ×3, first 2 shown]
	s_or_b32 exec_lo, exec_lo, s20
	v_cmp_gt_u32_e64 s20, s41, v28
	v_mov_b32_e32 v9, 0
	v_mov_b32_e32 v11, 0
	s_delay_alu instid0(VALU_DEP_3)
	s_and_saveexec_b32 s21, s20
	s_cbranch_execz .LBB93_28
; %bb.27:                               ;   in Loop: Header=BB93_12 Depth=1
	global_load_u16 v11, v[0:1], off offset:448
.LBB93_28:                              ;   in Loop: Header=BB93_12 Depth=1
	s_or_b32 exec_lo, exec_lo, s21
	v_cmp_gt_u32_e64 s21, s41, v29
	s_delay_alu instid0(VALU_DEP_1)
	s_and_saveexec_b32 s22, s21
	s_cbranch_execz .LBB93_30
; %bb.29:                               ;   in Loop: Header=BB93_12 Depth=1
	global_load_u16 v9, v[0:1], off offset:512
.LBB93_30:                              ;   in Loop: Header=BB93_12 Depth=1
	s_or_b32 exec_lo, exec_lo, s22
	v_cmp_gt_u32_e64 s22, s41, v30
	v_dual_mov_b32 v12, 0 :: v_dual_mov_b32 v13, 0
	s_delay_alu instid0(VALU_DEP_2)
	s_and_saveexec_b32 s23, s22
	s_cbranch_execz .LBB93_32
; %bb.31:                               ;   in Loop: Header=BB93_12 Depth=1
	global_load_u16 v13, v[0:1], off offset:576
.LBB93_32:                              ;   in Loop: Header=BB93_12 Depth=1
	s_or_b32 exec_lo, exec_lo, s23
	v_cmp_gt_u32_e64 s23, s41, v31
	s_delay_alu instid0(VALU_DEP_1)
	s_and_saveexec_b32 s24, s23
	s_cbranch_execz .LBB93_34
; %bb.33:                               ;   in Loop: Header=BB93_12 Depth=1
	global_load_u16 v12, v[0:1], off offset:640
.LBB93_34:                              ;   in Loop: Header=BB93_12 Depth=1
	s_or_b32 exec_lo, exec_lo, s24
	v_cmp_gt_u32_e64 s24, s41, v32
	v_dual_mov_b32 v14, 0 :: v_dual_mov_b32 v15, 0
	s_delay_alu instid0(VALU_DEP_2)
	;; [unrolled: 17-line block ×4, first 2 shown]
	s_and_saveexec_b32 s29, s28
	s_cbranch_execz .LBB93_44
; %bb.43:                               ;   in Loop: Header=BB93_12 Depth=1
	global_load_u16 v95, v[0:1], off offset:960
.LBB93_44:                              ;   in Loop: Header=BB93_12 Depth=1
	s_or_b32 exec_lo, exec_lo, s29
	s_waitcnt vmcnt(0)
	ds_store_b16 v37, v2
	ds_store_b16 v37, v4 offset:64
	ds_store_b16 v38, v3 offset:128
	;; [unrolled: 1-line block ×15, first 2 shown]
	; wave barrier
	ds_load_b128 v[0:3], v52
	ds_load_b128 v[4:7], v52 offset:16
	v_add_co_u32 v8, s29, s72, v16
	s_delay_alu instid0(VALU_DEP_1) | instskip(SKIP_1) | instid1(VALU_DEP_2)
	v_add_co_ci_u32_e64 v9, null, s56, 0, s29
	s_waitcnt lgkmcnt(0)
	v_add_co_u32 v8, vcc_lo, v8, v93
	s_delay_alu instid0(VALU_DEP_2)
	v_add_co_ci_u32_e32 v9, vcc_lo, 0, v9, vcc_lo
	s_barrier
	buffer_gl0_inv
	s_and_saveexec_b32 s29, s13
	s_cbranch_execz .LBB93_46
; %bb.45:                               ;   in Loop: Header=BB93_12 Depth=1
	global_load_u16 v10, v[8:9], off
.LBB93_46:                              ;   in Loop: Header=BB93_12 Depth=1
	s_or_b32 exec_lo, exec_lo, s29
	v_dual_mov_b32 v11, 0 :: v_dual_mov_b32 v12, 0
	s_and_saveexec_b32 s29, s14
	s_cbranch_execz .LBB93_48
; %bb.47:                               ;   in Loop: Header=BB93_12 Depth=1
	global_load_u16 v12, v[8:9], off offset:64
.LBB93_48:                              ;   in Loop: Header=BB93_12 Depth=1
	s_or_b32 exec_lo, exec_lo, s29
	s_and_saveexec_b32 s29, s15
	s_cbranch_execz .LBB93_50
; %bb.49:                               ;   in Loop: Header=BB93_12 Depth=1
	global_load_u16 v11, v[8:9], off offset:128
.LBB93_50:                              ;   in Loop: Header=BB93_12 Depth=1
	s_or_b32 exec_lo, exec_lo, s29
	v_dual_mov_b32 v13, 0 :: v_dual_mov_b32 v14, 0
	s_and_saveexec_b32 s29, s16
	s_cbranch_execz .LBB93_52
; %bb.51:                               ;   in Loop: Header=BB93_12 Depth=1
	global_load_u16 v14, v[8:9], off offset:192
.LBB93_52:                              ;   in Loop: Header=BB93_12 Depth=1
	s_or_b32 exec_lo, exec_lo, s29
	s_and_saveexec_b32 s29, s17
	s_cbranch_execz .LBB93_54
; %bb.53:                               ;   in Loop: Header=BB93_12 Depth=1
	global_load_u16 v13, v[8:9], off offset:256
.LBB93_54:                              ;   in Loop: Header=BB93_12 Depth=1
	s_or_b32 exec_lo, exec_lo, s29
	v_mov_b32_e32 v15, 0
	v_mov_b32_e32 v17, 0
	s_and_saveexec_b32 s29, s18
	s_cbranch_execz .LBB93_56
; %bb.55:                               ;   in Loop: Header=BB93_12 Depth=1
	global_load_u16 v17, v[8:9], off offset:320
.LBB93_56:                              ;   in Loop: Header=BB93_12 Depth=1
	s_or_b32 exec_lo, exec_lo, s29
	s_and_saveexec_b32 s29, s19
	s_cbranch_execz .LBB93_58
; %bb.57:                               ;   in Loop: Header=BB93_12 Depth=1
	global_load_u16 v15, v[8:9], off offset:384
.LBB93_58:                              ;   in Loop: Header=BB93_12 Depth=1
	s_or_b32 exec_lo, exec_lo, s29
	v_dual_mov_b32 v94, 0 :: v_dual_mov_b32 v95, 0
	s_and_saveexec_b32 s29, s20
	s_cbranch_execz .LBB93_60
; %bb.59:                               ;   in Loop: Header=BB93_12 Depth=1
	global_load_u16 v95, v[8:9], off offset:448
.LBB93_60:                              ;   in Loop: Header=BB93_12 Depth=1
	s_or_b32 exec_lo, exec_lo, s29
	s_and_saveexec_b32 s29, s21
	s_cbranch_execz .LBB93_62
; %bb.61:                               ;   in Loop: Header=BB93_12 Depth=1
	global_load_u16 v94, v[8:9], off offset:512
.LBB93_62:                              ;   in Loop: Header=BB93_12 Depth=1
	s_or_b32 exec_lo, exec_lo, s29
	v_dual_mov_b32 v96, 0 :: v_dual_mov_b32 v97, 0
	;; [unrolled: 13-line block ×4, first 2 shown]
	s_and_saveexec_b32 s29, s26
	s_cbranch_execnz .LBB93_269
; %bb.71:                               ;   in Loop: Header=BB93_12 Depth=1
	s_or_b32 exec_lo, exec_lo, s29
	s_and_saveexec_b32 s29, s27
	s_cbranch_execnz .LBB93_270
.LBB93_72:                              ;   in Loop: Header=BB93_12 Depth=1
	s_or_b32 exec_lo, exec_lo, s29
	v_mov_b32_e32 v102, 0
	s_and_saveexec_b32 s29, s28
	s_cbranch_execz .LBB93_74
.LBB93_73:                              ;   in Loop: Header=BB93_12 Depth=1
	global_load_u16 v102, v[8:9], off offset:960
.LBB93_74:                              ;   in Loop: Header=BB93_12 Depth=1
	s_or_b32 exec_lo, exec_lo, s29
	s_waitcnt vmcnt(0)
	ds_store_b16 v37, v10
	ds_store_b16 v37, v12 offset:64
	ds_store_b16 v38, v11 offset:128
	;; [unrolled: 1-line block ×15, first 2 shown]
	; wave barrier
	ds_load_b128 v[12:15], v52
	ds_load_b128 v[8:11], v52 offset:16
	s_waitcnt lgkmcnt(1)
	v_cvt_f32_f16_e32 v17, v12
	s_delay_alu instid0(VALU_DEP_1) | instskip(NEXT) | instid1(VALU_DEP_1)
	v_add_f32_e32 v94, s69, v17
	v_cmp_ge_f32_e32 vcc_lo, 0x41a00000, v94
	s_and_b32 s29, s80, vcc_lo
	s_delay_alu instid0(SALU_CYCLE_1)
	s_and_saveexec_b32 s30, s29
	s_cbranch_execz .LBB93_76
; %bb.75:                               ;   in Loop: Header=BB93_12 Depth=1
	v_mul_f32_e32 v17, 0x3fb8aa3b, v94
	v_cmp_ngt_f32_e32 vcc_lo, 0xc2ce8ed0, v94
	s_delay_alu instid0(VALU_DEP_2) | instskip(SKIP_1) | instid1(VALU_DEP_1)
	v_rndne_f32_e32 v95, v17
	v_fma_f32 v96, 0x3fb8aa3b, v94, -v17
	v_dual_sub_f32 v17, v17, v95 :: v_dual_fmac_f32 v96, 0x32a5705f, v94
	v_cvt_i32_f32_e32 v95, v95
	s_delay_alu instid0(VALU_DEP_2) | instskip(NEXT) | instid1(VALU_DEP_1)
	v_add_f32_e32 v17, v17, v96
	v_exp_f32_e32 v17, v17
	s_waitcnt_depctr 0xfff
	v_ldexp_f32 v17, v17, v95
	s_delay_alu instid0(VALU_DEP_1) | instskip(SKIP_1) | instid1(VALU_DEP_2)
	v_cndmask_b32_e32 v17, 0, v17, vcc_lo
	v_cmp_nlt_f32_e32 vcc_lo, 0x42b17218, v94
	v_cndmask_b32_e32 v17, 0x7f800000, v17, vcc_lo
	s_delay_alu instid0(VALU_DEP_1) | instskip(NEXT) | instid1(VALU_DEP_1)
	v_add_f32_e32 v96, 1.0, v17
	v_cvt_f64_f32_e32 v[94:95], v96
	s_delay_alu instid0(VALU_DEP_1) | instskip(SKIP_1) | instid1(VALU_DEP_1)
	v_frexp_exp_i32_f64_e32 v94, v[94:95]
	v_frexp_mant_f32_e32 v95, v96
	v_cmp_gt_f32_e32 vcc_lo, 0x3f2aaaab, v95
	v_add_f32_e32 v95, -1.0, v96
	s_delay_alu instid0(VALU_DEP_1) | instskip(NEXT) | instid1(VALU_DEP_1)
	v_dual_sub_f32 v98, v95, v96 :: v_dual_sub_f32 v95, v17, v95
	v_add_f32_e32 v98, 1.0, v98
	v_subrev_co_ci_u32_e32 v94, vcc_lo, 0, v94, vcc_lo
	s_delay_alu instid0(VALU_DEP_1) | instskip(SKIP_1) | instid1(VALU_DEP_2)
	v_sub_nc_u32_e32 v97, 0, v94
	v_cvt_f32_i32_e32 v94, v94
	v_ldexp_f32 v96, v96, v97
	v_add_f32_e32 v95, v95, v98
	s_delay_alu instid0(VALU_DEP_1) | instskip(NEXT) | instid1(VALU_DEP_3)
	v_ldexp_f32 v95, v95, v97
	v_add_f32_e32 v99, 1.0, v96
	s_delay_alu instid0(VALU_DEP_1) | instskip(NEXT) | instid1(VALU_DEP_1)
	v_add_f32_e32 v98, -1.0, v99
	v_sub_f32_e32 v98, v96, v98
	v_cmp_eq_f32_e32 vcc_lo, 0x7f800000, v17
	v_cmp_gt_f32_e64 s29, 0x33800000, v17
	s_delay_alu instid0(VALU_DEP_3) | instskip(NEXT) | instid1(VALU_DEP_2)
	v_dual_add_f32 v98, v95, v98 :: v_dual_add_f32 v97, -1.0, v96
	s_or_b32 vcc_lo, s29, vcc_lo
	s_delay_alu instid0(VALU_DEP_1) | instskip(NEXT) | instid1(VALU_DEP_1)
	v_add_f32_e32 v100, 1.0, v97
	v_sub_f32_e32 v96, v96, v100
	s_delay_alu instid0(VALU_DEP_3) | instskip(NEXT) | instid1(VALU_DEP_1)
	v_add_f32_e32 v100, v99, v98
	v_sub_f32_e32 v99, v99, v100
	s_delay_alu instid0(VALU_DEP_3) | instskip(SKIP_1) | instid1(VALU_DEP_2)
	v_add_f32_e32 v95, v95, v96
	v_rcp_f32_e32 v96, v100
	v_add_f32_e32 v98, v98, v99
	s_delay_alu instid0(VALU_DEP_2) | instskip(NEXT) | instid1(VALU_DEP_1)
	v_add_f32_e32 v101, v97, v95
	v_sub_f32_e32 v97, v97, v101
	s_waitcnt_depctr 0xfff
	v_dual_mul_f32 v102, v101, v96 :: v_dual_add_f32 v95, v95, v97
	s_delay_alu instid0(VALU_DEP_1) | instskip(NEXT) | instid1(VALU_DEP_1)
	v_mul_f32_e32 v103, v100, v102
	v_fma_f32 v99, v102, v100, -v103
	s_delay_alu instid0(VALU_DEP_1) | instskip(NEXT) | instid1(VALU_DEP_1)
	v_fmac_f32_e32 v99, v102, v98
	v_add_f32_e32 v104, v103, v99
	s_delay_alu instid0(VALU_DEP_1) | instskip(NEXT) | instid1(VALU_DEP_1)
	v_sub_f32_e32 v105, v101, v104
	v_sub_f32_e32 v101, v101, v105
	v_sub_f32_e32 v97, v104, v103
	s_delay_alu instid0(VALU_DEP_2) | instskip(NEXT) | instid1(VALU_DEP_2)
	v_sub_f32_e32 v101, v101, v104
	v_sub_f32_e32 v97, v97, v99
	s_delay_alu instid0(VALU_DEP_2) | instskip(NEXT) | instid1(VALU_DEP_1)
	v_add_f32_e32 v95, v95, v101
	v_add_f32_e32 v95, v97, v95
	s_delay_alu instid0(VALU_DEP_1) | instskip(NEXT) | instid1(VALU_DEP_1)
	v_add_f32_e32 v97, v105, v95
	v_mul_f32_e32 v99, v96, v97
	s_delay_alu instid0(VALU_DEP_1) | instskip(NEXT) | instid1(VALU_DEP_1)
	v_dual_sub_f32 v104, v105, v97 :: v_dual_mul_f32 v101, v100, v99
	v_add_f32_e32 v95, v95, v104
	s_delay_alu instid0(VALU_DEP_2) | instskip(NEXT) | instid1(VALU_DEP_1)
	v_fma_f32 v100, v99, v100, -v101
	v_fmac_f32_e32 v100, v99, v98
	s_delay_alu instid0(VALU_DEP_1) | instskip(NEXT) | instid1(VALU_DEP_1)
	v_add_f32_e32 v98, v101, v100
	v_sub_f32_e32 v103, v97, v98
	v_sub_f32_e32 v101, v98, v101
	s_delay_alu instid0(VALU_DEP_2) | instskip(NEXT) | instid1(VALU_DEP_1)
	v_sub_f32_e32 v97, v97, v103
	v_sub_f32_e32 v97, v97, v98
	s_delay_alu instid0(VALU_DEP_1) | instskip(SKIP_1) | instid1(VALU_DEP_1)
	v_dual_sub_f32 v98, v101, v100 :: v_dual_add_f32 v95, v95, v97
	v_add_f32_e32 v97, v102, v99
	v_dual_add_f32 v95, v98, v95 :: v_dual_sub_f32 v98, v97, v102
	s_delay_alu instid0(VALU_DEP_1) | instskip(NEXT) | instid1(VALU_DEP_1)
	v_add_f32_e32 v95, v103, v95
	v_dual_sub_f32 v98, v99, v98 :: v_dual_mul_f32 v95, v96, v95
	s_delay_alu instid0(VALU_DEP_1) | instskip(NEXT) | instid1(VALU_DEP_1)
	v_add_f32_e32 v95, v98, v95
	v_add_f32_e32 v96, v97, v95
	s_delay_alu instid0(VALU_DEP_1) | instskip(NEXT) | instid1(VALU_DEP_1)
	v_mul_f32_e32 v98, v96, v96
	v_fmaak_f32 v99, s84, v98, 0x3ecc95a3
	v_mul_f32_e32 v100, v96, v98
	s_delay_alu instid0(VALU_DEP_2) | instskip(SKIP_2) | instid1(VALU_DEP_3)
	v_fmaak_f32 v98, v98, v99, 0x3f2aaada
	v_ldexp_f32 v99, v96, 1
	v_sub_f32_e32 v96, v96, v97
	v_mul_f32_e32 v98, v100, v98
	s_delay_alu instid0(VALU_DEP_2) | instskip(NEXT) | instid1(VALU_DEP_2)
	v_dual_mul_f32 v100, 0x3f317218, v94 :: v_dual_sub_f32 v95, v95, v96
	v_add_f32_e32 v97, v99, v98
	s_delay_alu instid0(VALU_DEP_2) | instskip(NEXT) | instid1(VALU_DEP_2)
	v_ldexp_f32 v95, v95, 1
	v_sub_f32_e32 v96, v97, v99
	s_delay_alu instid0(VALU_DEP_4) | instskip(NEXT) | instid1(VALU_DEP_1)
	v_fma_f32 v99, 0x3f317218, v94, -v100
	v_dual_sub_f32 v96, v98, v96 :: v_dual_fmac_f32 v99, 0xb102e308, v94
	s_delay_alu instid0(VALU_DEP_1) | instskip(NEXT) | instid1(VALU_DEP_1)
	v_dual_add_f32 v94, v95, v96 :: v_dual_add_f32 v95, v100, v99
	v_add_f32_e32 v96, v97, v94
	s_delay_alu instid0(VALU_DEP_2) | instskip(NEXT) | instid1(VALU_DEP_2)
	v_sub_f32_e32 v100, v95, v100
	v_dual_add_f32 v98, v95, v96 :: v_dual_sub_f32 v97, v96, v97
	s_delay_alu instid0(VALU_DEP_2) | instskip(NEXT) | instid1(VALU_DEP_2)
	v_sub_f32_e32 v99, v99, v100
	v_sub_f32_e32 v101, v98, v95
	s_delay_alu instid0(VALU_DEP_3) | instskip(NEXT) | instid1(VALU_DEP_2)
	v_sub_f32_e32 v94, v94, v97
	v_sub_f32_e32 v102, v98, v101
	s_delay_alu instid0(VALU_DEP_2) | instskip(NEXT) | instid1(VALU_DEP_2)
	v_dual_sub_f32 v96, v96, v101 :: v_dual_add_f32 v97, v99, v94
	v_sub_f32_e32 v95, v95, v102
	s_delay_alu instid0(VALU_DEP_1) | instskip(NEXT) | instid1(VALU_DEP_3)
	v_add_f32_e32 v95, v96, v95
	v_sub_f32_e32 v96, v97, v99
	s_delay_alu instid0(VALU_DEP_2) | instskip(NEXT) | instid1(VALU_DEP_2)
	v_add_f32_e32 v95, v97, v95
	v_sub_f32_e32 v97, v97, v96
	v_sub_f32_e32 v94, v94, v96
	s_delay_alu instid0(VALU_DEP_2) | instskip(NEXT) | instid1(VALU_DEP_1)
	v_dual_add_f32 v100, v98, v95 :: v_dual_sub_f32 v97, v99, v97
	v_sub_f32_e32 v96, v100, v98
	s_delay_alu instid0(VALU_DEP_1) | instskip(NEXT) | instid1(VALU_DEP_1)
	v_dual_add_f32 v94, v94, v97 :: v_dual_sub_f32 v95, v95, v96
	v_add_f32_e32 v94, v94, v95
	s_delay_alu instid0(VALU_DEP_1) | instskip(NEXT) | instid1(VALU_DEP_1)
	v_add_f32_e32 v94, v100, v94
	v_cndmask_b32_e32 v94, v94, v17, vcc_lo
.LBB93_76:                              ;   in Loop: Header=BB93_12 Depth=1
	s_or_b32 exec_lo, exec_lo, s30
	v_lshrrev_b32_e32 v12, 16, v12
	s_delay_alu instid0(VALU_DEP_1) | instskip(NEXT) | instid1(VALU_DEP_1)
	v_cvt_f32_f16_e32 v12, v12
	v_add_f32_e32 v95, s69, v12
	s_delay_alu instid0(VALU_DEP_1) | instskip(SKIP_1) | instid1(SALU_CYCLE_1)
	v_cmp_ge_f32_e32 vcc_lo, 0x41a00000, v95
	s_and_b32 s29, s80, vcc_lo
	s_and_saveexec_b32 s30, s29
	s_cbranch_execz .LBB93_78
; %bb.77:                               ;   in Loop: Header=BB93_12 Depth=1
	v_mul_f32_e32 v12, 0x3fb8aa3b, v95
	v_cmp_ngt_f32_e32 vcc_lo, 0xc2ce8ed0, v95
	s_delay_alu instid0(VALU_DEP_2) | instskip(SKIP_1) | instid1(VALU_DEP_2)
	v_rndne_f32_e32 v17, v12
	v_fma_f32 v96, 0x3fb8aa3b, v95, -v12
	v_sub_f32_e32 v12, v12, v17
	s_delay_alu instid0(VALU_DEP_2) | instskip(SKIP_1) | instid1(VALU_DEP_2)
	v_fmac_f32_e32 v96, 0x32a5705f, v95
	v_cvt_i32_f32_e32 v17, v17
	v_add_f32_e32 v12, v12, v96
	s_delay_alu instid0(VALU_DEP_1) | instskip(SKIP_2) | instid1(VALU_DEP_1)
	v_exp_f32_e32 v12, v12
	s_waitcnt_depctr 0xfff
	v_ldexp_f32 v12, v12, v17
	v_cndmask_b32_e32 v12, 0, v12, vcc_lo
	v_cmp_nlt_f32_e32 vcc_lo, 0x42b17218, v95
	s_delay_alu instid0(VALU_DEP_2) | instskip(NEXT) | instid1(VALU_DEP_1)
	v_cndmask_b32_e32 v12, 0x7f800000, v12, vcc_lo
	v_add_f32_e32 v17, 1.0, v12
	s_delay_alu instid0(VALU_DEP_1) | instskip(NEXT) | instid1(VALU_DEP_1)
	v_cvt_f64_f32_e32 v[95:96], v17
	v_frexp_exp_i32_f64_e32 v95, v[95:96]
	v_frexp_mant_f32_e32 v96, v17
	s_delay_alu instid0(VALU_DEP_1) | instskip(SKIP_1) | instid1(VALU_DEP_1)
	v_cmp_gt_f32_e32 vcc_lo, 0x3f2aaaab, v96
	v_add_f32_e32 v96, -1.0, v17
	v_sub_f32_e32 v98, v96, v17
	v_sub_f32_e32 v96, v12, v96
	s_delay_alu instid0(VALU_DEP_2) | instskip(NEXT) | instid1(VALU_DEP_1)
	v_add_f32_e32 v98, 1.0, v98
	v_add_f32_e32 v96, v96, v98
	v_subrev_co_ci_u32_e32 v95, vcc_lo, 0, v95, vcc_lo
	s_delay_alu instid0(VALU_DEP_1) | instskip(SKIP_1) | instid1(VALU_DEP_2)
	v_sub_nc_u32_e32 v97, 0, v95
	v_cvt_f32_i32_e32 v95, v95
	v_ldexp_f32 v17, v17, v97
	v_ldexp_f32 v96, v96, v97
	s_delay_alu instid0(VALU_DEP_2) | instskip(NEXT) | instid1(VALU_DEP_1)
	v_add_f32_e32 v99, 1.0, v17
	v_dual_add_f32 v97, -1.0, v17 :: v_dual_add_f32 v98, -1.0, v99
	s_delay_alu instid0(VALU_DEP_1) | instskip(NEXT) | instid1(VALU_DEP_2)
	v_add_f32_e32 v100, 1.0, v97
	v_sub_f32_e32 v98, v17, v98
	s_delay_alu instid0(VALU_DEP_2) | instskip(NEXT) | instid1(VALU_DEP_1)
	v_sub_f32_e32 v17, v17, v100
	v_add_f32_e32 v17, v96, v17
	s_delay_alu instid0(VALU_DEP_1) | instskip(SKIP_2) | instid1(VALU_DEP_3)
	v_add_f32_e32 v101, v97, v17
	v_cmp_eq_f32_e32 vcc_lo, 0x7f800000, v12
	v_cmp_gt_f32_e64 s29, 0x33800000, v12
	v_dual_sub_f32 v97, v97, v101 :: v_dual_add_f32 v98, v96, v98
	s_delay_alu instid0(VALU_DEP_2) | instskip(NEXT) | instid1(VALU_DEP_1)
	s_or_b32 vcc_lo, s29, vcc_lo
	v_dual_add_f32 v17, v17, v97 :: v_dual_add_f32 v100, v99, v98
	s_delay_alu instid0(VALU_DEP_1) | instskip(SKIP_1) | instid1(VALU_DEP_1)
	v_rcp_f32_e32 v96, v100
	v_sub_f32_e32 v99, v99, v100
	v_add_f32_e32 v98, v98, v99
	s_waitcnt_depctr 0xfff
	v_mul_f32_e32 v102, v101, v96
	s_delay_alu instid0(VALU_DEP_1) | instskip(NEXT) | instid1(VALU_DEP_1)
	v_mul_f32_e32 v103, v100, v102
	v_fma_f32 v99, v102, v100, -v103
	s_delay_alu instid0(VALU_DEP_1) | instskip(NEXT) | instid1(VALU_DEP_1)
	v_fmac_f32_e32 v99, v102, v98
	v_add_f32_e32 v104, v103, v99
	s_delay_alu instid0(VALU_DEP_1) | instskip(SKIP_1) | instid1(VALU_DEP_2)
	v_sub_f32_e32 v105, v101, v104
	v_sub_f32_e32 v97, v104, v103
	;; [unrolled: 1-line block ×3, first 2 shown]
	s_delay_alu instid0(VALU_DEP_2) | instskip(NEXT) | instid1(VALU_DEP_2)
	v_sub_f32_e32 v97, v97, v99
	v_sub_f32_e32 v101, v101, v104
	s_delay_alu instid0(VALU_DEP_1) | instskip(NEXT) | instid1(VALU_DEP_1)
	v_add_f32_e32 v17, v17, v101
	v_add_f32_e32 v17, v97, v17
	s_delay_alu instid0(VALU_DEP_1) | instskip(NEXT) | instid1(VALU_DEP_1)
	v_add_f32_e32 v97, v105, v17
	v_mul_f32_e32 v99, v96, v97
	s_delay_alu instid0(VALU_DEP_1) | instskip(NEXT) | instid1(VALU_DEP_1)
	v_mul_f32_e32 v101, v100, v99
	v_fma_f32 v100, v99, v100, -v101
	s_delay_alu instid0(VALU_DEP_1) | instskip(SKIP_1) | instid1(VALU_DEP_2)
	v_fmac_f32_e32 v100, v99, v98
	v_sub_f32_e32 v104, v105, v97
	v_add_f32_e32 v98, v101, v100
	s_delay_alu instid0(VALU_DEP_2) | instskip(NEXT) | instid1(VALU_DEP_2)
	v_add_f32_e32 v17, v17, v104
	v_sub_f32_e32 v103, v97, v98
	s_delay_alu instid0(VALU_DEP_1) | instskip(NEXT) | instid1(VALU_DEP_1)
	v_sub_f32_e32 v97, v97, v103
	v_sub_f32_e32 v97, v97, v98
	s_delay_alu instid0(VALU_DEP_1) | instskip(SKIP_2) | instid1(VALU_DEP_1)
	v_add_f32_e32 v17, v17, v97
	v_add_f32_e32 v97, v102, v99
	v_sub_f32_e32 v101, v98, v101
	v_sub_f32_e32 v98, v101, v100
	s_delay_alu instid0(VALU_DEP_1) | instskip(NEXT) | instid1(VALU_DEP_1)
	v_dual_add_f32 v17, v98, v17 :: v_dual_sub_f32 v98, v97, v102
	v_add_f32_e32 v17, v103, v17
	s_delay_alu instid0(VALU_DEP_1) | instskip(NEXT) | instid1(VALU_DEP_1)
	v_dual_sub_f32 v98, v99, v98 :: v_dual_mul_f32 v17, v96, v17
	v_add_f32_e32 v17, v98, v17
	s_delay_alu instid0(VALU_DEP_1) | instskip(NEXT) | instid1(VALU_DEP_1)
	v_add_f32_e32 v96, v97, v17
	v_mul_f32_e32 v98, v96, v96
	s_delay_alu instid0(VALU_DEP_1) | instskip(SKIP_1) | instid1(VALU_DEP_2)
	v_fmaak_f32 v99, s84, v98, 0x3ecc95a3
	v_mul_f32_e32 v100, v96, v98
	v_fmaak_f32 v98, v98, v99, 0x3f2aaada
	v_ldexp_f32 v99, v96, 1
	s_delay_alu instid0(VALU_DEP_2) | instskip(SKIP_1) | instid1(VALU_DEP_2)
	v_mul_f32_e32 v98, v100, v98
	v_sub_f32_e32 v96, v96, v97
	v_dual_mul_f32 v100, 0x3f317218, v95 :: v_dual_add_f32 v97, v99, v98
	s_delay_alu instid0(VALU_DEP_2) | instskip(NEXT) | instid1(VALU_DEP_2)
	v_sub_f32_e32 v17, v17, v96
	v_sub_f32_e32 v96, v97, v99
	s_delay_alu instid0(VALU_DEP_3) | instskip(NEXT) | instid1(VALU_DEP_3)
	v_fma_f32 v99, 0x3f317218, v95, -v100
	v_ldexp_f32 v17, v17, 1
	s_delay_alu instid0(VALU_DEP_2) | instskip(NEXT) | instid1(VALU_DEP_1)
	v_dual_sub_f32 v96, v98, v96 :: v_dual_fmac_f32 v99, 0xb102e308, v95
	v_add_f32_e32 v17, v17, v96
	s_delay_alu instid0(VALU_DEP_1) | instskip(NEXT) | instid1(VALU_DEP_1)
	v_dual_add_f32 v95, v100, v99 :: v_dual_add_f32 v96, v97, v17
	v_sub_f32_e32 v100, v95, v100
	s_delay_alu instid0(VALU_DEP_2) | instskip(NEXT) | instid1(VALU_DEP_2)
	v_dual_add_f32 v98, v95, v96 :: v_dual_sub_f32 v97, v96, v97
	v_sub_f32_e32 v99, v99, v100
	s_delay_alu instid0(VALU_DEP_2) | instskip(NEXT) | instid1(VALU_DEP_1)
	v_sub_f32_e32 v101, v98, v95
	v_sub_f32_e32 v102, v98, v101
	;; [unrolled: 1-line block ×4, first 2 shown]
	s_delay_alu instid0(VALU_DEP_1) | instskip(NEXT) | instid1(VALU_DEP_4)
	v_add_f32_e32 v97, v99, v17
	v_sub_f32_e32 v95, v95, v102
	s_delay_alu instid0(VALU_DEP_1) | instskip(NEXT) | instid1(VALU_DEP_3)
	v_add_f32_e32 v95, v96, v95
	v_sub_f32_e32 v96, v97, v99
	s_delay_alu instid0(VALU_DEP_2) | instskip(NEXT) | instid1(VALU_DEP_2)
	v_add_f32_e32 v95, v97, v95
	v_sub_f32_e32 v97, v97, v96
	s_delay_alu instid0(VALU_DEP_2) | instskip(NEXT) | instid1(VALU_DEP_1)
	v_dual_sub_f32 v17, v17, v96 :: v_dual_add_f32 v100, v98, v95
	v_dual_sub_f32 v96, v100, v98 :: v_dual_sub_f32 v97, v99, v97
	s_delay_alu instid0(VALU_DEP_1) | instskip(NEXT) | instid1(VALU_DEP_2)
	v_sub_f32_e32 v95, v95, v96
	v_add_f32_e32 v17, v17, v97
	s_delay_alu instid0(VALU_DEP_1) | instskip(NEXT) | instid1(VALU_DEP_1)
	v_add_f32_e32 v17, v17, v95
	v_add_f32_e32 v17, v100, v17
	s_delay_alu instid0(VALU_DEP_1)
	v_cndmask_b32_e32 v95, v17, v12, vcc_lo
.LBB93_78:                              ;   in Loop: Header=BB93_12 Depth=1
	s_or_b32 exec_lo, exec_lo, s30
	v_cvt_f32_f16_e32 v12, v13
	s_delay_alu instid0(VALU_DEP_1) | instskip(NEXT) | instid1(VALU_DEP_1)
	v_add_f32_e32 v96, s69, v12
	v_cmp_ge_f32_e32 vcc_lo, 0x41a00000, v96
	s_and_b32 s29, s80, vcc_lo
	s_delay_alu instid0(SALU_CYCLE_1)
	s_and_saveexec_b32 s30, s29
	s_cbranch_execz .LBB93_80
; %bb.79:                               ;   in Loop: Header=BB93_12 Depth=1
	v_mul_f32_e32 v12, 0x3fb8aa3b, v96
	v_cmp_ngt_f32_e32 vcc_lo, 0xc2ce8ed0, v96
	s_delay_alu instid0(VALU_DEP_2) | instskip(SKIP_1) | instid1(VALU_DEP_1)
	v_rndne_f32_e32 v17, v12
	v_fma_f32 v97, 0x3fb8aa3b, v96, -v12
	v_dual_sub_f32 v12, v12, v17 :: v_dual_fmac_f32 v97, 0x32a5705f, v96
	v_cvt_i32_f32_e32 v17, v17
	s_delay_alu instid0(VALU_DEP_2) | instskip(NEXT) | instid1(VALU_DEP_1)
	v_add_f32_e32 v12, v12, v97
	v_exp_f32_e32 v12, v12
	s_waitcnt_depctr 0xfff
	v_ldexp_f32 v12, v12, v17
	s_delay_alu instid0(VALU_DEP_1) | instskip(SKIP_1) | instid1(VALU_DEP_2)
	v_cndmask_b32_e32 v12, 0, v12, vcc_lo
	v_cmp_nlt_f32_e32 vcc_lo, 0x42b17218, v96
	v_cndmask_b32_e32 v12, 0x7f800000, v12, vcc_lo
	s_delay_alu instid0(VALU_DEP_1) | instskip(NEXT) | instid1(VALU_DEP_1)
	v_add_f32_e32 v17, 1.0, v12
	v_cvt_f64_f32_e32 v[96:97], v17
	s_delay_alu instid0(VALU_DEP_1) | instskip(SKIP_1) | instid1(VALU_DEP_1)
	v_frexp_exp_i32_f64_e32 v96, v[96:97]
	v_frexp_mant_f32_e32 v97, v17
	v_cmp_gt_f32_e32 vcc_lo, 0x3f2aaaab, v97
	v_add_f32_e32 v97, -1.0, v17
	s_delay_alu instid0(VALU_DEP_1) | instskip(SKIP_1) | instid1(VALU_DEP_2)
	v_sub_f32_e32 v99, v97, v17
	v_sub_f32_e32 v97, v12, v97
	v_add_f32_e32 v99, 1.0, v99
	s_delay_alu instid0(VALU_DEP_1) | instskip(SKIP_3) | instid1(VALU_DEP_2)
	v_add_f32_e32 v97, v97, v99
	v_cmp_gt_f32_e64 s29, 0x33800000, v12
	v_subrev_co_ci_u32_e32 v96, vcc_lo, 0, v96, vcc_lo
	v_cmp_eq_f32_e32 vcc_lo, 0x7f800000, v12
	v_sub_nc_u32_e32 v98, 0, v96
	v_cvt_f32_i32_e32 v96, v96
	s_or_b32 vcc_lo, s29, vcc_lo
	s_delay_alu instid0(VALU_DEP_2) | instskip(SKIP_1) | instid1(VALU_DEP_2)
	v_ldexp_f32 v17, v17, v98
	v_ldexp_f32 v97, v97, v98
	v_add_f32_e32 v100, 1.0, v17
	s_delay_alu instid0(VALU_DEP_1) | instskip(NEXT) | instid1(VALU_DEP_1)
	v_dual_add_f32 v98, -1.0, v17 :: v_dual_add_f32 v99, -1.0, v100
	v_add_f32_e32 v101, 1.0, v98
	s_delay_alu instid0(VALU_DEP_2) | instskip(NEXT) | instid1(VALU_DEP_2)
	v_sub_f32_e32 v99, v17, v99
	v_sub_f32_e32 v17, v17, v101
	s_delay_alu instid0(VALU_DEP_1) | instskip(NEXT) | instid1(VALU_DEP_1)
	v_add_f32_e32 v17, v97, v17
	v_dual_add_f32 v102, v98, v17 :: v_dual_add_f32 v99, v97, v99
	s_delay_alu instid0(VALU_DEP_1) | instskip(NEXT) | instid1(VALU_DEP_1)
	v_dual_sub_f32 v98, v98, v102 :: v_dual_add_f32 v101, v100, v99
	v_rcp_f32_e32 v97, v101
	v_sub_f32_e32 v100, v100, v101
	s_delay_alu instid0(VALU_DEP_1) | instskip(SKIP_2) | instid1(VALU_DEP_1)
	v_add_f32_e32 v99, v99, v100
	s_waitcnt_depctr 0xfff
	v_mul_f32_e32 v103, v102, v97
	v_mul_f32_e32 v104, v101, v103
	s_delay_alu instid0(VALU_DEP_1) | instskip(NEXT) | instid1(VALU_DEP_1)
	v_fma_f32 v100, v103, v101, -v104
	v_fmac_f32_e32 v100, v103, v99
	s_delay_alu instid0(VALU_DEP_1) | instskip(NEXT) | instid1(VALU_DEP_1)
	v_add_f32_e32 v105, v104, v100
	v_sub_f32_e32 v106, v102, v105
	s_delay_alu instid0(VALU_DEP_1) | instskip(SKIP_2) | instid1(VALU_DEP_3)
	v_sub_f32_e32 v102, v102, v106
	v_add_f32_e32 v17, v17, v98
	v_sub_f32_e32 v98, v105, v104
	v_sub_f32_e32 v102, v102, v105
	s_delay_alu instid0(VALU_DEP_1) | instskip(NEXT) | instid1(VALU_DEP_1)
	v_dual_sub_f32 v98, v98, v100 :: v_dual_add_f32 v17, v17, v102
	v_add_f32_e32 v17, v98, v17
	s_delay_alu instid0(VALU_DEP_1) | instskip(NEXT) | instid1(VALU_DEP_1)
	v_add_f32_e32 v98, v106, v17
	v_mul_f32_e32 v100, v97, v98
	s_delay_alu instid0(VALU_DEP_1) | instskip(NEXT) | instid1(VALU_DEP_1)
	v_dual_sub_f32 v105, v106, v98 :: v_dual_mul_f32 v102, v101, v100
	v_add_f32_e32 v17, v17, v105
	s_delay_alu instid0(VALU_DEP_2) | instskip(NEXT) | instid1(VALU_DEP_1)
	v_fma_f32 v101, v100, v101, -v102
	v_fmac_f32_e32 v101, v100, v99
	s_delay_alu instid0(VALU_DEP_1) | instskip(NEXT) | instid1(VALU_DEP_1)
	v_add_f32_e32 v99, v102, v101
	v_sub_f32_e32 v104, v98, v99
	s_delay_alu instid0(VALU_DEP_1) | instskip(NEXT) | instid1(VALU_DEP_1)
	v_sub_f32_e32 v98, v98, v104
	v_sub_f32_e32 v98, v98, v99
	s_delay_alu instid0(VALU_DEP_1) | instskip(SKIP_1) | instid1(VALU_DEP_1)
	v_dual_add_f32 v17, v17, v98 :: v_dual_add_f32 v98, v103, v100
	v_sub_f32_e32 v102, v99, v102
	v_sub_f32_e32 v99, v102, v101
	s_delay_alu instid0(VALU_DEP_1) | instskip(NEXT) | instid1(VALU_DEP_4)
	v_add_f32_e32 v17, v99, v17
	v_sub_f32_e32 v99, v98, v103
	s_delay_alu instid0(VALU_DEP_2) | instskip(NEXT) | instid1(VALU_DEP_2)
	v_add_f32_e32 v17, v104, v17
	v_sub_f32_e32 v99, v100, v99
	s_delay_alu instid0(VALU_DEP_2) | instskip(NEXT) | instid1(VALU_DEP_1)
	v_mul_f32_e32 v17, v97, v17
	v_add_f32_e32 v17, v99, v17
	s_delay_alu instid0(VALU_DEP_1) | instskip(NEXT) | instid1(VALU_DEP_1)
	v_add_f32_e32 v97, v98, v17
	v_mul_f32_e32 v99, v97, v97
	s_delay_alu instid0(VALU_DEP_1) | instskip(SKIP_1) | instid1(VALU_DEP_2)
	v_fmaak_f32 v100, s84, v99, 0x3ecc95a3
	v_mul_f32_e32 v101, v97, v99
	v_fmaak_f32 v99, v99, v100, 0x3f2aaada
	v_ldexp_f32 v100, v97, 1
	v_sub_f32_e32 v97, v97, v98
	s_delay_alu instid0(VALU_DEP_3) | instskip(SKIP_1) | instid1(VALU_DEP_2)
	v_mul_f32_e32 v99, v101, v99
	v_mul_f32_e32 v101, 0x3f317218, v96
	v_dual_sub_f32 v17, v17, v97 :: v_dual_add_f32 v98, v100, v99
	s_delay_alu instid0(VALU_DEP_1) | instskip(NEXT) | instid1(VALU_DEP_2)
	v_ldexp_f32 v17, v17, 1
	v_sub_f32_e32 v97, v98, v100
	s_delay_alu instid0(VALU_DEP_4) | instskip(NEXT) | instid1(VALU_DEP_1)
	v_fma_f32 v100, 0x3f317218, v96, -v101
	v_dual_sub_f32 v97, v99, v97 :: v_dual_fmac_f32 v100, 0xb102e308, v96
	s_delay_alu instid0(VALU_DEP_1) | instskip(NEXT) | instid1(VALU_DEP_1)
	v_add_f32_e32 v17, v17, v97
	v_dual_add_f32 v96, v101, v100 :: v_dual_add_f32 v97, v98, v17
	s_delay_alu instid0(VALU_DEP_1) | instskip(NEXT) | instid1(VALU_DEP_2)
	v_sub_f32_e32 v101, v96, v101
	v_dual_add_f32 v99, v96, v97 :: v_dual_sub_f32 v98, v97, v98
	s_delay_alu instid0(VALU_DEP_2) | instskip(NEXT) | instid1(VALU_DEP_2)
	v_sub_f32_e32 v100, v100, v101
	v_dual_sub_f32 v102, v99, v96 :: v_dual_sub_f32 v17, v17, v98
	s_delay_alu instid0(VALU_DEP_1) | instskip(NEXT) | instid1(VALU_DEP_2)
	v_sub_f32_e32 v103, v99, v102
	v_dual_sub_f32 v97, v97, v102 :: v_dual_add_f32 v98, v100, v17
	s_delay_alu instid0(VALU_DEP_2) | instskip(NEXT) | instid1(VALU_DEP_1)
	v_sub_f32_e32 v96, v96, v103
	v_add_f32_e32 v96, v97, v96
	s_delay_alu instid0(VALU_DEP_3) | instskip(NEXT) | instid1(VALU_DEP_2)
	v_sub_f32_e32 v97, v98, v100
	v_add_f32_e32 v96, v98, v96
	s_delay_alu instid0(VALU_DEP_2) | instskip(SKIP_1) | instid1(VALU_DEP_2)
	v_sub_f32_e32 v98, v98, v97
	v_sub_f32_e32 v17, v17, v97
	v_dual_add_f32 v101, v99, v96 :: v_dual_sub_f32 v98, v100, v98
	s_delay_alu instid0(VALU_DEP_1) | instskip(NEXT) | instid1(VALU_DEP_1)
	v_sub_f32_e32 v97, v101, v99
	v_dual_add_f32 v17, v17, v98 :: v_dual_sub_f32 v96, v96, v97
	s_delay_alu instid0(VALU_DEP_1) | instskip(NEXT) | instid1(VALU_DEP_1)
	v_add_f32_e32 v17, v17, v96
	v_add_f32_e32 v17, v101, v17
	s_delay_alu instid0(VALU_DEP_1)
	v_cndmask_b32_e32 v96, v17, v12, vcc_lo
.LBB93_80:                              ;   in Loop: Header=BB93_12 Depth=1
	s_or_b32 exec_lo, exec_lo, s30
	v_lshrrev_b32_e32 v12, 16, v13
	s_delay_alu instid0(VALU_DEP_1) | instskip(NEXT) | instid1(VALU_DEP_1)
	v_cvt_f32_f16_e32 v12, v12
	v_add_f32_e32 v97, s69, v12
	s_delay_alu instid0(VALU_DEP_1) | instskip(SKIP_1) | instid1(SALU_CYCLE_1)
	v_cmp_ge_f32_e32 vcc_lo, 0x41a00000, v97
	s_and_b32 s29, s80, vcc_lo
	s_and_saveexec_b32 s30, s29
	s_cbranch_execz .LBB93_82
; %bb.81:                               ;   in Loop: Header=BB93_12 Depth=1
	v_mul_f32_e32 v12, 0x3fb8aa3b, v97
	v_cmp_ngt_f32_e32 vcc_lo, 0xc2ce8ed0, v97
	s_delay_alu instid0(VALU_DEP_2) | instskip(SKIP_1) | instid1(VALU_DEP_2)
	v_rndne_f32_e32 v13, v12
	v_fma_f32 v17, 0x3fb8aa3b, v97, -v12
	v_sub_f32_e32 v12, v12, v13
	s_delay_alu instid0(VALU_DEP_2) | instskip(SKIP_1) | instid1(VALU_DEP_2)
	v_fmac_f32_e32 v17, 0x32a5705f, v97
	v_cvt_i32_f32_e32 v13, v13
	v_add_f32_e32 v12, v12, v17
	s_delay_alu instid0(VALU_DEP_1) | instskip(SKIP_2) | instid1(VALU_DEP_1)
	v_exp_f32_e32 v12, v12
	s_waitcnt_depctr 0xfff
	v_ldexp_f32 v12, v12, v13
	v_cndmask_b32_e32 v12, 0, v12, vcc_lo
	v_cmp_nlt_f32_e32 vcc_lo, 0x42b17218, v97
	s_delay_alu instid0(VALU_DEP_2) | instskip(NEXT) | instid1(VALU_DEP_1)
	v_cndmask_b32_e32 v17, 0x7f800000, v12, vcc_lo
	v_add_f32_e32 v97, 1.0, v17
	s_delay_alu instid0(VALU_DEP_1) | instskip(NEXT) | instid1(VALU_DEP_1)
	v_cvt_f64_f32_e32 v[12:13], v97
	v_frexp_exp_i32_f64_e32 v12, v[12:13]
	v_frexp_mant_f32_e32 v13, v97
	s_delay_alu instid0(VALU_DEP_1) | instskip(SKIP_1) | instid1(VALU_DEP_1)
	v_cmp_gt_f32_e32 vcc_lo, 0x3f2aaaab, v13
	v_add_f32_e32 v13, -1.0, v97
	v_sub_f32_e32 v99, v13, v97
	s_delay_alu instid0(VALU_DEP_1) | instskip(SKIP_1) | instid1(VALU_DEP_1)
	v_add_f32_e32 v99, 1.0, v99
	v_subrev_co_ci_u32_e32 v12, vcc_lo, 0, v12, vcc_lo
	v_sub_nc_u32_e32 v98, 0, v12
	v_cvt_f32_i32_e32 v12, v12
	s_delay_alu instid0(VALU_DEP_2) | instskip(NEXT) | instid1(VALU_DEP_1)
	v_ldexp_f32 v97, v97, v98
	v_add_f32_e32 v100, 1.0, v97
	v_sub_f32_e32 v13, v17, v13
	v_cmp_eq_f32_e32 vcc_lo, 0x7f800000, v17
	v_cmp_gt_f32_e64 s29, 0x33800000, v17
	s_delay_alu instid0(VALU_DEP_3) | instskip(SKIP_1) | instid1(VALU_DEP_3)
	v_add_f32_e32 v13, v13, v99
	v_add_f32_e32 v99, -1.0, v100
	s_or_b32 vcc_lo, s29, vcc_lo
	s_delay_alu instid0(VALU_DEP_2) | instskip(NEXT) | instid1(VALU_DEP_2)
	v_ldexp_f32 v13, v13, v98
	v_dual_add_f32 v98, -1.0, v97 :: v_dual_sub_f32 v99, v97, v99
	s_delay_alu instid0(VALU_DEP_1) | instskip(NEXT) | instid1(VALU_DEP_2)
	v_add_f32_e32 v101, 1.0, v98
	v_add_f32_e32 v99, v13, v99
	s_delay_alu instid0(VALU_DEP_2) | instskip(NEXT) | instid1(VALU_DEP_1)
	v_sub_f32_e32 v97, v97, v101
	v_add_f32_e32 v13, v13, v97
	s_delay_alu instid0(VALU_DEP_1) | instskip(NEXT) | instid1(VALU_DEP_1)
	v_dual_add_f32 v102, v98, v13 :: v_dual_add_f32 v101, v100, v99
	v_sub_f32_e32 v98, v98, v102
	s_delay_alu instid0(VALU_DEP_2) | instskip(NEXT) | instid1(VALU_DEP_1)
	v_rcp_f32_e32 v97, v101
	v_dual_sub_f32 v100, v100, v101 :: v_dual_add_f32 v13, v13, v98
	s_delay_alu instid0(VALU_DEP_1) | instskip(SKIP_2) | instid1(VALU_DEP_1)
	v_add_f32_e32 v99, v99, v100
	s_waitcnt_depctr 0xfff
	v_mul_f32_e32 v103, v102, v97
	v_mul_f32_e32 v104, v101, v103
	s_delay_alu instid0(VALU_DEP_1) | instskip(NEXT) | instid1(VALU_DEP_1)
	v_fma_f32 v100, v103, v101, -v104
	v_fmac_f32_e32 v100, v103, v99
	s_delay_alu instid0(VALU_DEP_1) | instskip(NEXT) | instid1(VALU_DEP_1)
	v_add_f32_e32 v105, v104, v100
	v_sub_f32_e32 v106, v102, v105
	v_sub_f32_e32 v98, v105, v104
	s_delay_alu instid0(VALU_DEP_2) | instskip(NEXT) | instid1(VALU_DEP_2)
	v_sub_f32_e32 v102, v102, v106
	v_sub_f32_e32 v98, v98, v100
	s_delay_alu instid0(VALU_DEP_2) | instskip(NEXT) | instid1(VALU_DEP_1)
	v_sub_f32_e32 v102, v102, v105
	v_add_f32_e32 v13, v13, v102
	s_delay_alu instid0(VALU_DEP_1) | instskip(NEXT) | instid1(VALU_DEP_1)
	v_add_f32_e32 v13, v98, v13
	v_add_f32_e32 v98, v106, v13
	s_delay_alu instid0(VALU_DEP_1) | instskip(NEXT) | instid1(VALU_DEP_1)
	v_mul_f32_e32 v100, v97, v98
	v_dual_sub_f32 v105, v106, v98 :: v_dual_mul_f32 v102, v101, v100
	s_delay_alu instid0(VALU_DEP_1) | instskip(NEXT) | instid1(VALU_DEP_1)
	v_fma_f32 v101, v100, v101, -v102
	v_fmac_f32_e32 v101, v100, v99
	s_delay_alu instid0(VALU_DEP_1) | instskip(NEXT) | instid1(VALU_DEP_1)
	v_add_f32_e32 v99, v102, v101
	v_dual_add_f32 v13, v13, v105 :: v_dual_sub_f32 v104, v98, v99
	s_delay_alu instid0(VALU_DEP_1) | instskip(NEXT) | instid1(VALU_DEP_1)
	v_sub_f32_e32 v98, v98, v104
	v_sub_f32_e32 v98, v98, v99
	s_delay_alu instid0(VALU_DEP_1) | instskip(SKIP_1) | instid1(VALU_DEP_1)
	v_dual_add_f32 v13, v13, v98 :: v_dual_add_f32 v98, v103, v100
	v_sub_f32_e32 v102, v99, v102
	v_sub_f32_e32 v99, v102, v101
	s_delay_alu instid0(VALU_DEP_1) | instskip(NEXT) | instid1(VALU_DEP_4)
	v_add_f32_e32 v13, v99, v13
	v_sub_f32_e32 v99, v98, v103
	s_delay_alu instid0(VALU_DEP_2) | instskip(NEXT) | instid1(VALU_DEP_2)
	v_add_f32_e32 v13, v104, v13
	v_sub_f32_e32 v99, v100, v99
	s_delay_alu instid0(VALU_DEP_2) | instskip(NEXT) | instid1(VALU_DEP_1)
	v_mul_f32_e32 v13, v97, v13
	v_add_f32_e32 v13, v99, v13
	s_delay_alu instid0(VALU_DEP_1) | instskip(NEXT) | instid1(VALU_DEP_1)
	v_add_f32_e32 v97, v98, v13
	v_mul_f32_e32 v99, v97, v97
	s_delay_alu instid0(VALU_DEP_1) | instskip(SKIP_1) | instid1(VALU_DEP_2)
	v_fmaak_f32 v100, s84, v99, 0x3ecc95a3
	v_mul_f32_e32 v101, v97, v99
	v_fmaak_f32 v99, v99, v100, 0x3f2aaada
	v_ldexp_f32 v100, v97, 1
	v_sub_f32_e32 v97, v97, v98
	s_delay_alu instid0(VALU_DEP_3) | instskip(SKIP_1) | instid1(VALU_DEP_2)
	v_mul_f32_e32 v99, v101, v99
	v_mul_f32_e32 v101, 0x3f317218, v12
	v_dual_sub_f32 v13, v13, v97 :: v_dual_add_f32 v98, v100, v99
	s_delay_alu instid0(VALU_DEP_1) | instskip(NEXT) | instid1(VALU_DEP_2)
	v_ldexp_f32 v13, v13, 1
	v_sub_f32_e32 v97, v98, v100
	s_delay_alu instid0(VALU_DEP_4) | instskip(NEXT) | instid1(VALU_DEP_1)
	v_fma_f32 v100, 0x3f317218, v12, -v101
	v_dual_sub_f32 v97, v99, v97 :: v_dual_fmac_f32 v100, 0xb102e308, v12
	s_delay_alu instid0(VALU_DEP_1) | instskip(NEXT) | instid1(VALU_DEP_2)
	v_add_f32_e32 v12, v13, v97
	v_add_f32_e32 v13, v101, v100
	s_delay_alu instid0(VALU_DEP_2) | instskip(NEXT) | instid1(VALU_DEP_2)
	v_add_f32_e32 v97, v98, v12
	v_sub_f32_e32 v101, v13, v101
	s_delay_alu instid0(VALU_DEP_2) | instskip(SKIP_1) | instid1(VALU_DEP_3)
	v_add_f32_e32 v99, v13, v97
	v_sub_f32_e32 v98, v97, v98
	v_sub_f32_e32 v100, v100, v101
	s_delay_alu instid0(VALU_DEP_3) | instskip(NEXT) | instid1(VALU_DEP_3)
	v_sub_f32_e32 v102, v99, v13
	v_sub_f32_e32 v12, v12, v98
	s_delay_alu instid0(VALU_DEP_2) | instskip(NEXT) | instid1(VALU_DEP_2)
	v_sub_f32_e32 v103, v99, v102
	v_dual_sub_f32 v97, v97, v102 :: v_dual_add_f32 v98, v100, v12
	s_delay_alu instid0(VALU_DEP_2) | instskip(NEXT) | instid1(VALU_DEP_1)
	v_sub_f32_e32 v13, v13, v103
	v_add_f32_e32 v13, v97, v13
	s_delay_alu instid0(VALU_DEP_3) | instskip(NEXT) | instid1(VALU_DEP_2)
	v_sub_f32_e32 v97, v98, v100
	v_add_f32_e32 v13, v98, v13
	s_delay_alu instid0(VALU_DEP_2) | instskip(SKIP_1) | instid1(VALU_DEP_1)
	v_sub_f32_e32 v12, v12, v97
	v_sub_f32_e32 v98, v98, v97
	v_dual_add_f32 v101, v99, v13 :: v_dual_sub_f32 v98, v100, v98
	s_delay_alu instid0(VALU_DEP_1) | instskip(NEXT) | instid1(VALU_DEP_1)
	v_dual_sub_f32 v97, v101, v99 :: v_dual_add_f32 v12, v12, v98
	v_sub_f32_e32 v13, v13, v97
	s_delay_alu instid0(VALU_DEP_1) | instskip(NEXT) | instid1(VALU_DEP_1)
	v_add_f32_e32 v12, v12, v13
	v_add_f32_e32 v12, v101, v12
	s_delay_alu instid0(VALU_DEP_1)
	v_cndmask_b32_e32 v97, v12, v17, vcc_lo
.LBB93_82:                              ;   in Loop: Header=BB93_12 Depth=1
	s_or_b32 exec_lo, exec_lo, s30
	v_cvt_f32_f16_e32 v12, v14
	s_delay_alu instid0(VALU_DEP_1) | instskip(NEXT) | instid1(VALU_DEP_1)
	v_add_f32_e32 v98, s69, v12
	v_cmp_ge_f32_e32 vcc_lo, 0x41a00000, v98
	s_and_b32 s29, s80, vcc_lo
	s_delay_alu instid0(SALU_CYCLE_1)
	s_and_saveexec_b32 s30, s29
	s_cbranch_execz .LBB93_84
; %bb.83:                               ;   in Loop: Header=BB93_12 Depth=1
	v_mul_f32_e32 v12, 0x3fb8aa3b, v98
	v_cmp_ngt_f32_e32 vcc_lo, 0xc2ce8ed0, v98
	s_delay_alu instid0(VALU_DEP_2) | instskip(SKIP_1) | instid1(VALU_DEP_1)
	v_rndne_f32_e32 v13, v12
	v_fma_f32 v17, 0x3fb8aa3b, v98, -v12
	v_dual_sub_f32 v12, v12, v13 :: v_dual_fmac_f32 v17, 0x32a5705f, v98
	v_cvt_i32_f32_e32 v13, v13
	s_delay_alu instid0(VALU_DEP_2) | instskip(NEXT) | instid1(VALU_DEP_1)
	v_add_f32_e32 v12, v12, v17
	v_exp_f32_e32 v12, v12
	s_waitcnt_depctr 0xfff
	v_ldexp_f32 v12, v12, v13
	s_delay_alu instid0(VALU_DEP_1) | instskip(SKIP_1) | instid1(VALU_DEP_2)
	v_cndmask_b32_e32 v12, 0, v12, vcc_lo
	v_cmp_nlt_f32_e32 vcc_lo, 0x42b17218, v98
	v_cndmask_b32_e32 v17, 0x7f800000, v12, vcc_lo
	s_delay_alu instid0(VALU_DEP_1) | instskip(NEXT) | instid1(VALU_DEP_1)
	v_add_f32_e32 v98, 1.0, v17
	v_cvt_f64_f32_e32 v[12:13], v98
	s_delay_alu instid0(VALU_DEP_1) | instskip(SKIP_1) | instid1(VALU_DEP_1)
	v_frexp_exp_i32_f64_e32 v12, v[12:13]
	v_frexp_mant_f32_e32 v13, v98
	v_cmp_gt_f32_e32 vcc_lo, 0x3f2aaaab, v13
	v_add_f32_e32 v13, -1.0, v98
	s_delay_alu instid0(VALU_DEP_1) | instskip(SKIP_2) | instid1(VALU_DEP_3)
	v_sub_f32_e32 v100, v13, v98
	v_sub_f32_e32 v13, v17, v13
	v_cmp_gt_f32_e64 s29, 0x33800000, v17
	v_add_f32_e32 v100, 1.0, v100
	s_delay_alu instid0(VALU_DEP_1) | instskip(SKIP_2) | instid1(VALU_DEP_2)
	v_add_f32_e32 v13, v13, v100
	v_subrev_co_ci_u32_e32 v12, vcc_lo, 0, v12, vcc_lo
	v_cmp_eq_f32_e32 vcc_lo, 0x7f800000, v17
	v_sub_nc_u32_e32 v99, 0, v12
	v_cvt_f32_i32_e32 v12, v12
	s_or_b32 vcc_lo, s29, vcc_lo
	s_delay_alu instid0(VALU_DEP_2) | instskip(SKIP_1) | instid1(VALU_DEP_2)
	v_ldexp_f32 v98, v98, v99
	v_ldexp_f32 v13, v13, v99
	v_add_f32_e32 v99, -1.0, v98
	s_delay_alu instid0(VALU_DEP_1) | instskip(NEXT) | instid1(VALU_DEP_1)
	v_dual_add_f32 v101, 1.0, v98 :: v_dual_add_f32 v102, 1.0, v99
	v_add_f32_e32 v100, -1.0, v101
	s_delay_alu instid0(VALU_DEP_1) | instskip(NEXT) | instid1(VALU_DEP_3)
	v_sub_f32_e32 v100, v98, v100
	v_sub_f32_e32 v98, v98, v102
	s_delay_alu instid0(VALU_DEP_2) | instskip(NEXT) | instid1(VALU_DEP_2)
	v_add_f32_e32 v100, v13, v100
	v_add_f32_e32 v13, v13, v98
	s_delay_alu instid0(VALU_DEP_1) | instskip(NEXT) | instid1(VALU_DEP_1)
	v_dual_add_f32 v103, v99, v13 :: v_dual_add_f32 v102, v101, v100
	v_sub_f32_e32 v99, v99, v103
	s_delay_alu instid0(VALU_DEP_2) | instskip(SKIP_1) | instid1(VALU_DEP_1)
	v_rcp_f32_e32 v98, v102
	v_sub_f32_e32 v101, v101, v102
	v_dual_add_f32 v13, v13, v99 :: v_dual_add_f32 v100, v100, v101
	s_waitcnt_depctr 0xfff
	v_mul_f32_e32 v104, v103, v98
	s_delay_alu instid0(VALU_DEP_1) | instskip(NEXT) | instid1(VALU_DEP_1)
	v_mul_f32_e32 v105, v102, v104
	v_fma_f32 v101, v104, v102, -v105
	s_delay_alu instid0(VALU_DEP_1) | instskip(NEXT) | instid1(VALU_DEP_1)
	v_fmac_f32_e32 v101, v104, v100
	v_add_f32_e32 v106, v105, v101
	s_delay_alu instid0(VALU_DEP_1) | instskip(SKIP_1) | instid1(VALU_DEP_2)
	v_sub_f32_e32 v107, v103, v106
	v_sub_f32_e32 v99, v106, v105
	;; [unrolled: 1-line block ×3, first 2 shown]
	s_delay_alu instid0(VALU_DEP_2) | instskip(NEXT) | instid1(VALU_DEP_2)
	v_sub_f32_e32 v99, v99, v101
	v_sub_f32_e32 v103, v103, v106
	s_delay_alu instid0(VALU_DEP_1) | instskip(NEXT) | instid1(VALU_DEP_1)
	v_add_f32_e32 v13, v13, v103
	v_add_f32_e32 v13, v99, v13
	s_delay_alu instid0(VALU_DEP_1) | instskip(NEXT) | instid1(VALU_DEP_1)
	v_add_f32_e32 v99, v107, v13
	v_mul_f32_e32 v101, v98, v99
	s_delay_alu instid0(VALU_DEP_1) | instskip(NEXT) | instid1(VALU_DEP_1)
	v_dual_sub_f32 v106, v107, v99 :: v_dual_mul_f32 v103, v102, v101
	v_add_f32_e32 v13, v13, v106
	s_delay_alu instid0(VALU_DEP_2) | instskip(NEXT) | instid1(VALU_DEP_1)
	v_fma_f32 v102, v101, v102, -v103
	v_fmac_f32_e32 v102, v101, v100
	s_delay_alu instid0(VALU_DEP_1) | instskip(NEXT) | instid1(VALU_DEP_1)
	v_add_f32_e32 v100, v103, v102
	v_sub_f32_e32 v105, v99, v100
	s_delay_alu instid0(VALU_DEP_1) | instskip(NEXT) | instid1(VALU_DEP_1)
	v_sub_f32_e32 v99, v99, v105
	v_sub_f32_e32 v99, v99, v100
	s_delay_alu instid0(VALU_DEP_1) | instskip(SKIP_2) | instid1(VALU_DEP_1)
	v_add_f32_e32 v13, v13, v99
	v_add_f32_e32 v99, v104, v101
	v_sub_f32_e32 v103, v100, v103
	v_sub_f32_e32 v100, v103, v102
	s_delay_alu instid0(VALU_DEP_1) | instskip(NEXT) | instid1(VALU_DEP_1)
	v_dual_add_f32 v13, v100, v13 :: v_dual_sub_f32 v100, v99, v104
	v_add_f32_e32 v13, v105, v13
	s_delay_alu instid0(VALU_DEP_1) | instskip(NEXT) | instid1(VALU_DEP_1)
	v_dual_sub_f32 v100, v101, v100 :: v_dual_mul_f32 v13, v98, v13
	v_add_f32_e32 v13, v100, v13
	s_delay_alu instid0(VALU_DEP_1) | instskip(NEXT) | instid1(VALU_DEP_1)
	v_add_f32_e32 v98, v99, v13
	v_mul_f32_e32 v100, v98, v98
	s_delay_alu instid0(VALU_DEP_1) | instskip(SKIP_1) | instid1(VALU_DEP_2)
	v_fmaak_f32 v101, s84, v100, 0x3ecc95a3
	v_mul_f32_e32 v102, v98, v100
	v_fmaak_f32 v100, v100, v101, 0x3f2aaada
	v_ldexp_f32 v101, v98, 1
	v_sub_f32_e32 v98, v98, v99
	s_delay_alu instid0(VALU_DEP_3) | instskip(NEXT) | instid1(VALU_DEP_2)
	v_mul_f32_e32 v100, v102, v100
	v_dual_mul_f32 v102, 0x3f317218, v12 :: v_dual_sub_f32 v13, v13, v98
	s_delay_alu instid0(VALU_DEP_2) | instskip(NEXT) | instid1(VALU_DEP_2)
	v_add_f32_e32 v99, v101, v100
	v_ldexp_f32 v13, v13, 1
	s_delay_alu instid0(VALU_DEP_2) | instskip(NEXT) | instid1(VALU_DEP_4)
	v_sub_f32_e32 v98, v99, v101
	v_fma_f32 v101, 0x3f317218, v12, -v102
	s_delay_alu instid0(VALU_DEP_1) | instskip(NEXT) | instid1(VALU_DEP_1)
	v_dual_sub_f32 v98, v100, v98 :: v_dual_fmac_f32 v101, 0xb102e308, v12
	v_add_f32_e32 v12, v13, v98
	s_delay_alu instid0(VALU_DEP_1) | instskip(NEXT) | instid1(VALU_DEP_1)
	v_add_f32_e32 v98, v99, v12
	v_sub_f32_e32 v99, v98, v99
	s_delay_alu instid0(VALU_DEP_1) | instskip(NEXT) | instid1(VALU_DEP_1)
	v_dual_sub_f32 v12, v12, v99 :: v_dual_add_f32 v13, v102, v101
	v_add_f32_e32 v100, v13, v98
	s_delay_alu instid0(VALU_DEP_1) | instskip(NEXT) | instid1(VALU_DEP_1)
	v_dual_sub_f32 v102, v13, v102 :: v_dual_sub_f32 v103, v100, v13
	v_dual_sub_f32 v101, v101, v102 :: v_dual_sub_f32 v104, v100, v103
	s_delay_alu instid0(VALU_DEP_1) | instskip(NEXT) | instid1(VALU_DEP_2)
	v_dual_sub_f32 v98, v98, v103 :: v_dual_add_f32 v99, v101, v12
	v_sub_f32_e32 v13, v13, v104
	s_delay_alu instid0(VALU_DEP_1) | instskip(NEXT) | instid1(VALU_DEP_3)
	v_add_f32_e32 v13, v98, v13
	v_sub_f32_e32 v98, v99, v101
	s_delay_alu instid0(VALU_DEP_2) | instskip(NEXT) | instid1(VALU_DEP_2)
	v_add_f32_e32 v13, v99, v13
	v_sub_f32_e32 v99, v99, v98
	v_sub_f32_e32 v12, v12, v98
	s_delay_alu instid0(VALU_DEP_2) | instskip(NEXT) | instid1(VALU_DEP_1)
	v_dual_add_f32 v102, v100, v13 :: v_dual_sub_f32 v99, v101, v99
	v_sub_f32_e32 v98, v102, v100
	s_delay_alu instid0(VALU_DEP_1) | instskip(NEXT) | instid1(VALU_DEP_1)
	v_dual_add_f32 v12, v12, v99 :: v_dual_sub_f32 v13, v13, v98
	v_add_f32_e32 v12, v12, v13
	s_delay_alu instid0(VALU_DEP_1) | instskip(NEXT) | instid1(VALU_DEP_1)
	v_add_f32_e32 v12, v102, v12
	v_cndmask_b32_e32 v98, v12, v17, vcc_lo
.LBB93_84:                              ;   in Loop: Header=BB93_12 Depth=1
	s_or_b32 exec_lo, exec_lo, s30
	v_lshrrev_b32_e32 v12, 16, v14
	s_delay_alu instid0(VALU_DEP_1) | instskip(NEXT) | instid1(VALU_DEP_1)
	v_cvt_f32_f16_e32 v12, v12
	v_add_f32_e32 v99, s69, v12
	s_delay_alu instid0(VALU_DEP_1) | instskip(SKIP_1) | instid1(SALU_CYCLE_1)
	v_cmp_ge_f32_e32 vcc_lo, 0x41a00000, v99
	s_and_b32 s29, s80, vcc_lo
	s_and_saveexec_b32 s30, s29
	s_cbranch_execz .LBB93_86
; %bb.85:                               ;   in Loop: Header=BB93_12 Depth=1
	v_mul_f32_e32 v12, 0x3fb8aa3b, v99
	v_cmp_ngt_f32_e32 vcc_lo, 0xc2ce8ed0, v99
	s_delay_alu instid0(VALU_DEP_2) | instskip(SKIP_1) | instid1(VALU_DEP_2)
	v_rndne_f32_e32 v13, v12
	v_fma_f32 v14, 0x3fb8aa3b, v99, -v12
	v_sub_f32_e32 v12, v12, v13
	s_delay_alu instid0(VALU_DEP_2) | instskip(SKIP_1) | instid1(VALU_DEP_2)
	v_fmac_f32_e32 v14, 0x32a5705f, v99
	v_cvt_i32_f32_e32 v13, v13
	v_add_f32_e32 v12, v12, v14
	s_delay_alu instid0(VALU_DEP_1) | instskip(SKIP_2) | instid1(VALU_DEP_1)
	v_exp_f32_e32 v12, v12
	s_waitcnt_depctr 0xfff
	v_ldexp_f32 v12, v12, v13
	v_cndmask_b32_e32 v12, 0, v12, vcc_lo
	v_cmp_nlt_f32_e32 vcc_lo, 0x42b17218, v99
	s_delay_alu instid0(VALU_DEP_2) | instskip(NEXT) | instid1(VALU_DEP_1)
	v_cndmask_b32_e32 v14, 0x7f800000, v12, vcc_lo
	v_add_f32_e32 v17, 1.0, v14
	s_delay_alu instid0(VALU_DEP_1) | instskip(NEXT) | instid1(VALU_DEP_1)
	v_cvt_f64_f32_e32 v[12:13], v17
	v_frexp_exp_i32_f64_e32 v12, v[12:13]
	v_frexp_mant_f32_e32 v13, v17
	s_delay_alu instid0(VALU_DEP_1) | instskip(SKIP_1) | instid1(VALU_DEP_1)
	v_cmp_gt_f32_e32 vcc_lo, 0x3f2aaaab, v13
	v_add_f32_e32 v13, -1.0, v17
	v_sub_f32_e32 v100, v13, v17
	v_sub_f32_e32 v13, v14, v13
	v_subrev_co_ci_u32_e32 v12, vcc_lo, 0, v12, vcc_lo
	s_delay_alu instid0(VALU_DEP_1) | instskip(SKIP_1) | instid1(VALU_DEP_2)
	v_sub_nc_u32_e32 v99, 0, v12
	v_cvt_f32_i32_e32 v12, v12
	v_ldexp_f32 v17, v17, v99
	s_delay_alu instid0(VALU_DEP_1) | instskip(NEXT) | instid1(VALU_DEP_1)
	v_dual_add_f32 v100, 1.0, v100 :: v_dual_add_f32 v101, 1.0, v17
	v_dual_add_f32 v13, v13, v100 :: v_dual_add_f32 v100, -1.0, v101
	s_delay_alu instid0(VALU_DEP_1) | instskip(SKIP_4) | instid1(VALU_DEP_4)
	v_ldexp_f32 v13, v13, v99
	v_add_f32_e32 v99, -1.0, v17
	v_cmp_eq_f32_e32 vcc_lo, 0x7f800000, v14
	v_cmp_gt_f32_e64 s29, 0x33800000, v14
	v_sub_f32_e32 v100, v17, v100
	v_add_f32_e32 v102, 1.0, v99
	s_delay_alu instid0(VALU_DEP_3) | instskip(NEXT) | instid1(VALU_DEP_2)
	s_or_b32 vcc_lo, s29, vcc_lo
	v_add_f32_e32 v100, v13, v100
	s_delay_alu instid0(VALU_DEP_2) | instskip(NEXT) | instid1(VALU_DEP_1)
	v_sub_f32_e32 v17, v17, v102
	v_add_f32_e32 v13, v13, v17
	s_delay_alu instid0(VALU_DEP_1) | instskip(NEXT) | instid1(VALU_DEP_1)
	v_dual_add_f32 v103, v99, v13 :: v_dual_add_f32 v102, v101, v100
	v_sub_f32_e32 v99, v99, v103
	s_delay_alu instid0(VALU_DEP_2) | instskip(SKIP_1) | instid1(VALU_DEP_1)
	v_rcp_f32_e32 v17, v102
	v_sub_f32_e32 v101, v101, v102
	v_dual_add_f32 v13, v13, v99 :: v_dual_add_f32 v100, v100, v101
	s_waitcnt_depctr 0xfff
	v_mul_f32_e32 v104, v103, v17
	s_delay_alu instid0(VALU_DEP_1) | instskip(NEXT) | instid1(VALU_DEP_1)
	v_mul_f32_e32 v105, v102, v104
	v_fma_f32 v101, v104, v102, -v105
	s_delay_alu instid0(VALU_DEP_1) | instskip(NEXT) | instid1(VALU_DEP_1)
	v_fmac_f32_e32 v101, v104, v100
	v_add_f32_e32 v106, v105, v101
	s_delay_alu instid0(VALU_DEP_1) | instskip(NEXT) | instid1(VALU_DEP_1)
	v_sub_f32_e32 v107, v103, v106
	v_sub_f32_e32 v103, v103, v107
	;; [unrolled: 1-line block ×3, first 2 shown]
	s_delay_alu instid0(VALU_DEP_2) | instskip(NEXT) | instid1(VALU_DEP_2)
	v_sub_f32_e32 v103, v103, v106
	v_sub_f32_e32 v99, v99, v101
	s_delay_alu instid0(VALU_DEP_2) | instskip(NEXT) | instid1(VALU_DEP_1)
	v_add_f32_e32 v13, v13, v103
	v_add_f32_e32 v13, v99, v13
	s_delay_alu instid0(VALU_DEP_1) | instskip(NEXT) | instid1(VALU_DEP_1)
	v_add_f32_e32 v99, v107, v13
	v_mul_f32_e32 v101, v17, v99
	s_delay_alu instid0(VALU_DEP_1) | instskip(NEXT) | instid1(VALU_DEP_1)
	v_dual_sub_f32 v106, v107, v99 :: v_dual_mul_f32 v103, v102, v101
	v_add_f32_e32 v13, v13, v106
	s_delay_alu instid0(VALU_DEP_2) | instskip(NEXT) | instid1(VALU_DEP_1)
	v_fma_f32 v102, v101, v102, -v103
	v_fmac_f32_e32 v102, v101, v100
	s_delay_alu instid0(VALU_DEP_1) | instskip(NEXT) | instid1(VALU_DEP_1)
	v_add_f32_e32 v100, v103, v102
	v_sub_f32_e32 v105, v99, v100
	v_sub_f32_e32 v103, v100, v103
	s_delay_alu instid0(VALU_DEP_2) | instskip(NEXT) | instid1(VALU_DEP_1)
	v_sub_f32_e32 v99, v99, v105
	v_sub_f32_e32 v99, v99, v100
	s_delay_alu instid0(VALU_DEP_1) | instskip(SKIP_1) | instid1(VALU_DEP_1)
	v_dual_sub_f32 v100, v103, v102 :: v_dual_add_f32 v13, v13, v99
	v_add_f32_e32 v99, v104, v101
	v_dual_add_f32 v13, v100, v13 :: v_dual_sub_f32 v100, v99, v104
	s_delay_alu instid0(VALU_DEP_1) | instskip(NEXT) | instid1(VALU_DEP_2)
	v_add_f32_e32 v13, v105, v13
	v_sub_f32_e32 v100, v101, v100
	s_delay_alu instid0(VALU_DEP_2) | instskip(NEXT) | instid1(VALU_DEP_1)
	v_mul_f32_e32 v13, v17, v13
	v_add_f32_e32 v13, v100, v13
	s_delay_alu instid0(VALU_DEP_1) | instskip(NEXT) | instid1(VALU_DEP_1)
	v_add_f32_e32 v17, v99, v13
	v_mul_f32_e32 v100, v17, v17
	s_delay_alu instid0(VALU_DEP_1) | instskip(SKIP_1) | instid1(VALU_DEP_2)
	v_fmaak_f32 v101, s84, v100, 0x3ecc95a3
	v_mul_f32_e32 v102, v17, v100
	v_fmaak_f32 v100, v100, v101, 0x3f2aaada
	v_ldexp_f32 v101, v17, 1
	s_delay_alu instid0(VALU_DEP_2) | instskip(NEXT) | instid1(VALU_DEP_1)
	v_dual_sub_f32 v17, v17, v99 :: v_dual_mul_f32 v100, v102, v100
	v_dual_mul_f32 v102, 0x3f317218, v12 :: v_dual_sub_f32 v13, v13, v17
	s_delay_alu instid0(VALU_DEP_2) | instskip(NEXT) | instid1(VALU_DEP_2)
	v_add_f32_e32 v99, v101, v100
	v_ldexp_f32 v13, v13, 1
	s_delay_alu instid0(VALU_DEP_2) | instskip(NEXT) | instid1(VALU_DEP_4)
	v_sub_f32_e32 v17, v99, v101
	v_fma_f32 v101, 0x3f317218, v12, -v102
	s_delay_alu instid0(VALU_DEP_2) | instskip(NEXT) | instid1(VALU_DEP_1)
	v_sub_f32_e32 v17, v100, v17
	v_dual_fmac_f32 v101, 0xb102e308, v12 :: v_dual_add_f32 v12, v13, v17
	s_delay_alu instid0(VALU_DEP_1) | instskip(NEXT) | instid1(VALU_DEP_1)
	v_add_f32_e32 v13, v102, v101
	v_dual_add_f32 v17, v99, v12 :: v_dual_sub_f32 v102, v13, v102
	s_delay_alu instid0(VALU_DEP_1) | instskip(SKIP_1) | instid1(VALU_DEP_3)
	v_add_f32_e32 v100, v13, v17
	v_sub_f32_e32 v99, v17, v99
	v_sub_f32_e32 v101, v101, v102
	s_delay_alu instid0(VALU_DEP_3) | instskip(NEXT) | instid1(VALU_DEP_3)
	v_sub_f32_e32 v103, v100, v13
	v_sub_f32_e32 v12, v12, v99
	s_delay_alu instid0(VALU_DEP_2) | instskip(SKIP_1) | instid1(VALU_DEP_3)
	v_sub_f32_e32 v104, v100, v103
	v_sub_f32_e32 v17, v17, v103
	v_add_f32_e32 v99, v101, v12
	s_delay_alu instid0(VALU_DEP_3) | instskip(NEXT) | instid1(VALU_DEP_1)
	v_sub_f32_e32 v13, v13, v104
	v_add_f32_e32 v13, v17, v13
	s_delay_alu instid0(VALU_DEP_3) | instskip(NEXT) | instid1(VALU_DEP_2)
	v_sub_f32_e32 v17, v99, v101
	v_add_f32_e32 v13, v99, v13
	s_delay_alu instid0(VALU_DEP_2) | instskip(SKIP_1) | instid1(VALU_DEP_2)
	v_sub_f32_e32 v99, v99, v17
	v_sub_f32_e32 v12, v12, v17
	v_dual_add_f32 v102, v100, v13 :: v_dual_sub_f32 v99, v101, v99
	s_delay_alu instid0(VALU_DEP_1) | instskip(NEXT) | instid1(VALU_DEP_1)
	v_dual_sub_f32 v17, v102, v100 :: v_dual_add_f32 v12, v12, v99
	v_sub_f32_e32 v13, v13, v17
	s_delay_alu instid0(VALU_DEP_1) | instskip(NEXT) | instid1(VALU_DEP_1)
	v_add_f32_e32 v12, v12, v13
	v_add_f32_e32 v12, v102, v12
	s_delay_alu instid0(VALU_DEP_1)
	v_cndmask_b32_e32 v99, v12, v14, vcc_lo
.LBB93_86:                              ;   in Loop: Header=BB93_12 Depth=1
	s_or_b32 exec_lo, exec_lo, s30
	v_cvt_f32_f16_e32 v12, v15
	s_delay_alu instid0(VALU_DEP_1) | instskip(NEXT) | instid1(VALU_DEP_1)
	v_add_f32_e32 v100, s69, v12
	v_cmp_ge_f32_e32 vcc_lo, 0x41a00000, v100
	s_and_b32 s29, s80, vcc_lo
	s_delay_alu instid0(SALU_CYCLE_1)
	s_and_saveexec_b32 s30, s29
	s_cbranch_execz .LBB93_88
; %bb.87:                               ;   in Loop: Header=BB93_12 Depth=1
	v_mul_f32_e32 v12, 0x3fb8aa3b, v100
	v_cmp_ngt_f32_e32 vcc_lo, 0xc2ce8ed0, v100
	s_delay_alu instid0(VALU_DEP_2) | instskip(SKIP_1) | instid1(VALU_DEP_2)
	v_rndne_f32_e32 v13, v12
	v_fma_f32 v14, 0x3fb8aa3b, v100, -v12
	v_sub_f32_e32 v12, v12, v13
	s_delay_alu instid0(VALU_DEP_2) | instskip(SKIP_1) | instid1(VALU_DEP_2)
	v_fmac_f32_e32 v14, 0x32a5705f, v100
	v_cvt_i32_f32_e32 v13, v13
	v_add_f32_e32 v12, v12, v14
	s_delay_alu instid0(VALU_DEP_1) | instskip(SKIP_2) | instid1(VALU_DEP_1)
	v_exp_f32_e32 v12, v12
	s_waitcnt_depctr 0xfff
	v_ldexp_f32 v12, v12, v13
	v_cndmask_b32_e32 v12, 0, v12, vcc_lo
	v_cmp_nlt_f32_e32 vcc_lo, 0x42b17218, v100
	s_delay_alu instid0(VALU_DEP_2) | instskip(NEXT) | instid1(VALU_DEP_1)
	v_cndmask_b32_e32 v14, 0x7f800000, v12, vcc_lo
	v_add_f32_e32 v17, 1.0, v14
	s_delay_alu instid0(VALU_DEP_1) | instskip(NEXT) | instid1(VALU_DEP_1)
	v_cvt_f64_f32_e32 v[12:13], v17
	v_frexp_exp_i32_f64_e32 v12, v[12:13]
	v_frexp_mant_f32_e32 v13, v17
	s_delay_alu instid0(VALU_DEP_1) | instskip(SKIP_1) | instid1(VALU_DEP_1)
	v_cmp_gt_f32_e32 vcc_lo, 0x3f2aaaab, v13
	v_add_f32_e32 v13, -1.0, v17
	v_sub_f32_e32 v101, v13, v17
	s_delay_alu instid0(VALU_DEP_1) | instskip(SKIP_2) | instid1(VALU_DEP_2)
	v_add_f32_e32 v101, 1.0, v101
	v_sub_f32_e32 v13, v14, v13
	v_cmp_gt_f32_e64 s29, 0x33800000, v14
	v_add_f32_e32 v13, v13, v101
	v_subrev_co_ci_u32_e32 v12, vcc_lo, 0, v12, vcc_lo
	v_cmp_eq_f32_e32 vcc_lo, 0x7f800000, v14
	s_delay_alu instid0(VALU_DEP_2) | instskip(SKIP_2) | instid1(VALU_DEP_2)
	v_sub_nc_u32_e32 v100, 0, v12
	v_cvt_f32_i32_e32 v12, v12
	s_or_b32 vcc_lo, s29, vcc_lo
	v_ldexp_f32 v17, v17, v100
	v_ldexp_f32 v13, v13, v100
	s_delay_alu instid0(VALU_DEP_2) | instskip(NEXT) | instid1(VALU_DEP_1)
	v_add_f32_e32 v100, -1.0, v17
	v_dual_add_f32 v102, 1.0, v17 :: v_dual_add_f32 v103, 1.0, v100
	s_delay_alu instid0(VALU_DEP_1) | instskip(NEXT) | instid1(VALU_DEP_1)
	v_add_f32_e32 v101, -1.0, v102
	v_sub_f32_e32 v101, v17, v101
	s_delay_alu instid0(VALU_DEP_3) | instskip(NEXT) | instid1(VALU_DEP_2)
	v_sub_f32_e32 v17, v17, v103
	v_add_f32_e32 v101, v13, v101
	s_delay_alu instid0(VALU_DEP_2) | instskip(NEXT) | instid1(VALU_DEP_1)
	v_add_f32_e32 v13, v13, v17
	v_add_f32_e32 v104, v100, v13
	s_delay_alu instid0(VALU_DEP_1) | instskip(NEXT) | instid1(VALU_DEP_1)
	v_dual_sub_f32 v100, v100, v104 :: v_dual_add_f32 v103, v102, v101
	v_add_f32_e32 v13, v13, v100
	s_delay_alu instid0(VALU_DEP_2) | instskip(SKIP_1) | instid1(VALU_DEP_1)
	v_rcp_f32_e32 v17, v103
	v_sub_f32_e32 v102, v102, v103
	v_add_f32_e32 v101, v101, v102
	s_waitcnt_depctr 0xfff
	v_mul_f32_e32 v105, v104, v17
	s_delay_alu instid0(VALU_DEP_1) | instskip(NEXT) | instid1(VALU_DEP_1)
	v_mul_f32_e32 v106, v103, v105
	v_fma_f32 v102, v105, v103, -v106
	s_delay_alu instid0(VALU_DEP_1) | instskip(NEXT) | instid1(VALU_DEP_1)
	v_fmac_f32_e32 v102, v105, v101
	v_add_f32_e32 v107, v106, v102
	s_delay_alu instid0(VALU_DEP_1) | instskip(SKIP_1) | instid1(VALU_DEP_2)
	v_sub_f32_e32 v108, v104, v107
	v_sub_f32_e32 v100, v107, v106
	v_sub_f32_e32 v104, v104, v108
	s_delay_alu instid0(VALU_DEP_1) | instskip(NEXT) | instid1(VALU_DEP_1)
	v_sub_f32_e32 v104, v104, v107
	v_dual_sub_f32 v100, v100, v102 :: v_dual_add_f32 v13, v13, v104
	s_delay_alu instid0(VALU_DEP_1) | instskip(NEXT) | instid1(VALU_DEP_1)
	v_add_f32_e32 v13, v100, v13
	v_add_f32_e32 v100, v108, v13
	s_delay_alu instid0(VALU_DEP_1) | instskip(NEXT) | instid1(VALU_DEP_1)
	v_mul_f32_e32 v102, v17, v100
	v_dual_sub_f32 v107, v108, v100 :: v_dual_mul_f32 v104, v103, v102
	s_delay_alu instid0(VALU_DEP_1) | instskip(NEXT) | instid1(VALU_DEP_2)
	v_add_f32_e32 v13, v13, v107
	v_fma_f32 v103, v102, v103, -v104
	s_delay_alu instid0(VALU_DEP_1) | instskip(NEXT) | instid1(VALU_DEP_1)
	v_fmac_f32_e32 v103, v102, v101
	v_add_f32_e32 v101, v104, v103
	s_delay_alu instid0(VALU_DEP_1) | instskip(NEXT) | instid1(VALU_DEP_1)
	v_sub_f32_e32 v106, v100, v101
	v_sub_f32_e32 v100, v100, v106
	s_delay_alu instid0(VALU_DEP_1) | instskip(NEXT) | instid1(VALU_DEP_1)
	v_sub_f32_e32 v100, v100, v101
	v_add_f32_e32 v13, v13, v100
	v_add_f32_e32 v100, v105, v102
	v_sub_f32_e32 v104, v101, v104
	s_delay_alu instid0(VALU_DEP_1) | instskip(NEXT) | instid1(VALU_DEP_1)
	v_sub_f32_e32 v101, v104, v103
	v_add_f32_e32 v13, v101, v13
	s_delay_alu instid0(VALU_DEP_4) | instskip(NEXT) | instid1(VALU_DEP_2)
	v_sub_f32_e32 v101, v100, v105
	v_add_f32_e32 v13, v106, v13
	s_delay_alu instid0(VALU_DEP_2) | instskip(NEXT) | instid1(VALU_DEP_2)
	v_sub_f32_e32 v101, v102, v101
	v_mul_f32_e32 v13, v17, v13
	s_delay_alu instid0(VALU_DEP_1) | instskip(NEXT) | instid1(VALU_DEP_1)
	v_add_f32_e32 v13, v101, v13
	v_add_f32_e32 v17, v100, v13
	s_delay_alu instid0(VALU_DEP_1) | instskip(NEXT) | instid1(VALU_DEP_1)
	v_mul_f32_e32 v101, v17, v17
	v_fmaak_f32 v102, s84, v101, 0x3ecc95a3
	v_mul_f32_e32 v103, v17, v101
	s_delay_alu instid0(VALU_DEP_2) | instskip(SKIP_1) | instid1(VALU_DEP_2)
	v_fmaak_f32 v101, v101, v102, 0x3f2aaada
	v_ldexp_f32 v102, v17, 1
	v_mul_f32_e32 v101, v103, v101
	s_delay_alu instid0(VALU_DEP_1) | instskip(NEXT) | instid1(VALU_DEP_1)
	v_dual_sub_f32 v17, v17, v100 :: v_dual_add_f32 v100, v102, v101
	v_sub_f32_e32 v13, v13, v17
	s_delay_alu instid0(VALU_DEP_2) | instskip(NEXT) | instid1(VALU_DEP_2)
	v_sub_f32_e32 v17, v100, v102
	v_ldexp_f32 v13, v13, 1
	s_delay_alu instid0(VALU_DEP_2) | instskip(SKIP_1) | instid1(VALU_DEP_1)
	v_sub_f32_e32 v17, v101, v17
	v_mul_f32_e32 v103, 0x3f317218, v12
	v_fma_f32 v102, 0x3f317218, v12, -v103
	s_delay_alu instid0(VALU_DEP_1) | instskip(NEXT) | instid1(VALU_DEP_1)
	v_fmac_f32_e32 v102, 0xb102e308, v12
	v_dual_add_f32 v12, v13, v17 :: v_dual_add_f32 v13, v103, v102
	s_delay_alu instid0(VALU_DEP_1) | instskip(NEXT) | instid1(VALU_DEP_1)
	v_add_f32_e32 v17, v100, v12
	v_add_f32_e32 v101, v13, v17
	v_sub_f32_e32 v100, v17, v100
	s_delay_alu instid0(VALU_DEP_2) | instskip(NEXT) | instid1(VALU_DEP_2)
	v_sub_f32_e32 v104, v101, v13
	v_dual_sub_f32 v12, v12, v100 :: v_dual_sub_f32 v103, v13, v103
	s_delay_alu instid0(VALU_DEP_2) | instskip(NEXT) | instid1(VALU_DEP_2)
	v_sub_f32_e32 v105, v101, v104
	v_dual_sub_f32 v17, v17, v104 :: v_dual_sub_f32 v102, v102, v103
	s_delay_alu instid0(VALU_DEP_1) | instskip(NEXT) | instid1(VALU_DEP_1)
	v_dual_sub_f32 v13, v13, v105 :: v_dual_add_f32 v100, v102, v12
	v_add_f32_e32 v13, v17, v13
	s_delay_alu instid0(VALU_DEP_2) | instskip(NEXT) | instid1(VALU_DEP_2)
	v_sub_f32_e32 v17, v100, v102
	v_add_f32_e32 v13, v100, v13
	s_delay_alu instid0(VALU_DEP_2) | instskip(SKIP_1) | instid1(VALU_DEP_2)
	v_sub_f32_e32 v100, v100, v17
	v_sub_f32_e32 v12, v12, v17
	v_dual_add_f32 v103, v101, v13 :: v_dual_sub_f32 v100, v102, v100
	s_delay_alu instid0(VALU_DEP_1) | instskip(NEXT) | instid1(VALU_DEP_1)
	v_dual_sub_f32 v17, v103, v101 :: v_dual_add_f32 v12, v12, v100
	v_sub_f32_e32 v13, v13, v17
	s_delay_alu instid0(VALU_DEP_1) | instskip(NEXT) | instid1(VALU_DEP_1)
	v_add_f32_e32 v12, v12, v13
	v_add_f32_e32 v12, v103, v12
	s_delay_alu instid0(VALU_DEP_1)
	v_cndmask_b32_e32 v100, v12, v14, vcc_lo
.LBB93_88:                              ;   in Loop: Header=BB93_12 Depth=1
	s_or_b32 exec_lo, exec_lo, s30
	v_lshrrev_b32_e32 v12, 16, v15
	s_delay_alu instid0(VALU_DEP_1) | instskip(NEXT) | instid1(VALU_DEP_1)
	v_cvt_f32_f16_e32 v12, v12
	v_add_f32_e32 v101, s69, v12
	s_delay_alu instid0(VALU_DEP_1) | instskip(SKIP_1) | instid1(SALU_CYCLE_1)
	v_cmp_ge_f32_e32 vcc_lo, 0x41a00000, v101
	s_and_b32 s29, s80, vcc_lo
	s_and_saveexec_b32 s30, s29
	s_cbranch_execz .LBB93_90
; %bb.89:                               ;   in Loop: Header=BB93_12 Depth=1
	v_mul_f32_e32 v12, 0x3fb8aa3b, v101
	v_cmp_ngt_f32_e32 vcc_lo, 0xc2ce8ed0, v101
	s_delay_alu instid0(VALU_DEP_2) | instskip(SKIP_1) | instid1(VALU_DEP_2)
	v_rndne_f32_e32 v13, v12
	v_fma_f32 v14, 0x3fb8aa3b, v101, -v12
	v_sub_f32_e32 v12, v12, v13
	s_delay_alu instid0(VALU_DEP_2) | instskip(SKIP_1) | instid1(VALU_DEP_2)
	v_fmac_f32_e32 v14, 0x32a5705f, v101
	v_cvt_i32_f32_e32 v13, v13
	v_add_f32_e32 v12, v12, v14
	s_delay_alu instid0(VALU_DEP_1) | instskip(SKIP_2) | instid1(VALU_DEP_1)
	v_exp_f32_e32 v12, v12
	s_waitcnt_depctr 0xfff
	v_ldexp_f32 v12, v12, v13
	v_cndmask_b32_e32 v12, 0, v12, vcc_lo
	v_cmp_nlt_f32_e32 vcc_lo, 0x42b17218, v101
	s_delay_alu instid0(VALU_DEP_2) | instskip(NEXT) | instid1(VALU_DEP_1)
	v_cndmask_b32_e32 v14, 0x7f800000, v12, vcc_lo
	v_add_f32_e32 v15, 1.0, v14
	s_delay_alu instid0(VALU_DEP_1) | instskip(NEXT) | instid1(VALU_DEP_1)
	v_cvt_f64_f32_e32 v[12:13], v15
	v_frexp_exp_i32_f64_e32 v12, v[12:13]
	v_frexp_mant_f32_e32 v13, v15
	s_delay_alu instid0(VALU_DEP_1) | instskip(SKIP_1) | instid1(VALU_DEP_1)
	v_cmp_gt_f32_e32 vcc_lo, 0x3f2aaaab, v13
	v_add_f32_e32 v13, -1.0, v15
	v_sub_f32_e32 v101, v13, v15
	v_sub_f32_e32 v13, v14, v13
	s_delay_alu instid0(VALU_DEP_2) | instskip(NEXT) | instid1(VALU_DEP_1)
	v_add_f32_e32 v101, 1.0, v101
	v_add_f32_e32 v13, v13, v101
	v_cmp_gt_f32_e64 s29, 0x33800000, v14
	v_subrev_co_ci_u32_e32 v12, vcc_lo, 0, v12, vcc_lo
	v_cmp_eq_f32_e32 vcc_lo, 0x7f800000, v14
	s_delay_alu instid0(VALU_DEP_2) | instskip(SKIP_2) | instid1(VALU_DEP_2)
	v_sub_nc_u32_e32 v17, 0, v12
	v_cvt_f32_i32_e32 v12, v12
	s_or_b32 vcc_lo, s29, vcc_lo
	v_ldexp_f32 v15, v15, v17
	v_ldexp_f32 v13, v13, v17
	s_delay_alu instid0(VALU_DEP_2) | instskip(SKIP_1) | instid1(VALU_DEP_2)
	v_add_f32_e32 v102, 1.0, v15
	v_add_f32_e32 v17, -1.0, v15
	v_add_f32_e32 v101, -1.0, v102
	s_delay_alu instid0(VALU_DEP_2) | instskip(NEXT) | instid1(VALU_DEP_2)
	v_add_f32_e32 v103, 1.0, v17
	v_sub_f32_e32 v101, v15, v101
	s_delay_alu instid0(VALU_DEP_2) | instskip(NEXT) | instid1(VALU_DEP_2)
	v_sub_f32_e32 v15, v15, v103
	v_add_f32_e32 v101, v13, v101
	s_delay_alu instid0(VALU_DEP_2) | instskip(NEXT) | instid1(VALU_DEP_1)
	v_add_f32_e32 v13, v13, v15
	v_add_f32_e32 v104, v17, v13
	s_delay_alu instid0(VALU_DEP_3) | instskip(NEXT) | instid1(VALU_DEP_1)
	v_add_f32_e32 v103, v102, v101
	v_rcp_f32_e32 v15, v103
	v_sub_f32_e32 v102, v102, v103
	s_delay_alu instid0(VALU_DEP_1) | instskip(SKIP_2) | instid1(VALU_DEP_1)
	v_add_f32_e32 v101, v101, v102
	s_waitcnt_depctr 0xfff
	v_mul_f32_e32 v105, v104, v15
	v_dual_mul_f32 v106, v103, v105 :: v_dual_sub_f32 v17, v17, v104
	s_delay_alu instid0(VALU_DEP_1) | instskip(NEXT) | instid1(VALU_DEP_2)
	v_fma_f32 v102, v105, v103, -v106
	v_add_f32_e32 v13, v13, v17
	s_delay_alu instid0(VALU_DEP_2) | instskip(NEXT) | instid1(VALU_DEP_1)
	v_fmac_f32_e32 v102, v105, v101
	v_add_f32_e32 v107, v106, v102
	s_delay_alu instid0(VALU_DEP_1) | instskip(NEXT) | instid1(VALU_DEP_1)
	v_dual_sub_f32 v108, v104, v107 :: v_dual_sub_f32 v17, v107, v106
	v_dual_sub_f32 v104, v104, v108 :: v_dual_sub_f32 v17, v17, v102
	s_delay_alu instid0(VALU_DEP_1) | instskip(NEXT) | instid1(VALU_DEP_1)
	v_sub_f32_e32 v104, v104, v107
	v_add_f32_e32 v13, v13, v104
	s_delay_alu instid0(VALU_DEP_1) | instskip(NEXT) | instid1(VALU_DEP_1)
	v_add_f32_e32 v13, v17, v13
	v_add_f32_e32 v17, v108, v13
	s_delay_alu instid0(VALU_DEP_1) | instskip(NEXT) | instid1(VALU_DEP_1)
	v_mul_f32_e32 v102, v15, v17
	v_dual_sub_f32 v107, v108, v17 :: v_dual_mul_f32 v104, v103, v102
	s_delay_alu instid0(VALU_DEP_1) | instskip(NEXT) | instid1(VALU_DEP_2)
	v_add_f32_e32 v13, v13, v107
	v_fma_f32 v103, v102, v103, -v104
	s_delay_alu instid0(VALU_DEP_1) | instskip(NEXT) | instid1(VALU_DEP_1)
	v_fmac_f32_e32 v103, v102, v101
	v_add_f32_e32 v101, v104, v103
	s_delay_alu instid0(VALU_DEP_1) | instskip(SKIP_1) | instid1(VALU_DEP_2)
	v_sub_f32_e32 v106, v17, v101
	v_sub_f32_e32 v104, v101, v104
	v_sub_f32_e32 v17, v17, v106
	s_delay_alu instid0(VALU_DEP_1) | instskip(NEXT) | instid1(VALU_DEP_3)
	v_sub_f32_e32 v17, v17, v101
	v_sub_f32_e32 v101, v104, v103
	s_delay_alu instid0(VALU_DEP_2) | instskip(SKIP_1) | instid1(VALU_DEP_2)
	v_add_f32_e32 v13, v13, v17
	v_add_f32_e32 v17, v105, v102
	;; [unrolled: 1-line block ×3, first 2 shown]
	s_delay_alu instid0(VALU_DEP_2) | instskip(NEXT) | instid1(VALU_DEP_2)
	v_sub_f32_e32 v101, v17, v105
	v_add_f32_e32 v13, v106, v13
	s_delay_alu instid0(VALU_DEP_2) | instskip(NEXT) | instid1(VALU_DEP_2)
	v_sub_f32_e32 v101, v102, v101
	v_mul_f32_e32 v13, v15, v13
	s_delay_alu instid0(VALU_DEP_1) | instskip(NEXT) | instid1(VALU_DEP_1)
	v_add_f32_e32 v13, v101, v13
	v_add_f32_e32 v15, v17, v13
	s_delay_alu instid0(VALU_DEP_1) | instskip(NEXT) | instid1(VALU_DEP_1)
	v_mul_f32_e32 v101, v15, v15
	v_fmaak_f32 v102, s84, v101, 0x3ecc95a3
	v_mul_f32_e32 v103, v15, v101
	s_delay_alu instid0(VALU_DEP_2) | instskip(SKIP_2) | instid1(VALU_DEP_3)
	v_fmaak_f32 v101, v101, v102, 0x3f2aaada
	v_ldexp_f32 v102, v15, 1
	v_sub_f32_e32 v15, v15, v17
	v_mul_f32_e32 v101, v103, v101
	v_mul_f32_e32 v103, 0x3f317218, v12
	s_delay_alu instid0(VALU_DEP_3) | instskip(NEXT) | instid1(VALU_DEP_3)
	v_sub_f32_e32 v13, v13, v15
	v_add_f32_e32 v17, v102, v101
	s_delay_alu instid0(VALU_DEP_2) | instskip(NEXT) | instid1(VALU_DEP_2)
	v_ldexp_f32 v13, v13, 1
	v_sub_f32_e32 v15, v17, v102
	v_fma_f32 v102, 0x3f317218, v12, -v103
	s_delay_alu instid0(VALU_DEP_1) | instskip(NEXT) | instid1(VALU_DEP_1)
	v_dual_sub_f32 v15, v101, v15 :: v_dual_fmac_f32 v102, 0xb102e308, v12
	v_dual_add_f32 v12, v13, v15 :: v_dual_add_f32 v13, v103, v102
	s_delay_alu instid0(VALU_DEP_1) | instskip(NEXT) | instid1(VALU_DEP_1)
	v_add_f32_e32 v15, v17, v12
	v_add_f32_e32 v101, v13, v15
	v_sub_f32_e32 v17, v15, v17
	s_delay_alu instid0(VALU_DEP_2) | instskip(NEXT) | instid1(VALU_DEP_2)
	v_sub_f32_e32 v104, v101, v13
	v_dual_sub_f32 v103, v13, v103 :: v_dual_sub_f32 v12, v12, v17
	s_delay_alu instid0(VALU_DEP_1) | instskip(SKIP_1) | instid1(VALU_DEP_2)
	v_dual_sub_f32 v105, v101, v104 :: v_dual_sub_f32 v102, v102, v103
	v_sub_f32_e32 v15, v15, v104
	v_sub_f32_e32 v13, v13, v105
	s_delay_alu instid0(VALU_DEP_3) | instskip(NEXT) | instid1(VALU_DEP_2)
	v_add_f32_e32 v17, v102, v12
	v_add_f32_e32 v13, v15, v13
	s_delay_alu instid0(VALU_DEP_2) | instskip(NEXT) | instid1(VALU_DEP_2)
	v_sub_f32_e32 v15, v17, v102
	v_add_f32_e32 v13, v17, v13
	s_delay_alu instid0(VALU_DEP_2) | instskip(NEXT) | instid1(VALU_DEP_2)
	v_sub_f32_e32 v17, v17, v15
	v_dual_sub_f32 v12, v12, v15 :: v_dual_add_f32 v103, v101, v13
	s_delay_alu instid0(VALU_DEP_2) | instskip(NEXT) | instid1(VALU_DEP_2)
	v_sub_f32_e32 v17, v102, v17
	v_sub_f32_e32 v15, v103, v101
	s_delay_alu instid0(VALU_DEP_1) | instskip(NEXT) | instid1(VALU_DEP_1)
	v_dual_add_f32 v12, v12, v17 :: v_dual_sub_f32 v13, v13, v15
	v_add_f32_e32 v12, v12, v13
	s_delay_alu instid0(VALU_DEP_1) | instskip(NEXT) | instid1(VALU_DEP_1)
	v_add_f32_e32 v12, v103, v12
	v_cndmask_b32_e32 v101, v12, v14, vcc_lo
.LBB93_90:                              ;   in Loop: Header=BB93_12 Depth=1
	s_or_b32 exec_lo, exec_lo, s30
	s_waitcnt lgkmcnt(0)
	v_cvt_f32_f16_e32 v12, v8
	s_delay_alu instid0(VALU_DEP_1) | instskip(NEXT) | instid1(VALU_DEP_1)
	v_add_f32_e32 v104, s69, v12
	v_cmp_ge_f32_e32 vcc_lo, 0x41a00000, v104
	s_and_b32 s29, s80, vcc_lo
	s_delay_alu instid0(SALU_CYCLE_1)
	s_and_saveexec_b32 s30, s29
	s_cbranch_execz .LBB93_92
; %bb.91:                               ;   in Loop: Header=BB93_12 Depth=1
	v_mul_f32_e32 v12, 0x3fb8aa3b, v104
	v_cmp_ngt_f32_e32 vcc_lo, 0xc2ce8ed0, v104
	s_delay_alu instid0(VALU_DEP_2) | instskip(SKIP_1) | instid1(VALU_DEP_2)
	v_rndne_f32_e32 v13, v12
	v_fma_f32 v14, 0x3fb8aa3b, v104, -v12
	v_sub_f32_e32 v12, v12, v13
	s_delay_alu instid0(VALU_DEP_2) | instskip(SKIP_1) | instid1(VALU_DEP_2)
	v_fmac_f32_e32 v14, 0x32a5705f, v104
	v_cvt_i32_f32_e32 v13, v13
	v_add_f32_e32 v12, v12, v14
	s_delay_alu instid0(VALU_DEP_1) | instskip(SKIP_2) | instid1(VALU_DEP_1)
	v_exp_f32_e32 v12, v12
	s_waitcnt_depctr 0xfff
	v_ldexp_f32 v12, v12, v13
	v_cndmask_b32_e32 v12, 0, v12, vcc_lo
	v_cmp_nlt_f32_e32 vcc_lo, 0x42b17218, v104
	s_delay_alu instid0(VALU_DEP_2) | instskip(NEXT) | instid1(VALU_DEP_1)
	v_cndmask_b32_e32 v14, 0x7f800000, v12, vcc_lo
	v_add_f32_e32 v15, 1.0, v14
	s_delay_alu instid0(VALU_DEP_1) | instskip(NEXT) | instid1(VALU_DEP_1)
	v_cvt_f64_f32_e32 v[12:13], v15
	v_frexp_exp_i32_f64_e32 v12, v[12:13]
	v_frexp_mant_f32_e32 v13, v15
	s_delay_alu instid0(VALU_DEP_1) | instskip(SKIP_1) | instid1(VALU_DEP_1)
	v_cmp_gt_f32_e32 vcc_lo, 0x3f2aaaab, v13
	v_add_f32_e32 v13, -1.0, v15
	v_dual_sub_f32 v102, v13, v15 :: v_dual_sub_f32 v13, v14, v13
	s_delay_alu instid0(VALU_DEP_1) | instskip(NEXT) | instid1(VALU_DEP_1)
	v_add_f32_e32 v102, 1.0, v102
	v_add_f32_e32 v13, v13, v102
	v_subrev_co_ci_u32_e32 v12, vcc_lo, 0, v12, vcc_lo
	s_delay_alu instid0(VALU_DEP_1) | instskip(SKIP_1) | instid1(VALU_DEP_2)
	v_sub_nc_u32_e32 v17, 0, v12
	v_cvt_f32_i32_e32 v12, v12
	v_ldexp_f32 v15, v15, v17
	v_ldexp_f32 v13, v13, v17
	s_delay_alu instid0(VALU_DEP_2) | instskip(SKIP_3) | instid1(VALU_DEP_4)
	v_add_f32_e32 v103, 1.0, v15
	v_add_f32_e32 v17, -1.0, v15
	v_cmp_eq_f32_e32 vcc_lo, 0x7f800000, v14
	v_cmp_gt_f32_e64 s29, 0x33800000, v14
	v_add_f32_e32 v102, -1.0, v103
	s_delay_alu instid0(VALU_DEP_4) | instskip(NEXT) | instid1(VALU_DEP_3)
	v_add_f32_e32 v104, 1.0, v17
	s_or_b32 vcc_lo, s29, vcc_lo
	s_delay_alu instid0(VALU_DEP_2) | instskip(NEXT) | instid1(VALU_DEP_1)
	v_sub_f32_e32 v102, v15, v102
	v_dual_sub_f32 v15, v15, v104 :: v_dual_add_f32 v102, v13, v102
	s_delay_alu instid0(VALU_DEP_1) | instskip(NEXT) | instid1(VALU_DEP_1)
	v_add_f32_e32 v13, v13, v15
	v_dual_add_f32 v105, v17, v13 :: v_dual_add_f32 v104, v103, v102
	s_delay_alu instid0(VALU_DEP_1) | instskip(NEXT) | instid1(VALU_DEP_2)
	v_sub_f32_e32 v17, v17, v105
	v_rcp_f32_e32 v15, v104
	v_sub_f32_e32 v103, v103, v104
	s_delay_alu instid0(VALU_DEP_1) | instskip(SKIP_2) | instid1(VALU_DEP_1)
	v_dual_add_f32 v102, v102, v103 :: v_dual_add_f32 v13, v13, v17
	s_waitcnt_depctr 0xfff
	v_mul_f32_e32 v106, v105, v15
	v_mul_f32_e32 v107, v104, v106
	s_delay_alu instid0(VALU_DEP_1) | instskip(NEXT) | instid1(VALU_DEP_1)
	v_fma_f32 v103, v106, v104, -v107
	v_fmac_f32_e32 v103, v106, v102
	s_delay_alu instid0(VALU_DEP_1) | instskip(NEXT) | instid1(VALU_DEP_1)
	v_add_f32_e32 v108, v107, v103
	v_sub_f32_e32 v109, v105, v108
	s_delay_alu instid0(VALU_DEP_1) | instskip(SKIP_1) | instid1(VALU_DEP_2)
	v_sub_f32_e32 v105, v105, v109
	v_sub_f32_e32 v17, v108, v107
	;; [unrolled: 1-line block ×3, first 2 shown]
	s_delay_alu instid0(VALU_DEP_2) | instskip(NEXT) | instid1(VALU_DEP_2)
	v_sub_f32_e32 v17, v17, v103
	v_add_f32_e32 v13, v13, v105
	s_delay_alu instid0(VALU_DEP_1) | instskip(NEXT) | instid1(VALU_DEP_1)
	v_add_f32_e32 v13, v17, v13
	v_add_f32_e32 v17, v109, v13
	s_delay_alu instid0(VALU_DEP_1) | instskip(NEXT) | instid1(VALU_DEP_1)
	v_mul_f32_e32 v103, v15, v17
	v_dual_sub_f32 v108, v109, v17 :: v_dual_mul_f32 v105, v104, v103
	s_delay_alu instid0(VALU_DEP_1) | instskip(NEXT) | instid1(VALU_DEP_2)
	v_add_f32_e32 v13, v13, v108
	v_fma_f32 v104, v103, v104, -v105
	s_delay_alu instid0(VALU_DEP_1) | instskip(NEXT) | instid1(VALU_DEP_1)
	v_fmac_f32_e32 v104, v103, v102
	v_add_f32_e32 v102, v105, v104
	s_delay_alu instid0(VALU_DEP_1) | instskip(NEXT) | instid1(VALU_DEP_1)
	v_sub_f32_e32 v107, v17, v102
	v_sub_f32_e32 v17, v17, v107
	s_delay_alu instid0(VALU_DEP_1) | instskip(NEXT) | instid1(VALU_DEP_1)
	v_sub_f32_e32 v17, v17, v102
	v_add_f32_e32 v13, v13, v17
	v_add_f32_e32 v17, v106, v103
	v_sub_f32_e32 v105, v102, v105
	s_delay_alu instid0(VALU_DEP_1) | instskip(NEXT) | instid1(VALU_DEP_1)
	v_sub_f32_e32 v102, v105, v104
	v_dual_add_f32 v13, v102, v13 :: v_dual_sub_f32 v102, v17, v106
	s_delay_alu instid0(VALU_DEP_1) | instskip(NEXT) | instid1(VALU_DEP_2)
	v_add_f32_e32 v13, v107, v13
	v_sub_f32_e32 v102, v103, v102
	s_delay_alu instid0(VALU_DEP_2) | instskip(NEXT) | instid1(VALU_DEP_1)
	v_mul_f32_e32 v13, v15, v13
	v_add_f32_e32 v13, v102, v13
	s_delay_alu instid0(VALU_DEP_1) | instskip(NEXT) | instid1(VALU_DEP_1)
	v_add_f32_e32 v15, v17, v13
	v_mul_f32_e32 v102, v15, v15
	s_delay_alu instid0(VALU_DEP_1) | instskip(SKIP_1) | instid1(VALU_DEP_2)
	v_fmaak_f32 v103, s84, v102, 0x3ecc95a3
	v_mul_f32_e32 v104, v15, v102
	v_fmaak_f32 v102, v102, v103, 0x3f2aaada
	v_ldexp_f32 v103, v15, 1
	s_delay_alu instid0(VALU_DEP_2) | instskip(NEXT) | instid1(VALU_DEP_1)
	v_dual_sub_f32 v15, v15, v17 :: v_dual_mul_f32 v102, v104, v102
	v_dual_mul_f32 v104, 0x3f317218, v12 :: v_dual_sub_f32 v13, v13, v15
	s_delay_alu instid0(VALU_DEP_2) | instskip(NEXT) | instid1(VALU_DEP_2)
	v_add_f32_e32 v17, v103, v102
	v_ldexp_f32 v13, v13, 1
	s_delay_alu instid0(VALU_DEP_2) | instskip(NEXT) | instid1(VALU_DEP_4)
	v_sub_f32_e32 v15, v17, v103
	v_fma_f32 v103, 0x3f317218, v12, -v104
	s_delay_alu instid0(VALU_DEP_2) | instskip(NEXT) | instid1(VALU_DEP_1)
	v_sub_f32_e32 v15, v102, v15
	v_dual_fmac_f32 v103, 0xb102e308, v12 :: v_dual_add_f32 v12, v13, v15
	s_delay_alu instid0(VALU_DEP_1) | instskip(NEXT) | instid1(VALU_DEP_2)
	v_add_f32_e32 v13, v104, v103
	v_add_f32_e32 v15, v17, v12
	s_delay_alu instid0(VALU_DEP_2) | instskip(NEXT) | instid1(VALU_DEP_2)
	v_sub_f32_e32 v104, v13, v104
	v_dual_add_f32 v102, v13, v15 :: v_dual_sub_f32 v17, v15, v17
	s_delay_alu instid0(VALU_DEP_2) | instskip(NEXT) | instid1(VALU_DEP_2)
	v_sub_f32_e32 v103, v103, v104
	v_sub_f32_e32 v105, v102, v13
	s_delay_alu instid0(VALU_DEP_3) | instskip(NEXT) | instid1(VALU_DEP_2)
	v_sub_f32_e32 v12, v12, v17
	v_sub_f32_e32 v106, v102, v105
	;; [unrolled: 1-line block ×3, first 2 shown]
	s_delay_alu instid0(VALU_DEP_3) | instskip(NEXT) | instid1(VALU_DEP_3)
	v_add_f32_e32 v17, v103, v12
	v_sub_f32_e32 v13, v13, v106
	s_delay_alu instid0(VALU_DEP_1) | instskip(NEXT) | instid1(VALU_DEP_3)
	v_add_f32_e32 v13, v15, v13
	v_sub_f32_e32 v15, v17, v103
	s_delay_alu instid0(VALU_DEP_2) | instskip(NEXT) | instid1(VALU_DEP_2)
	v_add_f32_e32 v13, v17, v13
	v_sub_f32_e32 v17, v17, v15
	v_sub_f32_e32 v12, v12, v15
	s_delay_alu instid0(VALU_DEP_3) | instskip(NEXT) | instid1(VALU_DEP_3)
	v_add_f32_e32 v104, v102, v13
	v_sub_f32_e32 v17, v103, v17
	s_delay_alu instid0(VALU_DEP_2) | instskip(NEXT) | instid1(VALU_DEP_1)
	v_sub_f32_e32 v15, v104, v102
	v_dual_add_f32 v12, v12, v17 :: v_dual_sub_f32 v13, v13, v15
	s_delay_alu instid0(VALU_DEP_1) | instskip(NEXT) | instid1(VALU_DEP_1)
	v_add_f32_e32 v12, v12, v13
	v_add_f32_e32 v12, v104, v12
	s_delay_alu instid0(VALU_DEP_1)
	v_cndmask_b32_e32 v104, v12, v14, vcc_lo
.LBB93_92:                              ;   in Loop: Header=BB93_12 Depth=1
	s_or_b32 exec_lo, exec_lo, s30
	v_lshrrev_b32_e32 v8, 16, v8
	s_delay_alu instid0(VALU_DEP_1) | instskip(NEXT) | instid1(VALU_DEP_1)
	v_cvt_f32_f16_e32 v8, v8
	v_add_f32_e32 v115, s69, v8
	s_delay_alu instid0(VALU_DEP_1) | instskip(SKIP_1) | instid1(SALU_CYCLE_1)
	v_cmp_ge_f32_e32 vcc_lo, 0x41a00000, v115
	s_and_b32 s29, s80, vcc_lo
	s_and_saveexec_b32 s30, s29
	s_cbranch_execz .LBB93_94
; %bb.93:                               ;   in Loop: Header=BB93_12 Depth=1
	v_mul_f32_e32 v8, 0x3fb8aa3b, v115
	v_cmp_ngt_f32_e32 vcc_lo, 0xc2ce8ed0, v115
	s_delay_alu instid0(VALU_DEP_2) | instskip(SKIP_1) | instid1(VALU_DEP_1)
	v_rndne_f32_e32 v12, v8
	v_fma_f32 v13, 0x3fb8aa3b, v115, -v8
	v_dual_sub_f32 v8, v8, v12 :: v_dual_fmac_f32 v13, 0x32a5705f, v115
	v_cvt_i32_f32_e32 v12, v12
	s_delay_alu instid0(VALU_DEP_2) | instskip(NEXT) | instid1(VALU_DEP_1)
	v_add_f32_e32 v8, v8, v13
	v_exp_f32_e32 v8, v8
	s_waitcnt_depctr 0xfff
	v_ldexp_f32 v8, v8, v12
	s_delay_alu instid0(VALU_DEP_1) | instskip(SKIP_1) | instid1(VALU_DEP_2)
	v_cndmask_b32_e32 v8, 0, v8, vcc_lo
	v_cmp_nlt_f32_e32 vcc_lo, 0x42b17218, v115
	v_cndmask_b32_e32 v8, 0x7f800000, v8, vcc_lo
	s_delay_alu instid0(VALU_DEP_1) | instskip(NEXT) | instid1(VALU_DEP_1)
	v_add_f32_e32 v14, 1.0, v8
	v_cvt_f64_f32_e32 v[12:13], v14
	s_delay_alu instid0(VALU_DEP_1) | instskip(SKIP_1) | instid1(VALU_DEP_1)
	v_frexp_exp_i32_f64_e32 v12, v[12:13]
	v_frexp_mant_f32_e32 v13, v14
	v_cmp_gt_f32_e32 vcc_lo, 0x3f2aaaab, v13
	v_add_f32_e32 v13, -1.0, v14
	s_delay_alu instid0(VALU_DEP_1) | instskip(SKIP_1) | instid1(VALU_DEP_2)
	v_sub_f32_e32 v17, v13, v14
	v_sub_f32_e32 v13, v8, v13
	v_add_f32_e32 v17, 1.0, v17
	s_delay_alu instid0(VALU_DEP_1) | instskip(SKIP_3) | instid1(VALU_DEP_2)
	v_add_f32_e32 v13, v13, v17
	v_cmp_gt_f32_e64 s29, 0x33800000, v8
	v_subrev_co_ci_u32_e32 v12, vcc_lo, 0, v12, vcc_lo
	v_cmp_eq_f32_e32 vcc_lo, 0x7f800000, v8
	v_sub_nc_u32_e32 v15, 0, v12
	v_cvt_f32_i32_e32 v12, v12
	s_or_b32 vcc_lo, s29, vcc_lo
	s_delay_alu instid0(VALU_DEP_2) | instskip(SKIP_1) | instid1(VALU_DEP_2)
	v_ldexp_f32 v14, v14, v15
	v_ldexp_f32 v13, v13, v15
	v_add_f32_e32 v102, 1.0, v14
	v_add_f32_e32 v15, -1.0, v14
	s_delay_alu instid0(VALU_DEP_1) | instskip(NEXT) | instid1(VALU_DEP_3)
	v_add_f32_e32 v103, 1.0, v15
	v_add_f32_e32 v17, -1.0, v102
	s_delay_alu instid0(VALU_DEP_1) | instskip(NEXT) | instid1(VALU_DEP_1)
	v_sub_f32_e32 v17, v14, v17
	v_dual_sub_f32 v14, v14, v103 :: v_dual_add_f32 v17, v13, v17
	s_delay_alu instid0(VALU_DEP_1) | instskip(NEXT) | instid1(VALU_DEP_1)
	v_add_f32_e32 v103, v102, v17
	v_sub_f32_e32 v102, v102, v103
	s_delay_alu instid0(VALU_DEP_1) | instskip(NEXT) | instid1(VALU_DEP_4)
	v_add_f32_e32 v17, v17, v102
	v_add_f32_e32 v13, v13, v14
	v_rcp_f32_e32 v14, v103
	s_delay_alu instid0(VALU_DEP_1) | instskip(SKIP_2) | instid1(VALU_DEP_1)
	v_add_f32_e32 v105, v15, v13
	s_waitcnt_depctr 0xfff
	v_dual_sub_f32 v15, v15, v105 :: v_dual_mul_f32 v106, v105, v14
	v_mul_f32_e32 v107, v103, v106
	s_delay_alu instid0(VALU_DEP_1) | instskip(NEXT) | instid1(VALU_DEP_1)
	v_fma_f32 v102, v106, v103, -v107
	v_dual_fmac_f32 v102, v106, v17 :: v_dual_add_f32 v13, v13, v15
	s_delay_alu instid0(VALU_DEP_1) | instskip(NEXT) | instid1(VALU_DEP_1)
	v_add_f32_e32 v108, v107, v102
	v_sub_f32_e32 v109, v105, v108
	v_sub_f32_e32 v15, v108, v107
	s_delay_alu instid0(VALU_DEP_2) | instskip(NEXT) | instid1(VALU_DEP_2)
	v_sub_f32_e32 v105, v105, v109
	v_sub_f32_e32 v15, v15, v102
	s_delay_alu instid0(VALU_DEP_2) | instskip(NEXT) | instid1(VALU_DEP_1)
	v_sub_f32_e32 v105, v105, v108
	v_add_f32_e32 v13, v13, v105
	s_delay_alu instid0(VALU_DEP_1) | instskip(NEXT) | instid1(VALU_DEP_1)
	v_add_f32_e32 v13, v15, v13
	v_add_f32_e32 v15, v109, v13
	s_delay_alu instid0(VALU_DEP_1) | instskip(NEXT) | instid1(VALU_DEP_1)
	v_mul_f32_e32 v102, v14, v15
	v_dual_sub_f32 v108, v109, v15 :: v_dual_mul_f32 v105, v103, v102
	s_delay_alu instid0(VALU_DEP_1) | instskip(NEXT) | instid1(VALU_DEP_2)
	v_add_f32_e32 v13, v13, v108
	v_fma_f32 v103, v102, v103, -v105
	s_delay_alu instid0(VALU_DEP_1) | instskip(NEXT) | instid1(VALU_DEP_1)
	v_fmac_f32_e32 v103, v102, v17
	v_add_f32_e32 v17, v105, v103
	s_delay_alu instid0(VALU_DEP_1) | instskip(SKIP_1) | instid1(VALU_DEP_2)
	v_sub_f32_e32 v107, v15, v17
	v_sub_f32_e32 v105, v17, v105
	;; [unrolled: 1-line block ×3, first 2 shown]
	s_delay_alu instid0(VALU_DEP_1) | instskip(NEXT) | instid1(VALU_DEP_3)
	v_sub_f32_e32 v15, v15, v17
	v_sub_f32_e32 v17, v105, v103
	s_delay_alu instid0(VALU_DEP_2) | instskip(SKIP_1) | instid1(VALU_DEP_2)
	v_add_f32_e32 v13, v13, v15
	v_add_f32_e32 v15, v106, v102
	;; [unrolled: 1-line block ×3, first 2 shown]
	s_delay_alu instid0(VALU_DEP_2) | instskip(NEXT) | instid1(VALU_DEP_2)
	v_sub_f32_e32 v17, v15, v106
	v_add_f32_e32 v13, v107, v13
	s_delay_alu instid0(VALU_DEP_2) | instskip(NEXT) | instid1(VALU_DEP_2)
	v_sub_f32_e32 v17, v102, v17
	v_mul_f32_e32 v13, v14, v13
	s_delay_alu instid0(VALU_DEP_1) | instskip(NEXT) | instid1(VALU_DEP_1)
	v_add_f32_e32 v13, v17, v13
	v_add_f32_e32 v14, v15, v13
	s_delay_alu instid0(VALU_DEP_1) | instskip(NEXT) | instid1(VALU_DEP_1)
	v_mul_f32_e32 v17, v14, v14
	v_fmaak_f32 v102, s84, v17, 0x3ecc95a3
	v_mul_f32_e32 v103, v14, v17
	s_delay_alu instid0(VALU_DEP_2) | instskip(SKIP_1) | instid1(VALU_DEP_2)
	v_fmaak_f32 v17, v17, v102, 0x3f2aaada
	v_ldexp_f32 v102, v14, 1
	v_dual_sub_f32 v14, v14, v15 :: v_dual_mul_f32 v17, v103, v17
	v_mul_f32_e32 v103, 0x3f317218, v12
	s_delay_alu instid0(VALU_DEP_2) | instskip(NEXT) | instid1(VALU_DEP_3)
	v_sub_f32_e32 v13, v13, v14
	v_add_f32_e32 v15, v102, v17
	s_delay_alu instid0(VALU_DEP_2) | instskip(NEXT) | instid1(VALU_DEP_2)
	v_ldexp_f32 v13, v13, 1
	v_sub_f32_e32 v14, v15, v102
	v_fma_f32 v102, 0x3f317218, v12, -v103
	s_delay_alu instid0(VALU_DEP_2) | instskip(NEXT) | instid1(VALU_DEP_2)
	v_sub_f32_e32 v14, v17, v14
	v_fmac_f32_e32 v102, 0xb102e308, v12
	s_delay_alu instid0(VALU_DEP_2) | instskip(NEXT) | instid1(VALU_DEP_2)
	v_add_f32_e32 v12, v13, v14
	v_add_f32_e32 v13, v103, v102
	s_delay_alu instid0(VALU_DEP_1) | instskip(NEXT) | instid1(VALU_DEP_1)
	v_dual_add_f32 v14, v15, v12 :: v_dual_sub_f32 v103, v13, v103
	v_add_f32_e32 v17, v13, v14
	v_sub_f32_e32 v15, v14, v15
	s_delay_alu instid0(VALU_DEP_2) | instskip(NEXT) | instid1(VALU_DEP_2)
	v_dual_sub_f32 v102, v102, v103 :: v_dual_sub_f32 v105, v17, v13
	v_sub_f32_e32 v12, v12, v15
	s_delay_alu instid0(VALU_DEP_2) | instskip(SKIP_1) | instid1(VALU_DEP_3)
	v_sub_f32_e32 v106, v17, v105
	v_sub_f32_e32 v14, v14, v105
	v_add_f32_e32 v15, v102, v12
	s_delay_alu instid0(VALU_DEP_3) | instskip(NEXT) | instid1(VALU_DEP_1)
	v_sub_f32_e32 v13, v13, v106
	v_dual_add_f32 v13, v14, v13 :: v_dual_sub_f32 v14, v15, v102
	s_delay_alu instid0(VALU_DEP_1) | instskip(NEXT) | instid1(VALU_DEP_2)
	v_add_f32_e32 v13, v15, v13
	v_sub_f32_e32 v15, v15, v14
	s_delay_alu instid0(VALU_DEP_2) | instskip(NEXT) | instid1(VALU_DEP_1)
	v_dual_sub_f32 v12, v12, v14 :: v_dual_add_f32 v103, v17, v13
	v_dual_sub_f32 v15, v102, v15 :: v_dual_sub_f32 v14, v103, v17
	s_delay_alu instid0(VALU_DEP_1) | instskip(NEXT) | instid1(VALU_DEP_1)
	v_dual_add_f32 v12, v12, v15 :: v_dual_sub_f32 v13, v13, v14
	v_add_f32_e32 v12, v12, v13
	s_delay_alu instid0(VALU_DEP_1) | instskip(NEXT) | instid1(VALU_DEP_1)
	v_add_f32_e32 v12, v103, v12
	v_cndmask_b32_e32 v115, v12, v8, vcc_lo
.LBB93_94:                              ;   in Loop: Header=BB93_12 Depth=1
	s_or_b32 exec_lo, exec_lo, s30
	v_cvt_f32_f16_e32 v8, v9
	s_delay_alu instid0(VALU_DEP_1) | instskip(NEXT) | instid1(VALU_DEP_1)
	v_add_f32_e32 v118, s69, v8
	v_cmp_ge_f32_e32 vcc_lo, 0x41a00000, v118
	s_and_b32 s29, s80, vcc_lo
	s_delay_alu instid0(SALU_CYCLE_1)
	s_and_saveexec_b32 s30, s29
	s_cbranch_execz .LBB93_96
; %bb.95:                               ;   in Loop: Header=BB93_12 Depth=1
	v_mul_f32_e32 v8, 0x3fb8aa3b, v118
	v_cmp_ngt_f32_e32 vcc_lo, 0xc2ce8ed0, v118
	s_delay_alu instid0(VALU_DEP_2) | instskip(SKIP_1) | instid1(VALU_DEP_1)
	v_rndne_f32_e32 v12, v8
	v_fma_f32 v13, 0x3fb8aa3b, v118, -v8
	v_dual_sub_f32 v8, v8, v12 :: v_dual_fmac_f32 v13, 0x32a5705f, v118
	v_cvt_i32_f32_e32 v12, v12
	s_delay_alu instid0(VALU_DEP_2) | instskip(NEXT) | instid1(VALU_DEP_1)
	v_add_f32_e32 v8, v8, v13
	v_exp_f32_e32 v8, v8
	s_waitcnt_depctr 0xfff
	v_ldexp_f32 v8, v8, v12
	s_delay_alu instid0(VALU_DEP_1) | instskip(SKIP_1) | instid1(VALU_DEP_2)
	v_cndmask_b32_e32 v8, 0, v8, vcc_lo
	v_cmp_nlt_f32_e32 vcc_lo, 0x42b17218, v118
	v_cndmask_b32_e32 v8, 0x7f800000, v8, vcc_lo
	s_delay_alu instid0(VALU_DEP_1) | instskip(NEXT) | instid1(VALU_DEP_1)
	v_add_f32_e32 v14, 1.0, v8
	v_cvt_f64_f32_e32 v[12:13], v14
	s_delay_alu instid0(VALU_DEP_1) | instskip(SKIP_1) | instid1(VALU_DEP_1)
	v_frexp_exp_i32_f64_e32 v12, v[12:13]
	v_frexp_mant_f32_e32 v13, v14
	v_cmp_gt_f32_e32 vcc_lo, 0x3f2aaaab, v13
	v_add_f32_e32 v13, -1.0, v14
	s_delay_alu instid0(VALU_DEP_1) | instskip(SKIP_1) | instid1(VALU_DEP_2)
	v_sub_f32_e32 v17, v13, v14
	v_sub_f32_e32 v13, v8, v13
	v_add_f32_e32 v17, 1.0, v17
	s_delay_alu instid0(VALU_DEP_1) | instskip(SKIP_3) | instid1(VALU_DEP_2)
	v_add_f32_e32 v13, v13, v17
	v_cmp_gt_f32_e64 s29, 0x33800000, v8
	v_subrev_co_ci_u32_e32 v12, vcc_lo, 0, v12, vcc_lo
	v_cmp_eq_f32_e32 vcc_lo, 0x7f800000, v8
	v_sub_nc_u32_e32 v15, 0, v12
	v_cvt_f32_i32_e32 v12, v12
	s_or_b32 vcc_lo, s29, vcc_lo
	s_delay_alu instid0(VALU_DEP_2) | instskip(SKIP_1) | instid1(VALU_DEP_2)
	v_ldexp_f32 v14, v14, v15
	v_ldexp_f32 v13, v13, v15
	v_add_f32_e32 v102, 1.0, v14
	v_add_f32_e32 v15, -1.0, v14
	s_delay_alu instid0(VALU_DEP_1) | instskip(NEXT) | instid1(VALU_DEP_3)
	v_add_f32_e32 v103, 1.0, v15
	v_add_f32_e32 v17, -1.0, v102
	s_delay_alu instid0(VALU_DEP_1) | instskip(NEXT) | instid1(VALU_DEP_1)
	v_sub_f32_e32 v17, v14, v17
	v_dual_sub_f32 v14, v14, v103 :: v_dual_add_f32 v17, v13, v17
	s_delay_alu instid0(VALU_DEP_1) | instskip(NEXT) | instid1(VALU_DEP_1)
	v_add_f32_e32 v103, v102, v17
	v_sub_f32_e32 v102, v102, v103
	s_delay_alu instid0(VALU_DEP_1) | instskip(NEXT) | instid1(VALU_DEP_4)
	v_add_f32_e32 v17, v17, v102
	v_add_f32_e32 v13, v13, v14
	v_rcp_f32_e32 v14, v103
	s_delay_alu instid0(VALU_DEP_1) | instskip(SKIP_2) | instid1(VALU_DEP_1)
	v_add_f32_e32 v105, v15, v13
	s_waitcnt_depctr 0xfff
	v_dual_sub_f32 v15, v15, v105 :: v_dual_mul_f32 v106, v105, v14
	v_mul_f32_e32 v107, v103, v106
	s_delay_alu instid0(VALU_DEP_1) | instskip(NEXT) | instid1(VALU_DEP_1)
	v_fma_f32 v102, v106, v103, -v107
	v_dual_fmac_f32 v102, v106, v17 :: v_dual_add_f32 v13, v13, v15
	s_delay_alu instid0(VALU_DEP_1) | instskip(NEXT) | instid1(VALU_DEP_1)
	v_add_f32_e32 v108, v107, v102
	v_sub_f32_e32 v109, v105, v108
	v_sub_f32_e32 v15, v108, v107
	s_delay_alu instid0(VALU_DEP_2) | instskip(NEXT) | instid1(VALU_DEP_2)
	v_sub_f32_e32 v105, v105, v109
	v_sub_f32_e32 v15, v15, v102
	s_delay_alu instid0(VALU_DEP_2) | instskip(NEXT) | instid1(VALU_DEP_1)
	v_sub_f32_e32 v105, v105, v108
	v_add_f32_e32 v13, v13, v105
	s_delay_alu instid0(VALU_DEP_1) | instskip(NEXT) | instid1(VALU_DEP_1)
	v_add_f32_e32 v13, v15, v13
	v_add_f32_e32 v15, v109, v13
	s_delay_alu instid0(VALU_DEP_1) | instskip(NEXT) | instid1(VALU_DEP_1)
	v_mul_f32_e32 v102, v14, v15
	v_dual_sub_f32 v108, v109, v15 :: v_dual_mul_f32 v105, v103, v102
	s_delay_alu instid0(VALU_DEP_1) | instskip(NEXT) | instid1(VALU_DEP_2)
	v_add_f32_e32 v13, v13, v108
	v_fma_f32 v103, v102, v103, -v105
	s_delay_alu instid0(VALU_DEP_1) | instskip(NEXT) | instid1(VALU_DEP_1)
	v_fmac_f32_e32 v103, v102, v17
	v_add_f32_e32 v17, v105, v103
	s_delay_alu instid0(VALU_DEP_1) | instskip(SKIP_1) | instid1(VALU_DEP_2)
	v_sub_f32_e32 v107, v15, v17
	v_sub_f32_e32 v105, v17, v105
	;; [unrolled: 1-line block ×3, first 2 shown]
	s_delay_alu instid0(VALU_DEP_1) | instskip(NEXT) | instid1(VALU_DEP_3)
	v_sub_f32_e32 v15, v15, v17
	v_sub_f32_e32 v17, v105, v103
	s_delay_alu instid0(VALU_DEP_2) | instskip(SKIP_1) | instid1(VALU_DEP_2)
	v_add_f32_e32 v13, v13, v15
	v_add_f32_e32 v15, v106, v102
	;; [unrolled: 1-line block ×3, first 2 shown]
	s_delay_alu instid0(VALU_DEP_2) | instskip(NEXT) | instid1(VALU_DEP_2)
	v_sub_f32_e32 v17, v15, v106
	v_add_f32_e32 v13, v107, v13
	s_delay_alu instid0(VALU_DEP_2) | instskip(NEXT) | instid1(VALU_DEP_2)
	v_sub_f32_e32 v17, v102, v17
	v_mul_f32_e32 v13, v14, v13
	s_delay_alu instid0(VALU_DEP_1) | instskip(NEXT) | instid1(VALU_DEP_1)
	v_add_f32_e32 v13, v17, v13
	v_add_f32_e32 v14, v15, v13
	s_delay_alu instid0(VALU_DEP_1) | instskip(NEXT) | instid1(VALU_DEP_1)
	v_mul_f32_e32 v17, v14, v14
	v_fmaak_f32 v102, s84, v17, 0x3ecc95a3
	v_mul_f32_e32 v103, v14, v17
	s_delay_alu instid0(VALU_DEP_2) | instskip(SKIP_1) | instid1(VALU_DEP_2)
	v_fmaak_f32 v17, v17, v102, 0x3f2aaada
	v_ldexp_f32 v102, v14, 1
	v_dual_sub_f32 v14, v14, v15 :: v_dual_mul_f32 v17, v103, v17
	v_mul_f32_e32 v103, 0x3f317218, v12
	s_delay_alu instid0(VALU_DEP_2) | instskip(NEXT) | instid1(VALU_DEP_3)
	v_sub_f32_e32 v13, v13, v14
	v_add_f32_e32 v15, v102, v17
	s_delay_alu instid0(VALU_DEP_2) | instskip(NEXT) | instid1(VALU_DEP_2)
	v_ldexp_f32 v13, v13, 1
	v_sub_f32_e32 v14, v15, v102
	v_fma_f32 v102, 0x3f317218, v12, -v103
	s_delay_alu instid0(VALU_DEP_2) | instskip(NEXT) | instid1(VALU_DEP_2)
	v_sub_f32_e32 v14, v17, v14
	v_fmac_f32_e32 v102, 0xb102e308, v12
	s_delay_alu instid0(VALU_DEP_2) | instskip(NEXT) | instid1(VALU_DEP_2)
	v_add_f32_e32 v12, v13, v14
	v_add_f32_e32 v13, v103, v102
	s_delay_alu instid0(VALU_DEP_1) | instskip(NEXT) | instid1(VALU_DEP_1)
	v_dual_add_f32 v14, v15, v12 :: v_dual_sub_f32 v103, v13, v103
	v_add_f32_e32 v17, v13, v14
	v_sub_f32_e32 v15, v14, v15
	s_delay_alu instid0(VALU_DEP_2) | instskip(NEXT) | instid1(VALU_DEP_2)
	v_dual_sub_f32 v102, v102, v103 :: v_dual_sub_f32 v105, v17, v13
	v_sub_f32_e32 v12, v12, v15
	s_delay_alu instid0(VALU_DEP_2) | instskip(SKIP_1) | instid1(VALU_DEP_3)
	v_sub_f32_e32 v106, v17, v105
	v_sub_f32_e32 v14, v14, v105
	v_add_f32_e32 v15, v102, v12
	s_delay_alu instid0(VALU_DEP_3) | instskip(NEXT) | instid1(VALU_DEP_1)
	v_sub_f32_e32 v13, v13, v106
	v_dual_add_f32 v13, v14, v13 :: v_dual_sub_f32 v14, v15, v102
	s_delay_alu instid0(VALU_DEP_1) | instskip(NEXT) | instid1(VALU_DEP_2)
	v_add_f32_e32 v13, v15, v13
	v_sub_f32_e32 v15, v15, v14
	s_delay_alu instid0(VALU_DEP_2) | instskip(NEXT) | instid1(VALU_DEP_1)
	v_dual_sub_f32 v12, v12, v14 :: v_dual_add_f32 v103, v17, v13
	v_dual_sub_f32 v15, v102, v15 :: v_dual_sub_f32 v14, v103, v17
	s_delay_alu instid0(VALU_DEP_1) | instskip(NEXT) | instid1(VALU_DEP_1)
	v_dual_add_f32 v12, v12, v15 :: v_dual_sub_f32 v13, v13, v14
	v_add_f32_e32 v12, v12, v13
	s_delay_alu instid0(VALU_DEP_1) | instskip(NEXT) | instid1(VALU_DEP_1)
	v_add_f32_e32 v12, v103, v12
	v_cndmask_b32_e32 v118, v12, v8, vcc_lo
.LBB93_96:                              ;   in Loop: Header=BB93_12 Depth=1
	s_or_b32 exec_lo, exec_lo, s30
	v_lshrrev_b32_e32 v8, 16, v9
	s_delay_alu instid0(VALU_DEP_1) | instskip(NEXT) | instid1(VALU_DEP_1)
	v_cvt_f32_f16_e32 v8, v8
	v_add_f32_e32 v121, s69, v8
	s_delay_alu instid0(VALU_DEP_1) | instskip(SKIP_1) | instid1(SALU_CYCLE_1)
	v_cmp_ge_f32_e32 vcc_lo, 0x41a00000, v121
	s_and_b32 s29, s80, vcc_lo
	s_and_saveexec_b32 s30, s29
	s_cbranch_execz .LBB93_98
; %bb.97:                               ;   in Loop: Header=BB93_12 Depth=1
	v_mul_f32_e32 v8, 0x3fb8aa3b, v121
	v_cmp_ngt_f32_e32 vcc_lo, 0xc2ce8ed0, v121
	s_delay_alu instid0(VALU_DEP_2) | instskip(SKIP_1) | instid1(VALU_DEP_2)
	v_rndne_f32_e32 v9, v8
	v_fma_f32 v12, 0x3fb8aa3b, v121, -v8
	v_sub_f32_e32 v8, v8, v9
	s_delay_alu instid0(VALU_DEP_2) | instskip(SKIP_1) | instid1(VALU_DEP_2)
	v_fmac_f32_e32 v12, 0x32a5705f, v121
	v_cvt_i32_f32_e32 v9, v9
	v_add_f32_e32 v8, v8, v12
	s_delay_alu instid0(VALU_DEP_1) | instskip(SKIP_2) | instid1(VALU_DEP_1)
	v_exp_f32_e32 v8, v8
	s_waitcnt_depctr 0xfff
	v_ldexp_f32 v8, v8, v9
	v_cndmask_b32_e32 v8, 0, v8, vcc_lo
	v_cmp_nlt_f32_e32 vcc_lo, 0x42b17218, v121
	s_delay_alu instid0(VALU_DEP_2) | instskip(NEXT) | instid1(VALU_DEP_1)
	v_cndmask_b32_e32 v12, 0x7f800000, v8, vcc_lo
	v_add_f32_e32 v13, 1.0, v12
	s_delay_alu instid0(VALU_DEP_1) | instskip(NEXT) | instid1(VALU_DEP_1)
	v_cvt_f64_f32_e32 v[8:9], v13
	v_frexp_exp_i32_f64_e32 v8, v[8:9]
	v_frexp_mant_f32_e32 v9, v13
	s_delay_alu instid0(VALU_DEP_1) | instskip(SKIP_1) | instid1(VALU_DEP_1)
	v_cmp_gt_f32_e32 vcc_lo, 0x3f2aaaab, v9
	v_add_f32_e32 v9, -1.0, v13
	v_sub_f32_e32 v15, v9, v13
	s_delay_alu instid0(VALU_DEP_1) | instskip(SKIP_1) | instid1(VALU_DEP_1)
	v_add_f32_e32 v15, 1.0, v15
	v_subrev_co_ci_u32_e32 v8, vcc_lo, 0, v8, vcc_lo
	v_sub_nc_u32_e32 v14, 0, v8
	v_cvt_f32_i32_e32 v8, v8
	s_delay_alu instid0(VALU_DEP_2) | instskip(NEXT) | instid1(VALU_DEP_1)
	v_ldexp_f32 v13, v13, v14
	v_add_f32_e32 v17, 1.0, v13
	v_sub_f32_e32 v9, v12, v9
	v_cmp_eq_f32_e32 vcc_lo, 0x7f800000, v12
	v_cmp_gt_f32_e64 s29, 0x33800000, v12
	s_delay_alu instid0(VALU_DEP_3) | instskip(SKIP_1) | instid1(VALU_DEP_3)
	v_add_f32_e32 v9, v9, v15
	v_add_f32_e32 v15, -1.0, v17
	s_or_b32 vcc_lo, s29, vcc_lo
	s_delay_alu instid0(VALU_DEP_2) | instskip(NEXT) | instid1(VALU_DEP_2)
	v_ldexp_f32 v9, v9, v14
	v_dual_add_f32 v14, -1.0, v13 :: v_dual_sub_f32 v15, v13, v15
	s_delay_alu instid0(VALU_DEP_1) | instskip(NEXT) | instid1(VALU_DEP_1)
	v_dual_add_f32 v102, 1.0, v14 :: v_dual_add_f32 v15, v9, v15
	v_sub_f32_e32 v13, v13, v102
	s_delay_alu instid0(VALU_DEP_1) | instskip(NEXT) | instid1(VALU_DEP_1)
	v_add_f32_e32 v9, v9, v13
	v_dual_add_f32 v102, v17, v15 :: v_dual_add_f32 v103, v14, v9
	s_delay_alu instid0(VALU_DEP_1) | instskip(NEXT) | instid1(VALU_DEP_1)
	v_rcp_f32_e32 v13, v102
	v_dual_sub_f32 v17, v17, v102 :: v_dual_sub_f32 v14, v14, v103
	s_delay_alu instid0(VALU_DEP_1) | instskip(SKIP_2) | instid1(VALU_DEP_1)
	v_add_f32_e32 v9, v9, v14
	s_waitcnt_depctr 0xfff
	v_mul_f32_e32 v105, v103, v13
	v_mul_f32_e32 v106, v102, v105
	v_add_f32_e32 v15, v15, v17
	s_delay_alu instid0(VALU_DEP_2) | instskip(NEXT) | instid1(VALU_DEP_1)
	v_fma_f32 v17, v105, v102, -v106
	v_fmac_f32_e32 v17, v105, v15
	s_delay_alu instid0(VALU_DEP_1) | instskip(NEXT) | instid1(VALU_DEP_1)
	v_add_f32_e32 v107, v106, v17
	v_sub_f32_e32 v108, v103, v107
	v_sub_f32_e32 v14, v107, v106
	s_delay_alu instid0(VALU_DEP_1) | instskip(NEXT) | instid1(VALU_DEP_1)
	v_dual_sub_f32 v103, v103, v108 :: v_dual_sub_f32 v14, v14, v17
	v_sub_f32_e32 v103, v103, v107
	s_delay_alu instid0(VALU_DEP_1) | instskip(NEXT) | instid1(VALU_DEP_1)
	v_add_f32_e32 v9, v9, v103
	v_add_f32_e32 v9, v14, v9
	s_delay_alu instid0(VALU_DEP_1) | instskip(NEXT) | instid1(VALU_DEP_1)
	v_add_f32_e32 v14, v108, v9
	v_mul_f32_e32 v17, v13, v14
	v_sub_f32_e32 v107, v108, v14
	s_delay_alu instid0(VALU_DEP_2) | instskip(NEXT) | instid1(VALU_DEP_2)
	v_mul_f32_e32 v103, v102, v17
	v_add_f32_e32 v9, v9, v107
	s_delay_alu instid0(VALU_DEP_2) | instskip(NEXT) | instid1(VALU_DEP_1)
	v_fma_f32 v102, v17, v102, -v103
	v_fmac_f32_e32 v102, v17, v15
	s_delay_alu instid0(VALU_DEP_1) | instskip(NEXT) | instid1(VALU_DEP_1)
	v_add_f32_e32 v15, v103, v102
	v_sub_f32_e32 v106, v14, v15
	s_delay_alu instid0(VALU_DEP_1) | instskip(NEXT) | instid1(VALU_DEP_1)
	v_dual_sub_f32 v103, v15, v103 :: v_dual_sub_f32 v14, v14, v106
	v_dual_sub_f32 v14, v14, v15 :: v_dual_sub_f32 v15, v103, v102
	s_delay_alu instid0(VALU_DEP_1) | instskip(SKIP_1) | instid1(VALU_DEP_2)
	v_add_f32_e32 v9, v9, v14
	v_add_f32_e32 v14, v105, v17
	;; [unrolled: 1-line block ×3, first 2 shown]
	s_delay_alu instid0(VALU_DEP_2) | instskip(NEXT) | instid1(VALU_DEP_2)
	v_sub_f32_e32 v15, v14, v105
	v_add_f32_e32 v9, v106, v9
	s_delay_alu instid0(VALU_DEP_2) | instskip(NEXT) | instid1(VALU_DEP_2)
	v_sub_f32_e32 v15, v17, v15
	v_mul_f32_e32 v9, v13, v9
	s_delay_alu instid0(VALU_DEP_1) | instskip(NEXT) | instid1(VALU_DEP_1)
	v_add_f32_e32 v9, v15, v9
	v_add_f32_e32 v13, v14, v9
	s_delay_alu instid0(VALU_DEP_1) | instskip(NEXT) | instid1(VALU_DEP_1)
	v_mul_f32_e32 v15, v13, v13
	v_fmaak_f32 v17, s84, v15, 0x3ecc95a3
	s_delay_alu instid0(VALU_DEP_1) | instskip(SKIP_2) | instid1(VALU_DEP_3)
	v_dual_mul_f32 v102, v13, v15 :: v_dual_fmaak_f32 v15, v15, v17, 0x3f2aaada
	v_ldexp_f32 v17, v13, 1
	v_sub_f32_e32 v13, v13, v14
	v_dual_mul_f32 v15, v102, v15 :: v_dual_mul_f32 v102, 0x3f317218, v8
	s_delay_alu instid0(VALU_DEP_2) | instskip(NEXT) | instid1(VALU_DEP_2)
	v_sub_f32_e32 v9, v9, v13
	v_add_f32_e32 v14, v17, v15
	s_delay_alu instid0(VALU_DEP_2) | instskip(NEXT) | instid1(VALU_DEP_2)
	v_ldexp_f32 v9, v9, 1
	v_sub_f32_e32 v13, v14, v17
	v_fma_f32 v17, 0x3f317218, v8, -v102
	s_delay_alu instid0(VALU_DEP_2) | instskip(NEXT) | instid1(VALU_DEP_1)
	v_sub_f32_e32 v13, v15, v13
	v_dual_fmac_f32 v17, 0xb102e308, v8 :: v_dual_add_f32 v8, v9, v13
	s_delay_alu instid0(VALU_DEP_1) | instskip(NEXT) | instid1(VALU_DEP_1)
	v_add_f32_e32 v9, v102, v17
	v_dual_add_f32 v13, v14, v8 :: v_dual_sub_f32 v102, v9, v102
	s_delay_alu instid0(VALU_DEP_1) | instskip(SKIP_1) | instid1(VALU_DEP_3)
	v_add_f32_e32 v15, v9, v13
	v_sub_f32_e32 v14, v13, v14
	v_sub_f32_e32 v17, v17, v102
	s_delay_alu instid0(VALU_DEP_2) | instskip(NEXT) | instid1(VALU_DEP_1)
	v_dual_sub_f32 v103, v15, v9 :: v_dual_sub_f32 v8, v8, v14
	v_sub_f32_e32 v105, v15, v103
	v_sub_f32_e32 v13, v13, v103
	s_delay_alu instid0(VALU_DEP_3) | instskip(NEXT) | instid1(VALU_DEP_3)
	v_add_f32_e32 v14, v17, v8
	v_sub_f32_e32 v9, v9, v105
	s_delay_alu instid0(VALU_DEP_1) | instskip(NEXT) | instid1(VALU_DEP_3)
	v_add_f32_e32 v9, v13, v9
	v_sub_f32_e32 v13, v14, v17
	s_delay_alu instid0(VALU_DEP_2) | instskip(NEXT) | instid1(VALU_DEP_2)
	v_add_f32_e32 v9, v14, v9
	v_sub_f32_e32 v14, v14, v13
	v_sub_f32_e32 v8, v8, v13
	s_delay_alu instid0(VALU_DEP_3) | instskip(NEXT) | instid1(VALU_DEP_1)
	v_add_f32_e32 v102, v15, v9
	v_dual_sub_f32 v14, v17, v14 :: v_dual_sub_f32 v13, v102, v15
	s_delay_alu instid0(VALU_DEP_1) | instskip(NEXT) | instid1(VALU_DEP_1)
	v_dual_add_f32 v8, v8, v14 :: v_dual_sub_f32 v9, v9, v13
	v_add_f32_e32 v8, v8, v9
	s_delay_alu instid0(VALU_DEP_1) | instskip(NEXT) | instid1(VALU_DEP_1)
	v_add_f32_e32 v8, v102, v8
	v_cndmask_b32_e32 v121, v8, v12, vcc_lo
.LBB93_98:                              ;   in Loop: Header=BB93_12 Depth=1
	s_or_b32 exec_lo, exec_lo, s30
	v_cvt_f32_f16_e32 v8, v10
	s_delay_alu instid0(VALU_DEP_1) | instskip(NEXT) | instid1(VALU_DEP_1)
	v_add_f32_e32 v122, s69, v8
	v_cmp_ge_f32_e32 vcc_lo, 0x41a00000, v122
	s_and_b32 s29, s80, vcc_lo
	s_delay_alu instid0(SALU_CYCLE_1)
	s_and_saveexec_b32 s30, s29
	s_cbranch_execz .LBB93_100
; %bb.99:                               ;   in Loop: Header=BB93_12 Depth=1
	v_mul_f32_e32 v8, 0x3fb8aa3b, v122
	v_cmp_ngt_f32_e32 vcc_lo, 0xc2ce8ed0, v122
	s_delay_alu instid0(VALU_DEP_2) | instskip(SKIP_1) | instid1(VALU_DEP_2)
	v_rndne_f32_e32 v9, v8
	v_fma_f32 v12, 0x3fb8aa3b, v122, -v8
	v_sub_f32_e32 v8, v8, v9
	s_delay_alu instid0(VALU_DEP_2) | instskip(SKIP_1) | instid1(VALU_DEP_2)
	v_fmac_f32_e32 v12, 0x32a5705f, v122
	v_cvt_i32_f32_e32 v9, v9
	v_add_f32_e32 v8, v8, v12
	s_delay_alu instid0(VALU_DEP_1) | instskip(SKIP_2) | instid1(VALU_DEP_1)
	v_exp_f32_e32 v8, v8
	s_waitcnt_depctr 0xfff
	v_ldexp_f32 v8, v8, v9
	v_cndmask_b32_e32 v8, 0, v8, vcc_lo
	v_cmp_nlt_f32_e32 vcc_lo, 0x42b17218, v122
	s_delay_alu instid0(VALU_DEP_2) | instskip(NEXT) | instid1(VALU_DEP_1)
	v_cndmask_b32_e32 v12, 0x7f800000, v8, vcc_lo
	v_add_f32_e32 v13, 1.0, v12
	s_delay_alu instid0(VALU_DEP_1) | instskip(NEXT) | instid1(VALU_DEP_1)
	v_cvt_f64_f32_e32 v[8:9], v13
	v_frexp_exp_i32_f64_e32 v8, v[8:9]
	v_frexp_mant_f32_e32 v9, v13
	s_delay_alu instid0(VALU_DEP_1) | instskip(SKIP_1) | instid1(VALU_DEP_1)
	v_cmp_gt_f32_e32 vcc_lo, 0x3f2aaaab, v9
	v_add_f32_e32 v9, -1.0, v13
	v_sub_f32_e32 v15, v9, v13
	s_delay_alu instid0(VALU_DEP_1) | instskip(SKIP_1) | instid1(VALU_DEP_1)
	v_add_f32_e32 v15, 1.0, v15
	v_subrev_co_ci_u32_e32 v8, vcc_lo, 0, v8, vcc_lo
	v_sub_nc_u32_e32 v14, 0, v8
	v_cvt_f32_i32_e32 v8, v8
	s_delay_alu instid0(VALU_DEP_2) | instskip(NEXT) | instid1(VALU_DEP_1)
	v_ldexp_f32 v13, v13, v14
	v_add_f32_e32 v17, 1.0, v13
	v_sub_f32_e32 v9, v12, v9
	v_cmp_eq_f32_e32 vcc_lo, 0x7f800000, v12
	v_cmp_gt_f32_e64 s29, 0x33800000, v12
	s_delay_alu instid0(VALU_DEP_3) | instskip(NEXT) | instid1(VALU_DEP_2)
	v_add_f32_e32 v9, v9, v15
	s_or_b32 vcc_lo, s29, vcc_lo
	s_delay_alu instid0(VALU_DEP_1) | instskip(SKIP_1) | instid1(VALU_DEP_1)
	v_ldexp_f32 v9, v9, v14
	v_add_f32_e32 v14, -1.0, v13
	v_dual_add_f32 v15, -1.0, v17 :: v_dual_add_f32 v102, 1.0, v14
	s_delay_alu instid0(VALU_DEP_1) | instskip(NEXT) | instid1(VALU_DEP_2)
	v_sub_f32_e32 v15, v13, v15
	v_sub_f32_e32 v13, v13, v102
	s_delay_alu instid0(VALU_DEP_2) | instskip(NEXT) | instid1(VALU_DEP_2)
	v_add_f32_e32 v15, v9, v15
	v_add_f32_e32 v9, v9, v13
	s_delay_alu instid0(VALU_DEP_1) | instskip(NEXT) | instid1(VALU_DEP_1)
	v_dual_add_f32 v102, v17, v15 :: v_dual_add_f32 v103, v14, v9
	v_rcp_f32_e32 v13, v102
	s_delay_alu instid0(VALU_DEP_1) | instskip(NEXT) | instid1(VALU_DEP_1)
	v_dual_sub_f32 v17, v17, v102 :: v_dual_sub_f32 v14, v14, v103
	v_add_f32_e32 v15, v15, v17
	s_delay_alu instid0(VALU_DEP_2) | instskip(SKIP_2) | instid1(VALU_DEP_1)
	v_add_f32_e32 v9, v9, v14
	s_waitcnt_depctr 0xfff
	v_mul_f32_e32 v105, v103, v13
	v_mul_f32_e32 v106, v102, v105
	s_delay_alu instid0(VALU_DEP_1) | instskip(NEXT) | instid1(VALU_DEP_1)
	v_fma_f32 v17, v105, v102, -v106
	v_fmac_f32_e32 v17, v105, v15
	s_delay_alu instid0(VALU_DEP_1) | instskip(NEXT) | instid1(VALU_DEP_1)
	v_add_f32_e32 v107, v106, v17
	v_sub_f32_e32 v108, v103, v107
	v_sub_f32_e32 v14, v107, v106
	s_delay_alu instid0(VALU_DEP_1) | instskip(NEXT) | instid1(VALU_DEP_1)
	v_dual_sub_f32 v103, v103, v108 :: v_dual_sub_f32 v14, v14, v17
	v_sub_f32_e32 v103, v103, v107
	s_delay_alu instid0(VALU_DEP_1) | instskip(NEXT) | instid1(VALU_DEP_1)
	v_add_f32_e32 v9, v9, v103
	v_add_f32_e32 v9, v14, v9
	s_delay_alu instid0(VALU_DEP_1) | instskip(NEXT) | instid1(VALU_DEP_1)
	v_add_f32_e32 v14, v108, v9
	v_mul_f32_e32 v17, v13, v14
	v_sub_f32_e32 v107, v108, v14
	s_delay_alu instid0(VALU_DEP_2) | instskip(NEXT) | instid1(VALU_DEP_2)
	v_mul_f32_e32 v103, v102, v17
	v_add_f32_e32 v9, v9, v107
	s_delay_alu instid0(VALU_DEP_2) | instskip(NEXT) | instid1(VALU_DEP_1)
	v_fma_f32 v102, v17, v102, -v103
	v_fmac_f32_e32 v102, v17, v15
	s_delay_alu instid0(VALU_DEP_1) | instskip(NEXT) | instid1(VALU_DEP_1)
	v_add_f32_e32 v15, v103, v102
	v_sub_f32_e32 v106, v14, v15
	s_delay_alu instid0(VALU_DEP_1) | instskip(NEXT) | instid1(VALU_DEP_1)
	v_dual_sub_f32 v103, v15, v103 :: v_dual_sub_f32 v14, v14, v106
	v_dual_sub_f32 v14, v14, v15 :: v_dual_sub_f32 v15, v103, v102
	s_delay_alu instid0(VALU_DEP_1) | instskip(SKIP_1) | instid1(VALU_DEP_2)
	v_add_f32_e32 v9, v9, v14
	v_add_f32_e32 v14, v105, v17
	;; [unrolled: 1-line block ×3, first 2 shown]
	s_delay_alu instid0(VALU_DEP_2) | instskip(NEXT) | instid1(VALU_DEP_2)
	v_sub_f32_e32 v15, v14, v105
	v_add_f32_e32 v9, v106, v9
	s_delay_alu instid0(VALU_DEP_2) | instskip(NEXT) | instid1(VALU_DEP_2)
	v_sub_f32_e32 v15, v17, v15
	v_mul_f32_e32 v9, v13, v9
	s_delay_alu instid0(VALU_DEP_1) | instskip(NEXT) | instid1(VALU_DEP_1)
	v_add_f32_e32 v9, v15, v9
	v_add_f32_e32 v13, v14, v9
	s_delay_alu instid0(VALU_DEP_1) | instskip(NEXT) | instid1(VALU_DEP_1)
	v_mul_f32_e32 v15, v13, v13
	v_fmaak_f32 v17, s84, v15, 0x3ecc95a3
	s_delay_alu instid0(VALU_DEP_1) | instskip(SKIP_2) | instid1(VALU_DEP_3)
	v_dual_mul_f32 v102, v13, v15 :: v_dual_fmaak_f32 v15, v15, v17, 0x3f2aaada
	v_ldexp_f32 v17, v13, 1
	v_sub_f32_e32 v13, v13, v14
	v_dual_mul_f32 v15, v102, v15 :: v_dual_mul_f32 v102, 0x3f317218, v8
	s_delay_alu instid0(VALU_DEP_2) | instskip(NEXT) | instid1(VALU_DEP_2)
	v_sub_f32_e32 v9, v9, v13
	v_add_f32_e32 v14, v17, v15
	s_delay_alu instid0(VALU_DEP_2) | instskip(NEXT) | instid1(VALU_DEP_2)
	v_ldexp_f32 v9, v9, 1
	v_sub_f32_e32 v13, v14, v17
	v_fma_f32 v17, 0x3f317218, v8, -v102
	s_delay_alu instid0(VALU_DEP_2) | instskip(NEXT) | instid1(VALU_DEP_1)
	v_sub_f32_e32 v13, v15, v13
	v_dual_fmac_f32 v17, 0xb102e308, v8 :: v_dual_add_f32 v8, v9, v13
	s_delay_alu instid0(VALU_DEP_1) | instskip(NEXT) | instid1(VALU_DEP_1)
	v_add_f32_e32 v9, v102, v17
	v_dual_add_f32 v13, v14, v8 :: v_dual_sub_f32 v102, v9, v102
	s_delay_alu instid0(VALU_DEP_1) | instskip(SKIP_1) | instid1(VALU_DEP_3)
	v_add_f32_e32 v15, v9, v13
	v_sub_f32_e32 v14, v13, v14
	v_sub_f32_e32 v17, v17, v102
	s_delay_alu instid0(VALU_DEP_2) | instskip(NEXT) | instid1(VALU_DEP_1)
	v_dual_sub_f32 v103, v15, v9 :: v_dual_sub_f32 v8, v8, v14
	v_sub_f32_e32 v105, v15, v103
	v_sub_f32_e32 v13, v13, v103
	s_delay_alu instid0(VALU_DEP_3) | instskip(NEXT) | instid1(VALU_DEP_3)
	v_add_f32_e32 v14, v17, v8
	v_sub_f32_e32 v9, v9, v105
	s_delay_alu instid0(VALU_DEP_1) | instskip(NEXT) | instid1(VALU_DEP_3)
	v_add_f32_e32 v9, v13, v9
	v_sub_f32_e32 v13, v14, v17
	s_delay_alu instid0(VALU_DEP_2) | instskip(NEXT) | instid1(VALU_DEP_2)
	v_add_f32_e32 v9, v14, v9
	v_sub_f32_e32 v14, v14, v13
	v_sub_f32_e32 v8, v8, v13
	s_delay_alu instid0(VALU_DEP_3) | instskip(NEXT) | instid1(VALU_DEP_1)
	v_add_f32_e32 v102, v15, v9
	v_dual_sub_f32 v14, v17, v14 :: v_dual_sub_f32 v13, v102, v15
	s_delay_alu instid0(VALU_DEP_1) | instskip(NEXT) | instid1(VALU_DEP_1)
	v_dual_add_f32 v8, v8, v14 :: v_dual_sub_f32 v9, v9, v13
	v_add_f32_e32 v8, v8, v9
	s_delay_alu instid0(VALU_DEP_1) | instskip(NEXT) | instid1(VALU_DEP_1)
	v_add_f32_e32 v8, v102, v8
	v_cndmask_b32_e32 v122, v8, v12, vcc_lo
.LBB93_100:                             ;   in Loop: Header=BB93_12 Depth=1
	s_or_b32 exec_lo, exec_lo, s30
	v_lshrrev_b32_e32 v8, 16, v10
	s_delay_alu instid0(VALU_DEP_1) | instskip(NEXT) | instid1(VALU_DEP_1)
	v_cvt_f32_f16_e32 v8, v8
	v_add_f32_e32 v123, s69, v8
	s_delay_alu instid0(VALU_DEP_1) | instskip(SKIP_1) | instid1(SALU_CYCLE_1)
	v_cmp_ge_f32_e32 vcc_lo, 0x41a00000, v123
	s_and_b32 s29, s80, vcc_lo
	s_and_saveexec_b32 s30, s29
	s_cbranch_execz .LBB93_102
; %bb.101:                              ;   in Loop: Header=BB93_12 Depth=1
	v_mul_f32_e32 v8, 0x3fb8aa3b, v123
	v_cmp_ngt_f32_e32 vcc_lo, 0xc2ce8ed0, v123
	s_delay_alu instid0(VALU_DEP_2) | instskip(SKIP_1) | instid1(VALU_DEP_2)
	v_rndne_f32_e32 v9, v8
	v_fma_f32 v10, 0x3fb8aa3b, v123, -v8
	v_sub_f32_e32 v8, v8, v9
	s_delay_alu instid0(VALU_DEP_2) | instskip(SKIP_1) | instid1(VALU_DEP_2)
	v_fmac_f32_e32 v10, 0x32a5705f, v123
	v_cvt_i32_f32_e32 v9, v9
	v_add_f32_e32 v8, v8, v10
	s_delay_alu instid0(VALU_DEP_1) | instskip(SKIP_2) | instid1(VALU_DEP_1)
	v_exp_f32_e32 v8, v8
	s_waitcnt_depctr 0xfff
	v_ldexp_f32 v8, v8, v9
	v_cndmask_b32_e32 v8, 0, v8, vcc_lo
	v_cmp_nlt_f32_e32 vcc_lo, 0x42b17218, v123
	s_delay_alu instid0(VALU_DEP_2) | instskip(NEXT) | instid1(VALU_DEP_1)
	v_cndmask_b32_e32 v10, 0x7f800000, v8, vcc_lo
	v_add_f32_e32 v12, 1.0, v10
	s_delay_alu instid0(VALU_DEP_1) | instskip(NEXT) | instid1(VALU_DEP_1)
	v_cvt_f64_f32_e32 v[8:9], v12
	v_frexp_exp_i32_f64_e32 v8, v[8:9]
	v_frexp_mant_f32_e32 v9, v12
	s_delay_alu instid0(VALU_DEP_1) | instskip(SKIP_1) | instid1(VALU_DEP_1)
	v_cmp_gt_f32_e32 vcc_lo, 0x3f2aaaab, v9
	v_add_f32_e32 v9, -1.0, v12
	v_dual_sub_f32 v14, v9, v12 :: v_dual_sub_f32 v9, v10, v9
	v_subrev_co_ci_u32_e32 v8, vcc_lo, 0, v8, vcc_lo
	s_delay_alu instid0(VALU_DEP_1) | instskip(SKIP_1) | instid1(VALU_DEP_2)
	v_sub_nc_u32_e32 v13, 0, v8
	v_cvt_f32_i32_e32 v8, v8
	v_ldexp_f32 v12, v12, v13
	s_delay_alu instid0(VALU_DEP_1) | instskip(NEXT) | instid1(VALU_DEP_1)
	v_dual_add_f32 v14, 1.0, v14 :: v_dual_add_f32 v15, 1.0, v12
	v_add_f32_e32 v9, v9, v14
	s_delay_alu instid0(VALU_DEP_1) | instskip(NEXT) | instid1(VALU_DEP_3)
	v_ldexp_f32 v9, v9, v13
	v_dual_add_f32 v13, -1.0, v12 :: v_dual_add_f32 v14, -1.0, v15
	s_delay_alu instid0(VALU_DEP_1) | instskip(NEXT) | instid1(VALU_DEP_1)
	v_dual_add_f32 v17, 1.0, v13 :: v_dual_sub_f32 v14, v12, v14
	v_sub_f32_e32 v12, v12, v17
	s_delay_alu instid0(VALU_DEP_2) | instskip(NEXT) | instid1(VALU_DEP_2)
	v_add_f32_e32 v14, v9, v14
	v_add_f32_e32 v9, v9, v12
	s_delay_alu instid0(VALU_DEP_2) | instskip(SKIP_2) | instid1(VALU_DEP_3)
	v_add_f32_e32 v17, v15, v14
	v_cmp_eq_f32_e32 vcc_lo, 0x7f800000, v10
	v_cmp_gt_f32_e64 s29, 0x33800000, v10
	v_rcp_f32_e32 v12, v17
	v_sub_f32_e32 v15, v15, v17
	s_delay_alu instid0(VALU_DEP_2) | instskip(NEXT) | instid1(VALU_DEP_1)
	s_or_b32 vcc_lo, s29, vcc_lo
	v_add_f32_e32 v14, v14, v15
	v_add_f32_e32 v102, v13, v9
	s_waitcnt_depctr 0xfff
	v_mul_f32_e32 v103, v102, v12
	s_delay_alu instid0(VALU_DEP_1) | instskip(NEXT) | instid1(VALU_DEP_1)
	v_mul_f32_e32 v105, v17, v103
	v_fma_f32 v15, v103, v17, -v105
	s_delay_alu instid0(VALU_DEP_1) | instskip(SKIP_1) | instid1(VALU_DEP_2)
	v_fmac_f32_e32 v15, v103, v14
	v_sub_f32_e32 v13, v13, v102
	v_add_f32_e32 v106, v105, v15
	s_delay_alu instid0(VALU_DEP_2) | instskip(NEXT) | instid1(VALU_DEP_2)
	v_add_f32_e32 v9, v9, v13
	v_sub_f32_e32 v107, v102, v106
	v_sub_f32_e32 v13, v106, v105
	s_delay_alu instid0(VALU_DEP_2) | instskip(NEXT) | instid1(VALU_DEP_1)
	v_sub_f32_e32 v102, v102, v107
	v_dual_sub_f32 v13, v13, v15 :: v_dual_sub_f32 v102, v102, v106
	s_delay_alu instid0(VALU_DEP_1) | instskip(NEXT) | instid1(VALU_DEP_1)
	v_add_f32_e32 v9, v9, v102
	v_add_f32_e32 v9, v13, v9
	s_delay_alu instid0(VALU_DEP_1) | instskip(NEXT) | instid1(VALU_DEP_1)
	v_add_f32_e32 v13, v107, v9
	v_mul_f32_e32 v15, v12, v13
	v_sub_f32_e32 v106, v107, v13
	s_delay_alu instid0(VALU_DEP_2) | instskip(NEXT) | instid1(VALU_DEP_1)
	v_mul_f32_e32 v102, v17, v15
	v_fma_f32 v17, v15, v17, -v102
	s_delay_alu instid0(VALU_DEP_1) | instskip(NEXT) | instid1(VALU_DEP_1)
	v_fmac_f32_e32 v17, v15, v14
	v_add_f32_e32 v14, v102, v17
	s_delay_alu instid0(VALU_DEP_1) | instskip(SKIP_2) | instid1(VALU_DEP_3)
	v_sub_f32_e32 v105, v13, v14
	v_sub_f32_e32 v102, v14, v102
	v_add_f32_e32 v9, v9, v106
	v_sub_f32_e32 v13, v13, v105
	s_delay_alu instid0(VALU_DEP_1) | instskip(NEXT) | instid1(VALU_DEP_1)
	v_dual_sub_f32 v13, v13, v14 :: v_dual_sub_f32 v14, v102, v17
	v_add_f32_e32 v9, v9, v13
	v_add_f32_e32 v13, v103, v15
	s_delay_alu instid0(VALU_DEP_1) | instskip(NEXT) | instid1(VALU_DEP_1)
	v_dual_add_f32 v9, v14, v9 :: v_dual_sub_f32 v14, v13, v103
	v_dual_add_f32 v9, v105, v9 :: v_dual_sub_f32 v14, v15, v14
	s_delay_alu instid0(VALU_DEP_1) | instskip(NEXT) | instid1(VALU_DEP_1)
	v_mul_f32_e32 v9, v12, v9
	v_add_f32_e32 v9, v14, v9
	s_delay_alu instid0(VALU_DEP_1) | instskip(NEXT) | instid1(VALU_DEP_1)
	v_add_f32_e32 v12, v13, v9
	v_mul_f32_e32 v14, v12, v12
	s_delay_alu instid0(VALU_DEP_1) | instskip(NEXT) | instid1(VALU_DEP_1)
	v_fmaak_f32 v15, s84, v14, 0x3ecc95a3
	v_dual_mul_f32 v17, v12, v14 :: v_dual_fmaak_f32 v14, v14, v15, 0x3f2aaada
	v_ldexp_f32 v15, v12, 1
	s_delay_alu instid0(VALU_DEP_2) | instskip(SKIP_1) | instid1(VALU_DEP_2)
	v_mul_f32_e32 v14, v17, v14
	v_dual_sub_f32 v12, v12, v13 :: v_dual_mul_f32 v17, 0x3f317218, v8
	v_add_f32_e32 v13, v15, v14
	s_delay_alu instid0(VALU_DEP_2) | instskip(NEXT) | instid1(VALU_DEP_2)
	v_sub_f32_e32 v9, v9, v12
	v_sub_f32_e32 v12, v13, v15
	s_delay_alu instid0(VALU_DEP_4) | instskip(NEXT) | instid1(VALU_DEP_3)
	v_fma_f32 v15, 0x3f317218, v8, -v17
	v_ldexp_f32 v9, v9, 1
	s_delay_alu instid0(VALU_DEP_3) | instskip(NEXT) | instid1(VALU_DEP_3)
	v_sub_f32_e32 v12, v14, v12
	v_fmac_f32_e32 v15, 0xb102e308, v8
	s_delay_alu instid0(VALU_DEP_2) | instskip(NEXT) | instid1(VALU_DEP_1)
	v_add_f32_e32 v8, v9, v12
	v_add_f32_e32 v12, v13, v8
	s_delay_alu instid0(VALU_DEP_1) | instskip(NEXT) | instid1(VALU_DEP_1)
	v_sub_f32_e32 v13, v12, v13
	v_dual_sub_f32 v8, v8, v13 :: v_dual_add_f32 v9, v17, v15
	s_delay_alu instid0(VALU_DEP_1) | instskip(NEXT) | instid1(VALU_DEP_1)
	v_add_f32_e32 v14, v9, v12
	v_sub_f32_e32 v102, v14, v9
	s_delay_alu instid0(VALU_DEP_1) | instskip(NEXT) | instid1(VALU_DEP_1)
	v_dual_sub_f32 v17, v9, v17 :: v_dual_sub_f32 v12, v12, v102
	v_sub_f32_e32 v15, v15, v17
	s_delay_alu instid0(VALU_DEP_1) | instskip(SKIP_1) | instid1(VALU_DEP_1)
	v_add_f32_e32 v13, v15, v8
	v_sub_f32_e32 v103, v14, v102
	v_sub_f32_e32 v9, v9, v103
	s_delay_alu instid0(VALU_DEP_1) | instskip(NEXT) | instid1(VALU_DEP_1)
	v_dual_add_f32 v9, v12, v9 :: v_dual_sub_f32 v12, v13, v15
	v_add_f32_e32 v9, v13, v9
	s_delay_alu instid0(VALU_DEP_2) | instskip(NEXT) | instid1(VALU_DEP_2)
	v_sub_f32_e32 v13, v13, v12
	v_dual_sub_f32 v8, v8, v12 :: v_dual_add_f32 v17, v14, v9
	s_delay_alu instid0(VALU_DEP_1) | instskip(NEXT) | instid1(VALU_DEP_1)
	v_dual_sub_f32 v13, v15, v13 :: v_dual_sub_f32 v12, v17, v14
	v_dual_add_f32 v8, v8, v13 :: v_dual_sub_f32 v9, v9, v12
	s_delay_alu instid0(VALU_DEP_1) | instskip(NEXT) | instid1(VALU_DEP_1)
	v_add_f32_e32 v8, v8, v9
	v_add_f32_e32 v8, v17, v8
	s_delay_alu instid0(VALU_DEP_1)
	v_cndmask_b32_e32 v123, v8, v10, vcc_lo
.LBB93_102:                             ;   in Loop: Header=BB93_12 Depth=1
	s_or_b32 exec_lo, exec_lo, s30
	v_cvt_f32_f16_e32 v8, v11
	s_delay_alu instid0(VALU_DEP_1) | instskip(NEXT) | instid1(VALU_DEP_1)
	v_add_f32_e32 v124, s69, v8
	v_cmp_ge_f32_e32 vcc_lo, 0x41a00000, v124
	s_and_b32 s29, s80, vcc_lo
	s_delay_alu instid0(SALU_CYCLE_1)
	s_and_saveexec_b32 s30, s29
	s_cbranch_execz .LBB93_104
; %bb.103:                              ;   in Loop: Header=BB93_12 Depth=1
	v_mul_f32_e32 v8, 0x3fb8aa3b, v124
	v_cmp_ngt_f32_e32 vcc_lo, 0xc2ce8ed0, v124
	s_delay_alu instid0(VALU_DEP_2) | instskip(SKIP_1) | instid1(VALU_DEP_2)
	v_rndne_f32_e32 v9, v8
	v_fma_f32 v10, 0x3fb8aa3b, v124, -v8
	v_sub_f32_e32 v8, v8, v9
	s_delay_alu instid0(VALU_DEP_2) | instskip(SKIP_1) | instid1(VALU_DEP_2)
	v_fmac_f32_e32 v10, 0x32a5705f, v124
	v_cvt_i32_f32_e32 v9, v9
	v_add_f32_e32 v8, v8, v10
	s_delay_alu instid0(VALU_DEP_1) | instskip(SKIP_2) | instid1(VALU_DEP_1)
	v_exp_f32_e32 v8, v8
	s_waitcnt_depctr 0xfff
	v_ldexp_f32 v8, v8, v9
	v_cndmask_b32_e32 v8, 0, v8, vcc_lo
	v_cmp_nlt_f32_e32 vcc_lo, 0x42b17218, v124
	s_delay_alu instid0(VALU_DEP_2) | instskip(NEXT) | instid1(VALU_DEP_1)
	v_cndmask_b32_e32 v10, 0x7f800000, v8, vcc_lo
	v_add_f32_e32 v12, 1.0, v10
	s_delay_alu instid0(VALU_DEP_1) | instskip(NEXT) | instid1(VALU_DEP_1)
	v_cvt_f64_f32_e32 v[8:9], v12
	v_frexp_exp_i32_f64_e32 v8, v[8:9]
	v_frexp_mant_f32_e32 v9, v12
	s_delay_alu instid0(VALU_DEP_1) | instskip(SKIP_1) | instid1(VALU_DEP_1)
	v_cmp_gt_f32_e32 vcc_lo, 0x3f2aaaab, v9
	v_add_f32_e32 v9, -1.0, v12
	v_dual_sub_f32 v14, v9, v12 :: v_dual_sub_f32 v9, v10, v9
	v_subrev_co_ci_u32_e32 v8, vcc_lo, 0, v8, vcc_lo
	s_delay_alu instid0(VALU_DEP_1) | instskip(SKIP_1) | instid1(VALU_DEP_2)
	v_sub_nc_u32_e32 v13, 0, v8
	v_cvt_f32_i32_e32 v8, v8
	v_ldexp_f32 v12, v12, v13
	s_delay_alu instid0(VALU_DEP_1) | instskip(NEXT) | instid1(VALU_DEP_1)
	v_dual_add_f32 v14, 1.0, v14 :: v_dual_add_f32 v15, 1.0, v12
	v_add_f32_e32 v9, v9, v14
	s_delay_alu instid0(VALU_DEP_1) | instskip(NEXT) | instid1(VALU_DEP_3)
	v_ldexp_f32 v9, v9, v13
	v_dual_add_f32 v13, -1.0, v12 :: v_dual_add_f32 v14, -1.0, v15
	s_delay_alu instid0(VALU_DEP_1) | instskip(NEXT) | instid1(VALU_DEP_1)
	v_dual_add_f32 v17, 1.0, v13 :: v_dual_sub_f32 v14, v12, v14
	v_sub_f32_e32 v12, v12, v17
	s_delay_alu instid0(VALU_DEP_2) | instskip(NEXT) | instid1(VALU_DEP_2)
	v_add_f32_e32 v14, v9, v14
	v_add_f32_e32 v9, v9, v12
	s_delay_alu instid0(VALU_DEP_2) | instskip(SKIP_2) | instid1(VALU_DEP_3)
	v_add_f32_e32 v17, v15, v14
	v_cmp_eq_f32_e32 vcc_lo, 0x7f800000, v10
	v_cmp_gt_f32_e64 s29, 0x33800000, v10
	v_rcp_f32_e32 v12, v17
	v_sub_f32_e32 v15, v15, v17
	s_delay_alu instid0(VALU_DEP_2) | instskip(NEXT) | instid1(VALU_DEP_1)
	s_or_b32 vcc_lo, s29, vcc_lo
	v_add_f32_e32 v14, v14, v15
	v_add_f32_e32 v102, v13, v9
	s_waitcnt_depctr 0xfff
	v_mul_f32_e32 v103, v102, v12
	s_delay_alu instid0(VALU_DEP_1) | instskip(NEXT) | instid1(VALU_DEP_1)
	v_mul_f32_e32 v105, v17, v103
	v_fma_f32 v15, v103, v17, -v105
	s_delay_alu instid0(VALU_DEP_1) | instskip(SKIP_1) | instid1(VALU_DEP_2)
	v_fmac_f32_e32 v15, v103, v14
	v_sub_f32_e32 v13, v13, v102
	v_add_f32_e32 v106, v105, v15
	s_delay_alu instid0(VALU_DEP_2) | instskip(NEXT) | instid1(VALU_DEP_2)
	v_add_f32_e32 v9, v9, v13
	v_sub_f32_e32 v107, v102, v106
	v_sub_f32_e32 v13, v106, v105
	s_delay_alu instid0(VALU_DEP_2) | instskip(NEXT) | instid1(VALU_DEP_1)
	v_sub_f32_e32 v102, v102, v107
	v_dual_sub_f32 v13, v13, v15 :: v_dual_sub_f32 v102, v102, v106
	s_delay_alu instid0(VALU_DEP_1) | instskip(NEXT) | instid1(VALU_DEP_1)
	v_add_f32_e32 v9, v9, v102
	v_add_f32_e32 v9, v13, v9
	s_delay_alu instid0(VALU_DEP_1) | instskip(NEXT) | instid1(VALU_DEP_1)
	v_add_f32_e32 v13, v107, v9
	v_mul_f32_e32 v15, v12, v13
	v_sub_f32_e32 v106, v107, v13
	s_delay_alu instid0(VALU_DEP_2) | instskip(NEXT) | instid1(VALU_DEP_1)
	v_mul_f32_e32 v102, v17, v15
	v_fma_f32 v17, v15, v17, -v102
	s_delay_alu instid0(VALU_DEP_1) | instskip(NEXT) | instid1(VALU_DEP_1)
	v_fmac_f32_e32 v17, v15, v14
	v_add_f32_e32 v14, v102, v17
	s_delay_alu instid0(VALU_DEP_1) | instskip(SKIP_2) | instid1(VALU_DEP_3)
	v_sub_f32_e32 v105, v13, v14
	v_sub_f32_e32 v102, v14, v102
	v_add_f32_e32 v9, v9, v106
	v_sub_f32_e32 v13, v13, v105
	s_delay_alu instid0(VALU_DEP_1) | instskip(NEXT) | instid1(VALU_DEP_1)
	v_dual_sub_f32 v13, v13, v14 :: v_dual_sub_f32 v14, v102, v17
	v_add_f32_e32 v9, v9, v13
	v_add_f32_e32 v13, v103, v15
	s_delay_alu instid0(VALU_DEP_1) | instskip(NEXT) | instid1(VALU_DEP_1)
	v_dual_add_f32 v9, v14, v9 :: v_dual_sub_f32 v14, v13, v103
	v_dual_add_f32 v9, v105, v9 :: v_dual_sub_f32 v14, v15, v14
	s_delay_alu instid0(VALU_DEP_1) | instskip(NEXT) | instid1(VALU_DEP_1)
	v_mul_f32_e32 v9, v12, v9
	v_add_f32_e32 v9, v14, v9
	s_delay_alu instid0(VALU_DEP_1) | instskip(NEXT) | instid1(VALU_DEP_1)
	v_add_f32_e32 v12, v13, v9
	v_mul_f32_e32 v14, v12, v12
	s_delay_alu instid0(VALU_DEP_1) | instskip(NEXT) | instid1(VALU_DEP_1)
	v_fmaak_f32 v15, s84, v14, 0x3ecc95a3
	v_dual_mul_f32 v17, v12, v14 :: v_dual_fmaak_f32 v14, v14, v15, 0x3f2aaada
	v_ldexp_f32 v15, v12, 1
	s_delay_alu instid0(VALU_DEP_2) | instskip(SKIP_1) | instid1(VALU_DEP_2)
	v_mul_f32_e32 v14, v17, v14
	v_dual_sub_f32 v12, v12, v13 :: v_dual_mul_f32 v17, 0x3f317218, v8
	v_add_f32_e32 v13, v15, v14
	s_delay_alu instid0(VALU_DEP_2) | instskip(NEXT) | instid1(VALU_DEP_2)
	v_sub_f32_e32 v9, v9, v12
	v_sub_f32_e32 v12, v13, v15
	s_delay_alu instid0(VALU_DEP_4) | instskip(NEXT) | instid1(VALU_DEP_3)
	v_fma_f32 v15, 0x3f317218, v8, -v17
	v_ldexp_f32 v9, v9, 1
	s_delay_alu instid0(VALU_DEP_3) | instskip(NEXT) | instid1(VALU_DEP_3)
	v_sub_f32_e32 v12, v14, v12
	v_fmac_f32_e32 v15, 0xb102e308, v8
	s_delay_alu instid0(VALU_DEP_2) | instskip(NEXT) | instid1(VALU_DEP_1)
	v_add_f32_e32 v8, v9, v12
	v_add_f32_e32 v12, v13, v8
	s_delay_alu instid0(VALU_DEP_1) | instskip(NEXT) | instid1(VALU_DEP_1)
	v_sub_f32_e32 v13, v12, v13
	v_dual_sub_f32 v8, v8, v13 :: v_dual_add_f32 v9, v17, v15
	s_delay_alu instid0(VALU_DEP_1) | instskip(NEXT) | instid1(VALU_DEP_1)
	v_add_f32_e32 v14, v9, v12
	v_sub_f32_e32 v102, v14, v9
	s_delay_alu instid0(VALU_DEP_1) | instskip(NEXT) | instid1(VALU_DEP_1)
	v_dual_sub_f32 v17, v9, v17 :: v_dual_sub_f32 v12, v12, v102
	v_sub_f32_e32 v15, v15, v17
	s_delay_alu instid0(VALU_DEP_1) | instskip(SKIP_1) | instid1(VALU_DEP_1)
	v_add_f32_e32 v13, v15, v8
	v_sub_f32_e32 v103, v14, v102
	v_sub_f32_e32 v9, v9, v103
	s_delay_alu instid0(VALU_DEP_1) | instskip(NEXT) | instid1(VALU_DEP_1)
	v_dual_add_f32 v9, v12, v9 :: v_dual_sub_f32 v12, v13, v15
	v_add_f32_e32 v9, v13, v9
	s_delay_alu instid0(VALU_DEP_2) | instskip(NEXT) | instid1(VALU_DEP_2)
	v_sub_f32_e32 v13, v13, v12
	v_dual_sub_f32 v8, v8, v12 :: v_dual_add_f32 v17, v14, v9
	s_delay_alu instid0(VALU_DEP_1) | instskip(NEXT) | instid1(VALU_DEP_1)
	v_dual_sub_f32 v13, v15, v13 :: v_dual_sub_f32 v12, v17, v14
	v_dual_add_f32 v8, v8, v13 :: v_dual_sub_f32 v9, v9, v12
	s_delay_alu instid0(VALU_DEP_1) | instskip(NEXT) | instid1(VALU_DEP_1)
	v_add_f32_e32 v8, v8, v9
	v_add_f32_e32 v8, v17, v8
	s_delay_alu instid0(VALU_DEP_1)
	v_cndmask_b32_e32 v124, v8, v10, vcc_lo
.LBB93_104:                             ;   in Loop: Header=BB93_12 Depth=1
	s_or_b32 exec_lo, exec_lo, s30
	v_lshrrev_b32_e32 v8, 16, v11
	s_delay_alu instid0(VALU_DEP_1) | instskip(NEXT) | instid1(VALU_DEP_1)
	v_cvt_f32_f16_e32 v8, v8
	v_add_f32_e32 v125, s69, v8
	s_delay_alu instid0(VALU_DEP_1) | instskip(SKIP_1) | instid1(SALU_CYCLE_1)
	v_cmp_ge_f32_e32 vcc_lo, 0x41a00000, v125
	s_and_b32 s29, s80, vcc_lo
	s_and_saveexec_b32 s30, s29
	s_cbranch_execz .LBB93_106
; %bb.105:                              ;   in Loop: Header=BB93_12 Depth=1
	v_mul_f32_e32 v8, 0x3fb8aa3b, v125
	v_cmp_ngt_f32_e32 vcc_lo, 0xc2ce8ed0, v125
	s_delay_alu instid0(VALU_DEP_2) | instskip(SKIP_1) | instid1(VALU_DEP_2)
	v_rndne_f32_e32 v9, v8
	v_fma_f32 v10, 0x3fb8aa3b, v125, -v8
	v_sub_f32_e32 v8, v8, v9
	s_delay_alu instid0(VALU_DEP_2) | instskip(SKIP_1) | instid1(VALU_DEP_2)
	v_fmac_f32_e32 v10, 0x32a5705f, v125
	v_cvt_i32_f32_e32 v9, v9
	v_add_f32_e32 v8, v8, v10
	s_delay_alu instid0(VALU_DEP_1) | instskip(SKIP_2) | instid1(VALU_DEP_1)
	v_exp_f32_e32 v8, v8
	s_waitcnt_depctr 0xfff
	v_ldexp_f32 v8, v8, v9
	v_cndmask_b32_e32 v8, 0, v8, vcc_lo
	v_cmp_nlt_f32_e32 vcc_lo, 0x42b17218, v125
	s_delay_alu instid0(VALU_DEP_2) | instskip(NEXT) | instid1(VALU_DEP_1)
	v_cndmask_b32_e32 v10, 0x7f800000, v8, vcc_lo
	v_add_f32_e32 v11, 1.0, v10
	s_delay_alu instid0(VALU_DEP_1) | instskip(NEXT) | instid1(VALU_DEP_1)
	v_cvt_f64_f32_e32 v[8:9], v11
	v_frexp_exp_i32_f64_e32 v8, v[8:9]
	v_frexp_mant_f32_e32 v9, v11
	s_delay_alu instid0(VALU_DEP_1) | instskip(SKIP_1) | instid1(VALU_DEP_1)
	v_cmp_gt_f32_e32 vcc_lo, 0x3f2aaaab, v9
	v_add_f32_e32 v9, -1.0, v11
	v_sub_f32_e32 v13, v9, v11
	v_sub_f32_e32 v9, v10, v9
	s_delay_alu instid0(VALU_DEP_2) | instskip(NEXT) | instid1(VALU_DEP_1)
	v_add_f32_e32 v13, 1.0, v13
	v_add_f32_e32 v9, v9, v13
	v_cmp_gt_f32_e64 s29, 0x33800000, v10
	v_subrev_co_ci_u32_e32 v8, vcc_lo, 0, v8, vcc_lo
	v_cmp_eq_f32_e32 vcc_lo, 0x7f800000, v10
	s_delay_alu instid0(VALU_DEP_2) | instskip(SKIP_2) | instid1(VALU_DEP_2)
	v_sub_nc_u32_e32 v12, 0, v8
	v_cvt_f32_i32_e32 v8, v8
	s_or_b32 vcc_lo, s29, vcc_lo
	v_ldexp_f32 v11, v11, v12
	v_ldexp_f32 v9, v9, v12
	s_delay_alu instid0(VALU_DEP_2) | instskip(NEXT) | instid1(VALU_DEP_1)
	v_add_f32_e32 v14, 1.0, v11
	v_dual_add_f32 v12, -1.0, v11 :: v_dual_add_f32 v13, -1.0, v14
	s_delay_alu instid0(VALU_DEP_1) | instskip(NEXT) | instid1(VALU_DEP_2)
	v_add_f32_e32 v15, 1.0, v12
	v_sub_f32_e32 v13, v11, v13
	s_delay_alu instid0(VALU_DEP_2) | instskip(NEXT) | instid1(VALU_DEP_2)
	v_sub_f32_e32 v11, v11, v15
	v_add_f32_e32 v13, v9, v13
	s_delay_alu instid0(VALU_DEP_2) | instskip(NEXT) | instid1(VALU_DEP_2)
	v_add_f32_e32 v9, v9, v11
	v_add_f32_e32 v15, v14, v13
	s_delay_alu instid0(VALU_DEP_1) | instskip(NEXT) | instid1(VALU_DEP_2)
	v_rcp_f32_e32 v11, v15
	v_dual_add_f32 v17, v12, v9 :: v_dual_sub_f32 v14, v14, v15
	s_delay_alu instid0(VALU_DEP_1) | instskip(SKIP_2) | instid1(VALU_DEP_1)
	v_dual_sub_f32 v12, v12, v17 :: v_dual_add_f32 v13, v13, v14
	s_waitcnt_depctr 0xfff
	v_mul_f32_e32 v102, v17, v11
	v_mul_f32_e32 v103, v15, v102
	s_delay_alu instid0(VALU_DEP_1) | instskip(NEXT) | instid1(VALU_DEP_1)
	v_fma_f32 v14, v102, v15, -v103
	v_dual_fmac_f32 v14, v102, v13 :: v_dual_add_f32 v9, v9, v12
	s_delay_alu instid0(VALU_DEP_1) | instskip(NEXT) | instid1(VALU_DEP_1)
	v_add_f32_e32 v105, v103, v14
	v_sub_f32_e32 v106, v17, v105
	v_sub_f32_e32 v12, v105, v103
	s_delay_alu instid0(VALU_DEP_2) | instskip(NEXT) | instid1(VALU_DEP_1)
	v_sub_f32_e32 v17, v17, v106
	v_dual_sub_f32 v12, v12, v14 :: v_dual_sub_f32 v17, v17, v105
	s_delay_alu instid0(VALU_DEP_1) | instskip(NEXT) | instid1(VALU_DEP_1)
	v_add_f32_e32 v9, v9, v17
	v_add_f32_e32 v9, v12, v9
	s_delay_alu instid0(VALU_DEP_1) | instskip(NEXT) | instid1(VALU_DEP_1)
	v_add_f32_e32 v12, v106, v9
	v_mul_f32_e32 v14, v11, v12
	v_sub_f32_e32 v105, v106, v12
	s_delay_alu instid0(VALU_DEP_2) | instskip(NEXT) | instid1(VALU_DEP_2)
	v_mul_f32_e32 v17, v15, v14
	v_add_f32_e32 v9, v9, v105
	s_delay_alu instid0(VALU_DEP_2) | instskip(NEXT) | instid1(VALU_DEP_1)
	v_fma_f32 v15, v14, v15, -v17
	v_fmac_f32_e32 v15, v14, v13
	s_delay_alu instid0(VALU_DEP_1) | instskip(NEXT) | instid1(VALU_DEP_1)
	v_add_f32_e32 v13, v17, v15
	v_sub_f32_e32 v103, v12, v13
	s_delay_alu instid0(VALU_DEP_1) | instskip(NEXT) | instid1(VALU_DEP_1)
	v_dual_sub_f32 v17, v13, v17 :: v_dual_sub_f32 v12, v12, v103
	v_dual_sub_f32 v12, v12, v13 :: v_dual_sub_f32 v13, v17, v15
	s_delay_alu instid0(VALU_DEP_1) | instskip(NEXT) | instid1(VALU_DEP_1)
	v_dual_add_f32 v9, v9, v12 :: v_dual_add_f32 v12, v102, v14
	v_add_f32_e32 v9, v13, v9
	s_delay_alu instid0(VALU_DEP_2) | instskip(NEXT) | instid1(VALU_DEP_2)
	v_sub_f32_e32 v13, v12, v102
	v_add_f32_e32 v9, v103, v9
	s_delay_alu instid0(VALU_DEP_2) | instskip(NEXT) | instid1(VALU_DEP_2)
	v_sub_f32_e32 v13, v14, v13
	v_mul_f32_e32 v9, v11, v9
	s_delay_alu instid0(VALU_DEP_1) | instskip(NEXT) | instid1(VALU_DEP_1)
	v_add_f32_e32 v9, v13, v9
	v_add_f32_e32 v11, v12, v9
	s_delay_alu instid0(VALU_DEP_1) | instskip(NEXT) | instid1(VALU_DEP_1)
	v_mul_f32_e32 v13, v11, v11
	v_fmaak_f32 v14, s84, v13, 0x3ecc95a3
	v_mul_f32_e32 v15, v11, v13
	s_delay_alu instid0(VALU_DEP_2) | instskip(SKIP_2) | instid1(VALU_DEP_3)
	v_fmaak_f32 v13, v13, v14, 0x3f2aaada
	v_ldexp_f32 v14, v11, 1
	v_sub_f32_e32 v11, v11, v12
	v_mul_f32_e32 v13, v15, v13
	v_mul_f32_e32 v15, 0x3f317218, v8
	s_delay_alu instid0(VALU_DEP_2) | instskip(NEXT) | instid1(VALU_DEP_1)
	v_dual_sub_f32 v9, v9, v11 :: v_dual_add_f32 v12, v14, v13
	v_ldexp_f32 v9, v9, 1
	s_delay_alu instid0(VALU_DEP_2) | instskip(NEXT) | instid1(VALU_DEP_4)
	v_sub_f32_e32 v11, v12, v14
	v_fma_f32 v14, 0x3f317218, v8, -v15
	s_delay_alu instid0(VALU_DEP_1) | instskip(NEXT) | instid1(VALU_DEP_1)
	v_dual_sub_f32 v11, v13, v11 :: v_dual_fmac_f32 v14, 0xb102e308, v8
	v_dual_add_f32 v8, v9, v11 :: v_dual_add_f32 v9, v15, v14
	s_delay_alu instid0(VALU_DEP_1) | instskip(NEXT) | instid1(VALU_DEP_2)
	v_add_f32_e32 v11, v12, v8
	v_sub_f32_e32 v15, v9, v15
	s_delay_alu instid0(VALU_DEP_2) | instskip(NEXT) | instid1(VALU_DEP_1)
	v_dual_add_f32 v13, v9, v11 :: v_dual_sub_f32 v12, v11, v12
	v_dual_sub_f32 v14, v14, v15 :: v_dual_sub_f32 v17, v13, v9
	s_delay_alu instid0(VALU_DEP_2) | instskip(NEXT) | instid1(VALU_DEP_2)
	v_sub_f32_e32 v8, v8, v12
	v_sub_f32_e32 v102, v13, v17
	s_delay_alu instid0(VALU_DEP_2) | instskip(NEXT) | instid1(VALU_DEP_2)
	v_dual_sub_f32 v11, v11, v17 :: v_dual_add_f32 v12, v14, v8
	v_sub_f32_e32 v9, v9, v102
	s_delay_alu instid0(VALU_DEP_1) | instskip(NEXT) | instid1(VALU_DEP_3)
	v_add_f32_e32 v9, v11, v9
	v_sub_f32_e32 v11, v12, v14
	s_delay_alu instid0(VALU_DEP_2) | instskip(NEXT) | instid1(VALU_DEP_2)
	v_add_f32_e32 v9, v12, v9
	v_sub_f32_e32 v12, v12, v11
	s_delay_alu instid0(VALU_DEP_2) | instskip(NEXT) | instid1(VALU_DEP_1)
	v_dual_sub_f32 v8, v8, v11 :: v_dual_add_f32 v15, v13, v9
	v_dual_sub_f32 v12, v14, v12 :: v_dual_sub_f32 v11, v15, v13
	s_delay_alu instid0(VALU_DEP_1) | instskip(NEXT) | instid1(VALU_DEP_1)
	v_dual_add_f32 v8, v8, v12 :: v_dual_sub_f32 v9, v9, v11
	v_add_f32_e32 v8, v8, v9
	s_delay_alu instid0(VALU_DEP_1) | instskip(NEXT) | instid1(VALU_DEP_1)
	v_add_f32_e32 v8, v15, v8
	v_cndmask_b32_e32 v125, v8, v10, vcc_lo
.LBB93_106:                             ;   in Loop: Header=BB93_12 Depth=1
	s_or_b32 exec_lo, exec_lo, s30
	v_lshrrev_b32_e32 v9, 16, v6
	v_lshrrev_b32_e32 v10, 16, v7
	;; [unrolled: 1-line block ×6, first 2 shown]
	v_cvt_f32_f16_e32 v8, v7
	v_cvt_f32_f16_e32 v7, v9
	;; [unrolled: 1-line block ×7, first 2 shown]
	v_lshrrev_b32_e32 v14, 16, v1
	v_lshrrev_b32_e32 v15, 16, v0
	v_cvt_f32_f16_e32 v6, v6
	v_cvt_f32_f16_e32 v5, v5
	v_cvt_f32_f16_e32 v4, v4
	v_cvt_f32_f16_e32 v3, v3
	v_cvt_f32_f16_e32 v2, v2
	v_cvt_f32_f16_e32 v14, v14
	v_cvt_f32_f16_e32 v1, v1
	v_cvt_f32_f16_e32 v15, v15
	v_cvt_f32_f16_e32 v0, v0
	v_dual_mul_f32 v106, s70, v8 :: v_dual_mul_f32 v107, s70, v6
	v_dual_mul_f32 v102, s70, v7 :: v_dual_mul_f32 v103, s70, v9
	;; [unrolled: 1-line block ×7, first 2 shown]
	v_mul_f32_e32 v113, s70, v15
	v_mul_f32_e32 v112, s70, v11
	s_and_b32 vcc_lo, exec_lo, s81
	s_barrier
	buffer_gl0_inv
	s_cbranch_vccz .LBB93_204
; %bb.107:                              ;   in Loop: Header=BB93_12 Depth=1
	v_dual_mul_f32 v126, v125, v11 :: v_dual_mul_f32 v131, v124, v8
	v_add_co_u32 v11, s29, s61, v16
	s_delay_alu instid0(VALU_DEP_1) | instskip(SKIP_1) | instid1(VALU_DEP_1)
	v_add_co_ci_u32_e64 v17, null, s62, 0, s29
	v_add_co_u32 v16, s29, s75, v16
	v_add_co_ci_u32_e64 v130, null, s76, 0, s29
	s_delay_alu instid0(VALU_DEP_4) | instskip(NEXT) | instid1(VALU_DEP_4)
	v_add_co_u32 v127, vcc_lo, v11, v93
	v_add_co_ci_u32_e32 v128, vcc_lo, 0, v17, vcc_lo
	s_delay_alu instid0(VALU_DEP_4) | instskip(NEXT) | instid1(VALU_DEP_4)
	v_add_co_u32 v129, vcc_lo, v16, v93
	v_add_co_ci_u32_e32 v130, vcc_lo, 0, v130, vcc_lo
	v_cmp_gt_u32_e32 vcc_lo, s41, v18
	s_cmp_lg_u32 s88, 0
	v_cmp_gt_u32_e64 s31, s41, v79
	s_cselect_b32 s51, -1, 0
	s_cmp_eq_u32 s88, s83
	v_cmp_gt_u32_e64 s33, s41, v80
	s_cselect_b32 s89, -1, 0
	s_or_b32 s29, s82, vcc_lo
	v_cmp_gt_u32_e32 vcc_lo, s41, v78
	v_cmp_gt_u32_e64 s34, s41, v81
	v_cmp_gt_u32_e64 s35, s41, v82
	;; [unrolled: 1-line block ×4, first 2 shown]
	s_or_b32 s30, s82, vcc_lo
	v_cmp_gt_u32_e32 vcc_lo, s41, v83
	v_cmp_gt_u32_e64 s39, s41, v86
	v_cmp_gt_u32_e64 s40, s41, v87
	;; [unrolled: 1-line block ×4, first 2 shown]
	s_or_b32 s36, s82, vcc_lo
	v_cmp_gt_u32_e32 vcc_lo, s41, v88
	v_cmp_gt_u32_e64 s44, s41, v91
	v_cmp_gt_u32_e64 s45, s41, v92
	v_dual_mul_f32 v132, v123, v7 :: v_dual_mul_f32 v133, v122, v6
	v_dual_mul_f32 v134, v121, v9 :: v_dual_mul_f32 v137, v104, v4
	;; [unrolled: 1-line block ×7, first 2 shown]
	s_mov_b32 s66, 0
	s_or_b32 s31, s82, s31
	s_or_b32 s33, s82, s33
	s_or_b32 s34, s82, s34
	s_or_b32 s35, s82, s35
	s_or_b32 s37, s82, s37
	s_or_b32 s38, s82, s38
	s_or_b32 s39, s82, s39
	s_or_b32 s40, s82, s40
	s_or_b32 s41, s82, vcc_lo
	s_or_b32 s42, s82, s42
	s_or_b32 s43, s82, s43
	;; [unrolled: 1-line block ×4, first 2 shown]
	s_mov_b32 s52, s66
	s_mov_b32 s54, s66
	;; [unrolled: 1-line block ×5, first 2 shown]
	s_branch .LBB93_109
.LBB93_108:                             ;   in Loop: Header=BB93_109 Depth=2
	s_or_b32 exec_lo, exec_lo, s46
	v_cndmask_b32_e64 v9, v175, v11, s12
	v_cndmask_b32_e64 v10, v174, v10, s12
	s_add_i32 s90, s90, -1
	s_add_i32 s91, s91, 8
	s_add_i32 s58, s58, s49
	v_fma_f32 v9, v9, v146, v15
	v_mul_f32_e32 v10, v10, v146
	s_add_i32 s54, s54, s48
	s_add_i32 s52, s52, s60
	;; [unrolled: 1-line block ×3, first 2 shown]
	v_cndmask_b32_e64 v9, v9, v15, s11
	v_cndmask_b32_e64 v10, v10, v146, s11
	s_cmp_eq_u32 s90, 0
	s_waitcnt lgkmcnt(0)
	s_delay_alu instid0(VALU_DEP_1) | instskip(NEXT) | instid1(VALU_DEP_1)
	v_fmac_f32_e32 v9, v8, v10
	v_fmac_f32_e32 v12, v9, v148
	s_delay_alu instid0(VALU_DEP_1) | instskip(NEXT) | instid1(VALU_DEP_1)
	v_fmac_f32_e32 v13, v12, v150
	v_fmac_f32_e32 v14, v13, v152
	v_fma_mix_f32 v120, v9, v4, v120 op_sel_hi:[0,1,0]
	s_delay_alu instid0(VALU_DEP_2) | instskip(SKIP_2) | instid1(VALU_DEP_3)
	v_fmac_f32_e32 v147, v14, v154
	v_fma_mix_f32 v113, v12, v4, v113 op_sel:[0,1,0] op_sel_hi:[0,1,0]
	v_fma_mix_f32 v114, v14, v5, v114 op_sel:[0,1,0] op_sel_hi:[0,1,0]
	v_fmac_f32_e32 v149, v147, v155
	v_fma_mix_f32 v117, v147, v6, v117 op_sel_hi:[0,1,0]
	s_delay_alu instid0(VALU_DEP_2) | instskip(SKIP_1) | instid1(VALU_DEP_2)
	v_fmac_f32_e32 v151, v149, v157
	v_fma_mix_f32 v110, v149, v6, v110 op_sel:[0,1,0] op_sel_hi:[0,1,0]
	v_fmac_f32_e32 v153, v151, v160
	s_delay_alu instid0(VALU_DEP_1) | instskip(SKIP_1) | instid1(VALU_DEP_2)
	v_fmac_f32_e32 v156, v153, v161
	v_fma_mix_f32 v119, v13, v5, v119 op_sel_hi:[0,1,0]
	v_fmac_f32_e32 v158, v156, v162
	v_fma_mix_f32 v116, v151, v7, v116 op_sel_hi:[0,1,0]
	v_fma_mix_f32 v111, v156, v0, v111 op_sel_hi:[0,1,0]
	s_delay_alu instid0(VALU_DEP_3) | instskip(SKIP_1) | instid1(VALU_DEP_2)
	v_fmac_f32_e32 v159, v158, v163
	v_fma_mix_f32 v105, v158, v0, v105 op_sel:[0,1,0] op_sel_hi:[0,1,0]
	v_fmac_f32_e32 v164, v159, v170
	v_fma_mix_f32 v108, v159, v1, v108 op_sel_hi:[0,1,0]
	s_delay_alu instid0(VALU_DEP_2) | instskip(NEXT) | instid1(VALU_DEP_1)
	v_fmac_f32_e32 v165, v164, v167
	v_fmac_f32_e32 v166, v165, v169
	v_fma_mix_f32 v109, v153, v7, v109 op_sel:[0,1,0] op_sel_hi:[0,1,0]
	s_delay_alu instid0(VALU_DEP_2) | instskip(SKIP_2) | instid1(VALU_DEP_3)
	v_fmac_f32_e32 v168, v166, v172
	v_fma_mix_f32 v107, v165, v2, v107 op_sel_hi:[0,1,0]
	v_fma_mix_f32 v102, v166, v2, v102 op_sel:[0,1,0] op_sel_hi:[0,1,0]
	v_fmac_f32_e32 v171, v168, v173
	v_fma_mix_f32 v103, v164, v1, v103 op_sel:[0,1,0] op_sel_hi:[0,1,0]
	v_fma_mix_f32 v106, v168, v3, v106 op_sel_hi:[0,1,0]
	s_delay_alu instid0(VALU_DEP_3)
	v_fma_mix_f32 v112, v171, v3, v112 op_sel:[0,1,0] op_sel_hi:[0,1,0]
	s_cbranch_scc1 .LBB93_204
.LBB93_109:                             ;   Parent Loop BB93_12 Depth=1
                                        ; =>  This Inner Loop Header: Depth=2
	s_lshl_b64 s[46:47], s[66:67], 2
	s_mov_b32 s53, s67
	s_add_u32 s46, s73, s46
	s_addc_u32 s47, s74, s47
	v_dual_mov_b32 v2, 0 :: v_dual_mov_b32 v3, 0
	global_load_b32 v146, v21, s[46:47]
	s_lshl_b64 s[46:47], s[52:53], 1
	s_delay_alu instid0(SALU_CYCLE_1)
	v_add_co_u32 v0, vcc_lo, v127, s46
	v_add_co_ci_u32_e32 v1, vcc_lo, s47, v128, vcc_lo
	s_and_saveexec_b32 s46, s13
	s_cbranch_execnz .LBB93_145
; %bb.110:                              ;   in Loop: Header=BB93_109 Depth=2
	s_or_b32 exec_lo, exec_lo, s46
	s_and_saveexec_b32 s46, s14
	s_cbranch_execnz .LBB93_146
.LBB93_111:                             ;   in Loop: Header=BB93_109 Depth=2
	s_or_b32 exec_lo, exec_lo, s46
	v_mov_b32_e32 v4, 0
	s_and_saveexec_b32 s46, s15
	s_cbranch_execnz .LBB93_147
.LBB93_112:                             ;   in Loop: Header=BB93_109 Depth=2
	s_or_b32 exec_lo, exec_lo, s46
	s_and_saveexec_b32 s46, s16
	s_cbranch_execnz .LBB93_148
.LBB93_113:                             ;   in Loop: Header=BB93_109 Depth=2
	s_or_b32 exec_lo, exec_lo, s46
	v_mov_b32_e32 v5, 0
	s_and_saveexec_b32 s46, s17
	s_cbranch_execnz .LBB93_149
.LBB93_114:                             ;   in Loop: Header=BB93_109 Depth=2
	s_or_b32 exec_lo, exec_lo, s46
	s_and_saveexec_b32 s46, s18
	s_cbranch_execnz .LBB93_150
.LBB93_115:                             ;   in Loop: Header=BB93_109 Depth=2
	s_or_b32 exec_lo, exec_lo, s46
	v_mov_b32_e32 v6, 0
	s_and_saveexec_b32 s46, s19
	s_cbranch_execnz .LBB93_151
.LBB93_116:                             ;   in Loop: Header=BB93_109 Depth=2
	s_or_b32 exec_lo, exec_lo, s46
	s_and_saveexec_b32 s46, s20
	s_cbranch_execnz .LBB93_152
.LBB93_117:                             ;   in Loop: Header=BB93_109 Depth=2
	s_or_b32 exec_lo, exec_lo, s46
	v_mov_b32_e32 v7, 0
	s_and_saveexec_b32 s46, s21
	s_cbranch_execnz .LBB93_153
.LBB93_118:                             ;   in Loop: Header=BB93_109 Depth=2
	s_or_b32 exec_lo, exec_lo, s46
	s_and_saveexec_b32 s46, s22
	s_cbranch_execnz .LBB93_154
.LBB93_119:                             ;   in Loop: Header=BB93_109 Depth=2
	s_or_b32 exec_lo, exec_lo, s46
	v_mov_b32_e32 v8, 0
	s_and_saveexec_b32 s46, s23
	s_cbranch_execnz .LBB93_155
.LBB93_120:                             ;   in Loop: Header=BB93_109 Depth=2
	s_or_b32 exec_lo, exec_lo, s46
	s_and_saveexec_b32 s46, s24
	s_cbranch_execnz .LBB93_156
.LBB93_121:                             ;   in Loop: Header=BB93_109 Depth=2
	s_or_b32 exec_lo, exec_lo, s46
	v_mov_b32_e32 v9, 0
	s_and_saveexec_b32 s46, s25
	s_cbranch_execnz .LBB93_157
.LBB93_122:                             ;   in Loop: Header=BB93_109 Depth=2
	s_or_b32 exec_lo, exec_lo, s46
	s_and_saveexec_b32 s46, s26
	s_cbranch_execnz .LBB93_158
.LBB93_123:                             ;   in Loop: Header=BB93_109 Depth=2
	s_or_b32 exec_lo, exec_lo, s46
	v_mov_b32_e32 v10, 0
	s_and_saveexec_b32 s46, s27
	s_cbranch_execnz .LBB93_159
.LBB93_124:                             ;   in Loop: Header=BB93_109 Depth=2
	s_or_b32 exec_lo, exec_lo, s46
	s_and_saveexec_b32 s46, s28
	s_cbranch_execz .LBB93_126
.LBB93_125:                             ;   in Loop: Header=BB93_109 Depth=2
	global_load_u16 v0, v[0:1], off offset:960
	s_waitcnt vmcnt(0)
	v_lshl_or_b32 v10, v0, 16, v10
.LBB93_126:                             ;   in Loop: Header=BB93_109 Depth=2
	s_or_b32 exec_lo, exec_lo, s46
	s_waitcnt vmcnt(0)
	ds_store_b16 v37, v3
	ds_store_b16 v37, v2 offset:64
	ds_store_b16 v38, v4 offset:128
	ds_store_b16_d16_hi v39, v4 offset:192
	ds_store_b16 v40, v5 offset:256
	ds_store_b16_d16_hi v41, v5 offset:320
	;; [unrolled: 2-line block ×7, first 2 shown]
	; wave barrier
	ds_load_b128 v[12:15], v52
	ds_load_b128 v[8:11], v52 offset:16
	s_mov_b32 s55, s67
	v_dual_mov_b32 v2, 0 :: v_dual_mov_b32 v3, 0
	s_lshl_b64 s[46:47], s[54:55], 1
	s_delay_alu instid0(SALU_CYCLE_1)
	v_add_co_u32 v0, vcc_lo, v129, s46
	v_add_co_ci_u32_e32 v1, vcc_lo, s47, v130, vcc_lo
	s_and_saveexec_b32 s46, s13
	s_cbranch_execnz .LBB93_160
; %bb.127:                              ;   in Loop: Header=BB93_109 Depth=2
	s_or_b32 exec_lo, exec_lo, s46
	s_and_saveexec_b32 s46, s14
	s_cbranch_execnz .LBB93_161
.LBB93_128:                             ;   in Loop: Header=BB93_109 Depth=2
	s_or_b32 exec_lo, exec_lo, s46
	v_mov_b32_e32 v4, 0
	s_and_saveexec_b32 s46, s15
	s_cbranch_execnz .LBB93_162
.LBB93_129:                             ;   in Loop: Header=BB93_109 Depth=2
	s_or_b32 exec_lo, exec_lo, s46
	s_and_saveexec_b32 s46, s16
	s_cbranch_execnz .LBB93_163
.LBB93_130:                             ;   in Loop: Header=BB93_109 Depth=2
	s_or_b32 exec_lo, exec_lo, s46
	v_mov_b32_e32 v5, 0
	s_and_saveexec_b32 s46, s17
	s_cbranch_execnz .LBB93_164
.LBB93_131:                             ;   in Loop: Header=BB93_109 Depth=2
	s_or_b32 exec_lo, exec_lo, s46
	s_and_saveexec_b32 s46, s18
	s_cbranch_execnz .LBB93_165
.LBB93_132:                             ;   in Loop: Header=BB93_109 Depth=2
	s_or_b32 exec_lo, exec_lo, s46
	v_mov_b32_e32 v6, 0
	s_and_saveexec_b32 s46, s19
	s_cbranch_execnz .LBB93_166
.LBB93_133:                             ;   in Loop: Header=BB93_109 Depth=2
	s_or_b32 exec_lo, exec_lo, s46
	s_and_saveexec_b32 s46, s20
	s_cbranch_execnz .LBB93_167
.LBB93_134:                             ;   in Loop: Header=BB93_109 Depth=2
	s_or_b32 exec_lo, exec_lo, s46
	v_mov_b32_e32 v7, 0
	s_and_saveexec_b32 s46, s21
	s_cbranch_execnz .LBB93_168
.LBB93_135:                             ;   in Loop: Header=BB93_109 Depth=2
	s_or_b32 exec_lo, exec_lo, s46
	s_and_saveexec_b32 s46, s22
	s_cbranch_execnz .LBB93_169
.LBB93_136:                             ;   in Loop: Header=BB93_109 Depth=2
	s_or_b32 exec_lo, exec_lo, s46
	v_mov_b32_e32 v16, 0
	s_and_saveexec_b32 s46, s23
	s_cbranch_execnz .LBB93_170
.LBB93_137:                             ;   in Loop: Header=BB93_109 Depth=2
	s_or_b32 exec_lo, exec_lo, s46
	s_and_saveexec_b32 s46, s24
	s_cbranch_execnz .LBB93_171
.LBB93_138:                             ;   in Loop: Header=BB93_109 Depth=2
	s_or_b32 exec_lo, exec_lo, s46
	v_mov_b32_e32 v17, 0
	s_and_saveexec_b32 s46, s25
	s_cbranch_execnz .LBB93_172
.LBB93_139:                             ;   in Loop: Header=BB93_109 Depth=2
	s_or_b32 exec_lo, exec_lo, s46
	s_and_saveexec_b32 s46, s26
	s_cbranch_execnz .LBB93_173
.LBB93_140:                             ;   in Loop: Header=BB93_109 Depth=2
	s_or_b32 exec_lo, exec_lo, s46
	v_mov_b32_e32 v147, 0
	s_and_saveexec_b32 s46, s27
	s_cbranch_execnz .LBB93_174
.LBB93_141:                             ;   in Loop: Header=BB93_109 Depth=2
	s_or_b32 exec_lo, exec_lo, s46
	s_and_saveexec_b32 s46, s28
	s_cbranch_execz .LBB93_143
.LBB93_142:                             ;   in Loop: Header=BB93_109 Depth=2
	global_load_u16 v0, v[0:1], off offset:960
	s_waitcnt vmcnt(0)
	v_lshl_or_b32 v147, v0, 16, v147
.LBB93_143:                             ;   in Loop: Header=BB93_109 Depth=2
	s_or_b32 exec_lo, exec_lo, s46
	s_waitcnt vmcnt(0)
	ds_store_b16 v37, v3 offset:4224
	ds_store_b16 v53, v2 offset:64
	;; [unrolled: 1-line block ×3, first 2 shown]
	ds_store_b16_d16_hi v55, v4 offset:192
	ds_store_b16 v56, v5 offset:256
	ds_store_b16_d16_hi v57, v5 offset:320
	ds_store_b16 v58, v6 offset:384
	ds_store_b16_d16_hi v59, v6 offset:448
	ds_store_b16 v60, v7 offset:512
	ds_store_b16_d16_hi v61, v7 offset:576
	ds_store_b16 v62, v16 offset:640
	ds_store_b16_d16_hi v63, v16 offset:704
	ds_store_b16 v64, v17 offset:768
	ds_store_b16_d16_hi v65, v17 offset:832
	ds_store_b16 v66, v147 offset:896
	ds_store_b16_d16_hi v67, v147 offset:960
	; wave barrier
	ds_load_b128 v[4:7], v52 offset:4224
	ds_load_b128 v[0:3], v68 offset:16
	s_and_not1_b32 vcc_lo, exec_lo, s51
	s_cbranch_vccnz .LBB93_175
; %bb.144:                              ;   in Loop: Header=BB93_109 Depth=2
	v_mov_b32_e32 v16, s91
	ds_load_b64 v[16:17], v16
	s_cbranch_execz .LBB93_176
	s_branch .LBB93_179
.LBB93_145:                             ;   in Loop: Header=BB93_109 Depth=2
	global_load_u16 v3, v[0:1], off
	s_or_b32 exec_lo, exec_lo, s46
	s_and_saveexec_b32 s46, s14
	s_cbranch_execz .LBB93_111
.LBB93_146:                             ;   in Loop: Header=BB93_109 Depth=2
	global_load_u16 v2, v[0:1], off offset:64
	s_or_b32 exec_lo, exec_lo, s46
	v_mov_b32_e32 v4, 0
	s_and_saveexec_b32 s46, s15
	s_cbranch_execz .LBB93_112
.LBB93_147:                             ;   in Loop: Header=BB93_109 Depth=2
	global_load_u16 v4, v[0:1], off offset:128
	s_or_b32 exec_lo, exec_lo, s46
	s_and_saveexec_b32 s46, s16
	s_cbranch_execz .LBB93_113
.LBB93_148:                             ;   in Loop: Header=BB93_109 Depth=2
	global_load_u16 v5, v[0:1], off offset:192
	s_waitcnt vmcnt(0)
	v_lshl_or_b32 v4, v5, 16, v4
	s_or_b32 exec_lo, exec_lo, s46
	v_mov_b32_e32 v5, 0
	s_and_saveexec_b32 s46, s17
	s_cbranch_execz .LBB93_114
.LBB93_149:                             ;   in Loop: Header=BB93_109 Depth=2
	global_load_u16 v5, v[0:1], off offset:256
	s_or_b32 exec_lo, exec_lo, s46
	s_and_saveexec_b32 s46, s18
	s_cbranch_execz .LBB93_115
.LBB93_150:                             ;   in Loop: Header=BB93_109 Depth=2
	global_load_u16 v6, v[0:1], off offset:320
	s_waitcnt vmcnt(0)
	v_lshl_or_b32 v5, v6, 16, v5
	s_or_b32 exec_lo, exec_lo, s46
	v_mov_b32_e32 v6, 0
	s_and_saveexec_b32 s46, s19
	s_cbranch_execz .LBB93_116
.LBB93_151:                             ;   in Loop: Header=BB93_109 Depth=2
	global_load_u16 v6, v[0:1], off offset:384
	s_or_b32 exec_lo, exec_lo, s46
	s_and_saveexec_b32 s46, s20
	s_cbranch_execz .LBB93_117
.LBB93_152:                             ;   in Loop: Header=BB93_109 Depth=2
	global_load_u16 v7, v[0:1], off offset:448
	s_waitcnt vmcnt(0)
	v_lshl_or_b32 v6, v7, 16, v6
	s_or_b32 exec_lo, exec_lo, s46
	v_mov_b32_e32 v7, 0
	s_and_saveexec_b32 s46, s21
	s_cbranch_execz .LBB93_118
.LBB93_153:                             ;   in Loop: Header=BB93_109 Depth=2
	global_load_u16 v7, v[0:1], off offset:512
	s_or_b32 exec_lo, exec_lo, s46
	s_and_saveexec_b32 s46, s22
	s_cbranch_execz .LBB93_119
.LBB93_154:                             ;   in Loop: Header=BB93_109 Depth=2
	global_load_u16 v8, v[0:1], off offset:576
	s_waitcnt vmcnt(0)
	v_lshl_or_b32 v7, v8, 16, v7
	s_or_b32 exec_lo, exec_lo, s46
	v_mov_b32_e32 v8, 0
	s_and_saveexec_b32 s46, s23
	s_cbranch_execz .LBB93_120
.LBB93_155:                             ;   in Loop: Header=BB93_109 Depth=2
	global_load_u16 v8, v[0:1], off offset:640
	s_or_b32 exec_lo, exec_lo, s46
	s_and_saveexec_b32 s46, s24
	s_cbranch_execz .LBB93_121
.LBB93_156:                             ;   in Loop: Header=BB93_109 Depth=2
	global_load_u16 v9, v[0:1], off offset:704
	s_waitcnt vmcnt(0)
	v_lshl_or_b32 v8, v9, 16, v8
	s_or_b32 exec_lo, exec_lo, s46
	v_mov_b32_e32 v9, 0
	s_and_saveexec_b32 s46, s25
	s_cbranch_execz .LBB93_122
.LBB93_157:                             ;   in Loop: Header=BB93_109 Depth=2
	global_load_u16 v9, v[0:1], off offset:768
	s_or_b32 exec_lo, exec_lo, s46
	s_and_saveexec_b32 s46, s26
	s_cbranch_execz .LBB93_123
.LBB93_158:                             ;   in Loop: Header=BB93_109 Depth=2
	global_load_u16 v10, v[0:1], off offset:832
	s_waitcnt vmcnt(0)
	v_lshl_or_b32 v9, v10, 16, v9
	s_or_b32 exec_lo, exec_lo, s46
	v_mov_b32_e32 v10, 0
	s_and_saveexec_b32 s46, s27
	s_cbranch_execz .LBB93_124
.LBB93_159:                             ;   in Loop: Header=BB93_109 Depth=2
	global_load_u16 v10, v[0:1], off offset:896
	s_or_b32 exec_lo, exec_lo, s46
	s_and_saveexec_b32 s46, s28
	s_cbranch_execnz .LBB93_125
	s_branch .LBB93_126
.LBB93_160:                             ;   in Loop: Header=BB93_109 Depth=2
	global_load_u16 v3, v[0:1], off
	s_or_b32 exec_lo, exec_lo, s46
	s_and_saveexec_b32 s46, s14
	s_cbranch_execz .LBB93_128
.LBB93_161:                             ;   in Loop: Header=BB93_109 Depth=2
	global_load_u16 v2, v[0:1], off offset:64
	s_or_b32 exec_lo, exec_lo, s46
	v_mov_b32_e32 v4, 0
	s_and_saveexec_b32 s46, s15
	s_cbranch_execz .LBB93_129
.LBB93_162:                             ;   in Loop: Header=BB93_109 Depth=2
	global_load_u16 v4, v[0:1], off offset:128
	s_or_b32 exec_lo, exec_lo, s46
	s_and_saveexec_b32 s46, s16
	s_cbranch_execz .LBB93_130
.LBB93_163:                             ;   in Loop: Header=BB93_109 Depth=2
	global_load_u16 v5, v[0:1], off offset:192
	s_waitcnt vmcnt(0)
	v_lshl_or_b32 v4, v5, 16, v4
	s_or_b32 exec_lo, exec_lo, s46
	v_mov_b32_e32 v5, 0
	s_and_saveexec_b32 s46, s17
	s_cbranch_execz .LBB93_131
.LBB93_164:                             ;   in Loop: Header=BB93_109 Depth=2
	global_load_u16 v5, v[0:1], off offset:256
	s_or_b32 exec_lo, exec_lo, s46
	s_and_saveexec_b32 s46, s18
	s_cbranch_execz .LBB93_132
.LBB93_165:                             ;   in Loop: Header=BB93_109 Depth=2
	global_load_u16 v6, v[0:1], off offset:320
	s_waitcnt vmcnt(0)
	v_lshl_or_b32 v5, v6, 16, v5
	s_or_b32 exec_lo, exec_lo, s46
	v_mov_b32_e32 v6, 0
	s_and_saveexec_b32 s46, s19
	s_cbranch_execz .LBB93_133
.LBB93_166:                             ;   in Loop: Header=BB93_109 Depth=2
	global_load_u16 v6, v[0:1], off offset:384
	s_or_b32 exec_lo, exec_lo, s46
	s_and_saveexec_b32 s46, s20
	s_cbranch_execz .LBB93_134
.LBB93_167:                             ;   in Loop: Header=BB93_109 Depth=2
	global_load_u16 v7, v[0:1], off offset:448
	s_waitcnt vmcnt(0)
	v_lshl_or_b32 v6, v7, 16, v6
	s_or_b32 exec_lo, exec_lo, s46
	v_mov_b32_e32 v7, 0
	s_and_saveexec_b32 s46, s21
	s_cbranch_execz .LBB93_135
.LBB93_168:                             ;   in Loop: Header=BB93_109 Depth=2
	global_load_u16 v7, v[0:1], off offset:512
	s_or_b32 exec_lo, exec_lo, s46
	s_and_saveexec_b32 s46, s22
	s_cbranch_execz .LBB93_136
.LBB93_169:                             ;   in Loop: Header=BB93_109 Depth=2
	global_load_u16 v16, v[0:1], off offset:576
	s_waitcnt vmcnt(0)
	v_lshl_or_b32 v7, v16, 16, v7
	s_or_b32 exec_lo, exec_lo, s46
	v_mov_b32_e32 v16, 0
	s_and_saveexec_b32 s46, s23
	s_cbranch_execz .LBB93_137
.LBB93_170:                             ;   in Loop: Header=BB93_109 Depth=2
	global_load_u16 v16, v[0:1], off offset:640
	s_or_b32 exec_lo, exec_lo, s46
	s_and_saveexec_b32 s46, s24
	s_cbranch_execz .LBB93_138
.LBB93_171:                             ;   in Loop: Header=BB93_109 Depth=2
	global_load_u16 v17, v[0:1], off offset:704
	s_waitcnt vmcnt(0)
	v_lshl_or_b32 v16, v17, 16, v16
	s_or_b32 exec_lo, exec_lo, s46
	v_mov_b32_e32 v17, 0
	s_and_saveexec_b32 s46, s25
	s_cbranch_execz .LBB93_139
.LBB93_172:                             ;   in Loop: Header=BB93_109 Depth=2
	global_load_u16 v17, v[0:1], off offset:768
	s_or_b32 exec_lo, exec_lo, s46
	s_and_saveexec_b32 s46, s26
	s_cbranch_execz .LBB93_140
.LBB93_173:                             ;   in Loop: Header=BB93_109 Depth=2
	global_load_u16 v147, v[0:1], off offset:832
	s_waitcnt vmcnt(0)
	v_lshl_or_b32 v17, v147, 16, v17
	s_or_b32 exec_lo, exec_lo, s46
	v_mov_b32_e32 v147, 0
	s_and_saveexec_b32 s46, s27
	s_cbranch_execz .LBB93_141
.LBB93_174:                             ;   in Loop: Header=BB93_109 Depth=2
	global_load_u16 v147, v[0:1], off offset:896
	s_or_b32 exec_lo, exec_lo, s46
	s_and_saveexec_b32 s46, s28
	s_cbranch_execnz .LBB93_142
	s_branch .LBB93_143
.LBB93_175:                             ;   in Loop: Header=BB93_109 Depth=2
                                        ; implicit-def: $vgpr16
.LBB93_176:                             ;   in Loop: Header=BB93_109 Depth=2
	s_waitcnt lgkmcnt(0)
	v_mov_b32_e32 v17, 0
	s_and_not1_b32 vcc_lo, exec_lo, s68
	s_cbranch_vccnz .LBB93_178
; %bb.177:                              ;   in Loop: Header=BB93_109 Depth=2
	s_mov_b32 s59, s67
	s_delay_alu instid0(SALU_CYCLE_1) | instskip(NEXT) | instid1(SALU_CYCLE_1)
	s_lshl_b64 s[46:47], s[58:59], 1
	s_add_u32 s46, s77, s46
	s_addc_u32 s47, s78, s47
	global_load_u16 v16, v21, s[46:47]
	s_waitcnt vmcnt(0)
	v_cvt_f32_f16_e32 v17, v16
.LBB93_178:                             ;   in Loop: Header=BB93_109 Depth=2
	v_mov_b32_e32 v16, 1.0
.LBB93_179:                             ;   in Loop: Header=BB93_109 Depth=2
	v_mul_f32_e32 v168, 0x3fb8aa3b, v146
	s_waitcnt lgkmcnt(19)
	v_lshrrev_b32_e32 v148, 16, v13
	v_lshrrev_b32_e32 v149, 16, v14
	v_cvt_f32_f16_e32 v13, v13
	v_cvt_f32_f16_e64 v156, v14
	v_mul_f32_e32 v14, v168, v94
	v_lshrrev_b32_e32 v147, 16, v12
	v_lshrrev_b32_e32 v150, 16, v15
	v_mul_f32_e32 v13, v143, v13
	v_cvt_f32_f16_e32 v12, v12
	v_cmp_gt_f32_e32 vcc_lo, 0xc2fc0000, v14
	v_cvt_f32_f16_e64 v157, v15
	v_mul_f32_e32 v15, v168, v95
	v_cvt_f32_f16_e64 v155, v148
	v_mul_f32_e32 v12, v145, v12
	v_cndmask_b32_e64 v14, 0, 0x42800000, vcc_lo
	v_mul_f32_e32 v146, v168, v96
	v_cmp_gt_f32_e64 s46, 0xc2fc0000, v15
	v_cndmask_b32_e64 v148, 1.0, 0x1f800000, vcc_lo
	s_waitcnt lgkmcnt(18)
	v_lshrrev_b32_e32 v151, 16, v8
	v_fmac_f32_e32 v14, v168, v94
	v_cvt_f32_f16_e64 v147, v147
	v_cndmask_b32_e64 v15, 0, 0x42800000, s46
	v_cvt_f32_f16_e64 v158, v150
	v_cmp_gt_f32_e32 vcc_lo, 0xc2fc0000, v146
	v_exp_f32_e32 v14, v14
	v_mul_f32_e32 v146, v168, v97
	v_fmac_f32_e32 v15, v168, v95
	v_cvt_f32_f16_e64 v159, v151
	v_cndmask_b32_e64 v151, 0, 0x42800000, vcc_lo
	v_lshrrev_b32_e32 v152, 16, v9
	v_lshrrev_b32_e32 v153, 16, v10
	;; [unrolled: 1-line block ×3, first 2 shown]
	v_cvt_f32_f16_e32 v9, v9
	v_cvt_f32_f16_e32 v8, v8
	v_mul_f32_e32 v14, v14, v148
	v_exp_f32_e32 v150, v15
	v_cndmask_b32_e64 v15, 0, v12, s29
	v_cndmask_b32_e64 v12, 1.0, 0x1f800000, s46
	v_cmp_gt_f32_e64 s46, 0xc2fc0000, v146
	v_cndmask_b32_e64 v146, 1.0, v14, s29
	v_mul_f32_e32 v14, v144, v147
	v_cvt_f32_f16_e64 v164, v152
	v_cvt_f32_f16_e64 v166, v153
	v_cndmask_b32_e64 v148, 0, 0x42800000, s46
	v_cvt_f32_f16_e64 v171, v154
	v_mul_f32_e32 v147, v150, v12
	v_cndmask_b32_e64 v12, 0, v14, s30
	v_cndmask_b32_e64 v14, 1.0, 0x1f800000, vcc_lo
	v_fmac_f32_e32 v151, v168, v96
	v_fmac_f32_e32 v148, v168, v97
	v_dual_mul_f32 v153, v168, v99 :: v_dual_mul_f32 v158, v138, v158
	v_dual_mul_f32 v154, v168, v100 :: v_dual_mul_f32 v9, v135, v9
	s_delay_alu instid0(VALU_DEP_4)
	v_exp_f32_e32 v150, v151
	v_mul_f32_e32 v151, v168, v98
	v_exp_f32_e32 v152, v148
	v_cndmask_b32_e64 v148, 1.0, v147, s30
	v_cndmask_b32_e64 v147, 1.0, 0x1f800000, s46
	v_cmp_gt_f32_e64 s46, 0xc2fc0000, v153
	v_cvt_f32_f16_e32 v10, v10
	v_cvt_f32_f16_e32 v11, v11
	v_mul_f32_e32 v169, v168, v122
	s_delay_alu instid0(TRANS32_DEP_2) | instskip(SKIP_1) | instid1(TRANS32_DEP_1)
	v_dual_mul_f32 v159, v136, v159 :: v_dual_mul_f32 v14, v150, v14
	v_cndmask_b32_e64 v153, 0, 0x42800000, s46
	v_dual_mul_f32 v147, v152, v147 :: v_dual_mul_f32 v10, v133, v10
	v_cndmask_b32_e64 v13, 0, v13, s31
	s_delay_alu instid0(VALU_DEP_4)
	v_cndmask_b32_e64 v150, 1.0, v14, s31
	v_mul_f32_e32 v14, v142, v155
	v_cmp_gt_f32_e32 vcc_lo, 0xc2fc0000, v151
	v_cndmask_b32_e64 v152, 1.0, v147, s33
	v_dual_fmac_f32 v153, v168, v99 :: v_dual_mul_f32 v8, v137, v8
	v_mul_f32_e32 v155, v168, v101
	v_cndmask_b32_e64 v151, 0, 0x42800000, vcc_lo
	v_cndmask_b32_e64 v147, 1.0, 0x1f800000, vcc_lo
	v_cmp_gt_f32_e32 vcc_lo, 0xc2fc0000, v154
	v_exp_f32_e32 v153, v153
	v_cmp_gt_f32_e64 s47, 0xc2fc0000, v155
	v_fmac_f32_e32 v151, v168, v98
	v_mul_f32_e32 v162, v168, v115
	v_cndmask_b32_e64 v154, 0, 0x42800000, vcc_lo
	v_cvt_f32_f16_e64 v149, v149
	v_cndmask_b32_e64 v155, 0, 0x42800000, s47
	v_exp_f32_e32 v151, v151
	v_cndmask_b32_e64 v14, 0, v14, s33
	v_dual_fmac_f32 v154, v168, v100 :: v_dual_mul_f32 v11, v131, v11
	s_delay_alu instid0(VALU_DEP_3) | instskip(SKIP_2) | instid1(VALU_DEP_4)
	v_fmac_f32_e32 v155, v168, v101
	v_mul_f32_e32 v170, v168, v123
	v_mul_f32_e32 v166, v132, v166
	v_exp_f32_e32 v160, v154
	s_delay_alu instid0(TRANS32_DEP_2)
	v_mul_f32_e32 v151, v151, v147
	v_mul_f32_e32 v147, v141, v156
	v_cndmask_b32_e64 v156, 1.0, 0x1f800000, s46
	v_cmp_gt_f32_e64 s46, 0xc2fc0000, v162
	v_mul_f32_e32 v162, v168, v121
	v_cndmask_b32_e64 v154, 1.0, v151, s34
	v_cndmask_b32_e64 v147, 0, v147, s34
	v_mul_f32_e32 v151, v153, v156
	v_cndmask_b32_e64 v153, 1.0, 0x1f800000, vcc_lo
	v_exp_f32_e32 v156, v155
	v_cndmask_b32_e64 v166, 0, v166, s43
	s_delay_alu instid0(VALU_DEP_3) | instskip(NEXT) | instid1(VALU_DEP_3)
	v_cndmask_b32_e64 v155, 1.0, v151, s35
	v_mul_f32_e32 v153, v160, v153
	v_mul_f32_e32 v151, v139, v157
	v_cndmask_b32_e64 v160, 1.0, 0x1f800000, s47
	s_delay_alu instid0(VALU_DEP_3)
	v_cndmask_b32_e64 v157, 1.0, v153, s36
	v_mul_f32_e32 v161, v168, v104
	v_cndmask_b32_e64 v153, 0, v158, s37
	v_mul_f32_e32 v158, v168, v118
	v_mul_f32_e32 v156, v156, v160
	v_cndmask_b32_e64 v151, 0, v151, s36
	v_cmp_gt_f32_e32 vcc_lo, 0xc2fc0000, v161
	s_delay_alu instid0(VALU_DEP_4) | instskip(NEXT) | instid1(VALU_DEP_4)
	v_cmp_gt_f32_e64 s47, 0xc2fc0000, v158
	v_cndmask_b32_e64 v160, 1.0, v156, s37
	v_cndmask_b32_e64 v161, 0, 0x42800000, vcc_lo
	v_cndmask_b32_e64 v163, 1.0, 0x1f800000, vcc_lo
	s_delay_alu instid0(VALU_DEP_4) | instskip(SKIP_1) | instid1(VALU_DEP_4)
	v_cndmask_b32_e64 v158, 0, 0x42800000, s47
	v_cmp_gt_f32_e32 vcc_lo, 0xc2fc0000, v162
	v_fmac_f32_e32 v161, v168, v104
	s_delay_alu instid0(VALU_DEP_3) | instskip(SKIP_1) | instid1(VALU_DEP_3)
	v_fmac_f32_e32 v158, v168, v118
	v_cndmask_b32_e64 v162, 0, 0x42800000, vcc_lo
	v_exp_f32_e32 v156, v161
	v_cndmask_b32_e64 v161, 0, 0x42800000, s46
	s_delay_alu instid0(VALU_DEP_2) | instskip(NEXT) | instid1(VALU_DEP_2)
	v_fmac_f32_e32 v162, v168, v121
	v_fmac_f32_e32 v161, v168, v115
	s_delay_alu instid0(VALU_DEP_2) | instskip(NEXT) | instid1(VALU_DEP_1)
	v_exp_f32_e32 v167, v162
	v_exp_f32_e32 v165, v161
	s_delay_alu instid0(TRANS32_DEP_3)
	v_mul_f32_e32 v161, v156, v163
	v_cndmask_b32_e64 v156, 0, v8, s38
	v_exp_f32_e32 v8, v158
	v_cndmask_b32_e64 v158, 1.0, 0x1f800000, s46
	v_cndmask_b32_e64 v163, 1.0, 0x1f800000, s47
	v_cmp_gt_f32_e64 s46, 0xc2fc0000, v170
	v_cndmask_b32_e64 v161, 1.0, v161, s38
	s_delay_alu instid0(TRANS32_DEP_2) | instid1(VALU_DEP_4)
	v_mul_f32_e32 v162, v165, v158
	v_cndmask_b32_e64 v165, 1.0, 0x1f800000, vcc_lo
	v_cmp_gt_f32_e32 vcc_lo, 0xc2fc0000, v169
	s_delay_alu instid0(TRANS32_DEP_1)
	v_mul_f32_e32 v8, v8, v163
	v_cndmask_b32_e64 v158, 0, v159, s39
	v_cndmask_b32_e64 v159, 0, v9, s40
	v_mul_f32_e32 v9, v134, v164
	v_fma_f32 v169, v148, v15, v12
	v_cndmask_b32_e64 v163, 1.0, v8, s40
	v_mul_f32_e32 v8, v167, v165
	v_cndmask_b32_e64 v165, 0, 0x42800000, vcc_lo
	v_mul_f32_e32 v167, v148, v146
	v_cndmask_b32_e64 v164, 0, v9, s41
	v_cndmask_b32_e64 v162, 1.0, v162, s39
	v_cndmask_b32_e64 v170, 1.0, v8, s41
	v_fmac_f32_e32 v165, v168, v122
	v_mul_f32_e32 v9, v167, v150
	v_fma_f32 v167, v169, v150, v13
	v_cndmask_b32_e64 v8, 1.0, 0x1f800000, vcc_lo
	v_cndmask_b32_e64 v169, 0, 0x42800000, s46
	v_exp_f32_e32 v165, v165
	v_mul_f32_e32 v149, v140, v149
	v_mul_f32_e32 v9, v9, v152
	v_fma_f32 v167, v167, v152, v14
	v_fmac_f32_e32 v169, v168, v123
	s_delay_alu instid0(VALU_DEP_3) | instskip(NEXT) | instid1(VALU_DEP_3)
	v_mul_f32_e32 v9, v9, v154
	v_fma_f32 v167, v167, v154, v147
	s_delay_alu instid0(VALU_DEP_3) | instskip(NEXT) | instid1(TRANS32_DEP_2)
	v_exp_f32_e32 v169, v169
	v_mul_f32_e32 v8, v165, v8
	v_cndmask_b32_e64 v149, 0, v149, s35
	v_mul_f32_e32 v9, v9, v155
	v_cndmask_b32_e64 v165, 0, v10, s42
	v_cndmask_b32_e64 v10, 1.0, 0x1f800000, s46
	s_delay_alu instid0(VALU_DEP_4)
	v_fma_f32 v172, v167, v155, v149
	v_cndmask_b32_e64 v167, 1.0, v8, s42
	v_mul_f32_e32 v8, v9, v157
	s_delay_alu instid0(TRANS32_DEP_1) | instid1(VALU_DEP_4)
	v_mul_f32_e32 v10, v169, v10
	s_delay_alu instid0(VALU_DEP_4) | instskip(SKIP_1) | instid1(VALU_DEP_4)
	v_fma_f32 v9, v172, v157, v151
	v_mul_f32_e32 v172, v168, v124
	v_mul_f32_e32 v8, v8, v160
	s_delay_alu instid0(VALU_DEP_3) | instskip(NEXT) | instid1(VALU_DEP_3)
	v_fma_f32 v9, v9, v160, v153
	v_cmp_gt_f32_e32 vcc_lo, 0xc2fc0000, v172
	v_mul_f32_e32 v172, v168, v125
	s_delay_alu instid0(VALU_DEP_4) | instskip(NEXT) | instid1(VALU_DEP_4)
	v_mul_f32_e32 v8, v8, v161
	v_fma_f32 v9, v9, v161, v156
	v_cndmask_b32_e64 v169, 0, 0x42800000, vcc_lo
	s_delay_alu instid0(VALU_DEP_4) | instskip(NEXT) | instid1(VALU_DEP_4)
	v_cmp_gt_f32_e64 s46, 0xc2fc0000, v172
	v_mul_f32_e32 v8, v8, v162
	s_delay_alu instid0(VALU_DEP_4) | instskip(NEXT) | instid1(VALU_DEP_4)
	v_fma_f32 v9, v9, v162, v158
	v_fmac_f32_e32 v169, v168, v124
	s_delay_alu instid0(VALU_DEP_4) | instskip(NEXT) | instid1(VALU_DEP_4)
	v_cndmask_b32_e64 v172, 0, 0x42800000, s46
	v_mul_f32_e32 v8, v8, v163
	s_delay_alu instid0(VALU_DEP_4) | instskip(NEXT) | instid1(VALU_DEP_4)
	v_fma_f32 v9, v9, v163, v159
	v_exp_f32_e32 v173, v169
	s_delay_alu instid0(VALU_DEP_3)
	v_fmac_f32_e32 v172, v168, v125
	v_cndmask_b32_e64 v169, 1.0, v10, s43
	v_cndmask_b32_e64 v10, 1.0, 0x1f800000, vcc_lo
	v_mul_f32_e32 v8, v8, v170
	v_fma_f32 v9, v9, v170, v164
	v_exp_f32_e32 v174, v172
	v_cndmask_b32_e64 v168, 0, v11, s44
	v_cndmask_b32_e64 v11, 1.0, 0x1f800000, s46
	v_mul_f32_e32 v8, v8, v167
	v_mul_f32_e32 v10, v173, v10
	v_fma_f32 v9, v9, v167, v165
	s_delay_alu instid0(VALU_DEP_3) | instskip(NEXT) | instid1(VALU_DEP_3)
	v_mul_f32_e32 v8, v8, v169
	v_cndmask_b32_e64 v172, 1.0, v10, s44
	v_mul_f32_e32 v10, v126, v171
	s_delay_alu instid0(TRANS32_DEP_1) | instskip(SKIP_1) | instid1(VALU_DEP_4)
	v_mul_f32_e32 v11, v174, v11
	v_fma_f32 v9, v9, v169, v166
	v_mul_f32_e32 v8, v8, v172
	s_delay_alu instid0(VALU_DEP_4) | instskip(NEXT) | instid1(VALU_DEP_4)
	v_cndmask_b32_e64 v171, 0, v10, s45
	v_cndmask_b32_e64 v173, 1.0, v11, s45
	s_delay_alu instid0(VALU_DEP_4) | instskip(NEXT) | instid1(VALU_DEP_2)
	v_fma_f32 v9, v9, v172, v168
	v_mul_f32_e32 v8, v8, v173
	s_delay_alu instid0(VALU_DEP_2) | instskip(NEXT) | instid1(VALU_DEP_2)
	v_fma_f32 v9, v9, v173, v171
	v_mov_b32_dpp v11, v8 row_shr:1 row_mask:0xf bank_mask:0xf
	s_delay_alu instid0(VALU_DEP_2)
	v_mov_b32_dpp v10, v9 row_shr:1 row_mask:0xf bank_mask:0xf
	s_and_saveexec_b32 s46, s0
; %bb.180:                              ;   in Loop: Header=BB93_109 Depth=2
	s_delay_alu instid0(VALU_DEP_2) | instskip(NEXT) | instid1(VALU_DEP_1)
	v_mul_f32_e32 v11, v8, v11
	v_dual_fmac_f32 v9, v8, v10 :: v_dual_mov_b32 v8, v11
; %bb.181:                              ;   in Loop: Header=BB93_109 Depth=2
	s_or_b32 exec_lo, exec_lo, s46
	s_delay_alu instid0(VALU_DEP_1) | instskip(NEXT) | instid1(VALU_DEP_2)
	v_mov_b32_dpp v10, v8 row_shr:2 row_mask:0xf bank_mask:0xf
	v_mov_b32_dpp v11, v9 row_shr:2 row_mask:0xf bank_mask:0xf
	s_and_saveexec_b32 s46, s1
; %bb.182:                              ;   in Loop: Header=BB93_109 Depth=2
	s_delay_alu instid0(VALU_DEP_1) | instskip(NEXT) | instid1(VALU_DEP_3)
	v_fmac_f32_e32 v9, v8, v11
	v_mul_f32_e32 v8, v8, v10
; %bb.183:                              ;   in Loop: Header=BB93_109 Depth=2
	s_or_b32 exec_lo, exec_lo, s46
	s_delay_alu instid0(VALU_DEP_1) | instskip(NEXT) | instid1(VALU_DEP_3)
	v_mov_b32_dpp v10, v8 row_shr:4 row_mask:0xf bank_mask:0xf
	v_mov_b32_dpp v11, v9 row_shr:4 row_mask:0xf bank_mask:0xf
	s_and_saveexec_b32 s46, s2
; %bb.184:                              ;   in Loop: Header=BB93_109 Depth=2
	s_delay_alu instid0(VALU_DEP_1) | instskip(NEXT) | instid1(VALU_DEP_3)
	v_fmac_f32_e32 v9, v8, v11
	v_mul_f32_e32 v8, v8, v10
; %bb.185:                              ;   in Loop: Header=BB93_109 Depth=2
	s_or_b32 exec_lo, exec_lo, s46
	s_delay_alu instid0(VALU_DEP_1) | instskip(NEXT) | instid1(VALU_DEP_3)
	v_mov_b32_dpp v10, v8 row_shr:8 row_mask:0xf bank_mask:0xf
	v_mov_b32_dpp v11, v9 row_shr:8 row_mask:0xf bank_mask:0xf
	s_and_saveexec_b32 s46, s3
; %bb.186:                              ;   in Loop: Header=BB93_109 Depth=2
	s_delay_alu instid0(VALU_DEP_1) | instskip(NEXT) | instid1(VALU_DEP_3)
	v_fmac_f32_e32 v9, v8, v11
	v_mul_f32_e32 v8, v8, v10
; %bb.187:                              ;   in Loop: Header=BB93_109 Depth=2
	s_or_b32 exec_lo, exec_lo, s46
	ds_swizzle_b32 v11, v8 offset:swizzle(BROADCAST,32,15)
	ds_swizzle_b32 v10, v9 offset:swizzle(BROADCAST,32,15)
	s_and_saveexec_b32 s46, s4
	s_cbranch_execz .LBB93_189
; %bb.188:                              ;   in Loop: Header=BB93_109 Depth=2
	s_waitcnt lgkmcnt(1)
	v_mul_f32_e32 v11, v8, v11
	s_waitcnt lgkmcnt(0)
	s_delay_alu instid0(VALU_DEP_1)
	v_dual_fmac_f32 v9, v8, v10 :: v_dual_mov_b32 v8, v11
.LBB93_189:                             ;   in Loop: Header=BB93_109 Depth=2
	s_or_b32 exec_lo, exec_lo, s46
	s_and_saveexec_b32 s46, s5
	s_cbranch_execz .LBB93_191
; %bb.190:                              ;   in Loop: Header=BB93_109 Depth=2
	ds_store_b64 v69, v[8:9] offset:8448
.LBB93_191:                             ;   in Loop: Header=BB93_109 Depth=2
	s_or_b32 exec_lo, exec_lo, s46
	s_waitcnt lgkmcnt(0)
	s_waitcnt_vscnt null, 0x0
	s_barrier
	buffer_gl0_inv
	s_and_saveexec_b32 s46, s6
	s_cbranch_execz .LBB93_195
; %bb.192:                              ;   in Loop: Header=BB93_109 Depth=2
	ds_load_b64 v[10:11], v70 offset:8448
	s_waitcnt lgkmcnt(0)
	v_mov_b32_dpp v176, v10 row_shr:1 row_mask:0xf bank_mask:0xf
	v_mov_b32_dpp v175, v11 row_shr:1 row_mask:0xf bank_mask:0xf
	v_mov_b32_e32 v174, v10
	s_and_saveexec_b32 s47, s7
; %bb.193:                              ;   in Loop: Header=BB93_109 Depth=2
	s_delay_alu instid0(VALU_DEP_3) | instskip(NEXT) | instid1(VALU_DEP_3)
	v_mul_f32_e32 v174, v10, v176
	v_fmac_f32_e32 v11, v10, v175
	s_delay_alu instid0(VALU_DEP_2)
	v_mov_b32_e32 v10, v174
; %bb.194:                              ;   in Loop: Header=BB93_109 Depth=2
	s_or_b32 exec_lo, exec_lo, s47
	v_mov_b32_dpp v174, v174 row_shr:2 row_mask:0xf bank_mask:0xf
	s_delay_alu instid0(VALU_DEP_3) | instskip(NEXT) | instid1(VALU_DEP_2)
	v_mov_b32_dpp v175, v11 row_shr:2 row_mask:0xf bank_mask:0xf
	v_mul_f32_e32 v174, v10, v174
	s_delay_alu instid0(VALU_DEP_2) | instskip(NEXT) | instid1(VALU_DEP_2)
	v_fma_f32 v175, v10, v175, v11
	v_cndmask_b32_e64 v10, v10, v174, s8
	s_delay_alu instid0(VALU_DEP_2)
	v_cndmask_b32_e64 v11, v11, v175, s8
	ds_store_b64 v70, v[10:11] offset:8448
.LBB93_195:                             ;   in Loop: Header=BB93_109 Depth=2
	s_or_b32 exec_lo, exec_lo, s46
	s_waitcnt lgkmcnt(0)
	s_barrier
	buffer_gl0_inv
                                        ; implicit-def: $vgpr11
	s_and_saveexec_b32 s46, s10
	s_cbranch_execz .LBB93_197
; %bb.196:                              ;   in Loop: Header=BB93_109 Depth=2
	ds_load_b64 v[10:11], v69 offset:8440
	s_waitcnt lgkmcnt(0)
	v_mul_f32_e32 v174, v8, v10
	s_delay_alu instid0(VALU_DEP_1)
	v_dual_fmac_f32 v9, v8, v11 :: v_dual_mov_b32 v8, v174
.LBB93_197:                             ;   in Loop: Header=BB93_109 Depth=2
	s_or_b32 exec_lo, exec_lo, s46
	ds_bpermute_b32 v174, v71, v8
	ds_bpermute_b32 v175, v71, v9
	s_and_saveexec_b32 s46, s9
	s_cbranch_execz .LBB93_201
; %bb.198:                              ;   in Loop: Header=BB93_109 Depth=2
	ds_load_b64 v[8:9], v21 offset:8472
	s_and_saveexec_b32 s47, s11
	s_cbranch_execz .LBB93_200
; %bb.199:                              ;   in Loop: Header=BB93_109 Depth=2
	ds_store_b64 v21, v[16:17] offset:8472
.LBB93_200:                             ;   in Loop: Header=BB93_109 Depth=2
	s_or_b32 exec_lo, exec_lo, s47
	s_waitcnt lgkmcnt(0)
	v_fmac_f32_e32 v9, v17, v8
	s_delay_alu instid0(VALU_DEP_1)
	v_dual_mul_f32 v16, v16, v8 :: v_dual_mov_b32 v17, v9
.LBB93_201:                             ;   in Loop: Header=BB93_109 Depth=2
	s_or_b32 exec_lo, exec_lo, s46
	s_waitcnt lgkmcnt(0)
	s_barrier
	buffer_gl0_inv
	ds_load_b32 v8, v21 offset:8476
	s_and_saveexec_b32 s46, s11
	s_cbranch_execz .LBB93_108
; %bb.202:                              ;   in Loop: Header=BB93_109 Depth=2
	v_mov_b32_e32 v9, s91
	s_and_not1_b32 vcc_lo, exec_lo, s89
	ds_store_b64 v9, v[16:17]
	s_cbranch_vccnz .LBB93_108
; %bb.203:                              ;   in Loop: Header=BB93_109 Depth=2
	s_mov_b32 s59, s67
	v_cvt_f16_f32_e32 v9, v17
	s_lshl_b64 s[92:93], s[58:59], 1
	s_delay_alu instid0(SALU_CYCLE_1)
	s_add_u32 s92, s77, s92
	s_addc_u32 s93, s78, s93
	global_store_b16 v21, v9, s[92:93]
	s_branch .LBB93_108
.LBB93_204:                             ;   in Loop: Header=BB93_12 Depth=1
	v_cvt_f16_f32_e32 v0, v120
	v_cvt_f16_f32_e32 v4, v113
	;; [unrolled: 1-line block ×16, first 2 shown]
	v_pack_b32_f16 v3, v3, v7
	v_pack_b32_f16 v2, v2, v6
	;; [unrolled: 1-line block ×8, first 2 shown]
	s_waitcnt_vscnt null, 0x0
	s_barrier
	buffer_gl0_inv
	ds_store_b128 v52, v[0:3]
	ds_store_b128 v52, v[4:7] offset:16
	; wave barrier
	ds_load_u16 v16, v37 offset:64
	ds_load_u16 v15, v38 offset:128
	;; [unrolled: 1-line block ×15, first 2 shown]
	s_mov_b32 s51, s67
	s_delay_alu instid0(SALU_CYCLE_1) | instskip(NEXT) | instid1(SALU_CYCLE_1)
	s_lshl_b64 s[34:35], s[50:51], 1
	v_add_co_u32 v0, vcc_lo, v72, s34
	v_add_co_ci_u32_e32 v1, vcc_lo, s35, v73, vcc_lo
	s_and_saveexec_b32 s29, s13
	s_cbranch_execnz .LBB93_271
; %bb.205:                              ;   in Loop: Header=BB93_12 Depth=1
	s_or_b32 exec_lo, exec_lo, s29
	s_and_saveexec_b32 s29, s14
	s_cbranch_execnz .LBB93_272
.LBB93_206:                             ;   in Loop: Header=BB93_12 Depth=1
	s_or_b32 exec_lo, exec_lo, s29
	s_and_saveexec_b32 s29, s15
	s_cbranch_execnz .LBB93_273
.LBB93_207:                             ;   in Loop: Header=BB93_12 Depth=1
	s_or_b32 exec_lo, exec_lo, s29
	s_and_saveexec_b32 s29, s16
	s_cbranch_execnz .LBB93_274
.LBB93_208:                             ;   in Loop: Header=BB93_12 Depth=1
	s_or_b32 exec_lo, exec_lo, s29
	s_and_saveexec_b32 s29, s17
	s_cbranch_execnz .LBB93_275
.LBB93_209:                             ;   in Loop: Header=BB93_12 Depth=1
	s_or_b32 exec_lo, exec_lo, s29
	s_and_saveexec_b32 s29, s18
	s_cbranch_execnz .LBB93_276
.LBB93_210:                             ;   in Loop: Header=BB93_12 Depth=1
	s_or_b32 exec_lo, exec_lo, s29
	s_and_saveexec_b32 s29, s19
	s_cbranch_execnz .LBB93_277
.LBB93_211:                             ;   in Loop: Header=BB93_12 Depth=1
	s_or_b32 exec_lo, exec_lo, s29
	s_and_saveexec_b32 s29, s20
	s_cbranch_execnz .LBB93_278
.LBB93_212:                             ;   in Loop: Header=BB93_12 Depth=1
	s_or_b32 exec_lo, exec_lo, s29
	s_and_saveexec_b32 s29, s21
	s_cbranch_execnz .LBB93_279
.LBB93_213:                             ;   in Loop: Header=BB93_12 Depth=1
	s_or_b32 exec_lo, exec_lo, s29
	s_and_saveexec_b32 s29, s22
	s_cbranch_execnz .LBB93_280
.LBB93_214:                             ;   in Loop: Header=BB93_12 Depth=1
	s_or_b32 exec_lo, exec_lo, s29
	s_and_saveexec_b32 s29, s23
	s_cbranch_execnz .LBB93_281
.LBB93_215:                             ;   in Loop: Header=BB93_12 Depth=1
	s_or_b32 exec_lo, exec_lo, s29
	s_and_saveexec_b32 s29, s24
	s_cbranch_execnz .LBB93_282
.LBB93_216:                             ;   in Loop: Header=BB93_12 Depth=1
	s_or_b32 exec_lo, exec_lo, s29
	s_and_saveexec_b32 s29, s25
	s_cbranch_execnz .LBB93_283
.LBB93_217:                             ;   in Loop: Header=BB93_12 Depth=1
	s_or_b32 exec_lo, exec_lo, s29
	s_and_saveexec_b32 s29, s26
	s_cbranch_execnz .LBB93_284
.LBB93_218:                             ;   in Loop: Header=BB93_12 Depth=1
	s_or_b32 exec_lo, exec_lo, s29
	s_and_saveexec_b32 s29, s27
	s_cbranch_execnz .LBB93_285
.LBB93_219:                             ;   in Loop: Header=BB93_12 Depth=1
	s_or_b32 exec_lo, exec_lo, s29
	s_and_saveexec_b32 s29, s28
	s_cbranch_execz .LBB93_221
.LBB93_220:                             ;   in Loop: Header=BB93_12 Depth=1
	s_waitcnt lgkmcnt(0)
	global_store_b16 v[0:1], v2, off offset:960
.LBB93_221:                             ;   in Loop: Header=BB93_12 Depth=1
	s_or_b32 exec_lo, exec_lo, s29
	v_add_co_u32 v0, vcc_lo, v74, s34
	v_add_co_ci_u32_e32 v1, vcc_lo, s35, v75, vcc_lo
	s_waitcnt lgkmcnt(0)
	v_dual_mov_b32 v2, 0 :: v_dual_mov_b32 v3, 0
	s_waitcnt_vscnt null, 0x0
	s_barrier
	buffer_gl0_inv
	s_and_saveexec_b32 s29, s13
	s_cbranch_execz .LBB93_223
; %bb.222:                              ;   in Loop: Header=BB93_12 Depth=1
	global_load_u16 v3, v[0:1], off
.LBB93_223:                             ;   in Loop: Header=BB93_12 Depth=1
	s_or_b32 exec_lo, exec_lo, s29
	s_and_saveexec_b32 s29, s14
	s_cbranch_execz .LBB93_225
; %bb.224:                              ;   in Loop: Header=BB93_12 Depth=1
	global_load_u16 v2, v[0:1], off offset:64
.LBB93_225:                             ;   in Loop: Header=BB93_12 Depth=1
	s_or_b32 exec_lo, exec_lo, s29
	v_dual_mov_b32 v4, 0 :: v_dual_mov_b32 v5, 0
	s_and_saveexec_b32 s29, s15
	s_cbranch_execz .LBB93_227
; %bb.226:                              ;   in Loop: Header=BB93_12 Depth=1
	global_load_u16 v5, v[0:1], off offset:128
.LBB93_227:                             ;   in Loop: Header=BB93_12 Depth=1
	s_or_b32 exec_lo, exec_lo, s29
	s_and_saveexec_b32 s29, s16
	s_cbranch_execz .LBB93_229
; %bb.228:                              ;   in Loop: Header=BB93_12 Depth=1
	global_load_u16 v4, v[0:1], off offset:192
.LBB93_229:                             ;   in Loop: Header=BB93_12 Depth=1
	s_or_b32 exec_lo, exec_lo, s29
	v_dual_mov_b32 v6, 0 :: v_dual_mov_b32 v7, 0
	s_and_saveexec_b32 s29, s17
	s_cbranch_execz .LBB93_231
; %bb.230:                              ;   in Loop: Header=BB93_12 Depth=1
	global_load_u16 v7, v[0:1], off offset:256
.LBB93_231:                             ;   in Loop: Header=BB93_12 Depth=1
	;; [unrolled: 13-line block ×7, first 2 shown]
	s_or_b32 exec_lo, exec_lo, s29
	s_and_saveexec_b32 s29, s28
	s_cbranch_execz .LBB93_253
; %bb.252:                              ;   in Loop: Header=BB93_12 Depth=1
	global_load_u16 v16, v[0:1], off offset:960
.LBB93_253:                             ;   in Loop: Header=BB93_12 Depth=1
	s_or_b32 exec_lo, exec_lo, s29
	s_waitcnt vmcnt(0)
	ds_store_b16 v37, v3
	ds_store_b16 v37, v2 offset:64
	ds_store_b16 v38, v5 offset:128
	;; [unrolled: 1-line block ×15, first 2 shown]
	; wave barrier
	ds_load_b128 v[4:7], v52
	ds_load_b128 v[0:3], v52 offset:16
	s_waitcnt lgkmcnt(0)
	s_barrier
	buffer_gl0_inv
	v_lshrrev_b32_e32 v8, 16, v4
	v_lshrrev_b32_e32 v9, 16, v5
	v_cvt_f32_f16_e32 v10, v5
	v_cvt_f32_f16_e32 v11, v4
	v_lshrrev_b32_e32 v104, 16, v6
	v_cvt_f32_f16_e32 v8, v8
	v_cvt_f32_f16_e32 v9, v9
	v_mul_f32_e32 v12, 0xbfb8aa3b, v10
	v_mul_f32_e32 v14, 0xbfb8aa3b, v11
	v_cvt_f32_f16_e32 v104, v104
	v_mul_f32_e32 v13, 0xbfb8aa3b, v8
	v_mul_f32_e32 v15, 0xbfb8aa3b, v9
	v_rndne_f32_e32 v16, v12
	v_fma_mix_f32 v17, v5, s86, -v12 op_sel_hi:[1,0,0]
	v_cmp_nlt_f32_e32 vcc_lo, 0x42ce8ed0, v8
	v_rndne_f32_e32 v94, v13
	v_fma_mix_f32 v95, v4, s86, -v13 op_sel:[1,0,0] op_sel_hi:[1,0,0]
	v_fma_mix_f32 v97, v5, s86, -v15 op_sel:[1,0,0] op_sel_hi:[1,0,0]
	v_rndne_f32_e32 v96, v15
	s_delay_alu instid0(VALU_DEP_4) | instskip(NEXT) | instid1(VALU_DEP_4)
	v_dual_sub_f32 v12, v12, v16 :: v_dual_sub_f32 v13, v13, v94
	v_fma_mix_f32 v95, v4, s87, v95 op_sel:[1,0,0] op_sel_hi:[1,0,0]
	s_delay_alu instid0(VALU_DEP_4) | instskip(SKIP_4) | instid1(VALU_DEP_4)
	v_fma_mix_f32 v97, v5, s87, v97 op_sel:[1,0,0] op_sel_hi:[1,0,0]
	v_fma_mix_f32 v5, v5, s87, v17 op_sel_hi:[1,0,0]
	v_rndne_f32_e32 v17, v14
	v_sub_f32_e32 v15, v15, v96
	v_cvt_i32_f32_e32 v16, v16
	v_add_f32_e32 v5, v12, v5
	s_delay_alu instid0(VALU_DEP_4) | instskip(SKIP_2) | instid1(VALU_DEP_4)
	v_dual_sub_f32 v12, v14, v17 :: v_dual_add_f32 v13, v13, v95
	v_fma_mix_f32 v95, v4, s86, -v14 op_sel_hi:[1,0,0]
	v_add_f32_e32 v15, v15, v97
	v_exp_f32_e32 v5, v5
	v_cvt_i32_f32_e32 v17, v17
	s_delay_alu instid0(VALU_DEP_3) | instskip(NEXT) | instid1(VALU_DEP_3)
	v_fma_mix_f32 v4, v4, s87, v95 op_sel_hi:[1,0,0]
	v_exp_f32_e32 v14, v15
	v_cvt_i32_f32_e32 v15, v94
	s_delay_alu instid0(VALU_DEP_2) | instskip(SKIP_2) | instid1(TRANS32_DEP_3)
	v_add_f32_e32 v4, v12, v4
	v_exp_f32_e32 v13, v13
	v_cvt_i32_f32_e32 v12, v96
	v_ldexp_f32 v5, v5, v16
	s_delay_alu instid0(VALU_DEP_3)
	v_exp_f32_e32 v4, v4
	s_delay_alu instid0(TRANS32_DEP_3) | instid1(VALU_DEP_2)
	v_ldexp_f32 v12, v14, v12
	s_waitcnt_depctr 0xfff
	v_ldexp_f32 v13, v13, v15
	v_ldexp_f32 v4, v4, v17
	s_delay_alu instid0(VALU_DEP_2)
	v_cndmask_b32_e32 v13, 0, v13, vcc_lo
	v_cmp_nlt_f32_e32 vcc_lo, 0x42ce8ed0, v9
	v_cndmask_b32_e32 v12, 0, v12, vcc_lo
	v_cmp_nlt_f32_e32 vcc_lo, 0x42ce8ed0, v10
	v_cndmask_b32_e32 v5, 0, v5, vcc_lo
	v_cmp_ngt_f32_e32 vcc_lo, 0xc2b17218, v8
	v_cndmask_b32_e32 v13, 0x7f800000, v13, vcc_lo
	v_cmp_ngt_f32_e32 vcc_lo, 0xc2b17218, v9
	;; [unrolled: 2-line block ×3, first 2 shown]
	s_delay_alu instid0(VALU_DEP_2) | instskip(NEXT) | instid1(VALU_DEP_1)
	v_add_f32_e32 v12, 1.0, v12
	v_div_scale_f32 v15, null, v12, v12, v9
	v_div_scale_f32 v99, s29, v9, v12, v9
	s_delay_alu instid0(VALU_DEP_2) | instskip(SKIP_4) | instid1(VALU_DEP_3)
	v_rcp_f32_e32 v94, v15
	s_waitcnt_depctr 0xfff
	v_fma_f32 v98, -v15, v94, 1.0
	v_cndmask_b32_e32 v5, 0x7f800000, v5, vcc_lo
	v_cmp_nlt_f32_e32 vcc_lo, 0x42ce8ed0, v11
	v_fmac_f32_e32 v94, v98, v94
	s_delay_alu instid0(VALU_DEP_3) | instskip(SKIP_2) | instid1(VALU_DEP_3)
	v_add_f32_e32 v14, 1.0, v5
	v_cndmask_b32_e32 v4, 0, v4, vcc_lo
	v_cmp_ngt_f32_e32 vcc_lo, 0xc2b17218, v11
	v_div_scale_f32 v16, null, v14, v14, v10
	s_delay_alu instid0(VALU_DEP_3) | instskip(NEXT) | instid1(VALU_DEP_2)
	v_cndmask_b32_e32 v4, 0x7f800000, v4, vcc_lo
	v_rcp_f32_e32 v95, v16
	s_delay_alu instid0(VALU_DEP_1) | instskip(NEXT) | instid1(VALU_DEP_1)
	v_dual_add_f32 v96, 1.0, v4 :: v_dual_add_f32 v13, 1.0, v13
	v_div_scale_f32 v101, null, v96, v96, v11
	s_waitcnt_depctr 0xfff
	v_fma_f32 v100, -v16, v95, 1.0
	v_rcp_f32_e32 v122, v101
	s_delay_alu instid0(VALU_DEP_1) | instskip(SKIP_2) | instid1(VALU_DEP_3)
	v_dual_fmac_f32 v95, v100, v95 :: v_dual_mul_f32 v100, v99, v94
	v_div_scale_f32 v5, null, v13, v13, v8
	v_div_scale_f32 v4, vcc_lo, v8, v13, v8
	v_fma_f32 v121, -v15, v100, v99
	s_delay_alu instid0(VALU_DEP_3) | instskip(SKIP_2) | instid1(VALU_DEP_1)
	v_rcp_f32_e32 v17, v5
	s_waitcnt_depctr 0xfff
	v_fma_f32 v97, -v5, v17, 1.0
	v_fmac_f32_e32 v17, v97, v17
	v_div_scale_f32 v97, s30, v10, v14, v10
	s_delay_alu instid0(VALU_DEP_1) | instskip(NEXT) | instid1(VALU_DEP_1)
	v_dual_mul_f32 v98, v4, v17 :: v_dual_mul_f32 v115, v97, v95
	v_fma_f32 v118, -v5, v98, v4
	s_delay_alu instid0(VALU_DEP_2) | instskip(SKIP_1) | instid1(VALU_DEP_3)
	v_fma_f32 v123, -v16, v115, v97
	v_dual_fmac_f32 v100, v121, v94 :: v_dual_mul_f32 v121, 0xbfb8aa3b, v104
	v_fmac_f32_e32 v98, v118, v17
	v_lshrrev_b32_e32 v118, 16, v7
	s_delay_alu instid0(VALU_DEP_4) | instskip(NEXT) | instid1(VALU_DEP_3)
	v_fmac_f32_e32 v115, v123, v95
	v_fma_f32 v4, -v5, v98, v4
	v_fma_f32 v5, -v15, v100, v99
	v_fma_f32 v15, -v101, v122, 1.0
	v_cvt_f32_f16_e32 v99, v118
	v_rndne_f32_e32 v118, v121
	v_div_fmas_f32 v4, v4, v17, v98
	s_mov_b32 vcc_lo, s29
	v_fma_mix_f32 v17, v6, s86, -v121 op_sel:[1,0,0] op_sel_hi:[1,0,0]
	v_div_fmas_f32 v5, v5, v94, v100
	v_fmac_f32_e32 v122, v15, v122
	v_div_fixup_f32 v4, v4, v13, v8
	v_mul_f32_e32 v13, 0xbfb8aa3b, v99
	v_div_scale_f32 v8, s29, v11, v96, v11
	v_div_fixup_f32 v5, v5, v12, v9
	v_sub_f32_e32 v9, v121, v118
	v_fma_mix_f32 v12, v6, s87, v17 op_sel:[1,0,0] op_sel_hi:[1,0,0]
	v_fma_f32 v15, -v16, v115, v97
	v_mul_f32_e32 v16, v8, v122
	s_mov_b32 vcc_lo, s30
	v_rndne_f32_e32 v17, v13
	v_add_f32_e32 v9, v9, v12
	v_cvt_f32_f16_e32 v12, v7
	v_div_fmas_f32 v15, v15, v95, v115
	v_fma_mix_f32 v94, v7, s86, -v13 op_sel:[1,0,0] op_sel_hi:[1,0,0]
	v_fma_f32 v97, -v101, v16, v8
	v_sub_f32_e32 v13, v13, v17
	v_mul_f32_e32 v95, 0xbfb8aa3b, v12
	v_exp_f32_e32 v9, v9
	v_fma_mix_f32 v94, v7, s87, v94 op_sel:[1,0,0] op_sel_hi:[1,0,0]
	v_fmac_f32_e32 v16, v97, v122
	v_cvt_i32_f32_e32 v98, v118
	v_rndne_f32_e32 v100, v95
	v_fma_mix_f32 v115, v7, s86, -v95 op_sel_hi:[1,0,0]
	v_add_f32_e32 v13, v13, v94
	v_cmp_nlt_f32_e32 vcc_lo, 0x42ce8ed0, v104
	v_cvt_i32_f32_e32 v17, v17
	v_sub_f32_e32 v94, v95, v100
	v_fma_mix_f32 v7, v7, s87, v115 op_sel_hi:[1,0,0]
	v_cvt_f32_f16_e32 v95, v6
	v_ldexp_f32 v9, v9, v98
	v_fma_f32 v8, -v101, v16, v8
	v_div_fixup_f32 v10, v15, v14, v10
	v_add_f32_e32 v7, v94, v7
	v_mul_f32_e32 v94, 0xbfb8aa3b, v95
	s_delay_alu instid0(VALU_DEP_2) | instskip(NEXT) | instid1(VALU_DEP_1)
	v_exp_f32_e32 v7, v7
	v_rndne_f32_e32 v97, v94
	v_fma_mix_f32 v98, v6, s86, -v94 op_sel_hi:[1,0,0]
	s_delay_alu instid0(VALU_DEP_2) | instskip(SKIP_1) | instid1(VALU_DEP_2)
	v_sub_f32_e32 v94, v94, v97
	v_exp_f32_e32 v13, v13
	v_fma_mix_f32 v6, v6, s87, v98 op_sel_hi:[1,0,0]
	v_cndmask_b32_e32 v9, 0, v9, vcc_lo
	v_cmp_ngt_f32_e32 vcc_lo, 0xc2b17218, v104
	s_delay_alu instid0(VALU_DEP_3) | instskip(SKIP_1) | instid1(VALU_DEP_4)
	v_add_f32_e32 v6, v94, v6
	v_cvt_i32_f32_e32 v94, v97
	v_cndmask_b32_e32 v9, 0x7f800000, v9, vcc_lo
	v_cmp_nlt_f32_e32 vcc_lo, 0x42ce8ed0, v99
	s_delay_alu instid0(TRANS32_DEP_1) | instskip(SKIP_2) | instid1(VALU_DEP_2)
	v_ldexp_f32 v13, v13, v17
	v_cvt_i32_f32_e32 v17, v100
	v_exp_f32_e32 v6, v6
	v_cndmask_b32_e32 v13, 0, v13, vcc_lo
	v_cmp_ngt_f32_e32 vcc_lo, 0xc2b17218, v99
	s_delay_alu instid0(VALU_DEP_3) | instskip(NEXT) | instid1(VALU_DEP_3)
	v_ldexp_f32 v7, v7, v17
	v_cndmask_b32_e32 v13, 0x7f800000, v13, vcc_lo
	v_cmp_nlt_f32_e32 vcc_lo, 0x42ce8ed0, v12
	s_waitcnt_depctr 0xfff
	v_ldexp_f32 v6, v6, v94
	v_add_f32_e32 v13, 1.0, v13
	v_cndmask_b32_e32 v7, 0, v7, vcc_lo
	v_cmp_ngt_f32_e32 vcc_lo, 0xc2b17218, v12
	s_delay_alu instid0(VALU_DEP_3) | instskip(NEXT) | instid1(VALU_DEP_3)
	v_div_scale_f32 v100, null, v13, v13, v99
	v_cndmask_b32_e32 v7, 0x7f800000, v7, vcc_lo
	s_mov_b32 vcc_lo, s29
	v_cmp_nlt_f32_e64 s29, 0x42ce8ed0, v95
	v_div_fmas_f32 v8, v8, v122, v16
	v_rcp_f32_e32 v16, v100
	v_add_f32_e32 v94, 1.0, v7
	s_delay_alu instid0(VALU_DEP_3) | instskip(SKIP_2) | instid1(VALU_DEP_2)
	v_cndmask_b32_e64 v6, 0, v6, s29
	v_cmp_ngt_f32_e64 s29, 0xc2b17218, v95
	v_div_fixup_f32 v8, v8, v96, v11
	v_cndmask_b32_e64 v6, 0x7f800000, v6, s29
	s_waitcnt_depctr 0xfff
	v_fma_f32 v115, -v100, v16, 1.0
	s_delay_alu instid0(VALU_DEP_1) | instskip(SKIP_1) | instid1(VALU_DEP_1)
	v_dual_add_f32 v11, 1.0, v6 :: v_dual_fmac_f32 v16, v115, v16
	v_div_scale_f32 v115, s29, v99, v13, v99
	v_dual_add_f32 v9, 1.0, v9 :: v_dual_mul_f32 v14, v115, v16
	s_delay_alu instid0(VALU_DEP_1) | instskip(SKIP_1) | instid1(VALU_DEP_3)
	v_div_scale_f32 v98, null, v9, v9, v104
	v_div_scale_f32 v7, vcc_lo, v104, v9, v104
	v_fma_f32 v96, -v100, v14, v115
	s_delay_alu instid0(VALU_DEP_3) | instskip(NEXT) | instid1(VALU_DEP_1)
	v_rcp_f32_e32 v17, v98
	v_fmac_f32_e32 v14, v96, v16
	s_waitcnt_depctr 0xfff
	v_fma_f32 v97, -v98, v17, 1.0
	s_delay_alu instid0(VALU_DEP_1) | instskip(SKIP_1) | instid1(VALU_DEP_2)
	v_fmac_f32_e32 v17, v97, v17
	v_div_scale_f32 v97, null, v94, v94, v12
	v_mul_f32_e32 v101, v7, v17
	s_delay_alu instid0(VALU_DEP_2) | instskip(NEXT) | instid1(VALU_DEP_1)
	v_rcp_f32_e32 v118, v97
	v_fma_f32 v121, -v98, v101, v7
	s_delay_alu instid0(VALU_DEP_1) | instskip(SKIP_3) | instid1(VALU_DEP_2)
	v_fmac_f32_e32 v101, v121, v17
	s_waitcnt_depctr 0xfff
	v_fma_f32 v6, -v97, v118, 1.0
	v_fma_f32 v7, -v98, v101, v7
	v_fmac_f32_e32 v118, v6, v118
	v_div_scale_f32 v98, s30, v12, v94, v12
	v_fma_mixlo_f16 v6, v120, v8, 0
	s_delay_alu instid0(VALU_DEP_4) | instskip(SKIP_1) | instid1(VALU_DEP_4)
	v_div_fmas_f32 v17, v7, v17, v101
	v_fma_f32 v8, -v100, v14, v115
	v_mul_f32_e32 v96, v98, v118
	v_lshrrev_b32_e32 v101, 16, v0
	s_mov_b32 vcc_lo, s29
	v_fma_mixlo_f16 v7, v119, v10, 0
	v_div_fixup_f32 v10, v17, v9, v104
	v_fma_f32 v9, -v97, v96, v98
	v_div_fmas_f32 v8, v8, v16, v14
	v_cvt_f32_f16_e32 v14, v101
	v_lshrrev_b32_e32 v100, 16, v1
	s_mov_b32 vcc_lo, s30
	v_fmac_f32_e32 v96, v9, v118
	v_div_fixup_f32 v13, v8, v13, v99
	v_mul_f32_e32 v8, 0xbfb8aa3b, v14
	v_cvt_f32_f16_e32 v16, v100
	v_cvt_f32_f16_e32 v99, v1
	v_fma_mixhi_f16 v7, v114, v5, 0
	v_fma_mixhi_f16 v6, v113, v4, 0
	v_rndne_f32_e32 v100, v8
	v_fma_mix_f32 v101, v0, s86, -v8 op_sel:[1,0,0] op_sel_hi:[1,0,0]
	s_delay_alu instid0(VALU_DEP_2) | instskip(NEXT) | instid1(VALU_DEP_2)
	v_sub_f32_e32 v8, v8, v100
	v_fma_mix_f32 v101, v0, s87, v101 op_sel:[1,0,0] op_sel_hi:[1,0,0]
	v_cvt_i32_f32_e32 v100, v100
	s_delay_alu instid0(VALU_DEP_2) | instskip(SKIP_2) | instid1(VALU_DEP_3)
	v_add_f32_e32 v8, v8, v101
	v_div_scale_f32 v15, null, v11, v11, v95
	v_div_scale_f32 v9, s29, v95, v11, v95
	v_exp_f32_e32 v8, v8
	s_delay_alu instid0(VALU_DEP_2) | instskip(SKIP_3) | instid1(VALU_DEP_1)
	v_rcp_f32_e32 v121, v15
	s_waitcnt_depctr 0xfff
	v_ldexp_f32 v8, v8, v100
	v_fma_f32 v17, -v15, v121, 1.0
	v_fmac_f32_e32 v121, v17, v121
	v_fma_f32 v17, -v97, v96, v98
	v_mul_f32_e32 v97, 0xbfb8aa3b, v16
	s_delay_alu instid0(VALU_DEP_2) | instskip(NEXT) | instid1(VALU_DEP_2)
	v_div_fmas_f32 v17, v17, v118, v96
	v_rndne_f32_e32 v104, v97
	v_fma_mix_f32 v115, v1, s86, -v97 op_sel:[1,0,0] op_sel_hi:[1,0,0]
	v_cmp_nlt_f32_e32 vcc_lo, 0x42ce8ed0, v14
	s_delay_alu instid0(VALU_DEP_4) | instskip(NEXT) | instid1(VALU_DEP_4)
	v_div_fixup_f32 v12, v17, v94, v12
	v_sub_f32_e32 v97, v97, v104
	s_delay_alu instid0(VALU_DEP_4) | instskip(SKIP_3) | instid1(VALU_DEP_4)
	v_fma_mix_f32 v115, v1, s87, v115 op_sel:[1,0,0] op_sel_hi:[1,0,0]
	v_cndmask_b32_e32 v8, 0, v8, vcc_lo
	v_cvt_i32_f32_e32 v96, v104
	v_cmp_nlt_f32_e32 vcc_lo, 0x42ce8ed0, v16
	v_add_f32_e32 v97, v97, v115
	s_delay_alu instid0(VALU_DEP_1) | instskip(SKIP_2) | instid1(VALU_DEP_1)
	v_exp_f32_e32 v97, v97
	s_waitcnt_depctr 0xfff
	v_ldexp_f32 v96, v97, v96
	v_cndmask_b32_e32 v96, 0, v96, vcc_lo
	v_cmp_ngt_f32_e32 vcc_lo, 0xc2b17218, v14
	v_mul_f32_e32 v98, v9, v121
	v_cndmask_b32_e32 v8, 0x7f800000, v8, vcc_lo
	v_mul_f32_e32 v119, 0xbfb8aa3b, v99
	s_delay_alu instid0(VALU_DEP_3) | instskip(SKIP_1) | instid1(VALU_DEP_4)
	v_fma_f32 v101, -v15, v98, v9
	v_cmp_ngt_f32_e32 vcc_lo, 0xc2b17218, v16
	v_add_f32_e32 v100, 1.0, v8
	s_delay_alu instid0(VALU_DEP_4)
	v_rndne_f32_e32 v120, v119
	v_fma_mix_f32 v122, v1, s86, -v119 op_sel_hi:[1,0,0]
	v_fmac_f32_e32 v98, v101, v121
	v_cndmask_b32_e32 v96, 0x7f800000, v96, vcc_lo
	v_cmp_nlt_f32_e32 vcc_lo, 0x42ce8ed0, v99
	v_sub_f32_e32 v115, v119, v120
	v_fma_mix_f32 v1, v1, s87, v122 op_sel_hi:[1,0,0]
	v_fma_f32 v9, -v15, v98, v9
	v_cvt_f32_f16_e32 v15, v0
	v_cvt_i32_f32_e32 v97, v120
	s_delay_alu instid0(VALU_DEP_4) | instskip(SKIP_1) | instid1(VALU_DEP_4)
	v_dual_add_f32 v96, 1.0, v96 :: v_dual_add_f32 v1, v115, v1
	v_div_scale_f32 v101, null, v100, v100, v14
	v_cmp_nlt_f32_e64 s30, 0x42ce8ed0, v15
	v_cmp_ngt_f32_e64 s31, 0xc2b17218, v15
	s_delay_alu instid0(VALU_DEP_4) | instskip(NEXT) | instid1(VALU_DEP_3)
	v_exp_f32_e32 v1, v1
	v_rcp_f32_e32 v115, v101
	s_waitcnt_depctr 0xfff
	v_ldexp_f32 v1, v1, v97
	v_mul_f32_e32 v97, 0xbfb8aa3b, v15
	s_delay_alu instid0(VALU_DEP_1) | instskip(SKIP_1) | instid1(VALU_DEP_2)
	v_rndne_f32_e32 v8, v97
	v_fma_mix_f32 v104, v0, s86, -v97 op_sel_hi:[1,0,0]
	v_sub_f32_e32 v97, v97, v8
	s_delay_alu instid0(VALU_DEP_2) | instskip(SKIP_3) | instid1(VALU_DEP_4)
	v_fma_mix_f32 v0, v0, s87, v104 op_sel_hi:[1,0,0]
	v_cndmask_b32_e32 v1, 0, v1, vcc_lo
	v_cmp_ngt_f32_e32 vcc_lo, 0xc2b17218, v99
	v_div_scale_f32 v104, null, v96, v96, v16
	v_add_f32_e32 v0, v97, v0
	v_fma_f32 v97, -v101, v115, 1.0
	v_cndmask_b32_e32 v1, 0x7f800000, v1, vcc_lo
	s_mov_b32 vcc_lo, s29
	v_div_scale_f32 v17, s29, v16, v96, v16
	v_div_fmas_f32 v9, v9, v121, v98
	v_exp_f32_e32 v0, v0
	v_rcp_f32_e32 v98, v104
	v_fmac_f32_e32 v115, v97, v115
	v_div_scale_f32 v97, vcc_lo, v14, v100, v14
	v_div_fixup_f32 v9, v9, v11, v95
	v_cvt_i32_f32_e32 v11, v8
	s_delay_alu instid0(VALU_DEP_2)
	v_fma_mixlo_f16 v8, v117, v9, 0
	s_delay_alu instid0(TRANS32_DEP_2) | instid1(VALU_DEP_2)
	v_ldexp_f32 v0, v0, v11
	s_delay_alu instid0(TRANS32_DEP_1) | instskip(SKIP_1) | instid1(VALU_DEP_4)
	v_fma_f32 v119, -v104, v98, 1.0
	v_mul_f32_e32 v11, v97, v115
	v_fma_mixhi_f16 v8, v110, v10, 0
	s_delay_alu instid0(VALU_DEP_4) | instskip(NEXT) | instid1(VALU_DEP_4)
	v_cndmask_b32_e64 v0, 0, v0, s30
	v_fmac_f32_e32 v98, v119, v98
	s_delay_alu instid0(VALU_DEP_4) | instskip(NEXT) | instid1(VALU_DEP_3)
	v_fma_f32 v94, -v101, v11, v97
	v_cndmask_b32_e64 v0, 0x7f800000, v0, s31
	v_add_f32_e32 v1, 1.0, v1
	s_delay_alu instid0(VALU_DEP_4) | instskip(NEXT) | instid1(VALU_DEP_3)
	v_mul_f32_e32 v117, v17, v98
	v_dual_fmac_f32 v11, v94, v115 :: v_dual_add_f32 v0, 1.0, v0
	s_delay_alu instid0(VALU_DEP_3) | instskip(SKIP_1) | instid1(VALU_DEP_4)
	v_div_scale_f32 v118, null, v1, v1, v99
	v_div_scale_f32 v119, s30, v99, v1, v99
	v_fma_f32 v94, -v104, v117, v17
	s_delay_alu instid0(VALU_DEP_3) | instskip(NEXT) | instid1(VALU_DEP_1)
	v_rcp_f32_e32 v95, v118
	v_fmac_f32_e32 v117, v94, v98
	s_delay_alu instid0(VALU_DEP_1) | instskip(SKIP_3) | instid1(VALU_DEP_2)
	v_fma_f32 v17, -v104, v117, v17
	s_waitcnt_depctr 0xfff
	v_fma_f32 v9, -v118, v95, 1.0
	v_lshrrev_b32_e32 v104, 16, v3
	v_fmac_f32_e32 v95, v9, v95
	v_fma_mixlo_f16 v9, v116, v12, 0
	v_fma_f32 v12, -v101, v11, v97
	s_delay_alu instid0(VALU_DEP_4) | instskip(NEXT) | instid1(VALU_DEP_4)
	v_cvt_f32_f16_e32 v104, v104
	v_mul_f32_e32 v120, v119, v95
	s_delay_alu instid0(VALU_DEP_4) | instskip(NEXT) | instid1(VALU_DEP_4)
	v_fma_mixhi_f16 v9, v109, v13, 0
	v_div_fmas_f32 v11, v12, v115, v11
	v_lshrrev_b32_e32 v12, 16, v2
	s_mov_b32 vcc_lo, s29
	v_fma_f32 v94, -v118, v120, v119
	v_div_fmas_f32 v17, v17, v98, v117
	s_mov_b32 vcc_lo, s30
	v_cvt_f32_f16_e32 v12, v12
	v_cvt_f32_f16_e32 v117, v3
	v_fmac_f32_e32 v120, v94, v95
	v_div_scale_f32 v94, null, v0, v0, v15
	s_delay_alu instid0(VALU_DEP_4) | instskip(SKIP_1) | instid1(VALU_DEP_4)
	v_mul_f32_e32 v101, 0xbfb8aa3b, v12
	v_cmp_nlt_f32_e64 s29, 0x42ce8ed0, v12
	v_fma_f32 v98, -v118, v120, v119
	s_delay_alu instid0(VALU_DEP_4)
	v_rcp_f32_e32 v97, v94
	v_mul_f32_e32 v118, 0xbfb8aa3b, v104
	v_fma_mix_f32 v115, v2, s86, -v101 op_sel:[1,0,0] op_sel_hi:[1,0,0]
	v_cvt_f32_f16_e32 v119, v2
	v_div_fmas_f32 v95, v98, v95, v120
	v_rndne_f32_e32 v98, v101
	v_fma_mix_f32 v120, v3, s86, -v118 op_sel:[1,0,0] op_sel_hi:[1,0,0]
	v_fma_mix_f32 v115, v2, s87, v115 op_sel:[1,0,0] op_sel_hi:[1,0,0]
	v_div_scale_f32 v123, vcc_lo, v15, v0, v15
	s_delay_alu instid0(TRANS32_DEP_1)
	v_fma_f32 v116, -v94, v97, 1.0
	v_sub_f32_e32 v101, v101, v98
	v_fma_mix_f32 v120, v3, s87, v120 op_sel:[1,0,0] op_sel_hi:[1,0,0]
	v_cvt_i32_f32_e32 v98, v98
	v_div_fixup_f32 v1, v95, v1, v99
	v_fmac_f32_e32 v97, v116, v97
	v_dual_mul_f32 v116, 0xbfb8aa3b, v117 :: v_dual_add_f32 v101, v101, v115
	v_rndne_f32_e32 v115, v118
	v_div_fixup_f32 v11, v11, v100, v14
	v_div_fixup_f32 v14, v17, v96, v16
	s_delay_alu instid0(VALU_DEP_4)
	v_rndne_f32_e32 v121, v116
	v_fma_mix_f32 v122, v3, s86, -v116 op_sel_hi:[1,0,0]
	v_exp_f32_e32 v101, v101
	v_sub_f32_e32 v118, v118, v115
	v_cvt_i32_f32_e32 v115, v115
	v_sub_f32_e32 v116, v116, v121
	v_fma_mix_f32 v3, v3, s87, v122 op_sel_hi:[1,0,0]
	v_mul_f32_e32 v122, 0xbfb8aa3b, v119
	v_add_f32_e32 v118, v118, v120
	v_fma_mixlo_f16 v1, v108, v1, 0
	s_delay_alu instid0(VALU_DEP_4) | instskip(NEXT) | instid1(VALU_DEP_4)
	v_add_f32_e32 v3, v116, v3
	v_rndne_f32_e32 v116, v122
	v_fma_mix_f32 v120, v2, s86, -v122 op_sel_hi:[1,0,0]
	v_exp_f32_e32 v118, v118
	v_ldexp_f32 v98, v101, v98
	v_exp_f32_e32 v3, v3
	v_sub_f32_e32 v101, v122, v116
	v_fma_mix_f32 v2, v2, s87, v120 op_sel_hi:[1,0,0]
	v_cvt_i32_f32_e32 v120, v121
	v_cndmask_b32_e64 v98, 0, v98, s29
	v_cmp_ngt_f32_e64 s29, 0xc2b17218, v12
	v_fma_mixhi_f16 v1, v103, v14, 0
	v_add_f32_e32 v2, v101, v2
	v_ldexp_f32 v101, v118, v115
	v_cvt_i32_f32_e32 v115, v116
	v_cndmask_b32_e64 v98, 0x7f800000, v98, s29
	v_cmp_nlt_f32_e64 s29, 0x42ce8ed0, v104
	v_ldexp_f32 v3, v3, v120
	v_exp_f32_e32 v2, v2
	s_delay_alu instid0(VALU_DEP_3) | instskip(NEXT) | instid1(VALU_DEP_3)
	v_add_f32_e32 v98, 1.0, v98
	v_cndmask_b32_e64 v101, 0, v101, s29
	v_cmp_nlt_f32_e64 s29, 0x42ce8ed0, v117
	s_delay_alu instid0(VALU_DEP_1)
	v_cndmask_b32_e64 v3, 0, v3, s29
	v_cmp_ngt_f32_e64 s29, 0xc2b17218, v104
	s_waitcnt_depctr 0xfff
	v_ldexp_f32 v2, v2, v115
	v_div_scale_f32 v115, null, v98, v98, v12
	v_cndmask_b32_e64 v101, 0x7f800000, v101, s29
	v_cmp_ngt_f32_e64 s29, 0xc2b17218, v117
	s_delay_alu instid0(VALU_DEP_3) | instskip(NEXT) | instid1(VALU_DEP_2)
	v_rcp_f32_e32 v116, v115
	v_add_f32_e32 v101, 1.0, v101
	s_delay_alu instid0(VALU_DEP_2) | instskip(SKIP_1) | instid1(VALU_DEP_3)
	v_cndmask_b32_e64 v3, 0x7f800000, v3, s29
	v_cmp_nlt_f32_e64 s29, 0x42ce8ed0, v119
	v_div_scale_f32 v118, null, v101, v101, v104
	s_delay_alu instid0(VALU_DEP_2) | instskip(SKIP_1) | instid1(TRANS32_DEP_1)
	v_cndmask_b32_e64 v2, 0, v2, s29
	v_cmp_ngt_f32_e64 s29, 0xc2b17218, v119
	v_fma_f32 v124, -v115, v116, 1.0
	s_delay_alu instid0(VALU_DEP_4) | instskip(NEXT) | instid1(VALU_DEP_2)
	v_rcp_f32_e32 v122, v118
	v_cndmask_b32_e64 v2, 0x7f800000, v2, s29
	s_delay_alu instid0(VALU_DEP_2) | instskip(SKIP_1) | instid1(VALU_DEP_3)
	v_fmac_f32_e32 v116, v124, v116
	v_div_scale_f32 v124, s29, v12, v98, v12
	v_dual_add_f32 v2, 1.0, v2 :: v_dual_mul_f32 v121, v123, v97
	s_waitcnt_depctr 0xfff
	v_fma_f32 v128, -v118, v122, 1.0
	v_mul_f32_e32 v130, v124, v116
	v_div_scale_f32 v127, null, v2, v2, v119
	v_fma_f32 v126, -v94, v121, v123
	s_delay_alu instid0(VALU_DEP_4) | instskip(SKIP_1) | instid1(VALU_DEP_4)
	v_fmac_f32_e32 v122, v128, v122
	v_div_scale_f32 v128, s30, v104, v101, v104
	v_rcp_f32_e32 v129, v127
	s_delay_alu instid0(VALU_DEP_1) | instskip(NEXT) | instid1(VALU_DEP_1)
	v_dual_fmac_f32 v121, v126, v97 :: v_dual_mul_f32 v132, v128, v122
	v_fma_f32 v94, -v94, v121, v123
	v_fma_f32 v123, -v115, v130, v124
	s_waitcnt_depctr 0xfff
	v_fma_f32 v131, -v127, v129, 1.0
	v_div_fmas_f32 v94, v94, v97, v121
	v_fma_f32 v97, -v118, v132, v128
	v_dual_add_f32 v3, 1.0, v3 :: v_dual_fmac_f32 v130, v123, v116
	s_delay_alu instid0(VALU_DEP_4) | instskip(SKIP_1) | instid1(VALU_DEP_4)
	v_fmac_f32_e32 v129, v131, v129
	v_div_scale_f32 v131, s33, v119, v2, v119
	v_fmac_f32_e32 v132, v97, v122
	s_delay_alu instid0(VALU_DEP_4) | instskip(NEXT) | instid1(VALU_DEP_3)
	v_div_scale_f32 v120, null, v3, v3, v117
	v_mul_f32_e32 v123, v131, v129
	v_div_fixup_f32 v0, v94, v0, v15
	v_fma_f32 v15, -v115, v130, v124
	s_delay_alu instid0(VALU_DEP_4)
	v_rcp_f32_e32 v125, v120
	v_fma_f32 v97, -v118, v132, v128
	v_fma_f32 v94, -v127, v123, v131
	s_mov_b32 vcc_lo, s29
	v_fma_mixlo_f16 v0, v111, v0, 0
	v_div_fmas_f32 v15, v15, v116, v130
	s_mov_b32 vcc_lo, s30
	v_fmac_f32_e32 v123, v94, v129
	v_div_fmas_f32 v97, v97, v122, v132
	v_fma_mixhi_f16 v0, v105, v11, 0
	v_fma_f32 v126, -v120, v125, 1.0
	v_div_fixup_f32 v12, v15, v98, v12
	v_fma_f32 v115, -v127, v123, v131
	v_div_fixup_f32 v15, v97, v101, v104
	s_delay_alu instid0(VALU_DEP_4) | instskip(SKIP_1) | instid1(VALU_DEP_1)
	v_fmac_f32_e32 v125, v126, v125
	v_div_scale_f32 v126, s31, v117, v3, v117
	s_mov_b32 vcc_lo, s31
	s_delay_alu instid0(VALU_DEP_1) | instskip(NEXT) | instid1(VALU_DEP_1)
	v_mul_f32_e32 v133, v126, v125
	v_fma_f32 v121, -v120, v133, v126
	s_delay_alu instid0(VALU_DEP_1) | instskip(NEXT) | instid1(VALU_DEP_1)
	v_fmac_f32_e32 v133, v121, v125
	v_fma_f32 v94, -v120, v133, v126
	s_delay_alu instid0(VALU_DEP_1) | instskip(SKIP_2) | instid1(VALU_DEP_2)
	v_div_fmas_f32 v94, v94, v125, v133
	s_mov_b32 vcc_lo, s33
	v_div_fmas_f32 v115, v115, v129, v123
	v_div_fixup_f32 v3, v94, v3, v117
	s_delay_alu instid0(VALU_DEP_2) | instskip(NEXT) | instid1(VALU_DEP_2)
	v_div_fixup_f32 v2, v115, v2, v119
	v_fma_mixlo_f16 v3, v106, v3, 0
	s_delay_alu instid0(VALU_DEP_2) | instskip(NEXT) | instid1(VALU_DEP_2)
	v_fma_mixlo_f16 v2, v107, v2, 0
	v_fma_mixhi_f16 v3, v112, v15, 0
	s_delay_alu instid0(VALU_DEP_2)
	v_fma_mixhi_f16 v2, v102, v12, 0
	ds_store_b128 v52, v[6:9]
	ds_store_b128 v52, v[0:3] offset:16
	; wave barrier
	ds_load_u16 v16, v37 offset:64
	ds_load_u16 v15, v38 offset:128
	;; [unrolled: 1-line block ×15, first 2 shown]
	v_add_co_u32 v0, vcc_lo, v76, s34
	v_add_co_ci_u32_e32 v1, vcc_lo, s35, v77, vcc_lo
	s_and_saveexec_b32 s29, s13
	s_cbranch_execnz .LBB93_286
; %bb.254:                              ;   in Loop: Header=BB93_12 Depth=1
	s_or_b32 exec_lo, exec_lo, s29
	s_and_saveexec_b32 s13, s14
	s_cbranch_execnz .LBB93_287
.LBB93_255:                             ;   in Loop: Header=BB93_12 Depth=1
	s_or_b32 exec_lo, exec_lo, s13
	s_and_saveexec_b32 s13, s15
	s_cbranch_execnz .LBB93_288
.LBB93_256:                             ;   in Loop: Header=BB93_12 Depth=1
	s_or_b32 exec_lo, exec_lo, s13
	s_and_saveexec_b32 s13, s16
	s_cbranch_execnz .LBB93_289
.LBB93_257:                             ;   in Loop: Header=BB93_12 Depth=1
	s_or_b32 exec_lo, exec_lo, s13
	s_and_saveexec_b32 s13, s17
	s_cbranch_execnz .LBB93_290
.LBB93_258:                             ;   in Loop: Header=BB93_12 Depth=1
	s_or_b32 exec_lo, exec_lo, s13
	s_and_saveexec_b32 s13, s18
	s_cbranch_execnz .LBB93_291
.LBB93_259:                             ;   in Loop: Header=BB93_12 Depth=1
	s_or_b32 exec_lo, exec_lo, s13
	s_and_saveexec_b32 s13, s19
	s_cbranch_execnz .LBB93_292
.LBB93_260:                             ;   in Loop: Header=BB93_12 Depth=1
	s_or_b32 exec_lo, exec_lo, s13
	s_and_saveexec_b32 s13, s20
	s_cbranch_execnz .LBB93_293
.LBB93_261:                             ;   in Loop: Header=BB93_12 Depth=1
	s_or_b32 exec_lo, exec_lo, s13
	s_and_saveexec_b32 s13, s21
	s_cbranch_execnz .LBB93_294
.LBB93_262:                             ;   in Loop: Header=BB93_12 Depth=1
	s_or_b32 exec_lo, exec_lo, s13
	s_and_saveexec_b32 s13, s22
	s_cbranch_execnz .LBB93_295
.LBB93_263:                             ;   in Loop: Header=BB93_12 Depth=1
	s_or_b32 exec_lo, exec_lo, s13
	s_and_saveexec_b32 s13, s23
	s_cbranch_execnz .LBB93_296
.LBB93_264:                             ;   in Loop: Header=BB93_12 Depth=1
	s_or_b32 exec_lo, exec_lo, s13
	s_and_saveexec_b32 s13, s24
	s_cbranch_execnz .LBB93_297
.LBB93_265:                             ;   in Loop: Header=BB93_12 Depth=1
	s_or_b32 exec_lo, exec_lo, s13
	s_and_saveexec_b32 s13, s25
	s_cbranch_execnz .LBB93_298
.LBB93_266:                             ;   in Loop: Header=BB93_12 Depth=1
	s_or_b32 exec_lo, exec_lo, s13
	s_and_saveexec_b32 s13, s26
	s_cbranch_execnz .LBB93_299
.LBB93_267:                             ;   in Loop: Header=BB93_12 Depth=1
	s_or_b32 exec_lo, exec_lo, s13
	s_and_saveexec_b32 s13, s27
	s_cbranch_execnz .LBB93_300
.LBB93_268:                             ;   in Loop: Header=BB93_12 Depth=1
	s_or_b32 exec_lo, exec_lo, s13
	s_and_saveexec_b32 s13, s28
	s_cbranch_execz .LBB93_11
	s_branch .LBB93_301
.LBB93_269:                             ;   in Loop: Header=BB93_12 Depth=1
	global_load_u16 v101, v[8:9], off offset:832
	s_or_b32 exec_lo, exec_lo, s29
	s_and_saveexec_b32 s29, s27
	s_cbranch_execz .LBB93_72
.LBB93_270:                             ;   in Loop: Header=BB93_12 Depth=1
	global_load_u16 v100, v[8:9], off offset:896
	s_or_b32 exec_lo, exec_lo, s29
	v_mov_b32_e32 v102, 0
	s_and_saveexec_b32 s29, s28
	s_cbranch_execnz .LBB93_73
	s_branch .LBB93_74
.LBB93_271:                             ;   in Loop: Header=BB93_12 Depth=1
	ds_load_u16 v17, v37
	s_waitcnt lgkmcnt(0)
	global_store_b16 v[0:1], v17, off
	s_or_b32 exec_lo, exec_lo, s29
	s_and_saveexec_b32 s29, s14
	s_cbranch_execz .LBB93_206
.LBB93_272:                             ;   in Loop: Header=BB93_12 Depth=1
	s_waitcnt lgkmcnt(14)
	global_store_b16 v[0:1], v16, off offset:64
	s_or_b32 exec_lo, exec_lo, s29
	s_and_saveexec_b32 s29, s15
	s_cbranch_execz .LBB93_207
.LBB93_273:                             ;   in Loop: Header=BB93_12 Depth=1
	s_waitcnt lgkmcnt(13)
	global_store_b16 v[0:1], v15, off offset:128
	s_or_b32 exec_lo, exec_lo, s29
	s_and_saveexec_b32 s29, s16
	s_cbranch_execz .LBB93_208
.LBB93_274:                             ;   in Loop: Header=BB93_12 Depth=1
	s_waitcnt lgkmcnt(12)
	global_store_b16 v[0:1], v14, off offset:192
	s_or_b32 exec_lo, exec_lo, s29
	s_and_saveexec_b32 s29, s17
	s_cbranch_execz .LBB93_209
.LBB93_275:                             ;   in Loop: Header=BB93_12 Depth=1
	s_waitcnt lgkmcnt(11)
	global_store_b16 v[0:1], v13, off offset:256
	s_or_b32 exec_lo, exec_lo, s29
	s_and_saveexec_b32 s29, s18
	s_cbranch_execz .LBB93_210
.LBB93_276:                             ;   in Loop: Header=BB93_12 Depth=1
	s_waitcnt lgkmcnt(10)
	global_store_b16 v[0:1], v12, off offset:320
	s_or_b32 exec_lo, exec_lo, s29
	s_and_saveexec_b32 s29, s19
	s_cbranch_execz .LBB93_211
.LBB93_277:                             ;   in Loop: Header=BB93_12 Depth=1
	s_waitcnt lgkmcnt(9)
	global_store_b16 v[0:1], v11, off offset:384
	s_or_b32 exec_lo, exec_lo, s29
	s_and_saveexec_b32 s29, s20
	s_cbranch_execz .LBB93_212
.LBB93_278:                             ;   in Loop: Header=BB93_12 Depth=1
	s_waitcnt lgkmcnt(8)
	global_store_b16 v[0:1], v10, off offset:448
	s_or_b32 exec_lo, exec_lo, s29
	s_and_saveexec_b32 s29, s21
	s_cbranch_execz .LBB93_213
.LBB93_279:                             ;   in Loop: Header=BB93_12 Depth=1
	s_waitcnt lgkmcnt(7)
	global_store_b16 v[0:1], v9, off offset:512
	s_or_b32 exec_lo, exec_lo, s29
	s_and_saveexec_b32 s29, s22
	s_cbranch_execz .LBB93_214
.LBB93_280:                             ;   in Loop: Header=BB93_12 Depth=1
	s_waitcnt lgkmcnt(6)
	global_store_b16 v[0:1], v8, off offset:576
	s_or_b32 exec_lo, exec_lo, s29
	s_and_saveexec_b32 s29, s23
	s_cbranch_execz .LBB93_215
.LBB93_281:                             ;   in Loop: Header=BB93_12 Depth=1
	s_waitcnt lgkmcnt(5)
	global_store_b16 v[0:1], v7, off offset:640
	s_or_b32 exec_lo, exec_lo, s29
	s_and_saveexec_b32 s29, s24
	s_cbranch_execz .LBB93_216
.LBB93_282:                             ;   in Loop: Header=BB93_12 Depth=1
	s_waitcnt lgkmcnt(4)
	global_store_b16 v[0:1], v6, off offset:704
	s_or_b32 exec_lo, exec_lo, s29
	s_and_saveexec_b32 s29, s25
	s_cbranch_execz .LBB93_217
.LBB93_283:                             ;   in Loop: Header=BB93_12 Depth=1
	s_waitcnt lgkmcnt(3)
	global_store_b16 v[0:1], v5, off offset:768
	s_or_b32 exec_lo, exec_lo, s29
	s_and_saveexec_b32 s29, s26
	s_cbranch_execz .LBB93_218
.LBB93_284:                             ;   in Loop: Header=BB93_12 Depth=1
	s_waitcnt lgkmcnt(2)
	global_store_b16 v[0:1], v4, off offset:832
	s_or_b32 exec_lo, exec_lo, s29
	s_and_saveexec_b32 s29, s27
	s_cbranch_execz .LBB93_219
.LBB93_285:                             ;   in Loop: Header=BB93_12 Depth=1
	s_waitcnt lgkmcnt(1)
	global_store_b16 v[0:1], v3, off offset:896
	s_or_b32 exec_lo, exec_lo, s29
	s_and_saveexec_b32 s29, s28
	s_cbranch_execnz .LBB93_220
	s_branch .LBB93_221
.LBB93_286:                             ;   in Loop: Header=BB93_12 Depth=1
	ds_load_u16 v17, v37
	s_waitcnt lgkmcnt(0)
	global_store_b16 v[0:1], v17, off
	s_or_b32 exec_lo, exec_lo, s29
	s_and_saveexec_b32 s13, s14
	s_cbranch_execz .LBB93_255
.LBB93_287:                             ;   in Loop: Header=BB93_12 Depth=1
	s_waitcnt lgkmcnt(14)
	global_store_b16 v[0:1], v16, off offset:64
	s_or_b32 exec_lo, exec_lo, s13
	s_and_saveexec_b32 s13, s15
	s_cbranch_execz .LBB93_256
.LBB93_288:                             ;   in Loop: Header=BB93_12 Depth=1
	s_waitcnt lgkmcnt(13)
	global_store_b16 v[0:1], v15, off offset:128
	s_or_b32 exec_lo, exec_lo, s13
	s_and_saveexec_b32 s13, s16
	s_cbranch_execz .LBB93_257
.LBB93_289:                             ;   in Loop: Header=BB93_12 Depth=1
	s_waitcnt lgkmcnt(12)
	global_store_b16 v[0:1], v14, off offset:192
	s_or_b32 exec_lo, exec_lo, s13
	s_and_saveexec_b32 s13, s17
	s_cbranch_execz .LBB93_258
.LBB93_290:                             ;   in Loop: Header=BB93_12 Depth=1
	s_waitcnt lgkmcnt(11)
	global_store_b16 v[0:1], v13, off offset:256
	s_or_b32 exec_lo, exec_lo, s13
	s_and_saveexec_b32 s13, s18
	s_cbranch_execz .LBB93_259
.LBB93_291:                             ;   in Loop: Header=BB93_12 Depth=1
	s_waitcnt lgkmcnt(10)
	global_store_b16 v[0:1], v12, off offset:320
	s_or_b32 exec_lo, exec_lo, s13
	s_and_saveexec_b32 s13, s19
	s_cbranch_execz .LBB93_260
.LBB93_292:                             ;   in Loop: Header=BB93_12 Depth=1
	s_waitcnt lgkmcnt(9)
	global_store_b16 v[0:1], v11, off offset:384
	s_or_b32 exec_lo, exec_lo, s13
	s_and_saveexec_b32 s13, s20
	s_cbranch_execz .LBB93_261
.LBB93_293:                             ;   in Loop: Header=BB93_12 Depth=1
	s_waitcnt lgkmcnt(8)
	global_store_b16 v[0:1], v10, off offset:448
	s_or_b32 exec_lo, exec_lo, s13
	s_and_saveexec_b32 s13, s21
	s_cbranch_execz .LBB93_262
.LBB93_294:                             ;   in Loop: Header=BB93_12 Depth=1
	s_waitcnt lgkmcnt(7)
	global_store_b16 v[0:1], v9, off offset:512
	s_or_b32 exec_lo, exec_lo, s13
	s_and_saveexec_b32 s13, s22
	s_cbranch_execz .LBB93_263
.LBB93_295:                             ;   in Loop: Header=BB93_12 Depth=1
	s_waitcnt lgkmcnt(6)
	global_store_b16 v[0:1], v8, off offset:576
	s_or_b32 exec_lo, exec_lo, s13
	s_and_saveexec_b32 s13, s23
	s_cbranch_execz .LBB93_264
.LBB93_296:                             ;   in Loop: Header=BB93_12 Depth=1
	s_waitcnt lgkmcnt(5)
	global_store_b16 v[0:1], v7, off offset:640
	s_or_b32 exec_lo, exec_lo, s13
	s_and_saveexec_b32 s13, s24
	s_cbranch_execz .LBB93_265
.LBB93_297:                             ;   in Loop: Header=BB93_12 Depth=1
	s_waitcnt lgkmcnt(4)
	global_store_b16 v[0:1], v6, off offset:704
	s_or_b32 exec_lo, exec_lo, s13
	s_and_saveexec_b32 s13, s25
	s_cbranch_execz .LBB93_266
.LBB93_298:                             ;   in Loop: Header=BB93_12 Depth=1
	s_waitcnt lgkmcnt(3)
	global_store_b16 v[0:1], v5, off offset:768
	s_or_b32 exec_lo, exec_lo, s13
	s_and_saveexec_b32 s13, s26
	s_cbranch_execz .LBB93_267
.LBB93_299:                             ;   in Loop: Header=BB93_12 Depth=1
	s_waitcnt lgkmcnt(2)
	global_store_b16 v[0:1], v4, off offset:832
	s_or_b32 exec_lo, exec_lo, s13
	s_and_saveexec_b32 s13, s27
	s_cbranch_execz .LBB93_268
.LBB93_300:                             ;   in Loop: Header=BB93_12 Depth=1
	s_waitcnt lgkmcnt(1)
	global_store_b16 v[0:1], v3, off offset:896
	s_or_b32 exec_lo, exec_lo, s13
	s_and_saveexec_b32 s13, s28
	s_cbranch_execz .LBB93_11
.LBB93_301:                             ;   in Loop: Header=BB93_12 Depth=1
	s_waitcnt lgkmcnt(0)
	global_store_b16 v[0:1], v2, off offset:960
	s_branch .LBB93_11
.LBB93_302:
	s_nop 0
	s_sendmsg sendmsg(MSG_DEALLOC_VGPRS)
	s_endpgm
	.section	.rodata,"a",@progbits
	.p2align	6, 0x0
	.amdhsa_kernel _Z25selective_scan_fwd_kernelI32Selective_Scan_fwd_kernel_traitsILi128ELi16ELi1ELb0ELb1ELb1ELb1ELb0EN3c104HalfEfS2_EEv13SSMParamsBase
		.amdhsa_group_segment_fixed_size 0
		.amdhsa_private_segment_fixed_size 0
		.amdhsa_kernarg_size 248
		.amdhsa_user_sgpr_count 14
		.amdhsa_user_sgpr_dispatch_ptr 0
		.amdhsa_user_sgpr_queue_ptr 0
		.amdhsa_user_sgpr_kernarg_segment_ptr 1
		.amdhsa_user_sgpr_dispatch_id 0
		.amdhsa_user_sgpr_private_segment_size 0
		.amdhsa_wavefront_size32 1
		.amdhsa_uses_dynamic_stack 0
		.amdhsa_enable_private_segment 0
		.amdhsa_system_sgpr_workgroup_id_x 1
		.amdhsa_system_sgpr_workgroup_id_y 1
		.amdhsa_system_sgpr_workgroup_id_z 0
		.amdhsa_system_sgpr_workgroup_info 0
		.amdhsa_system_vgpr_workitem_id 0
		.amdhsa_next_free_vgpr 177
		.amdhsa_next_free_sgpr 94
		.amdhsa_reserve_vcc 1
		.amdhsa_float_round_mode_32 0
		.amdhsa_float_round_mode_16_64 0
		.amdhsa_float_denorm_mode_32 3
		.amdhsa_float_denorm_mode_16_64 3
		.amdhsa_dx10_clamp 1
		.amdhsa_ieee_mode 1
		.amdhsa_fp16_overflow 0
		.amdhsa_workgroup_processor_mode 1
		.amdhsa_memory_ordered 1
		.amdhsa_forward_progress 0
		.amdhsa_shared_vgpr_count 0
		.amdhsa_exception_fp_ieee_invalid_op 0
		.amdhsa_exception_fp_denorm_src 0
		.amdhsa_exception_fp_ieee_div_zero 0
		.amdhsa_exception_fp_ieee_overflow 0
		.amdhsa_exception_fp_ieee_underflow 0
		.amdhsa_exception_fp_ieee_inexact 0
		.amdhsa_exception_int_div_zero 0
	.end_amdhsa_kernel
	.section	.text._Z25selective_scan_fwd_kernelI32Selective_Scan_fwd_kernel_traitsILi128ELi16ELi1ELb0ELb1ELb1ELb1ELb0EN3c104HalfEfS2_EEv13SSMParamsBase,"axG",@progbits,_Z25selective_scan_fwd_kernelI32Selective_Scan_fwd_kernel_traitsILi128ELi16ELi1ELb0ELb1ELb1ELb1ELb0EN3c104HalfEfS2_EEv13SSMParamsBase,comdat
.Lfunc_end93:
	.size	_Z25selective_scan_fwd_kernelI32Selective_Scan_fwd_kernel_traitsILi128ELi16ELi1ELb0ELb1ELb1ELb1ELb0EN3c104HalfEfS2_EEv13SSMParamsBase, .Lfunc_end93-_Z25selective_scan_fwd_kernelI32Selective_Scan_fwd_kernel_traitsILi128ELi16ELi1ELb0ELb1ELb1ELb1ELb0EN3c104HalfEfS2_EEv13SSMParamsBase
                                        ; -- End function
	.section	.AMDGPU.csdata,"",@progbits
; Kernel info:
; codeLenInByte = 26160
; NumSgprs: 96
; NumVgprs: 177
; ScratchSize: 0
; MemoryBound: 0
; FloatMode: 240
; IeeeMode: 1
; LDSByteSize: 0 bytes/workgroup (compile time only)
; SGPRBlocks: 11
; VGPRBlocks: 22
; NumSGPRsForWavesPerEU: 96
; NumVGPRsForWavesPerEU: 177
; Occupancy: 8
; WaveLimiterHint : 0
; COMPUTE_PGM_RSRC2:SCRATCH_EN: 0
; COMPUTE_PGM_RSRC2:USER_SGPR: 14
; COMPUTE_PGM_RSRC2:TRAP_HANDLER: 0
; COMPUTE_PGM_RSRC2:TGID_X_EN: 1
; COMPUTE_PGM_RSRC2:TGID_Y_EN: 1
; COMPUTE_PGM_RSRC2:TGID_Z_EN: 0
; COMPUTE_PGM_RSRC2:TIDIG_COMP_CNT: 0
	.section	.text._Z25selective_scan_fwd_kernelI32Selective_Scan_fwd_kernel_traitsILi128ELi16ELi1ELb0ELb1ELb1ELb0ELb1EN3c104HalfEfS2_EEv13SSMParamsBase,"axG",@progbits,_Z25selective_scan_fwd_kernelI32Selective_Scan_fwd_kernel_traitsILi128ELi16ELi1ELb0ELb1ELb1ELb0ELb1EN3c104HalfEfS2_EEv13SSMParamsBase,comdat
	.protected	_Z25selective_scan_fwd_kernelI32Selective_Scan_fwd_kernel_traitsILi128ELi16ELi1ELb0ELb1ELb1ELb0ELb1EN3c104HalfEfS2_EEv13SSMParamsBase ; -- Begin function _Z25selective_scan_fwd_kernelI32Selective_Scan_fwd_kernel_traitsILi128ELi16ELi1ELb0ELb1ELb1ELb0ELb1EN3c104HalfEfS2_EEv13SSMParamsBase
	.globl	_Z25selective_scan_fwd_kernelI32Selective_Scan_fwd_kernel_traitsILi128ELi16ELi1ELb0ELb1ELb1ELb0ELb1EN3c104HalfEfS2_EEv13SSMParamsBase
	.p2align	8
	.type	_Z25selective_scan_fwd_kernelI32Selective_Scan_fwd_kernel_traitsILi128ELi16ELi1ELb0ELb1ELb1ELb0ELb1EN3c104HalfEfS2_EEv13SSMParamsBase,@function
_Z25selective_scan_fwd_kernelI32Selective_Scan_fwd_kernel_traitsILi128ELi16ELi1ELb0ELb1ELb1ELb0ELb1EN3c104HalfEfS2_EEv13SSMParamsBase: ; @_Z25selective_scan_fwd_kernelI32Selective_Scan_fwd_kernel_traitsILi128ELi16ELi1ELb0ELb1ELb1ELb0ELb1EN3c104HalfEfS2_EEv13SSMParamsBase
; %bb.0:
	s_clause 0x2
	s_load_b32 s36, s[0:1], 0x18
	s_load_b128 s[4:7], s[0:1], 0xe0
	s_load_b64 s[10:11], s[0:1], 0xf0
	s_mov_b32 s12, s15
	s_ashr_i32 s15, s14, 31
	s_mov_b32 s66, 0
	s_lshl_b64 s[8:9], s[14:15], 2
	s_waitcnt lgkmcnt(0)
	s_abs_i32 s33, s36
	s_add_u32 s2, s4, s8
	v_cvt_f32_u32_e32 v1, s33
	s_addc_u32 s3, s5, s9
	s_cmp_eq_u64 s[10:11], 0
	s_delay_alu instid0(VALU_DEP_1) | instskip(SKIP_2) | instid1(VALU_DEP_1)
	v_rcp_iflag_f32_e32 v1, v1
	s_waitcnt_depctr 0xfff
	v_mul_f32_e32 v1, 0x4f7ffffe, v1
	v_cvt_u32_f32_e32 v1, v1
	s_delay_alu instid0(VALU_DEP_1)
	v_readfirstlane_b32 s37, v1
	s_cbranch_scc1 .LBB94_2
; %bb.1:
	v_mov_b32_e32 v1, 0
	s_add_u32 s4, s10, s14
	s_addc_u32 s5, s11, s15
	global_load_u8 v1, v1, s[4:5]
	s_waitcnt vmcnt(0)
	v_and_b32_e32 v1, 1, v1
	s_delay_alu instid0(VALU_DEP_1)
	v_cmp_eq_u32_e64 s66, 1, v1
.LBB94_2:
	s_load_b64 s[4:5], s[0:1], 0x20
	s_cmp_eq_u64 s[6:7], 0
	s_cbranch_scc1 .LBB94_4
; %bb.3:
	s_add_u32 s6, s6, s8
	s_addc_u32 s7, s7, s9
	s_load_b32 s14, s[6:7], 0x0
	s_waitcnt lgkmcnt(0)
	s_ashr_i32 s15, s14, 31
.LBB94_4:
	s_waitcnt lgkmcnt(0)
	s_cmp_eq_u64 s[4:5], s[14:15]
	s_cbranch_scc1 .LBB94_238
; %bb.5:
	s_load_b512 s[16:31], s[0:1], 0x88
	s_load_b64 s[34:35], s[2:3], 0x0
	s_mov_b32 s67, 0
	s_mov_b32 s68, 0
	s_waitcnt lgkmcnt(0)
	s_cmp_eq_u64 s[22:23], 0
	s_cbranch_scc1 .LBB94_7
; %bb.6:
	s_ashr_i32 s13, s12, 31
	s_delay_alu instid0(SALU_CYCLE_1) | instskip(NEXT) | instid1(SALU_CYCLE_1)
	s_lshl_b64 s[2:3], s[12:13], 2
	s_add_u32 s2, s22, s2
	s_addc_u32 s3, s23, s3
	s_load_b32 s68, s[2:3], 0x0
.LBB94_7:
	s_cmp_eq_u64 s[28:29], 0
	s_cbranch_scc1 .LBB94_9
; %bb.8:
	s_ashr_i32 s13, s12, 31
	s_delay_alu instid0(SALU_CYCLE_1) | instskip(NEXT) | instid1(SALU_CYCLE_1)
	s_lshl_b64 s[2:3], s[12:13], 2
	s_add_u32 s2, s28, s2
	s_addc_u32 s3, s29, s3
	s_load_b32 s67, s[2:3], 0x0
.LBB94_9:
	s_sub_i32 s69, s35, s34
	s_delay_alu instid0(SALU_CYCLE_1)
	s_cmp_lt_i32 s69, 1
	s_cbranch_scc1 .LBB94_238
; %bb.10:
	s_sub_i32 s2, 0, s33
	s_abs_i32 s5, s12
	s_mul_i32 s4, s2, s37
	s_clause 0x1
	s_load_b64 s[2:3], s[0:1], 0x5c
	s_load_b128 s[56:59], s[0:1], 0x4c
	s_mul_hi_u32 s4, s37, s4
	s_ashr_i32 s7, s36, 31
	s_add_i32 s37, s37, s4
	s_ashr_i32 s4, s12, 31
	s_mul_hi_u32 s6, s5, s37
	s_xor_b32 s7, s4, s7
	s_mul_i32 s8, s6, s33
	s_load_b256 s[48:55], s[0:1], 0x2c
	s_sub_i32 s4, s5, s8
	s_add_i32 s5, s6, 1
	s_sub_i32 s8, s4, s33
	s_cmp_ge_u32 s4, s33
	s_mov_b32 s65, 0
	s_cselect_b32 s5, s5, s6
	s_cselect_b32 s4, s8, s4
	s_add_i32 s6, s5, 1
	s_cmp_ge_u32 s4, s33
	s_load_b128 s[60:63], s[0:1], 0x7c
	s_cselect_b32 s4, s6, s5
	s_waitcnt lgkmcnt(0)
	s_mul_i32 s64, s34, s58
	s_xor_b32 s6, s4, s7
	s_lshl_b64 s[4:5], s[64:65], 1
	s_sub_i32 s6, s6, s7
	s_mul_i32 s64, s59, s12
	s_add_u32 s7, s24, s4
	s_addc_u32 s8, s25, s5
	s_lshl_b64 s[4:5], s[64:65], 1
	s_mul_i32 s64, s34, s2
	s_add_u32 s70, s7, s4
	s_addc_u32 s71, s8, s5
	s_lshl_b64 s[4:5], s[64:65], 1
	;; [unrolled: 4-line block ×3, first 2 shown]
	v_dual_mov_b32 v21, 0 :: v_dual_lshlrev_b32 v18, 4, v0
	s_add_u32 s72, s4, s2
	s_mul_i32 s64, s48, s12
	s_addc_u32 s48, s5, s3
	s_load_b64 s[4:5], s[0:1], 0xc8
	s_lshl_b64 s[2:3], s[64:65], 2
	v_mbcnt_lo_u32_b32 v19, -1, 0
	v_and_b32_e32 v1, 0x600, v18
	s_mul_i32 s64, s34, s50
	s_add_u32 s73, s16, s2
	s_addc_u32 s63, s17, s3
	s_lshl_b64 s[2:3], s[64:65], 1
	s_mul_i32 s64, s6, s53
	s_clause 0x2
	s_load_b64 s[16:17], s[0:1], 0x6c
	s_load_b32 s78, s[0:1], 0xc
	s_load_b32 s0, s[0:1], 0x28
	s_add_u32 s7, s18, s2
	v_or_b32_e32 v20, v19, v1
	s_addc_u32 s8, s19, s3
	s_lshl_b64 s[2:3], s[64:65], 1
	s_mul_i32 s64, s34, s54
	s_add_u32 s53, s7, s2
	s_addc_u32 s74, s8, s3
	s_lshl_b64 s[2:3], s[64:65], 1
	s_mul_i32 s64, s6, s57
	v_or_b32_e32 v24, 0x60, v20
	v_and_b32_e32 v14, 0x60, v0
	s_add_u32 s7, s20, s2
	s_addc_u32 s6, s21, s3
	s_lshl_b64 s[2:3], s[64:65], 1
	s_mul_i32 s64, s14, s60
	s_add_u32 s57, s7, s2
	s_addc_u32 s75, s6, s3
	s_lshl_b64 s[2:3], s[64:65], 1
	v_or_b32_e32 v26, 0xa0, v20
	v_or_b32_e32 v28, 0xe0, v20
	;; [unrolled: 1-line block ×5, first 2 shown]
	v_lshrrev_b32_e32 v2, 5, v24
	v_or_b32_e32 v36, 0x1e0, v20
	v_or_b32_e32 v16, v19, v14
	s_mul_i32 s64, s61, s12
	s_waitcnt lgkmcnt(0)
	s_add_u32 s4, s4, s2
	s_addc_u32 s5, s5, s3
	s_lshl_b64 s[2:3], s[64:65], 1
	v_or_b32_e32 v23, 64, v20
	s_add_u32 s76, s4, s2
	v_or_b32_e32 v25, 0x80, v20
	v_or_b32_e32 v27, 0xc0, v20
	;; [unrolled: 1-line block ×6, first 2 shown]
	v_and_b32_e32 v2, 50, v2
	v_lshrrev_b32_e32 v5, 5, v26
	v_lshrrev_b32_e32 v8, 5, v28
	;; [unrolled: 1-line block ×6, first 2 shown]
	v_lshrrev_b16 v50, 1, v16
	s_addc_u32 s77, s5, s3
	s_add_i32 s2, s69, 0x7ff
	v_lshrrev_b32_e32 v3, 5, v1
	s_lshr_b32 s79, s2, 11
	s_bitcmp1_b32 s0, 0
	v_lshrrev_b32_e32 v4, 5, v23
	v_lshrrev_b32_e32 v6, 5, v25
	v_add_lshl_u32 v2, v2, v20, 1
	v_and_b32_e32 v5, 52, v5
	v_lshrrev_b32_e32 v7, 5, v27
	v_and_b32_e32 v8, 54, v8
	v_lshrrev_b32_e32 v10, 5, v29
	;; [unrolled: 2-line block ×5, first 2 shown]
	v_and_b32_e32 v51, 62, v49
	v_lshlrev_b32_e32 v16, 4, v16
	v_and_b32_e32 v52, 62, v50
	s_cselect_b32 s80, -1, 0
	s_cmp_gt_i32 s78, 0
	v_add_lshl_u32 v3, v3, v20, 1
	s_cselect_b32 s81, -1, 0
	s_add_i32 s0, 0, 0x1080
	v_add_lshl_u32 v4, v4, v20, 1
	v_add_lshl_u32 v6, v6, v20, 1
	v_add_nc_u32_e32 v39, 0, v2
	v_add_lshl_u32 v5, v5, v20, 1
	v_add_lshl_u32 v7, v7, v20, 1
	;; [unrolled: 1-line block ×12, first 2 shown]
	v_add_nc_u32_e32 v55, s0, v2
	v_and_b32_e32 v2, 15, v19
	s_and_b32 s1, s69, 0x7ff
	v_add_nc_u32_e32 v51, 0, v67
	v_add_nc_u32_e32 v53, s0, v3
	;; [unrolled: 1-line block ×15, first 2 shown]
	s_cmp_eq_u32 s1, 0
	v_add_nc_u32_e32 v68, s0, v16
	v_cmp_ne_u32_e64 s0, 0, v2
	v_cmp_lt_u32_e64 s1, 1, v2
	v_cmp_lt_u32_e64 s2, 3, v2
	;; [unrolled: 1-line block ×3, first 2 shown]
	v_add_nc_u32_e32 v2, -1, v19
	v_add_nc_u32_e32 v37, 0, v3
	v_lshrrev_b32_e32 v3, 2, v0
	v_add_nc_u32_e32 v41, 0, v5
	v_or_b32_e32 v5, 31, v14
	v_cmp_gt_i32_e32 vcc_lo, 0, v2
	s_mul_i32 s64, s34, s16
	v_and_b32_e32 v3, 24, v3
	s_cselect_b32 s82, -1, 0
	s_lshl_b64 s[14:15], s[64:65], 1
	v_cndmask_b32_e32 v2, v2, v19, vcc_lo
	s_add_i32 s83, s79, -1
	s_mul_i32 s64, s17, s12
	v_cmp_eq_u32_e64 s5, v5, v0
	v_cmp_gt_u32_e64 s6, 4, v0
	v_lshl_add_u32 v70, v0, 3, 0
	v_cmp_gt_u32_e64 s9, 32, v0
	v_cmp_lt_u32_e64 s10, 31, v0
	v_cmp_eq_u32_e64 s11, 0, v0
	s_add_u32 s14, s30, s14
	v_lshlrev_b32_e32 v0, 1, v19
	s_addc_u32 s15, s31, s15
	s_lshl_b64 s[12:13], s[64:65], 1
	v_add_nc_u32_e32 v69, 0, v3
	v_and_b32_e32 v3, 3, v19
	s_add_u32 s12, s14, s12
	v_lshlrev_b32_e32 v71, 2, v2
	s_addc_u32 s13, s15, s13
	v_lshlrev_b32_e32 v2, 1, v1
	v_add_co_u32 v0, s12, s12, v0
	v_add_nc_u32_e32 v38, 0, v4
	v_and_b32_e32 v4, 16, v19
	v_cmp_ne_u32_e64 s7, 0, v3
	v_cmp_lt_u32_e64 s8, 1, v3
	v_add_co_ci_u32_e64 v3, null, s13, 0, s12
	v_add_co_u32 v72, vcc_lo, v0, v2
	v_or_b32_e32 v22, 32, v20
	v_add_nc_u32_e32 v40, 0, v6
	v_add_nc_u32_e32 v42, 0, v7
	;; [unrolled: 1-line block ×11, first 2 shown]
	v_cmp_ne_u32_e64 s4, 0, v4
	v_cmp_eq_u32_e64 s12, 0, v19
	v_add_co_ci_u32_e32 v73, vcc_lo, 0, v3, vcc_lo
	v_or_b32_e32 v74, 1, v18
	v_or_b32_e32 v75, 2, v18
	;; [unrolled: 1-line block ×15, first 2 shown]
	v_lshlrev_b32_e32 v89, 1, v1
	s_mov_b32 s84, 0x3e9b6dac
	s_add_i32 s85, 0, 0x2120
	s_mov_b32 s86, 0
	s_branch .LBB94_12
.LBB94_11:                              ;   in Loop: Header=BB94_12 Depth=1
	s_or_b32 exec_lo, exec_lo, s13
	s_add_u32 s72, s72, 0x1000
	s_addc_u32 s48, s48, 0
	s_add_u32 s70, s70, 0x1000
	s_addc_u32 s71, s71, 0
	;; [unrolled: 2-line block ×4, first 2 shown]
	s_add_i32 s86, s86, 1
	s_delay_alu instid0(SALU_CYCLE_1)
	s_cmp_eq_u32 s86, s79
	s_cbranch_scc1 .LBB94_238
.LBB94_12:                              ; =>This Loop Header: Depth=1
                                        ;     Child Loop BB94_109 Depth 2
	s_waitcnt lgkmcnt(14)
	v_lshlrev_b32_e32 v16, 1, v19
	s_lshl_b32 s50, s86, 11
	s_waitcnt lgkmcnt(0)
	v_mov_b32_e32 v2, 0
	s_sub_i32 s41, s69, s50
	v_add_co_u32 v0, s13, s70, v16
	s_delay_alu instid0(VALU_DEP_1) | instskip(SKIP_1) | instid1(VALU_DEP_3)
	v_add_co_ci_u32_e64 v1, null, s71, 0, s13
	v_cmp_gt_u32_e64 s13, s41, v20
	v_add_co_u32 v0, vcc_lo, v0, v89
	s_delay_alu instid0(VALU_DEP_3)
	v_add_co_ci_u32_e32 v1, vcc_lo, 0, v1, vcc_lo
	s_waitcnt_vscnt null, 0x0
	s_barrier
	buffer_gl0_inv
	s_and_saveexec_b32 s14, s13
	s_cbranch_execz .LBB94_14
; %bb.13:                               ;   in Loop: Header=BB94_12 Depth=1
	global_load_u16 v2, v[0:1], off
.LBB94_14:                              ;   in Loop: Header=BB94_12 Depth=1
	s_or_b32 exec_lo, exec_lo, s14
	v_cmp_gt_u32_e64 s14, s41, v22
	v_dual_mov_b32 v3, 0 :: v_dual_mov_b32 v4, 0
	s_delay_alu instid0(VALU_DEP_2)
	s_and_saveexec_b32 s15, s14
	s_cbranch_execz .LBB94_16
; %bb.15:                               ;   in Loop: Header=BB94_12 Depth=1
	global_load_u16 v4, v[0:1], off offset:64
.LBB94_16:                              ;   in Loop: Header=BB94_12 Depth=1
	s_or_b32 exec_lo, exec_lo, s15
	v_cmp_gt_u32_e64 s15, s41, v23
	s_delay_alu instid0(VALU_DEP_1)
	s_and_saveexec_b32 s16, s15
	s_cbranch_execz .LBB94_18
; %bb.17:                               ;   in Loop: Header=BB94_12 Depth=1
	global_load_u16 v3, v[0:1], off offset:128
.LBB94_18:                              ;   in Loop: Header=BB94_12 Depth=1
	s_or_b32 exec_lo, exec_lo, s16
	v_cmp_gt_u32_e64 s16, s41, v24
	v_dual_mov_b32 v5, 0 :: v_dual_mov_b32 v6, 0
	s_delay_alu instid0(VALU_DEP_2)
	s_and_saveexec_b32 s17, s16
	s_cbranch_execz .LBB94_20
; %bb.19:                               ;   in Loop: Header=BB94_12 Depth=1
	global_load_u16 v6, v[0:1], off offset:192
.LBB94_20:                              ;   in Loop: Header=BB94_12 Depth=1
	s_or_b32 exec_lo, exec_lo, s17
	v_cmp_gt_u32_e64 s17, s41, v25
	s_delay_alu instid0(VALU_DEP_1)
	s_and_saveexec_b32 s18, s17
	s_cbranch_execz .LBB94_22
; %bb.21:                               ;   in Loop: Header=BB94_12 Depth=1
	global_load_u16 v5, v[0:1], off offset:256
.LBB94_22:                              ;   in Loop: Header=BB94_12 Depth=1
	;; [unrolled: 17-line block ×3, first 2 shown]
	s_or_b32 exec_lo, exec_lo, s20
	v_cmp_gt_u32_e64 s20, s41, v28
	v_mov_b32_e32 v9, 0
	v_mov_b32_e32 v11, 0
	s_delay_alu instid0(VALU_DEP_3)
	s_and_saveexec_b32 s21, s20
	s_cbranch_execz .LBB94_28
; %bb.27:                               ;   in Loop: Header=BB94_12 Depth=1
	global_load_u16 v11, v[0:1], off offset:448
.LBB94_28:                              ;   in Loop: Header=BB94_12 Depth=1
	s_or_b32 exec_lo, exec_lo, s21
	v_cmp_gt_u32_e64 s21, s41, v29
	s_delay_alu instid0(VALU_DEP_1)
	s_and_saveexec_b32 s22, s21
	s_cbranch_execz .LBB94_30
; %bb.29:                               ;   in Loop: Header=BB94_12 Depth=1
	global_load_u16 v9, v[0:1], off offset:512
.LBB94_30:                              ;   in Loop: Header=BB94_12 Depth=1
	s_or_b32 exec_lo, exec_lo, s22
	v_cmp_gt_u32_e64 s22, s41, v30
	v_dual_mov_b32 v12, 0 :: v_dual_mov_b32 v13, 0
	s_delay_alu instid0(VALU_DEP_2)
	s_and_saveexec_b32 s23, s22
	s_cbranch_execz .LBB94_32
; %bb.31:                               ;   in Loop: Header=BB94_12 Depth=1
	global_load_u16 v13, v[0:1], off offset:576
.LBB94_32:                              ;   in Loop: Header=BB94_12 Depth=1
	s_or_b32 exec_lo, exec_lo, s23
	v_cmp_gt_u32_e64 s23, s41, v31
	s_delay_alu instid0(VALU_DEP_1)
	s_and_saveexec_b32 s24, s23
	s_cbranch_execz .LBB94_34
; %bb.33:                               ;   in Loop: Header=BB94_12 Depth=1
	global_load_u16 v12, v[0:1], off offset:640
.LBB94_34:                              ;   in Loop: Header=BB94_12 Depth=1
	s_or_b32 exec_lo, exec_lo, s24
	v_cmp_gt_u32_e64 s24, s41, v32
	v_dual_mov_b32 v14, 0 :: v_dual_mov_b32 v15, 0
	s_delay_alu instid0(VALU_DEP_2)
	;; [unrolled: 17-line block ×4, first 2 shown]
	s_and_saveexec_b32 s29, s28
	s_cbranch_execz .LBB94_44
; %bb.43:                               ;   in Loop: Header=BB94_12 Depth=1
	global_load_u16 v91, v[0:1], off offset:960
.LBB94_44:                              ;   in Loop: Header=BB94_12 Depth=1
	s_or_b32 exec_lo, exec_lo, s29
	s_waitcnt vmcnt(0)
	ds_store_b16 v37, v2
	ds_store_b16 v37, v4 offset:64
	ds_store_b16 v38, v3 offset:128
	;; [unrolled: 1-line block ×15, first 2 shown]
	; wave barrier
	ds_load_b128 v[0:3], v52
	ds_load_b128 v[4:7], v52 offset:16
	v_add_co_u32 v8, s29, s72, v16
	s_delay_alu instid0(VALU_DEP_1) | instskip(SKIP_1) | instid1(VALU_DEP_2)
	v_add_co_ci_u32_e64 v9, null, s48, 0, s29
	s_waitcnt lgkmcnt(0)
	v_add_co_u32 v8, vcc_lo, v8, v89
	s_delay_alu instid0(VALU_DEP_2)
	v_add_co_ci_u32_e32 v9, vcc_lo, 0, v9, vcc_lo
	s_barrier
	buffer_gl0_inv
	s_and_saveexec_b32 s29, s13
	s_cbranch_execz .LBB94_46
; %bb.45:                               ;   in Loop: Header=BB94_12 Depth=1
	global_load_u16 v10, v[8:9], off
.LBB94_46:                              ;   in Loop: Header=BB94_12 Depth=1
	s_or_b32 exec_lo, exec_lo, s29
	v_dual_mov_b32 v11, 0 :: v_dual_mov_b32 v12, 0
	s_and_saveexec_b32 s29, s14
	s_cbranch_execz .LBB94_48
; %bb.47:                               ;   in Loop: Header=BB94_12 Depth=1
	global_load_u16 v12, v[8:9], off offset:64
.LBB94_48:                              ;   in Loop: Header=BB94_12 Depth=1
	s_or_b32 exec_lo, exec_lo, s29
	s_and_saveexec_b32 s29, s15
	s_cbranch_execz .LBB94_50
; %bb.49:                               ;   in Loop: Header=BB94_12 Depth=1
	global_load_u16 v11, v[8:9], off offset:128
.LBB94_50:                              ;   in Loop: Header=BB94_12 Depth=1
	s_or_b32 exec_lo, exec_lo, s29
	v_dual_mov_b32 v13, 0 :: v_dual_mov_b32 v14, 0
	s_and_saveexec_b32 s29, s16
	s_cbranch_execz .LBB94_52
; %bb.51:                               ;   in Loop: Header=BB94_12 Depth=1
	global_load_u16 v14, v[8:9], off offset:192
.LBB94_52:                              ;   in Loop: Header=BB94_12 Depth=1
	s_or_b32 exec_lo, exec_lo, s29
	s_and_saveexec_b32 s29, s17
	s_cbranch_execz .LBB94_54
; %bb.53:                               ;   in Loop: Header=BB94_12 Depth=1
	global_load_u16 v13, v[8:9], off offset:256
.LBB94_54:                              ;   in Loop: Header=BB94_12 Depth=1
	s_or_b32 exec_lo, exec_lo, s29
	v_mov_b32_e32 v15, 0
	v_mov_b32_e32 v17, 0
	s_and_saveexec_b32 s29, s18
	s_cbranch_execz .LBB94_56
; %bb.55:                               ;   in Loop: Header=BB94_12 Depth=1
	global_load_u16 v17, v[8:9], off offset:320
.LBB94_56:                              ;   in Loop: Header=BB94_12 Depth=1
	s_or_b32 exec_lo, exec_lo, s29
	s_and_saveexec_b32 s29, s19
	s_cbranch_execz .LBB94_58
; %bb.57:                               ;   in Loop: Header=BB94_12 Depth=1
	global_load_u16 v15, v[8:9], off offset:384
.LBB94_58:                              ;   in Loop: Header=BB94_12 Depth=1
	s_or_b32 exec_lo, exec_lo, s29
	v_dual_mov_b32 v90, 0 :: v_dual_mov_b32 v91, 0
	s_and_saveexec_b32 s29, s20
	s_cbranch_execz .LBB94_60
; %bb.59:                               ;   in Loop: Header=BB94_12 Depth=1
	global_load_u16 v91, v[8:9], off offset:448
.LBB94_60:                              ;   in Loop: Header=BB94_12 Depth=1
	s_or_b32 exec_lo, exec_lo, s29
	s_and_saveexec_b32 s29, s21
	s_cbranch_execz .LBB94_62
; %bb.61:                               ;   in Loop: Header=BB94_12 Depth=1
	global_load_u16 v90, v[8:9], off offset:512
.LBB94_62:                              ;   in Loop: Header=BB94_12 Depth=1
	s_or_b32 exec_lo, exec_lo, s29
	v_dual_mov_b32 v92, 0 :: v_dual_mov_b32 v93, 0
	;; [unrolled: 13-line block ×4, first 2 shown]
	s_and_saveexec_b32 s29, s26
	s_cbranch_execnz .LBB94_220
; %bb.71:                               ;   in Loop: Header=BB94_12 Depth=1
	s_or_b32 exec_lo, exec_lo, s29
	s_and_saveexec_b32 s29, s27
	s_cbranch_execnz .LBB94_221
.LBB94_72:                              ;   in Loop: Header=BB94_12 Depth=1
	s_or_b32 exec_lo, exec_lo, s29
	v_mov_b32_e32 v98, 0
	s_and_saveexec_b32 s29, s28
	s_cbranch_execz .LBB94_74
.LBB94_73:                              ;   in Loop: Header=BB94_12 Depth=1
	global_load_u16 v98, v[8:9], off offset:960
.LBB94_74:                              ;   in Loop: Header=BB94_12 Depth=1
	s_or_b32 exec_lo, exec_lo, s29
	s_waitcnt vmcnt(0)
	ds_store_b16 v37, v10
	ds_store_b16 v37, v12 offset:64
	ds_store_b16 v38, v11 offset:128
	;; [unrolled: 1-line block ×15, first 2 shown]
	; wave barrier
	ds_load_b128 v[12:15], v52
	ds_load_b128 v[8:11], v52 offset:16
	s_waitcnt lgkmcnt(1)
	v_cvt_f32_f16_e32 v17, v12
	s_delay_alu instid0(VALU_DEP_1) | instskip(NEXT) | instid1(VALU_DEP_1)
	v_add_f32_e32 v90, s67, v17
	v_cmp_ge_f32_e32 vcc_lo, 0x41a00000, v90
	s_and_b32 s29, s80, vcc_lo
	s_delay_alu instid0(SALU_CYCLE_1)
	s_and_saveexec_b32 s30, s29
	s_cbranch_execz .LBB94_76
; %bb.75:                               ;   in Loop: Header=BB94_12 Depth=1
	v_mul_f32_e32 v17, 0x3fb8aa3b, v90
	v_cmp_ngt_f32_e32 vcc_lo, 0xc2ce8ed0, v90
	s_delay_alu instid0(VALU_DEP_2) | instskip(SKIP_1) | instid1(VALU_DEP_1)
	v_rndne_f32_e32 v91, v17
	v_fma_f32 v92, 0x3fb8aa3b, v90, -v17
	v_dual_sub_f32 v17, v17, v91 :: v_dual_fmac_f32 v92, 0x32a5705f, v90
	v_cvt_i32_f32_e32 v91, v91
	s_delay_alu instid0(VALU_DEP_2) | instskip(NEXT) | instid1(VALU_DEP_1)
	v_add_f32_e32 v17, v17, v92
	v_exp_f32_e32 v17, v17
	s_waitcnt_depctr 0xfff
	v_ldexp_f32 v17, v17, v91
	s_delay_alu instid0(VALU_DEP_1) | instskip(SKIP_1) | instid1(VALU_DEP_2)
	v_cndmask_b32_e32 v17, 0, v17, vcc_lo
	v_cmp_nlt_f32_e32 vcc_lo, 0x42b17218, v90
	v_cndmask_b32_e32 v17, 0x7f800000, v17, vcc_lo
	s_delay_alu instid0(VALU_DEP_1) | instskip(NEXT) | instid1(VALU_DEP_1)
	v_add_f32_e32 v92, 1.0, v17
	v_cvt_f64_f32_e32 v[90:91], v92
	s_delay_alu instid0(VALU_DEP_1) | instskip(SKIP_1) | instid1(VALU_DEP_1)
	v_frexp_exp_i32_f64_e32 v90, v[90:91]
	v_frexp_mant_f32_e32 v91, v92
	v_cmp_gt_f32_e32 vcc_lo, 0x3f2aaaab, v91
	v_add_f32_e32 v91, -1.0, v92
	s_delay_alu instid0(VALU_DEP_1) | instskip(NEXT) | instid1(VALU_DEP_1)
	v_dual_sub_f32 v94, v91, v92 :: v_dual_sub_f32 v91, v17, v91
	v_add_f32_e32 v94, 1.0, v94
	v_subrev_co_ci_u32_e32 v90, vcc_lo, 0, v90, vcc_lo
	s_delay_alu instid0(VALU_DEP_1) | instskip(SKIP_1) | instid1(VALU_DEP_2)
	v_sub_nc_u32_e32 v93, 0, v90
	v_cvt_f32_i32_e32 v90, v90
	v_ldexp_f32 v92, v92, v93
	v_add_f32_e32 v91, v91, v94
	s_delay_alu instid0(VALU_DEP_1) | instskip(NEXT) | instid1(VALU_DEP_3)
	v_ldexp_f32 v91, v91, v93
	v_add_f32_e32 v95, 1.0, v92
	s_delay_alu instid0(VALU_DEP_1) | instskip(NEXT) | instid1(VALU_DEP_1)
	v_add_f32_e32 v94, -1.0, v95
	v_sub_f32_e32 v94, v92, v94
	v_cmp_eq_f32_e32 vcc_lo, 0x7f800000, v17
	v_cmp_gt_f32_e64 s29, 0x33800000, v17
	s_delay_alu instid0(VALU_DEP_3) | instskip(NEXT) | instid1(VALU_DEP_2)
	v_dual_add_f32 v94, v91, v94 :: v_dual_add_f32 v93, -1.0, v92
	s_or_b32 vcc_lo, s29, vcc_lo
	s_delay_alu instid0(VALU_DEP_1) | instskip(NEXT) | instid1(VALU_DEP_1)
	v_add_f32_e32 v96, 1.0, v93
	v_sub_f32_e32 v92, v92, v96
	s_delay_alu instid0(VALU_DEP_3) | instskip(NEXT) | instid1(VALU_DEP_1)
	v_add_f32_e32 v96, v95, v94
	v_sub_f32_e32 v95, v95, v96
	s_delay_alu instid0(VALU_DEP_3) | instskip(SKIP_1) | instid1(VALU_DEP_2)
	v_add_f32_e32 v91, v91, v92
	v_rcp_f32_e32 v92, v96
	v_add_f32_e32 v94, v94, v95
	s_delay_alu instid0(VALU_DEP_2) | instskip(NEXT) | instid1(VALU_DEP_1)
	v_add_f32_e32 v97, v93, v91
	v_sub_f32_e32 v93, v93, v97
	s_waitcnt_depctr 0xfff
	v_dual_mul_f32 v98, v97, v92 :: v_dual_add_f32 v91, v91, v93
	s_delay_alu instid0(VALU_DEP_1) | instskip(NEXT) | instid1(VALU_DEP_1)
	v_mul_f32_e32 v99, v96, v98
	v_fma_f32 v95, v98, v96, -v99
	s_delay_alu instid0(VALU_DEP_1) | instskip(NEXT) | instid1(VALU_DEP_1)
	v_fmac_f32_e32 v95, v98, v94
	v_add_f32_e32 v100, v99, v95
	s_delay_alu instid0(VALU_DEP_1) | instskip(NEXT) | instid1(VALU_DEP_1)
	v_sub_f32_e32 v101, v97, v100
	v_sub_f32_e32 v97, v97, v101
	;; [unrolled: 1-line block ×3, first 2 shown]
	s_delay_alu instid0(VALU_DEP_2) | instskip(NEXT) | instid1(VALU_DEP_2)
	v_sub_f32_e32 v97, v97, v100
	v_sub_f32_e32 v93, v93, v95
	s_delay_alu instid0(VALU_DEP_2) | instskip(NEXT) | instid1(VALU_DEP_1)
	v_add_f32_e32 v91, v91, v97
	v_add_f32_e32 v91, v93, v91
	s_delay_alu instid0(VALU_DEP_1) | instskip(NEXT) | instid1(VALU_DEP_1)
	v_add_f32_e32 v93, v101, v91
	v_mul_f32_e32 v95, v92, v93
	s_delay_alu instid0(VALU_DEP_1) | instskip(NEXT) | instid1(VALU_DEP_1)
	v_dual_sub_f32 v100, v101, v93 :: v_dual_mul_f32 v97, v96, v95
	v_add_f32_e32 v91, v91, v100
	s_delay_alu instid0(VALU_DEP_2) | instskip(NEXT) | instid1(VALU_DEP_1)
	v_fma_f32 v96, v95, v96, -v97
	v_fmac_f32_e32 v96, v95, v94
	s_delay_alu instid0(VALU_DEP_1) | instskip(NEXT) | instid1(VALU_DEP_1)
	v_add_f32_e32 v94, v97, v96
	v_sub_f32_e32 v99, v93, v94
	v_sub_f32_e32 v97, v94, v97
	s_delay_alu instid0(VALU_DEP_2) | instskip(NEXT) | instid1(VALU_DEP_1)
	v_sub_f32_e32 v93, v93, v99
	v_sub_f32_e32 v93, v93, v94
	s_delay_alu instid0(VALU_DEP_1) | instskip(SKIP_1) | instid1(VALU_DEP_1)
	v_dual_sub_f32 v94, v97, v96 :: v_dual_add_f32 v91, v91, v93
	v_add_f32_e32 v93, v98, v95
	v_dual_add_f32 v91, v94, v91 :: v_dual_sub_f32 v94, v93, v98
	s_delay_alu instid0(VALU_DEP_1) | instskip(NEXT) | instid1(VALU_DEP_1)
	v_add_f32_e32 v91, v99, v91
	v_dual_sub_f32 v94, v95, v94 :: v_dual_mul_f32 v91, v92, v91
	s_delay_alu instid0(VALU_DEP_1) | instskip(NEXT) | instid1(VALU_DEP_1)
	v_add_f32_e32 v91, v94, v91
	v_add_f32_e32 v92, v93, v91
	s_delay_alu instid0(VALU_DEP_1) | instskip(NEXT) | instid1(VALU_DEP_1)
	v_mul_f32_e32 v94, v92, v92
	v_fmaak_f32 v95, s84, v94, 0x3ecc95a3
	v_mul_f32_e32 v96, v92, v94
	s_delay_alu instid0(VALU_DEP_2) | instskip(SKIP_2) | instid1(VALU_DEP_3)
	v_fmaak_f32 v94, v94, v95, 0x3f2aaada
	v_ldexp_f32 v95, v92, 1
	v_sub_f32_e32 v92, v92, v93
	v_mul_f32_e32 v94, v96, v94
	s_delay_alu instid0(VALU_DEP_2) | instskip(NEXT) | instid1(VALU_DEP_2)
	v_dual_mul_f32 v96, 0x3f317218, v90 :: v_dual_sub_f32 v91, v91, v92
	v_add_f32_e32 v93, v95, v94
	s_delay_alu instid0(VALU_DEP_2) | instskip(NEXT) | instid1(VALU_DEP_2)
	v_ldexp_f32 v91, v91, 1
	v_sub_f32_e32 v92, v93, v95
	s_delay_alu instid0(VALU_DEP_4) | instskip(NEXT) | instid1(VALU_DEP_1)
	v_fma_f32 v95, 0x3f317218, v90, -v96
	v_dual_sub_f32 v92, v94, v92 :: v_dual_fmac_f32 v95, 0xb102e308, v90
	s_delay_alu instid0(VALU_DEP_1) | instskip(NEXT) | instid1(VALU_DEP_1)
	v_dual_add_f32 v90, v91, v92 :: v_dual_add_f32 v91, v96, v95
	v_add_f32_e32 v92, v93, v90
	s_delay_alu instid0(VALU_DEP_2) | instskip(NEXT) | instid1(VALU_DEP_2)
	v_sub_f32_e32 v96, v91, v96
	v_dual_add_f32 v94, v91, v92 :: v_dual_sub_f32 v93, v92, v93
	s_delay_alu instid0(VALU_DEP_2) | instskip(NEXT) | instid1(VALU_DEP_2)
	v_sub_f32_e32 v95, v95, v96
	v_sub_f32_e32 v97, v94, v91
	s_delay_alu instid0(VALU_DEP_3) | instskip(NEXT) | instid1(VALU_DEP_2)
	v_sub_f32_e32 v90, v90, v93
	v_sub_f32_e32 v98, v94, v97
	s_delay_alu instid0(VALU_DEP_2) | instskip(NEXT) | instid1(VALU_DEP_2)
	v_dual_sub_f32 v92, v92, v97 :: v_dual_add_f32 v93, v95, v90
	v_sub_f32_e32 v91, v91, v98
	s_delay_alu instid0(VALU_DEP_1) | instskip(NEXT) | instid1(VALU_DEP_3)
	v_add_f32_e32 v91, v92, v91
	v_sub_f32_e32 v92, v93, v95
	s_delay_alu instid0(VALU_DEP_2) | instskip(NEXT) | instid1(VALU_DEP_2)
	v_add_f32_e32 v91, v93, v91
	v_sub_f32_e32 v93, v93, v92
	v_sub_f32_e32 v90, v90, v92
	s_delay_alu instid0(VALU_DEP_2) | instskip(NEXT) | instid1(VALU_DEP_1)
	v_dual_add_f32 v96, v94, v91 :: v_dual_sub_f32 v93, v95, v93
	v_sub_f32_e32 v92, v96, v94
	s_delay_alu instid0(VALU_DEP_1) | instskip(NEXT) | instid1(VALU_DEP_1)
	v_dual_add_f32 v90, v90, v93 :: v_dual_sub_f32 v91, v91, v92
	v_add_f32_e32 v90, v90, v91
	s_delay_alu instid0(VALU_DEP_1) | instskip(NEXT) | instid1(VALU_DEP_1)
	v_add_f32_e32 v90, v96, v90
	v_cndmask_b32_e32 v90, v90, v17, vcc_lo
.LBB94_76:                              ;   in Loop: Header=BB94_12 Depth=1
	s_or_b32 exec_lo, exec_lo, s30
	v_lshrrev_b32_e32 v12, 16, v12
	s_delay_alu instid0(VALU_DEP_1) | instskip(NEXT) | instid1(VALU_DEP_1)
	v_cvt_f32_f16_e32 v12, v12
	v_add_f32_e32 v91, s67, v12
	s_delay_alu instid0(VALU_DEP_1) | instskip(SKIP_1) | instid1(SALU_CYCLE_1)
	v_cmp_ge_f32_e32 vcc_lo, 0x41a00000, v91
	s_and_b32 s29, s80, vcc_lo
	s_and_saveexec_b32 s30, s29
	s_cbranch_execz .LBB94_78
; %bb.77:                               ;   in Loop: Header=BB94_12 Depth=1
	v_mul_f32_e32 v12, 0x3fb8aa3b, v91
	v_cmp_ngt_f32_e32 vcc_lo, 0xc2ce8ed0, v91
	s_delay_alu instid0(VALU_DEP_2) | instskip(SKIP_1) | instid1(VALU_DEP_2)
	v_rndne_f32_e32 v17, v12
	v_fma_f32 v92, 0x3fb8aa3b, v91, -v12
	v_sub_f32_e32 v12, v12, v17
	s_delay_alu instid0(VALU_DEP_2) | instskip(SKIP_1) | instid1(VALU_DEP_2)
	v_fmac_f32_e32 v92, 0x32a5705f, v91
	v_cvt_i32_f32_e32 v17, v17
	v_add_f32_e32 v12, v12, v92
	s_delay_alu instid0(VALU_DEP_1) | instskip(SKIP_2) | instid1(VALU_DEP_1)
	v_exp_f32_e32 v12, v12
	s_waitcnt_depctr 0xfff
	v_ldexp_f32 v12, v12, v17
	v_cndmask_b32_e32 v12, 0, v12, vcc_lo
	v_cmp_nlt_f32_e32 vcc_lo, 0x42b17218, v91
	s_delay_alu instid0(VALU_DEP_2) | instskip(NEXT) | instid1(VALU_DEP_1)
	v_cndmask_b32_e32 v12, 0x7f800000, v12, vcc_lo
	v_add_f32_e32 v17, 1.0, v12
	s_delay_alu instid0(VALU_DEP_1) | instskip(NEXT) | instid1(VALU_DEP_1)
	v_cvt_f64_f32_e32 v[91:92], v17
	v_frexp_exp_i32_f64_e32 v91, v[91:92]
	v_frexp_mant_f32_e32 v92, v17
	s_delay_alu instid0(VALU_DEP_1) | instskip(SKIP_1) | instid1(VALU_DEP_1)
	v_cmp_gt_f32_e32 vcc_lo, 0x3f2aaaab, v92
	v_add_f32_e32 v92, -1.0, v17
	v_sub_f32_e32 v94, v92, v17
	v_sub_f32_e32 v92, v12, v92
	s_delay_alu instid0(VALU_DEP_2) | instskip(NEXT) | instid1(VALU_DEP_1)
	v_add_f32_e32 v94, 1.0, v94
	v_add_f32_e32 v92, v92, v94
	v_subrev_co_ci_u32_e32 v91, vcc_lo, 0, v91, vcc_lo
	s_delay_alu instid0(VALU_DEP_1) | instskip(SKIP_1) | instid1(VALU_DEP_2)
	v_sub_nc_u32_e32 v93, 0, v91
	v_cvt_f32_i32_e32 v91, v91
	v_ldexp_f32 v17, v17, v93
	v_ldexp_f32 v92, v92, v93
	s_delay_alu instid0(VALU_DEP_2) | instskip(NEXT) | instid1(VALU_DEP_1)
	v_add_f32_e32 v95, 1.0, v17
	v_dual_add_f32 v93, -1.0, v17 :: v_dual_add_f32 v94, -1.0, v95
	s_delay_alu instid0(VALU_DEP_1) | instskip(NEXT) | instid1(VALU_DEP_2)
	v_add_f32_e32 v96, 1.0, v93
	v_sub_f32_e32 v94, v17, v94
	s_delay_alu instid0(VALU_DEP_2) | instskip(NEXT) | instid1(VALU_DEP_1)
	v_sub_f32_e32 v17, v17, v96
	v_add_f32_e32 v17, v92, v17
	s_delay_alu instid0(VALU_DEP_1) | instskip(SKIP_2) | instid1(VALU_DEP_3)
	v_add_f32_e32 v97, v93, v17
	v_cmp_eq_f32_e32 vcc_lo, 0x7f800000, v12
	v_cmp_gt_f32_e64 s29, 0x33800000, v12
	v_dual_sub_f32 v93, v93, v97 :: v_dual_add_f32 v94, v92, v94
	s_delay_alu instid0(VALU_DEP_2) | instskip(NEXT) | instid1(VALU_DEP_1)
	s_or_b32 vcc_lo, s29, vcc_lo
	v_dual_add_f32 v17, v17, v93 :: v_dual_add_f32 v96, v95, v94
	s_delay_alu instid0(VALU_DEP_1) | instskip(SKIP_1) | instid1(VALU_DEP_1)
	v_rcp_f32_e32 v92, v96
	v_sub_f32_e32 v95, v95, v96
	v_add_f32_e32 v94, v94, v95
	s_waitcnt_depctr 0xfff
	v_mul_f32_e32 v98, v97, v92
	s_delay_alu instid0(VALU_DEP_1) | instskip(NEXT) | instid1(VALU_DEP_1)
	v_mul_f32_e32 v99, v96, v98
	v_fma_f32 v95, v98, v96, -v99
	s_delay_alu instid0(VALU_DEP_1) | instskip(NEXT) | instid1(VALU_DEP_1)
	v_fmac_f32_e32 v95, v98, v94
	v_add_f32_e32 v100, v99, v95
	s_delay_alu instid0(VALU_DEP_1) | instskip(SKIP_1) | instid1(VALU_DEP_2)
	v_sub_f32_e32 v101, v97, v100
	v_sub_f32_e32 v93, v100, v99
	;; [unrolled: 1-line block ×3, first 2 shown]
	s_delay_alu instid0(VALU_DEP_2) | instskip(NEXT) | instid1(VALU_DEP_2)
	v_sub_f32_e32 v93, v93, v95
	v_sub_f32_e32 v97, v97, v100
	s_delay_alu instid0(VALU_DEP_1) | instskip(NEXT) | instid1(VALU_DEP_1)
	v_add_f32_e32 v17, v17, v97
	v_add_f32_e32 v17, v93, v17
	s_delay_alu instid0(VALU_DEP_1) | instskip(NEXT) | instid1(VALU_DEP_1)
	v_add_f32_e32 v93, v101, v17
	v_mul_f32_e32 v95, v92, v93
	s_delay_alu instid0(VALU_DEP_1) | instskip(NEXT) | instid1(VALU_DEP_1)
	v_mul_f32_e32 v97, v96, v95
	v_fma_f32 v96, v95, v96, -v97
	s_delay_alu instid0(VALU_DEP_1) | instskip(SKIP_1) | instid1(VALU_DEP_2)
	v_fmac_f32_e32 v96, v95, v94
	v_sub_f32_e32 v100, v101, v93
	v_add_f32_e32 v94, v97, v96
	s_delay_alu instid0(VALU_DEP_2) | instskip(NEXT) | instid1(VALU_DEP_2)
	v_add_f32_e32 v17, v17, v100
	v_sub_f32_e32 v99, v93, v94
	s_delay_alu instid0(VALU_DEP_1) | instskip(NEXT) | instid1(VALU_DEP_1)
	v_sub_f32_e32 v93, v93, v99
	v_sub_f32_e32 v93, v93, v94
	s_delay_alu instid0(VALU_DEP_1) | instskip(SKIP_2) | instid1(VALU_DEP_1)
	v_add_f32_e32 v17, v17, v93
	v_add_f32_e32 v93, v98, v95
	v_sub_f32_e32 v97, v94, v97
	v_sub_f32_e32 v94, v97, v96
	s_delay_alu instid0(VALU_DEP_1) | instskip(NEXT) | instid1(VALU_DEP_1)
	v_dual_add_f32 v17, v94, v17 :: v_dual_sub_f32 v94, v93, v98
	v_add_f32_e32 v17, v99, v17
	s_delay_alu instid0(VALU_DEP_1) | instskip(NEXT) | instid1(VALU_DEP_1)
	v_dual_sub_f32 v94, v95, v94 :: v_dual_mul_f32 v17, v92, v17
	v_add_f32_e32 v17, v94, v17
	s_delay_alu instid0(VALU_DEP_1) | instskip(NEXT) | instid1(VALU_DEP_1)
	v_add_f32_e32 v92, v93, v17
	v_mul_f32_e32 v94, v92, v92
	s_delay_alu instid0(VALU_DEP_1) | instskip(SKIP_1) | instid1(VALU_DEP_2)
	v_fmaak_f32 v95, s84, v94, 0x3ecc95a3
	v_mul_f32_e32 v96, v92, v94
	v_fmaak_f32 v94, v94, v95, 0x3f2aaada
	v_ldexp_f32 v95, v92, 1
	s_delay_alu instid0(VALU_DEP_2) | instskip(SKIP_1) | instid1(VALU_DEP_2)
	v_mul_f32_e32 v94, v96, v94
	v_sub_f32_e32 v92, v92, v93
	v_dual_mul_f32 v96, 0x3f317218, v91 :: v_dual_add_f32 v93, v95, v94
	s_delay_alu instid0(VALU_DEP_2) | instskip(NEXT) | instid1(VALU_DEP_2)
	v_sub_f32_e32 v17, v17, v92
	v_sub_f32_e32 v92, v93, v95
	s_delay_alu instid0(VALU_DEP_3) | instskip(NEXT) | instid1(VALU_DEP_3)
	v_fma_f32 v95, 0x3f317218, v91, -v96
	v_ldexp_f32 v17, v17, 1
	s_delay_alu instid0(VALU_DEP_2) | instskip(NEXT) | instid1(VALU_DEP_1)
	v_dual_sub_f32 v92, v94, v92 :: v_dual_fmac_f32 v95, 0xb102e308, v91
	v_add_f32_e32 v17, v17, v92
	s_delay_alu instid0(VALU_DEP_1) | instskip(NEXT) | instid1(VALU_DEP_1)
	v_dual_add_f32 v91, v96, v95 :: v_dual_add_f32 v92, v93, v17
	v_sub_f32_e32 v96, v91, v96
	s_delay_alu instid0(VALU_DEP_2) | instskip(NEXT) | instid1(VALU_DEP_2)
	v_dual_add_f32 v94, v91, v92 :: v_dual_sub_f32 v93, v92, v93
	v_sub_f32_e32 v95, v95, v96
	s_delay_alu instid0(VALU_DEP_2) | instskip(NEXT) | instid1(VALU_DEP_1)
	v_sub_f32_e32 v97, v94, v91
	v_sub_f32_e32 v98, v94, v97
	v_sub_f32_e32 v92, v92, v97
	v_sub_f32_e32 v17, v17, v93
	s_delay_alu instid0(VALU_DEP_1) | instskip(NEXT) | instid1(VALU_DEP_4)
	v_add_f32_e32 v93, v95, v17
	v_sub_f32_e32 v91, v91, v98
	s_delay_alu instid0(VALU_DEP_1) | instskip(NEXT) | instid1(VALU_DEP_3)
	v_add_f32_e32 v91, v92, v91
	v_sub_f32_e32 v92, v93, v95
	s_delay_alu instid0(VALU_DEP_2) | instskip(NEXT) | instid1(VALU_DEP_2)
	v_add_f32_e32 v91, v93, v91
	v_sub_f32_e32 v93, v93, v92
	s_delay_alu instid0(VALU_DEP_2) | instskip(NEXT) | instid1(VALU_DEP_1)
	v_dual_sub_f32 v17, v17, v92 :: v_dual_add_f32 v96, v94, v91
	v_dual_sub_f32 v92, v96, v94 :: v_dual_sub_f32 v93, v95, v93
	s_delay_alu instid0(VALU_DEP_1) | instskip(NEXT) | instid1(VALU_DEP_2)
	v_sub_f32_e32 v91, v91, v92
	v_add_f32_e32 v17, v17, v93
	s_delay_alu instid0(VALU_DEP_1) | instskip(NEXT) | instid1(VALU_DEP_1)
	v_add_f32_e32 v17, v17, v91
	v_add_f32_e32 v17, v96, v17
	s_delay_alu instid0(VALU_DEP_1)
	v_cndmask_b32_e32 v91, v17, v12, vcc_lo
.LBB94_78:                              ;   in Loop: Header=BB94_12 Depth=1
	s_or_b32 exec_lo, exec_lo, s30
	v_cvt_f32_f16_e32 v12, v13
	s_delay_alu instid0(VALU_DEP_1) | instskip(NEXT) | instid1(VALU_DEP_1)
	v_add_f32_e32 v92, s67, v12
	v_cmp_ge_f32_e32 vcc_lo, 0x41a00000, v92
	s_and_b32 s29, s80, vcc_lo
	s_delay_alu instid0(SALU_CYCLE_1)
	s_and_saveexec_b32 s30, s29
	s_cbranch_execz .LBB94_80
; %bb.79:                               ;   in Loop: Header=BB94_12 Depth=1
	v_mul_f32_e32 v12, 0x3fb8aa3b, v92
	v_cmp_ngt_f32_e32 vcc_lo, 0xc2ce8ed0, v92
	s_delay_alu instid0(VALU_DEP_2) | instskip(SKIP_1) | instid1(VALU_DEP_1)
	v_rndne_f32_e32 v17, v12
	v_fma_f32 v93, 0x3fb8aa3b, v92, -v12
	v_dual_sub_f32 v12, v12, v17 :: v_dual_fmac_f32 v93, 0x32a5705f, v92
	v_cvt_i32_f32_e32 v17, v17
	s_delay_alu instid0(VALU_DEP_2) | instskip(NEXT) | instid1(VALU_DEP_1)
	v_add_f32_e32 v12, v12, v93
	v_exp_f32_e32 v12, v12
	s_waitcnt_depctr 0xfff
	v_ldexp_f32 v12, v12, v17
	s_delay_alu instid0(VALU_DEP_1) | instskip(SKIP_1) | instid1(VALU_DEP_2)
	v_cndmask_b32_e32 v12, 0, v12, vcc_lo
	v_cmp_nlt_f32_e32 vcc_lo, 0x42b17218, v92
	v_cndmask_b32_e32 v12, 0x7f800000, v12, vcc_lo
	s_delay_alu instid0(VALU_DEP_1) | instskip(NEXT) | instid1(VALU_DEP_1)
	v_add_f32_e32 v17, 1.0, v12
	v_cvt_f64_f32_e32 v[92:93], v17
	s_delay_alu instid0(VALU_DEP_1) | instskip(SKIP_1) | instid1(VALU_DEP_1)
	v_frexp_exp_i32_f64_e32 v92, v[92:93]
	v_frexp_mant_f32_e32 v93, v17
	v_cmp_gt_f32_e32 vcc_lo, 0x3f2aaaab, v93
	v_add_f32_e32 v93, -1.0, v17
	s_delay_alu instid0(VALU_DEP_1) | instskip(SKIP_1) | instid1(VALU_DEP_2)
	v_sub_f32_e32 v95, v93, v17
	v_sub_f32_e32 v93, v12, v93
	v_add_f32_e32 v95, 1.0, v95
	s_delay_alu instid0(VALU_DEP_1) | instskip(SKIP_3) | instid1(VALU_DEP_2)
	v_add_f32_e32 v93, v93, v95
	v_cmp_gt_f32_e64 s29, 0x33800000, v12
	v_subrev_co_ci_u32_e32 v92, vcc_lo, 0, v92, vcc_lo
	v_cmp_eq_f32_e32 vcc_lo, 0x7f800000, v12
	v_sub_nc_u32_e32 v94, 0, v92
	v_cvt_f32_i32_e32 v92, v92
	s_or_b32 vcc_lo, s29, vcc_lo
	s_delay_alu instid0(VALU_DEP_2) | instskip(SKIP_1) | instid1(VALU_DEP_2)
	v_ldexp_f32 v17, v17, v94
	v_ldexp_f32 v93, v93, v94
	v_add_f32_e32 v96, 1.0, v17
	s_delay_alu instid0(VALU_DEP_1) | instskip(NEXT) | instid1(VALU_DEP_1)
	v_dual_add_f32 v94, -1.0, v17 :: v_dual_add_f32 v95, -1.0, v96
	v_add_f32_e32 v97, 1.0, v94
	s_delay_alu instid0(VALU_DEP_2) | instskip(NEXT) | instid1(VALU_DEP_2)
	v_sub_f32_e32 v95, v17, v95
	v_sub_f32_e32 v17, v17, v97
	s_delay_alu instid0(VALU_DEP_1) | instskip(NEXT) | instid1(VALU_DEP_1)
	v_add_f32_e32 v17, v93, v17
	v_dual_add_f32 v98, v94, v17 :: v_dual_add_f32 v95, v93, v95
	s_delay_alu instid0(VALU_DEP_1) | instskip(NEXT) | instid1(VALU_DEP_1)
	v_dual_sub_f32 v94, v94, v98 :: v_dual_add_f32 v97, v96, v95
	v_rcp_f32_e32 v93, v97
	v_sub_f32_e32 v96, v96, v97
	s_delay_alu instid0(VALU_DEP_1) | instskip(SKIP_2) | instid1(VALU_DEP_1)
	v_add_f32_e32 v95, v95, v96
	s_waitcnt_depctr 0xfff
	v_mul_f32_e32 v99, v98, v93
	v_mul_f32_e32 v100, v97, v99
	s_delay_alu instid0(VALU_DEP_1) | instskip(NEXT) | instid1(VALU_DEP_1)
	v_fma_f32 v96, v99, v97, -v100
	v_fmac_f32_e32 v96, v99, v95
	s_delay_alu instid0(VALU_DEP_1) | instskip(NEXT) | instid1(VALU_DEP_1)
	v_add_f32_e32 v101, v100, v96
	v_sub_f32_e32 v102, v98, v101
	s_delay_alu instid0(VALU_DEP_1) | instskip(SKIP_2) | instid1(VALU_DEP_3)
	v_sub_f32_e32 v98, v98, v102
	v_add_f32_e32 v17, v17, v94
	v_sub_f32_e32 v94, v101, v100
	v_sub_f32_e32 v98, v98, v101
	s_delay_alu instid0(VALU_DEP_1) | instskip(NEXT) | instid1(VALU_DEP_1)
	v_dual_sub_f32 v94, v94, v96 :: v_dual_add_f32 v17, v17, v98
	v_add_f32_e32 v17, v94, v17
	s_delay_alu instid0(VALU_DEP_1) | instskip(NEXT) | instid1(VALU_DEP_1)
	v_add_f32_e32 v94, v102, v17
	v_mul_f32_e32 v96, v93, v94
	s_delay_alu instid0(VALU_DEP_1) | instskip(NEXT) | instid1(VALU_DEP_1)
	v_dual_sub_f32 v101, v102, v94 :: v_dual_mul_f32 v98, v97, v96
	v_add_f32_e32 v17, v17, v101
	s_delay_alu instid0(VALU_DEP_2) | instskip(NEXT) | instid1(VALU_DEP_1)
	v_fma_f32 v97, v96, v97, -v98
	v_fmac_f32_e32 v97, v96, v95
	s_delay_alu instid0(VALU_DEP_1) | instskip(NEXT) | instid1(VALU_DEP_1)
	v_add_f32_e32 v95, v98, v97
	v_sub_f32_e32 v100, v94, v95
	s_delay_alu instid0(VALU_DEP_1) | instskip(NEXT) | instid1(VALU_DEP_1)
	v_sub_f32_e32 v94, v94, v100
	v_sub_f32_e32 v94, v94, v95
	s_delay_alu instid0(VALU_DEP_1) | instskip(SKIP_1) | instid1(VALU_DEP_1)
	v_dual_add_f32 v17, v17, v94 :: v_dual_add_f32 v94, v99, v96
	v_sub_f32_e32 v98, v95, v98
	v_sub_f32_e32 v95, v98, v97
	s_delay_alu instid0(VALU_DEP_1) | instskip(NEXT) | instid1(VALU_DEP_4)
	v_add_f32_e32 v17, v95, v17
	v_sub_f32_e32 v95, v94, v99
	s_delay_alu instid0(VALU_DEP_2) | instskip(NEXT) | instid1(VALU_DEP_2)
	v_add_f32_e32 v17, v100, v17
	v_sub_f32_e32 v95, v96, v95
	s_delay_alu instid0(VALU_DEP_2) | instskip(NEXT) | instid1(VALU_DEP_1)
	v_mul_f32_e32 v17, v93, v17
	v_add_f32_e32 v17, v95, v17
	s_delay_alu instid0(VALU_DEP_1) | instskip(NEXT) | instid1(VALU_DEP_1)
	v_add_f32_e32 v93, v94, v17
	v_mul_f32_e32 v95, v93, v93
	s_delay_alu instid0(VALU_DEP_1) | instskip(SKIP_1) | instid1(VALU_DEP_2)
	v_fmaak_f32 v96, s84, v95, 0x3ecc95a3
	v_mul_f32_e32 v97, v93, v95
	v_fmaak_f32 v95, v95, v96, 0x3f2aaada
	v_ldexp_f32 v96, v93, 1
	v_sub_f32_e32 v93, v93, v94
	s_delay_alu instid0(VALU_DEP_3) | instskip(SKIP_1) | instid1(VALU_DEP_2)
	v_mul_f32_e32 v95, v97, v95
	v_mul_f32_e32 v97, 0x3f317218, v92
	v_dual_sub_f32 v17, v17, v93 :: v_dual_add_f32 v94, v96, v95
	s_delay_alu instid0(VALU_DEP_1) | instskip(NEXT) | instid1(VALU_DEP_2)
	v_ldexp_f32 v17, v17, 1
	v_sub_f32_e32 v93, v94, v96
	s_delay_alu instid0(VALU_DEP_4) | instskip(NEXT) | instid1(VALU_DEP_1)
	v_fma_f32 v96, 0x3f317218, v92, -v97
	v_dual_sub_f32 v93, v95, v93 :: v_dual_fmac_f32 v96, 0xb102e308, v92
	s_delay_alu instid0(VALU_DEP_1) | instskip(NEXT) | instid1(VALU_DEP_1)
	v_add_f32_e32 v17, v17, v93
	v_dual_add_f32 v92, v97, v96 :: v_dual_add_f32 v93, v94, v17
	s_delay_alu instid0(VALU_DEP_1) | instskip(NEXT) | instid1(VALU_DEP_2)
	v_sub_f32_e32 v97, v92, v97
	v_dual_add_f32 v95, v92, v93 :: v_dual_sub_f32 v94, v93, v94
	s_delay_alu instid0(VALU_DEP_2) | instskip(NEXT) | instid1(VALU_DEP_2)
	v_sub_f32_e32 v96, v96, v97
	v_dual_sub_f32 v98, v95, v92 :: v_dual_sub_f32 v17, v17, v94
	s_delay_alu instid0(VALU_DEP_1) | instskip(NEXT) | instid1(VALU_DEP_2)
	v_sub_f32_e32 v99, v95, v98
	v_dual_sub_f32 v93, v93, v98 :: v_dual_add_f32 v94, v96, v17
	s_delay_alu instid0(VALU_DEP_2) | instskip(NEXT) | instid1(VALU_DEP_1)
	v_sub_f32_e32 v92, v92, v99
	v_add_f32_e32 v92, v93, v92
	s_delay_alu instid0(VALU_DEP_3) | instskip(NEXT) | instid1(VALU_DEP_2)
	v_sub_f32_e32 v93, v94, v96
	v_add_f32_e32 v92, v94, v92
	s_delay_alu instid0(VALU_DEP_2) | instskip(SKIP_1) | instid1(VALU_DEP_2)
	v_sub_f32_e32 v94, v94, v93
	v_sub_f32_e32 v17, v17, v93
	v_dual_add_f32 v97, v95, v92 :: v_dual_sub_f32 v94, v96, v94
	s_delay_alu instid0(VALU_DEP_1) | instskip(NEXT) | instid1(VALU_DEP_1)
	v_sub_f32_e32 v93, v97, v95
	v_dual_add_f32 v17, v17, v94 :: v_dual_sub_f32 v92, v92, v93
	s_delay_alu instid0(VALU_DEP_1) | instskip(NEXT) | instid1(VALU_DEP_1)
	v_add_f32_e32 v17, v17, v92
	v_add_f32_e32 v17, v97, v17
	s_delay_alu instid0(VALU_DEP_1)
	v_cndmask_b32_e32 v92, v17, v12, vcc_lo
.LBB94_80:                              ;   in Loop: Header=BB94_12 Depth=1
	s_or_b32 exec_lo, exec_lo, s30
	v_lshrrev_b32_e32 v12, 16, v13
	s_delay_alu instid0(VALU_DEP_1) | instskip(NEXT) | instid1(VALU_DEP_1)
	v_cvt_f32_f16_e32 v12, v12
	v_add_f32_e32 v93, s67, v12
	s_delay_alu instid0(VALU_DEP_1) | instskip(SKIP_1) | instid1(SALU_CYCLE_1)
	v_cmp_ge_f32_e32 vcc_lo, 0x41a00000, v93
	s_and_b32 s29, s80, vcc_lo
	s_and_saveexec_b32 s30, s29
	s_cbranch_execz .LBB94_82
; %bb.81:                               ;   in Loop: Header=BB94_12 Depth=1
	v_mul_f32_e32 v12, 0x3fb8aa3b, v93
	v_cmp_ngt_f32_e32 vcc_lo, 0xc2ce8ed0, v93
	s_delay_alu instid0(VALU_DEP_2) | instskip(SKIP_1) | instid1(VALU_DEP_2)
	v_rndne_f32_e32 v13, v12
	v_fma_f32 v17, 0x3fb8aa3b, v93, -v12
	v_sub_f32_e32 v12, v12, v13
	s_delay_alu instid0(VALU_DEP_2) | instskip(SKIP_1) | instid1(VALU_DEP_2)
	v_fmac_f32_e32 v17, 0x32a5705f, v93
	v_cvt_i32_f32_e32 v13, v13
	v_add_f32_e32 v12, v12, v17
	s_delay_alu instid0(VALU_DEP_1) | instskip(SKIP_2) | instid1(VALU_DEP_1)
	v_exp_f32_e32 v12, v12
	s_waitcnt_depctr 0xfff
	v_ldexp_f32 v12, v12, v13
	v_cndmask_b32_e32 v12, 0, v12, vcc_lo
	v_cmp_nlt_f32_e32 vcc_lo, 0x42b17218, v93
	s_delay_alu instid0(VALU_DEP_2) | instskip(NEXT) | instid1(VALU_DEP_1)
	v_cndmask_b32_e32 v17, 0x7f800000, v12, vcc_lo
	v_add_f32_e32 v93, 1.0, v17
	s_delay_alu instid0(VALU_DEP_1) | instskip(NEXT) | instid1(VALU_DEP_1)
	v_cvt_f64_f32_e32 v[12:13], v93
	v_frexp_exp_i32_f64_e32 v12, v[12:13]
	v_frexp_mant_f32_e32 v13, v93
	s_delay_alu instid0(VALU_DEP_1) | instskip(SKIP_1) | instid1(VALU_DEP_1)
	v_cmp_gt_f32_e32 vcc_lo, 0x3f2aaaab, v13
	v_add_f32_e32 v13, -1.0, v93
	v_sub_f32_e32 v95, v13, v93
	s_delay_alu instid0(VALU_DEP_1) | instskip(SKIP_1) | instid1(VALU_DEP_1)
	v_add_f32_e32 v95, 1.0, v95
	v_subrev_co_ci_u32_e32 v12, vcc_lo, 0, v12, vcc_lo
	v_sub_nc_u32_e32 v94, 0, v12
	v_cvt_f32_i32_e32 v12, v12
	s_delay_alu instid0(VALU_DEP_2) | instskip(NEXT) | instid1(VALU_DEP_1)
	v_ldexp_f32 v93, v93, v94
	v_add_f32_e32 v96, 1.0, v93
	v_sub_f32_e32 v13, v17, v13
	v_cmp_eq_f32_e32 vcc_lo, 0x7f800000, v17
	v_cmp_gt_f32_e64 s29, 0x33800000, v17
	s_delay_alu instid0(VALU_DEP_3) | instskip(SKIP_1) | instid1(VALU_DEP_3)
	v_add_f32_e32 v13, v13, v95
	v_add_f32_e32 v95, -1.0, v96
	s_or_b32 vcc_lo, s29, vcc_lo
	s_delay_alu instid0(VALU_DEP_2) | instskip(NEXT) | instid1(VALU_DEP_2)
	v_ldexp_f32 v13, v13, v94
	v_dual_add_f32 v94, -1.0, v93 :: v_dual_sub_f32 v95, v93, v95
	s_delay_alu instid0(VALU_DEP_1) | instskip(NEXT) | instid1(VALU_DEP_2)
	v_add_f32_e32 v97, 1.0, v94
	v_add_f32_e32 v95, v13, v95
	s_delay_alu instid0(VALU_DEP_2) | instskip(NEXT) | instid1(VALU_DEP_1)
	v_sub_f32_e32 v93, v93, v97
	v_add_f32_e32 v13, v13, v93
	s_delay_alu instid0(VALU_DEP_1) | instskip(NEXT) | instid1(VALU_DEP_1)
	v_dual_add_f32 v98, v94, v13 :: v_dual_add_f32 v97, v96, v95
	v_sub_f32_e32 v94, v94, v98
	s_delay_alu instid0(VALU_DEP_2) | instskip(NEXT) | instid1(VALU_DEP_1)
	v_rcp_f32_e32 v93, v97
	v_dual_sub_f32 v96, v96, v97 :: v_dual_add_f32 v13, v13, v94
	s_delay_alu instid0(VALU_DEP_1) | instskip(SKIP_2) | instid1(VALU_DEP_1)
	v_add_f32_e32 v95, v95, v96
	s_waitcnt_depctr 0xfff
	v_mul_f32_e32 v99, v98, v93
	v_mul_f32_e32 v100, v97, v99
	s_delay_alu instid0(VALU_DEP_1) | instskip(NEXT) | instid1(VALU_DEP_1)
	v_fma_f32 v96, v99, v97, -v100
	v_fmac_f32_e32 v96, v99, v95
	s_delay_alu instid0(VALU_DEP_1) | instskip(NEXT) | instid1(VALU_DEP_1)
	v_add_f32_e32 v101, v100, v96
	v_sub_f32_e32 v102, v98, v101
	v_sub_f32_e32 v94, v101, v100
	s_delay_alu instid0(VALU_DEP_2) | instskip(NEXT) | instid1(VALU_DEP_2)
	v_sub_f32_e32 v98, v98, v102
	v_sub_f32_e32 v94, v94, v96
	s_delay_alu instid0(VALU_DEP_2) | instskip(NEXT) | instid1(VALU_DEP_1)
	v_sub_f32_e32 v98, v98, v101
	v_add_f32_e32 v13, v13, v98
	s_delay_alu instid0(VALU_DEP_1) | instskip(NEXT) | instid1(VALU_DEP_1)
	v_add_f32_e32 v13, v94, v13
	v_add_f32_e32 v94, v102, v13
	s_delay_alu instid0(VALU_DEP_1) | instskip(NEXT) | instid1(VALU_DEP_1)
	v_mul_f32_e32 v96, v93, v94
	v_dual_sub_f32 v101, v102, v94 :: v_dual_mul_f32 v98, v97, v96
	s_delay_alu instid0(VALU_DEP_1) | instskip(NEXT) | instid1(VALU_DEP_1)
	v_fma_f32 v97, v96, v97, -v98
	v_fmac_f32_e32 v97, v96, v95
	s_delay_alu instid0(VALU_DEP_1) | instskip(NEXT) | instid1(VALU_DEP_1)
	v_add_f32_e32 v95, v98, v97
	v_dual_add_f32 v13, v13, v101 :: v_dual_sub_f32 v100, v94, v95
	s_delay_alu instid0(VALU_DEP_1) | instskip(NEXT) | instid1(VALU_DEP_1)
	v_sub_f32_e32 v94, v94, v100
	v_sub_f32_e32 v94, v94, v95
	s_delay_alu instid0(VALU_DEP_1) | instskip(SKIP_1) | instid1(VALU_DEP_1)
	v_dual_add_f32 v13, v13, v94 :: v_dual_add_f32 v94, v99, v96
	v_sub_f32_e32 v98, v95, v98
	v_sub_f32_e32 v95, v98, v97
	s_delay_alu instid0(VALU_DEP_1) | instskip(NEXT) | instid1(VALU_DEP_4)
	v_add_f32_e32 v13, v95, v13
	v_sub_f32_e32 v95, v94, v99
	s_delay_alu instid0(VALU_DEP_2) | instskip(NEXT) | instid1(VALU_DEP_2)
	v_add_f32_e32 v13, v100, v13
	v_sub_f32_e32 v95, v96, v95
	s_delay_alu instid0(VALU_DEP_2) | instskip(NEXT) | instid1(VALU_DEP_1)
	v_mul_f32_e32 v13, v93, v13
	v_add_f32_e32 v13, v95, v13
	s_delay_alu instid0(VALU_DEP_1) | instskip(NEXT) | instid1(VALU_DEP_1)
	v_add_f32_e32 v93, v94, v13
	v_mul_f32_e32 v95, v93, v93
	s_delay_alu instid0(VALU_DEP_1) | instskip(SKIP_1) | instid1(VALU_DEP_2)
	v_fmaak_f32 v96, s84, v95, 0x3ecc95a3
	v_mul_f32_e32 v97, v93, v95
	v_fmaak_f32 v95, v95, v96, 0x3f2aaada
	v_ldexp_f32 v96, v93, 1
	v_sub_f32_e32 v93, v93, v94
	s_delay_alu instid0(VALU_DEP_3) | instskip(SKIP_1) | instid1(VALU_DEP_2)
	v_mul_f32_e32 v95, v97, v95
	v_mul_f32_e32 v97, 0x3f317218, v12
	v_dual_sub_f32 v13, v13, v93 :: v_dual_add_f32 v94, v96, v95
	s_delay_alu instid0(VALU_DEP_1) | instskip(NEXT) | instid1(VALU_DEP_2)
	v_ldexp_f32 v13, v13, 1
	v_sub_f32_e32 v93, v94, v96
	s_delay_alu instid0(VALU_DEP_4) | instskip(NEXT) | instid1(VALU_DEP_1)
	v_fma_f32 v96, 0x3f317218, v12, -v97
	v_dual_sub_f32 v93, v95, v93 :: v_dual_fmac_f32 v96, 0xb102e308, v12
	s_delay_alu instid0(VALU_DEP_1) | instskip(NEXT) | instid1(VALU_DEP_2)
	v_add_f32_e32 v12, v13, v93
	v_add_f32_e32 v13, v97, v96
	s_delay_alu instid0(VALU_DEP_2) | instskip(NEXT) | instid1(VALU_DEP_2)
	v_add_f32_e32 v93, v94, v12
	v_sub_f32_e32 v97, v13, v97
	s_delay_alu instid0(VALU_DEP_2) | instskip(SKIP_1) | instid1(VALU_DEP_3)
	v_add_f32_e32 v95, v13, v93
	v_sub_f32_e32 v94, v93, v94
	v_sub_f32_e32 v96, v96, v97
	s_delay_alu instid0(VALU_DEP_3) | instskip(NEXT) | instid1(VALU_DEP_3)
	v_sub_f32_e32 v98, v95, v13
	v_sub_f32_e32 v12, v12, v94
	s_delay_alu instid0(VALU_DEP_2) | instskip(NEXT) | instid1(VALU_DEP_2)
	v_sub_f32_e32 v99, v95, v98
	v_dual_sub_f32 v93, v93, v98 :: v_dual_add_f32 v94, v96, v12
	s_delay_alu instid0(VALU_DEP_2) | instskip(NEXT) | instid1(VALU_DEP_1)
	v_sub_f32_e32 v13, v13, v99
	v_add_f32_e32 v13, v93, v13
	s_delay_alu instid0(VALU_DEP_3) | instskip(NEXT) | instid1(VALU_DEP_2)
	v_sub_f32_e32 v93, v94, v96
	v_add_f32_e32 v13, v94, v13
	s_delay_alu instid0(VALU_DEP_2) | instskip(SKIP_1) | instid1(VALU_DEP_1)
	v_sub_f32_e32 v12, v12, v93
	v_sub_f32_e32 v94, v94, v93
	v_dual_add_f32 v97, v95, v13 :: v_dual_sub_f32 v94, v96, v94
	s_delay_alu instid0(VALU_DEP_1) | instskip(NEXT) | instid1(VALU_DEP_1)
	v_dual_sub_f32 v93, v97, v95 :: v_dual_add_f32 v12, v12, v94
	v_sub_f32_e32 v13, v13, v93
	s_delay_alu instid0(VALU_DEP_1) | instskip(NEXT) | instid1(VALU_DEP_1)
	v_add_f32_e32 v12, v12, v13
	v_add_f32_e32 v12, v97, v12
	s_delay_alu instid0(VALU_DEP_1)
	v_cndmask_b32_e32 v93, v12, v17, vcc_lo
.LBB94_82:                              ;   in Loop: Header=BB94_12 Depth=1
	s_or_b32 exec_lo, exec_lo, s30
	v_cvt_f32_f16_e32 v12, v14
	s_delay_alu instid0(VALU_DEP_1) | instskip(NEXT) | instid1(VALU_DEP_1)
	v_add_f32_e32 v94, s67, v12
	v_cmp_ge_f32_e32 vcc_lo, 0x41a00000, v94
	s_and_b32 s29, s80, vcc_lo
	s_delay_alu instid0(SALU_CYCLE_1)
	s_and_saveexec_b32 s30, s29
	s_cbranch_execz .LBB94_84
; %bb.83:                               ;   in Loop: Header=BB94_12 Depth=1
	v_mul_f32_e32 v12, 0x3fb8aa3b, v94
	v_cmp_ngt_f32_e32 vcc_lo, 0xc2ce8ed0, v94
	s_delay_alu instid0(VALU_DEP_2) | instskip(SKIP_1) | instid1(VALU_DEP_1)
	v_rndne_f32_e32 v13, v12
	v_fma_f32 v17, 0x3fb8aa3b, v94, -v12
	v_dual_sub_f32 v12, v12, v13 :: v_dual_fmac_f32 v17, 0x32a5705f, v94
	v_cvt_i32_f32_e32 v13, v13
	s_delay_alu instid0(VALU_DEP_2) | instskip(NEXT) | instid1(VALU_DEP_1)
	v_add_f32_e32 v12, v12, v17
	v_exp_f32_e32 v12, v12
	s_waitcnt_depctr 0xfff
	v_ldexp_f32 v12, v12, v13
	s_delay_alu instid0(VALU_DEP_1) | instskip(SKIP_1) | instid1(VALU_DEP_2)
	v_cndmask_b32_e32 v12, 0, v12, vcc_lo
	v_cmp_nlt_f32_e32 vcc_lo, 0x42b17218, v94
	v_cndmask_b32_e32 v17, 0x7f800000, v12, vcc_lo
	s_delay_alu instid0(VALU_DEP_1) | instskip(NEXT) | instid1(VALU_DEP_1)
	v_add_f32_e32 v94, 1.0, v17
	v_cvt_f64_f32_e32 v[12:13], v94
	s_delay_alu instid0(VALU_DEP_1) | instskip(SKIP_1) | instid1(VALU_DEP_1)
	v_frexp_exp_i32_f64_e32 v12, v[12:13]
	v_frexp_mant_f32_e32 v13, v94
	v_cmp_gt_f32_e32 vcc_lo, 0x3f2aaaab, v13
	v_add_f32_e32 v13, -1.0, v94
	s_delay_alu instid0(VALU_DEP_1) | instskip(SKIP_2) | instid1(VALU_DEP_3)
	v_sub_f32_e32 v96, v13, v94
	v_sub_f32_e32 v13, v17, v13
	v_cmp_gt_f32_e64 s29, 0x33800000, v17
	v_add_f32_e32 v96, 1.0, v96
	s_delay_alu instid0(VALU_DEP_1) | instskip(SKIP_2) | instid1(VALU_DEP_2)
	v_add_f32_e32 v13, v13, v96
	v_subrev_co_ci_u32_e32 v12, vcc_lo, 0, v12, vcc_lo
	v_cmp_eq_f32_e32 vcc_lo, 0x7f800000, v17
	v_sub_nc_u32_e32 v95, 0, v12
	v_cvt_f32_i32_e32 v12, v12
	s_or_b32 vcc_lo, s29, vcc_lo
	s_delay_alu instid0(VALU_DEP_2) | instskip(SKIP_1) | instid1(VALU_DEP_2)
	v_ldexp_f32 v94, v94, v95
	v_ldexp_f32 v13, v13, v95
	v_add_f32_e32 v95, -1.0, v94
	s_delay_alu instid0(VALU_DEP_1) | instskip(NEXT) | instid1(VALU_DEP_1)
	v_dual_add_f32 v97, 1.0, v94 :: v_dual_add_f32 v98, 1.0, v95
	v_add_f32_e32 v96, -1.0, v97
	s_delay_alu instid0(VALU_DEP_1) | instskip(NEXT) | instid1(VALU_DEP_3)
	v_sub_f32_e32 v96, v94, v96
	v_sub_f32_e32 v94, v94, v98
	s_delay_alu instid0(VALU_DEP_2) | instskip(NEXT) | instid1(VALU_DEP_2)
	v_add_f32_e32 v96, v13, v96
	v_add_f32_e32 v13, v13, v94
	s_delay_alu instid0(VALU_DEP_1) | instskip(NEXT) | instid1(VALU_DEP_1)
	v_dual_add_f32 v99, v95, v13 :: v_dual_add_f32 v98, v97, v96
	v_sub_f32_e32 v95, v95, v99
	s_delay_alu instid0(VALU_DEP_2) | instskip(SKIP_1) | instid1(VALU_DEP_1)
	v_rcp_f32_e32 v94, v98
	v_sub_f32_e32 v97, v97, v98
	v_dual_add_f32 v13, v13, v95 :: v_dual_add_f32 v96, v96, v97
	s_waitcnt_depctr 0xfff
	v_mul_f32_e32 v100, v99, v94
	s_delay_alu instid0(VALU_DEP_1) | instskip(NEXT) | instid1(VALU_DEP_1)
	v_mul_f32_e32 v101, v98, v100
	v_fma_f32 v97, v100, v98, -v101
	s_delay_alu instid0(VALU_DEP_1) | instskip(NEXT) | instid1(VALU_DEP_1)
	v_fmac_f32_e32 v97, v100, v96
	v_add_f32_e32 v102, v101, v97
	s_delay_alu instid0(VALU_DEP_1) | instskip(SKIP_1) | instid1(VALU_DEP_2)
	v_sub_f32_e32 v103, v99, v102
	v_sub_f32_e32 v95, v102, v101
	;; [unrolled: 1-line block ×3, first 2 shown]
	s_delay_alu instid0(VALU_DEP_2) | instskip(NEXT) | instid1(VALU_DEP_2)
	v_sub_f32_e32 v95, v95, v97
	v_sub_f32_e32 v99, v99, v102
	s_delay_alu instid0(VALU_DEP_1) | instskip(NEXT) | instid1(VALU_DEP_1)
	v_add_f32_e32 v13, v13, v99
	v_add_f32_e32 v13, v95, v13
	s_delay_alu instid0(VALU_DEP_1) | instskip(NEXT) | instid1(VALU_DEP_1)
	v_add_f32_e32 v95, v103, v13
	v_mul_f32_e32 v97, v94, v95
	s_delay_alu instid0(VALU_DEP_1) | instskip(NEXT) | instid1(VALU_DEP_1)
	v_dual_sub_f32 v102, v103, v95 :: v_dual_mul_f32 v99, v98, v97
	v_add_f32_e32 v13, v13, v102
	s_delay_alu instid0(VALU_DEP_2) | instskip(NEXT) | instid1(VALU_DEP_1)
	v_fma_f32 v98, v97, v98, -v99
	v_fmac_f32_e32 v98, v97, v96
	s_delay_alu instid0(VALU_DEP_1) | instskip(NEXT) | instid1(VALU_DEP_1)
	v_add_f32_e32 v96, v99, v98
	v_sub_f32_e32 v101, v95, v96
	s_delay_alu instid0(VALU_DEP_1) | instskip(NEXT) | instid1(VALU_DEP_1)
	v_sub_f32_e32 v95, v95, v101
	v_sub_f32_e32 v95, v95, v96
	s_delay_alu instid0(VALU_DEP_1) | instskip(SKIP_2) | instid1(VALU_DEP_1)
	v_add_f32_e32 v13, v13, v95
	v_add_f32_e32 v95, v100, v97
	v_sub_f32_e32 v99, v96, v99
	v_sub_f32_e32 v96, v99, v98
	s_delay_alu instid0(VALU_DEP_1) | instskip(NEXT) | instid1(VALU_DEP_1)
	v_dual_add_f32 v13, v96, v13 :: v_dual_sub_f32 v96, v95, v100
	v_add_f32_e32 v13, v101, v13
	s_delay_alu instid0(VALU_DEP_1) | instskip(NEXT) | instid1(VALU_DEP_1)
	v_dual_sub_f32 v96, v97, v96 :: v_dual_mul_f32 v13, v94, v13
	v_add_f32_e32 v13, v96, v13
	s_delay_alu instid0(VALU_DEP_1) | instskip(NEXT) | instid1(VALU_DEP_1)
	v_add_f32_e32 v94, v95, v13
	v_mul_f32_e32 v96, v94, v94
	s_delay_alu instid0(VALU_DEP_1) | instskip(SKIP_1) | instid1(VALU_DEP_2)
	v_fmaak_f32 v97, s84, v96, 0x3ecc95a3
	v_mul_f32_e32 v98, v94, v96
	v_fmaak_f32 v96, v96, v97, 0x3f2aaada
	v_ldexp_f32 v97, v94, 1
	v_sub_f32_e32 v94, v94, v95
	s_delay_alu instid0(VALU_DEP_3) | instskip(NEXT) | instid1(VALU_DEP_2)
	v_mul_f32_e32 v96, v98, v96
	v_dual_mul_f32 v98, 0x3f317218, v12 :: v_dual_sub_f32 v13, v13, v94
	s_delay_alu instid0(VALU_DEP_2) | instskip(NEXT) | instid1(VALU_DEP_2)
	v_add_f32_e32 v95, v97, v96
	v_ldexp_f32 v13, v13, 1
	s_delay_alu instid0(VALU_DEP_2) | instskip(NEXT) | instid1(VALU_DEP_4)
	v_sub_f32_e32 v94, v95, v97
	v_fma_f32 v97, 0x3f317218, v12, -v98
	s_delay_alu instid0(VALU_DEP_1) | instskip(NEXT) | instid1(VALU_DEP_1)
	v_dual_sub_f32 v94, v96, v94 :: v_dual_fmac_f32 v97, 0xb102e308, v12
	v_add_f32_e32 v12, v13, v94
	s_delay_alu instid0(VALU_DEP_1) | instskip(NEXT) | instid1(VALU_DEP_1)
	v_add_f32_e32 v94, v95, v12
	v_sub_f32_e32 v95, v94, v95
	s_delay_alu instid0(VALU_DEP_1) | instskip(NEXT) | instid1(VALU_DEP_1)
	v_dual_sub_f32 v12, v12, v95 :: v_dual_add_f32 v13, v98, v97
	v_add_f32_e32 v96, v13, v94
	s_delay_alu instid0(VALU_DEP_1) | instskip(NEXT) | instid1(VALU_DEP_1)
	v_dual_sub_f32 v98, v13, v98 :: v_dual_sub_f32 v99, v96, v13
	v_dual_sub_f32 v97, v97, v98 :: v_dual_sub_f32 v100, v96, v99
	s_delay_alu instid0(VALU_DEP_1) | instskip(NEXT) | instid1(VALU_DEP_2)
	v_dual_sub_f32 v94, v94, v99 :: v_dual_add_f32 v95, v97, v12
	v_sub_f32_e32 v13, v13, v100
	s_delay_alu instid0(VALU_DEP_1) | instskip(NEXT) | instid1(VALU_DEP_3)
	v_add_f32_e32 v13, v94, v13
	v_sub_f32_e32 v94, v95, v97
	s_delay_alu instid0(VALU_DEP_2) | instskip(NEXT) | instid1(VALU_DEP_2)
	v_add_f32_e32 v13, v95, v13
	v_sub_f32_e32 v95, v95, v94
	v_sub_f32_e32 v12, v12, v94
	s_delay_alu instid0(VALU_DEP_2) | instskip(NEXT) | instid1(VALU_DEP_1)
	v_dual_add_f32 v98, v96, v13 :: v_dual_sub_f32 v95, v97, v95
	v_sub_f32_e32 v94, v98, v96
	s_delay_alu instid0(VALU_DEP_1) | instskip(NEXT) | instid1(VALU_DEP_1)
	v_dual_add_f32 v12, v12, v95 :: v_dual_sub_f32 v13, v13, v94
	v_add_f32_e32 v12, v12, v13
	s_delay_alu instid0(VALU_DEP_1) | instskip(NEXT) | instid1(VALU_DEP_1)
	v_add_f32_e32 v12, v98, v12
	v_cndmask_b32_e32 v94, v12, v17, vcc_lo
.LBB94_84:                              ;   in Loop: Header=BB94_12 Depth=1
	s_or_b32 exec_lo, exec_lo, s30
	v_lshrrev_b32_e32 v12, 16, v14
	s_delay_alu instid0(VALU_DEP_1) | instskip(NEXT) | instid1(VALU_DEP_1)
	v_cvt_f32_f16_e32 v12, v12
	v_add_f32_e32 v95, s67, v12
	s_delay_alu instid0(VALU_DEP_1) | instskip(SKIP_1) | instid1(SALU_CYCLE_1)
	v_cmp_ge_f32_e32 vcc_lo, 0x41a00000, v95
	s_and_b32 s29, s80, vcc_lo
	s_and_saveexec_b32 s30, s29
	s_cbranch_execz .LBB94_86
; %bb.85:                               ;   in Loop: Header=BB94_12 Depth=1
	v_mul_f32_e32 v12, 0x3fb8aa3b, v95
	v_cmp_ngt_f32_e32 vcc_lo, 0xc2ce8ed0, v95
	s_delay_alu instid0(VALU_DEP_2) | instskip(SKIP_1) | instid1(VALU_DEP_2)
	v_rndne_f32_e32 v13, v12
	v_fma_f32 v14, 0x3fb8aa3b, v95, -v12
	v_sub_f32_e32 v12, v12, v13
	s_delay_alu instid0(VALU_DEP_2) | instskip(SKIP_1) | instid1(VALU_DEP_2)
	v_fmac_f32_e32 v14, 0x32a5705f, v95
	v_cvt_i32_f32_e32 v13, v13
	v_add_f32_e32 v12, v12, v14
	s_delay_alu instid0(VALU_DEP_1) | instskip(SKIP_2) | instid1(VALU_DEP_1)
	v_exp_f32_e32 v12, v12
	s_waitcnt_depctr 0xfff
	v_ldexp_f32 v12, v12, v13
	v_cndmask_b32_e32 v12, 0, v12, vcc_lo
	v_cmp_nlt_f32_e32 vcc_lo, 0x42b17218, v95
	s_delay_alu instid0(VALU_DEP_2) | instskip(NEXT) | instid1(VALU_DEP_1)
	v_cndmask_b32_e32 v14, 0x7f800000, v12, vcc_lo
	v_add_f32_e32 v17, 1.0, v14
	s_delay_alu instid0(VALU_DEP_1) | instskip(NEXT) | instid1(VALU_DEP_1)
	v_cvt_f64_f32_e32 v[12:13], v17
	v_frexp_exp_i32_f64_e32 v12, v[12:13]
	v_frexp_mant_f32_e32 v13, v17
	s_delay_alu instid0(VALU_DEP_1) | instskip(SKIP_1) | instid1(VALU_DEP_1)
	v_cmp_gt_f32_e32 vcc_lo, 0x3f2aaaab, v13
	v_add_f32_e32 v13, -1.0, v17
	v_sub_f32_e32 v96, v13, v17
	v_sub_f32_e32 v13, v14, v13
	v_subrev_co_ci_u32_e32 v12, vcc_lo, 0, v12, vcc_lo
	s_delay_alu instid0(VALU_DEP_1) | instskip(SKIP_1) | instid1(VALU_DEP_2)
	v_sub_nc_u32_e32 v95, 0, v12
	v_cvt_f32_i32_e32 v12, v12
	v_ldexp_f32 v17, v17, v95
	s_delay_alu instid0(VALU_DEP_1) | instskip(NEXT) | instid1(VALU_DEP_1)
	v_dual_add_f32 v96, 1.0, v96 :: v_dual_add_f32 v97, 1.0, v17
	v_dual_add_f32 v13, v13, v96 :: v_dual_add_f32 v96, -1.0, v97
	s_delay_alu instid0(VALU_DEP_1) | instskip(SKIP_4) | instid1(VALU_DEP_4)
	v_ldexp_f32 v13, v13, v95
	v_add_f32_e32 v95, -1.0, v17
	v_cmp_eq_f32_e32 vcc_lo, 0x7f800000, v14
	v_cmp_gt_f32_e64 s29, 0x33800000, v14
	v_sub_f32_e32 v96, v17, v96
	v_add_f32_e32 v98, 1.0, v95
	s_delay_alu instid0(VALU_DEP_3) | instskip(NEXT) | instid1(VALU_DEP_2)
	s_or_b32 vcc_lo, s29, vcc_lo
	v_add_f32_e32 v96, v13, v96
	s_delay_alu instid0(VALU_DEP_2) | instskip(NEXT) | instid1(VALU_DEP_1)
	v_sub_f32_e32 v17, v17, v98
	v_add_f32_e32 v13, v13, v17
	s_delay_alu instid0(VALU_DEP_1) | instskip(NEXT) | instid1(VALU_DEP_1)
	v_dual_add_f32 v99, v95, v13 :: v_dual_add_f32 v98, v97, v96
	v_sub_f32_e32 v95, v95, v99
	s_delay_alu instid0(VALU_DEP_2) | instskip(SKIP_1) | instid1(VALU_DEP_1)
	v_rcp_f32_e32 v17, v98
	v_sub_f32_e32 v97, v97, v98
	v_dual_add_f32 v13, v13, v95 :: v_dual_add_f32 v96, v96, v97
	s_waitcnt_depctr 0xfff
	v_mul_f32_e32 v100, v99, v17
	s_delay_alu instid0(VALU_DEP_1) | instskip(NEXT) | instid1(VALU_DEP_1)
	v_mul_f32_e32 v101, v98, v100
	v_fma_f32 v97, v100, v98, -v101
	s_delay_alu instid0(VALU_DEP_1) | instskip(NEXT) | instid1(VALU_DEP_1)
	v_fmac_f32_e32 v97, v100, v96
	v_add_f32_e32 v102, v101, v97
	s_delay_alu instid0(VALU_DEP_1) | instskip(NEXT) | instid1(VALU_DEP_1)
	v_sub_f32_e32 v103, v99, v102
	v_sub_f32_e32 v99, v99, v103
	;; [unrolled: 1-line block ×3, first 2 shown]
	s_delay_alu instid0(VALU_DEP_2) | instskip(NEXT) | instid1(VALU_DEP_2)
	v_sub_f32_e32 v99, v99, v102
	v_sub_f32_e32 v95, v95, v97
	s_delay_alu instid0(VALU_DEP_2) | instskip(NEXT) | instid1(VALU_DEP_1)
	v_add_f32_e32 v13, v13, v99
	v_add_f32_e32 v13, v95, v13
	s_delay_alu instid0(VALU_DEP_1) | instskip(NEXT) | instid1(VALU_DEP_1)
	v_add_f32_e32 v95, v103, v13
	v_mul_f32_e32 v97, v17, v95
	s_delay_alu instid0(VALU_DEP_1) | instskip(NEXT) | instid1(VALU_DEP_1)
	v_dual_sub_f32 v102, v103, v95 :: v_dual_mul_f32 v99, v98, v97
	v_add_f32_e32 v13, v13, v102
	s_delay_alu instid0(VALU_DEP_2) | instskip(NEXT) | instid1(VALU_DEP_1)
	v_fma_f32 v98, v97, v98, -v99
	v_fmac_f32_e32 v98, v97, v96
	s_delay_alu instid0(VALU_DEP_1) | instskip(NEXT) | instid1(VALU_DEP_1)
	v_add_f32_e32 v96, v99, v98
	v_sub_f32_e32 v101, v95, v96
	v_sub_f32_e32 v99, v96, v99
	s_delay_alu instid0(VALU_DEP_2) | instskip(NEXT) | instid1(VALU_DEP_1)
	v_sub_f32_e32 v95, v95, v101
	v_sub_f32_e32 v95, v95, v96
	s_delay_alu instid0(VALU_DEP_1) | instskip(SKIP_1) | instid1(VALU_DEP_1)
	v_dual_sub_f32 v96, v99, v98 :: v_dual_add_f32 v13, v13, v95
	v_add_f32_e32 v95, v100, v97
	v_dual_add_f32 v13, v96, v13 :: v_dual_sub_f32 v96, v95, v100
	s_delay_alu instid0(VALU_DEP_1) | instskip(NEXT) | instid1(VALU_DEP_2)
	v_add_f32_e32 v13, v101, v13
	v_sub_f32_e32 v96, v97, v96
	s_delay_alu instid0(VALU_DEP_2) | instskip(NEXT) | instid1(VALU_DEP_1)
	v_mul_f32_e32 v13, v17, v13
	v_add_f32_e32 v13, v96, v13
	s_delay_alu instid0(VALU_DEP_1) | instskip(NEXT) | instid1(VALU_DEP_1)
	v_add_f32_e32 v17, v95, v13
	v_mul_f32_e32 v96, v17, v17
	s_delay_alu instid0(VALU_DEP_1) | instskip(SKIP_1) | instid1(VALU_DEP_2)
	v_fmaak_f32 v97, s84, v96, 0x3ecc95a3
	v_mul_f32_e32 v98, v17, v96
	v_fmaak_f32 v96, v96, v97, 0x3f2aaada
	v_ldexp_f32 v97, v17, 1
	s_delay_alu instid0(VALU_DEP_2) | instskip(NEXT) | instid1(VALU_DEP_1)
	v_dual_sub_f32 v17, v17, v95 :: v_dual_mul_f32 v96, v98, v96
	v_dual_mul_f32 v98, 0x3f317218, v12 :: v_dual_sub_f32 v13, v13, v17
	s_delay_alu instid0(VALU_DEP_2) | instskip(NEXT) | instid1(VALU_DEP_2)
	v_add_f32_e32 v95, v97, v96
	v_ldexp_f32 v13, v13, 1
	s_delay_alu instid0(VALU_DEP_2) | instskip(NEXT) | instid1(VALU_DEP_4)
	v_sub_f32_e32 v17, v95, v97
	v_fma_f32 v97, 0x3f317218, v12, -v98
	s_delay_alu instid0(VALU_DEP_2) | instskip(NEXT) | instid1(VALU_DEP_1)
	v_sub_f32_e32 v17, v96, v17
	v_dual_fmac_f32 v97, 0xb102e308, v12 :: v_dual_add_f32 v12, v13, v17
	s_delay_alu instid0(VALU_DEP_1) | instskip(NEXT) | instid1(VALU_DEP_1)
	v_add_f32_e32 v13, v98, v97
	v_dual_add_f32 v17, v95, v12 :: v_dual_sub_f32 v98, v13, v98
	s_delay_alu instid0(VALU_DEP_1) | instskip(SKIP_1) | instid1(VALU_DEP_3)
	v_add_f32_e32 v96, v13, v17
	v_sub_f32_e32 v95, v17, v95
	v_sub_f32_e32 v97, v97, v98
	s_delay_alu instid0(VALU_DEP_3) | instskip(NEXT) | instid1(VALU_DEP_3)
	v_sub_f32_e32 v99, v96, v13
	v_sub_f32_e32 v12, v12, v95
	s_delay_alu instid0(VALU_DEP_2) | instskip(SKIP_1) | instid1(VALU_DEP_3)
	v_sub_f32_e32 v100, v96, v99
	v_sub_f32_e32 v17, v17, v99
	v_add_f32_e32 v95, v97, v12
	s_delay_alu instid0(VALU_DEP_3) | instskip(NEXT) | instid1(VALU_DEP_1)
	v_sub_f32_e32 v13, v13, v100
	v_add_f32_e32 v13, v17, v13
	s_delay_alu instid0(VALU_DEP_3) | instskip(NEXT) | instid1(VALU_DEP_2)
	v_sub_f32_e32 v17, v95, v97
	v_add_f32_e32 v13, v95, v13
	s_delay_alu instid0(VALU_DEP_2) | instskip(SKIP_1) | instid1(VALU_DEP_2)
	v_sub_f32_e32 v95, v95, v17
	v_sub_f32_e32 v12, v12, v17
	v_dual_add_f32 v98, v96, v13 :: v_dual_sub_f32 v95, v97, v95
	s_delay_alu instid0(VALU_DEP_1) | instskip(NEXT) | instid1(VALU_DEP_1)
	v_dual_sub_f32 v17, v98, v96 :: v_dual_add_f32 v12, v12, v95
	v_sub_f32_e32 v13, v13, v17
	s_delay_alu instid0(VALU_DEP_1) | instskip(NEXT) | instid1(VALU_DEP_1)
	v_add_f32_e32 v12, v12, v13
	v_add_f32_e32 v12, v98, v12
	s_delay_alu instid0(VALU_DEP_1)
	v_cndmask_b32_e32 v95, v12, v14, vcc_lo
.LBB94_86:                              ;   in Loop: Header=BB94_12 Depth=1
	s_or_b32 exec_lo, exec_lo, s30
	v_cvt_f32_f16_e32 v12, v15
	s_delay_alu instid0(VALU_DEP_1) | instskip(NEXT) | instid1(VALU_DEP_1)
	v_add_f32_e32 v96, s67, v12
	v_cmp_ge_f32_e32 vcc_lo, 0x41a00000, v96
	s_and_b32 s29, s80, vcc_lo
	s_delay_alu instid0(SALU_CYCLE_1)
	s_and_saveexec_b32 s30, s29
	s_cbranch_execz .LBB94_88
; %bb.87:                               ;   in Loop: Header=BB94_12 Depth=1
	v_mul_f32_e32 v12, 0x3fb8aa3b, v96
	v_cmp_ngt_f32_e32 vcc_lo, 0xc2ce8ed0, v96
	s_delay_alu instid0(VALU_DEP_2) | instskip(SKIP_1) | instid1(VALU_DEP_2)
	v_rndne_f32_e32 v13, v12
	v_fma_f32 v14, 0x3fb8aa3b, v96, -v12
	v_sub_f32_e32 v12, v12, v13
	s_delay_alu instid0(VALU_DEP_2) | instskip(SKIP_1) | instid1(VALU_DEP_2)
	v_fmac_f32_e32 v14, 0x32a5705f, v96
	v_cvt_i32_f32_e32 v13, v13
	v_add_f32_e32 v12, v12, v14
	s_delay_alu instid0(VALU_DEP_1) | instskip(SKIP_2) | instid1(VALU_DEP_1)
	v_exp_f32_e32 v12, v12
	s_waitcnt_depctr 0xfff
	v_ldexp_f32 v12, v12, v13
	v_cndmask_b32_e32 v12, 0, v12, vcc_lo
	v_cmp_nlt_f32_e32 vcc_lo, 0x42b17218, v96
	s_delay_alu instid0(VALU_DEP_2) | instskip(NEXT) | instid1(VALU_DEP_1)
	v_cndmask_b32_e32 v14, 0x7f800000, v12, vcc_lo
	v_add_f32_e32 v17, 1.0, v14
	s_delay_alu instid0(VALU_DEP_1) | instskip(NEXT) | instid1(VALU_DEP_1)
	v_cvt_f64_f32_e32 v[12:13], v17
	v_frexp_exp_i32_f64_e32 v12, v[12:13]
	v_frexp_mant_f32_e32 v13, v17
	s_delay_alu instid0(VALU_DEP_1) | instskip(SKIP_1) | instid1(VALU_DEP_1)
	v_cmp_gt_f32_e32 vcc_lo, 0x3f2aaaab, v13
	v_add_f32_e32 v13, -1.0, v17
	v_sub_f32_e32 v97, v13, v17
	s_delay_alu instid0(VALU_DEP_1) | instskip(SKIP_2) | instid1(VALU_DEP_2)
	v_add_f32_e32 v97, 1.0, v97
	v_sub_f32_e32 v13, v14, v13
	v_cmp_gt_f32_e64 s29, 0x33800000, v14
	v_add_f32_e32 v13, v13, v97
	v_subrev_co_ci_u32_e32 v12, vcc_lo, 0, v12, vcc_lo
	v_cmp_eq_f32_e32 vcc_lo, 0x7f800000, v14
	s_delay_alu instid0(VALU_DEP_2) | instskip(SKIP_2) | instid1(VALU_DEP_2)
	v_sub_nc_u32_e32 v96, 0, v12
	v_cvt_f32_i32_e32 v12, v12
	s_or_b32 vcc_lo, s29, vcc_lo
	v_ldexp_f32 v17, v17, v96
	v_ldexp_f32 v13, v13, v96
	s_delay_alu instid0(VALU_DEP_2) | instskip(NEXT) | instid1(VALU_DEP_1)
	v_add_f32_e32 v96, -1.0, v17
	v_dual_add_f32 v98, 1.0, v17 :: v_dual_add_f32 v99, 1.0, v96
	s_delay_alu instid0(VALU_DEP_1) | instskip(NEXT) | instid1(VALU_DEP_1)
	v_add_f32_e32 v97, -1.0, v98
	v_sub_f32_e32 v97, v17, v97
	s_delay_alu instid0(VALU_DEP_3) | instskip(NEXT) | instid1(VALU_DEP_2)
	v_sub_f32_e32 v17, v17, v99
	v_add_f32_e32 v97, v13, v97
	s_delay_alu instid0(VALU_DEP_2) | instskip(NEXT) | instid1(VALU_DEP_1)
	v_add_f32_e32 v13, v13, v17
	v_add_f32_e32 v100, v96, v13
	s_delay_alu instid0(VALU_DEP_1) | instskip(NEXT) | instid1(VALU_DEP_1)
	v_dual_sub_f32 v96, v96, v100 :: v_dual_add_f32 v99, v98, v97
	v_add_f32_e32 v13, v13, v96
	s_delay_alu instid0(VALU_DEP_2) | instskip(SKIP_1) | instid1(VALU_DEP_1)
	v_rcp_f32_e32 v17, v99
	v_sub_f32_e32 v98, v98, v99
	v_add_f32_e32 v97, v97, v98
	s_waitcnt_depctr 0xfff
	v_mul_f32_e32 v101, v100, v17
	s_delay_alu instid0(VALU_DEP_1) | instskip(NEXT) | instid1(VALU_DEP_1)
	v_mul_f32_e32 v102, v99, v101
	v_fma_f32 v98, v101, v99, -v102
	s_delay_alu instid0(VALU_DEP_1) | instskip(NEXT) | instid1(VALU_DEP_1)
	v_fmac_f32_e32 v98, v101, v97
	v_add_f32_e32 v103, v102, v98
	s_delay_alu instid0(VALU_DEP_1) | instskip(SKIP_1) | instid1(VALU_DEP_2)
	v_sub_f32_e32 v104, v100, v103
	v_sub_f32_e32 v96, v103, v102
	;; [unrolled: 1-line block ×3, first 2 shown]
	s_delay_alu instid0(VALU_DEP_1) | instskip(NEXT) | instid1(VALU_DEP_1)
	v_sub_f32_e32 v100, v100, v103
	v_dual_sub_f32 v96, v96, v98 :: v_dual_add_f32 v13, v13, v100
	s_delay_alu instid0(VALU_DEP_1) | instskip(NEXT) | instid1(VALU_DEP_1)
	v_add_f32_e32 v13, v96, v13
	v_add_f32_e32 v96, v104, v13
	s_delay_alu instid0(VALU_DEP_1) | instskip(NEXT) | instid1(VALU_DEP_1)
	v_mul_f32_e32 v98, v17, v96
	v_dual_sub_f32 v103, v104, v96 :: v_dual_mul_f32 v100, v99, v98
	s_delay_alu instid0(VALU_DEP_1) | instskip(NEXT) | instid1(VALU_DEP_2)
	v_add_f32_e32 v13, v13, v103
	v_fma_f32 v99, v98, v99, -v100
	s_delay_alu instid0(VALU_DEP_1) | instskip(NEXT) | instid1(VALU_DEP_1)
	v_fmac_f32_e32 v99, v98, v97
	v_add_f32_e32 v97, v100, v99
	s_delay_alu instid0(VALU_DEP_1) | instskip(NEXT) | instid1(VALU_DEP_1)
	v_sub_f32_e32 v102, v96, v97
	v_sub_f32_e32 v96, v96, v102
	s_delay_alu instid0(VALU_DEP_1) | instskip(NEXT) | instid1(VALU_DEP_1)
	v_sub_f32_e32 v96, v96, v97
	v_add_f32_e32 v13, v13, v96
	v_add_f32_e32 v96, v101, v98
	v_sub_f32_e32 v100, v97, v100
	s_delay_alu instid0(VALU_DEP_1) | instskip(NEXT) | instid1(VALU_DEP_1)
	v_sub_f32_e32 v97, v100, v99
	v_add_f32_e32 v13, v97, v13
	s_delay_alu instid0(VALU_DEP_4) | instskip(NEXT) | instid1(VALU_DEP_2)
	v_sub_f32_e32 v97, v96, v101
	v_add_f32_e32 v13, v102, v13
	s_delay_alu instid0(VALU_DEP_2) | instskip(NEXT) | instid1(VALU_DEP_2)
	v_sub_f32_e32 v97, v98, v97
	v_mul_f32_e32 v13, v17, v13
	s_delay_alu instid0(VALU_DEP_1) | instskip(NEXT) | instid1(VALU_DEP_1)
	v_add_f32_e32 v13, v97, v13
	v_add_f32_e32 v17, v96, v13
	s_delay_alu instid0(VALU_DEP_1) | instskip(NEXT) | instid1(VALU_DEP_1)
	v_mul_f32_e32 v97, v17, v17
	v_fmaak_f32 v98, s84, v97, 0x3ecc95a3
	v_mul_f32_e32 v99, v17, v97
	s_delay_alu instid0(VALU_DEP_2) | instskip(SKIP_1) | instid1(VALU_DEP_2)
	v_fmaak_f32 v97, v97, v98, 0x3f2aaada
	v_ldexp_f32 v98, v17, 1
	v_mul_f32_e32 v97, v99, v97
	s_delay_alu instid0(VALU_DEP_1) | instskip(NEXT) | instid1(VALU_DEP_1)
	v_dual_sub_f32 v17, v17, v96 :: v_dual_add_f32 v96, v98, v97
	v_sub_f32_e32 v13, v13, v17
	s_delay_alu instid0(VALU_DEP_2) | instskip(NEXT) | instid1(VALU_DEP_2)
	v_sub_f32_e32 v17, v96, v98
	v_ldexp_f32 v13, v13, 1
	s_delay_alu instid0(VALU_DEP_2) | instskip(SKIP_1) | instid1(VALU_DEP_1)
	v_sub_f32_e32 v17, v97, v17
	v_mul_f32_e32 v99, 0x3f317218, v12
	v_fma_f32 v98, 0x3f317218, v12, -v99
	s_delay_alu instid0(VALU_DEP_1) | instskip(NEXT) | instid1(VALU_DEP_1)
	v_fmac_f32_e32 v98, 0xb102e308, v12
	v_dual_add_f32 v12, v13, v17 :: v_dual_add_f32 v13, v99, v98
	s_delay_alu instid0(VALU_DEP_1) | instskip(NEXT) | instid1(VALU_DEP_1)
	v_add_f32_e32 v17, v96, v12
	v_add_f32_e32 v97, v13, v17
	v_sub_f32_e32 v96, v17, v96
	s_delay_alu instid0(VALU_DEP_2) | instskip(NEXT) | instid1(VALU_DEP_2)
	v_sub_f32_e32 v100, v97, v13
	v_dual_sub_f32 v12, v12, v96 :: v_dual_sub_f32 v99, v13, v99
	s_delay_alu instid0(VALU_DEP_2) | instskip(NEXT) | instid1(VALU_DEP_2)
	v_sub_f32_e32 v101, v97, v100
	v_dual_sub_f32 v17, v17, v100 :: v_dual_sub_f32 v98, v98, v99
	s_delay_alu instid0(VALU_DEP_1) | instskip(NEXT) | instid1(VALU_DEP_1)
	v_dual_sub_f32 v13, v13, v101 :: v_dual_add_f32 v96, v98, v12
	v_add_f32_e32 v13, v17, v13
	s_delay_alu instid0(VALU_DEP_2) | instskip(NEXT) | instid1(VALU_DEP_2)
	v_sub_f32_e32 v17, v96, v98
	v_add_f32_e32 v13, v96, v13
	s_delay_alu instid0(VALU_DEP_2) | instskip(SKIP_1) | instid1(VALU_DEP_2)
	v_sub_f32_e32 v96, v96, v17
	v_sub_f32_e32 v12, v12, v17
	v_dual_add_f32 v99, v97, v13 :: v_dual_sub_f32 v96, v98, v96
	s_delay_alu instid0(VALU_DEP_1) | instskip(NEXT) | instid1(VALU_DEP_1)
	v_dual_sub_f32 v17, v99, v97 :: v_dual_add_f32 v12, v12, v96
	v_sub_f32_e32 v13, v13, v17
	s_delay_alu instid0(VALU_DEP_1) | instskip(NEXT) | instid1(VALU_DEP_1)
	v_add_f32_e32 v12, v12, v13
	v_add_f32_e32 v12, v99, v12
	s_delay_alu instid0(VALU_DEP_1)
	v_cndmask_b32_e32 v96, v12, v14, vcc_lo
.LBB94_88:                              ;   in Loop: Header=BB94_12 Depth=1
	s_or_b32 exec_lo, exec_lo, s30
	v_lshrrev_b32_e32 v12, 16, v15
	s_delay_alu instid0(VALU_DEP_1) | instskip(NEXT) | instid1(VALU_DEP_1)
	v_cvt_f32_f16_e32 v12, v12
	v_add_f32_e32 v97, s67, v12
	s_delay_alu instid0(VALU_DEP_1) | instskip(SKIP_1) | instid1(SALU_CYCLE_1)
	v_cmp_ge_f32_e32 vcc_lo, 0x41a00000, v97
	s_and_b32 s29, s80, vcc_lo
	s_and_saveexec_b32 s30, s29
	s_cbranch_execz .LBB94_90
; %bb.89:                               ;   in Loop: Header=BB94_12 Depth=1
	v_mul_f32_e32 v12, 0x3fb8aa3b, v97
	v_cmp_ngt_f32_e32 vcc_lo, 0xc2ce8ed0, v97
	s_delay_alu instid0(VALU_DEP_2) | instskip(SKIP_1) | instid1(VALU_DEP_2)
	v_rndne_f32_e32 v13, v12
	v_fma_f32 v14, 0x3fb8aa3b, v97, -v12
	v_sub_f32_e32 v12, v12, v13
	s_delay_alu instid0(VALU_DEP_2) | instskip(SKIP_1) | instid1(VALU_DEP_2)
	v_fmac_f32_e32 v14, 0x32a5705f, v97
	v_cvt_i32_f32_e32 v13, v13
	v_add_f32_e32 v12, v12, v14
	s_delay_alu instid0(VALU_DEP_1) | instskip(SKIP_2) | instid1(VALU_DEP_1)
	v_exp_f32_e32 v12, v12
	s_waitcnt_depctr 0xfff
	v_ldexp_f32 v12, v12, v13
	v_cndmask_b32_e32 v12, 0, v12, vcc_lo
	v_cmp_nlt_f32_e32 vcc_lo, 0x42b17218, v97
	s_delay_alu instid0(VALU_DEP_2) | instskip(NEXT) | instid1(VALU_DEP_1)
	v_cndmask_b32_e32 v14, 0x7f800000, v12, vcc_lo
	v_add_f32_e32 v15, 1.0, v14
	s_delay_alu instid0(VALU_DEP_1) | instskip(NEXT) | instid1(VALU_DEP_1)
	v_cvt_f64_f32_e32 v[12:13], v15
	v_frexp_exp_i32_f64_e32 v12, v[12:13]
	v_frexp_mant_f32_e32 v13, v15
	s_delay_alu instid0(VALU_DEP_1) | instskip(SKIP_1) | instid1(VALU_DEP_1)
	v_cmp_gt_f32_e32 vcc_lo, 0x3f2aaaab, v13
	v_add_f32_e32 v13, -1.0, v15
	v_sub_f32_e32 v97, v13, v15
	v_sub_f32_e32 v13, v14, v13
	s_delay_alu instid0(VALU_DEP_2) | instskip(NEXT) | instid1(VALU_DEP_1)
	v_add_f32_e32 v97, 1.0, v97
	v_add_f32_e32 v13, v13, v97
	v_cmp_gt_f32_e64 s29, 0x33800000, v14
	v_subrev_co_ci_u32_e32 v12, vcc_lo, 0, v12, vcc_lo
	v_cmp_eq_f32_e32 vcc_lo, 0x7f800000, v14
	s_delay_alu instid0(VALU_DEP_2) | instskip(SKIP_2) | instid1(VALU_DEP_2)
	v_sub_nc_u32_e32 v17, 0, v12
	v_cvt_f32_i32_e32 v12, v12
	s_or_b32 vcc_lo, s29, vcc_lo
	v_ldexp_f32 v15, v15, v17
	v_ldexp_f32 v13, v13, v17
	s_delay_alu instid0(VALU_DEP_2) | instskip(SKIP_1) | instid1(VALU_DEP_2)
	v_add_f32_e32 v98, 1.0, v15
	v_add_f32_e32 v17, -1.0, v15
	v_add_f32_e32 v97, -1.0, v98
	s_delay_alu instid0(VALU_DEP_2) | instskip(NEXT) | instid1(VALU_DEP_2)
	v_add_f32_e32 v99, 1.0, v17
	v_sub_f32_e32 v97, v15, v97
	s_delay_alu instid0(VALU_DEP_2) | instskip(NEXT) | instid1(VALU_DEP_2)
	v_sub_f32_e32 v15, v15, v99
	v_add_f32_e32 v97, v13, v97
	s_delay_alu instid0(VALU_DEP_2) | instskip(NEXT) | instid1(VALU_DEP_1)
	v_add_f32_e32 v13, v13, v15
	v_add_f32_e32 v100, v17, v13
	s_delay_alu instid0(VALU_DEP_3) | instskip(NEXT) | instid1(VALU_DEP_1)
	v_add_f32_e32 v99, v98, v97
	v_rcp_f32_e32 v15, v99
	v_sub_f32_e32 v98, v98, v99
	s_delay_alu instid0(VALU_DEP_1) | instskip(SKIP_2) | instid1(VALU_DEP_1)
	v_add_f32_e32 v97, v97, v98
	s_waitcnt_depctr 0xfff
	v_mul_f32_e32 v101, v100, v15
	v_dual_mul_f32 v102, v99, v101 :: v_dual_sub_f32 v17, v17, v100
	s_delay_alu instid0(VALU_DEP_1) | instskip(NEXT) | instid1(VALU_DEP_2)
	v_fma_f32 v98, v101, v99, -v102
	v_add_f32_e32 v13, v13, v17
	s_delay_alu instid0(VALU_DEP_2) | instskip(NEXT) | instid1(VALU_DEP_1)
	v_fmac_f32_e32 v98, v101, v97
	v_add_f32_e32 v103, v102, v98
	s_delay_alu instid0(VALU_DEP_1) | instskip(NEXT) | instid1(VALU_DEP_1)
	v_dual_sub_f32 v104, v100, v103 :: v_dual_sub_f32 v17, v103, v102
	v_dual_sub_f32 v100, v100, v104 :: v_dual_sub_f32 v17, v17, v98
	s_delay_alu instid0(VALU_DEP_1) | instskip(NEXT) | instid1(VALU_DEP_1)
	v_sub_f32_e32 v100, v100, v103
	v_add_f32_e32 v13, v13, v100
	s_delay_alu instid0(VALU_DEP_1) | instskip(NEXT) | instid1(VALU_DEP_1)
	v_add_f32_e32 v13, v17, v13
	v_add_f32_e32 v17, v104, v13
	s_delay_alu instid0(VALU_DEP_1) | instskip(NEXT) | instid1(VALU_DEP_1)
	v_mul_f32_e32 v98, v15, v17
	v_dual_sub_f32 v103, v104, v17 :: v_dual_mul_f32 v100, v99, v98
	s_delay_alu instid0(VALU_DEP_1) | instskip(NEXT) | instid1(VALU_DEP_2)
	v_add_f32_e32 v13, v13, v103
	v_fma_f32 v99, v98, v99, -v100
	s_delay_alu instid0(VALU_DEP_1) | instskip(NEXT) | instid1(VALU_DEP_1)
	v_fmac_f32_e32 v99, v98, v97
	v_add_f32_e32 v97, v100, v99
	s_delay_alu instid0(VALU_DEP_1) | instskip(SKIP_1) | instid1(VALU_DEP_2)
	v_sub_f32_e32 v102, v17, v97
	v_sub_f32_e32 v100, v97, v100
	;; [unrolled: 1-line block ×3, first 2 shown]
	s_delay_alu instid0(VALU_DEP_1) | instskip(NEXT) | instid1(VALU_DEP_3)
	v_sub_f32_e32 v17, v17, v97
	v_sub_f32_e32 v97, v100, v99
	s_delay_alu instid0(VALU_DEP_2) | instskip(SKIP_1) | instid1(VALU_DEP_2)
	v_add_f32_e32 v13, v13, v17
	v_add_f32_e32 v17, v101, v98
	;; [unrolled: 1-line block ×3, first 2 shown]
	s_delay_alu instid0(VALU_DEP_2) | instskip(NEXT) | instid1(VALU_DEP_2)
	v_sub_f32_e32 v97, v17, v101
	v_add_f32_e32 v13, v102, v13
	s_delay_alu instid0(VALU_DEP_2) | instskip(NEXT) | instid1(VALU_DEP_2)
	v_sub_f32_e32 v97, v98, v97
	v_mul_f32_e32 v13, v15, v13
	s_delay_alu instid0(VALU_DEP_1) | instskip(NEXT) | instid1(VALU_DEP_1)
	v_add_f32_e32 v13, v97, v13
	v_add_f32_e32 v15, v17, v13
	s_delay_alu instid0(VALU_DEP_1) | instskip(NEXT) | instid1(VALU_DEP_1)
	v_mul_f32_e32 v97, v15, v15
	v_fmaak_f32 v98, s84, v97, 0x3ecc95a3
	v_mul_f32_e32 v99, v15, v97
	s_delay_alu instid0(VALU_DEP_2) | instskip(SKIP_2) | instid1(VALU_DEP_3)
	v_fmaak_f32 v97, v97, v98, 0x3f2aaada
	v_ldexp_f32 v98, v15, 1
	v_sub_f32_e32 v15, v15, v17
	v_mul_f32_e32 v97, v99, v97
	v_mul_f32_e32 v99, 0x3f317218, v12
	s_delay_alu instid0(VALU_DEP_3) | instskip(NEXT) | instid1(VALU_DEP_3)
	v_sub_f32_e32 v13, v13, v15
	v_add_f32_e32 v17, v98, v97
	s_delay_alu instid0(VALU_DEP_2) | instskip(NEXT) | instid1(VALU_DEP_2)
	v_ldexp_f32 v13, v13, 1
	v_sub_f32_e32 v15, v17, v98
	v_fma_f32 v98, 0x3f317218, v12, -v99
	s_delay_alu instid0(VALU_DEP_1) | instskip(NEXT) | instid1(VALU_DEP_1)
	v_dual_sub_f32 v15, v97, v15 :: v_dual_fmac_f32 v98, 0xb102e308, v12
	v_dual_add_f32 v12, v13, v15 :: v_dual_add_f32 v13, v99, v98
	s_delay_alu instid0(VALU_DEP_1) | instskip(NEXT) | instid1(VALU_DEP_1)
	v_add_f32_e32 v15, v17, v12
	v_add_f32_e32 v97, v13, v15
	v_sub_f32_e32 v17, v15, v17
	s_delay_alu instid0(VALU_DEP_2) | instskip(NEXT) | instid1(VALU_DEP_2)
	v_sub_f32_e32 v100, v97, v13
	v_dual_sub_f32 v99, v13, v99 :: v_dual_sub_f32 v12, v12, v17
	s_delay_alu instid0(VALU_DEP_1) | instskip(SKIP_1) | instid1(VALU_DEP_2)
	v_dual_sub_f32 v101, v97, v100 :: v_dual_sub_f32 v98, v98, v99
	v_sub_f32_e32 v15, v15, v100
	v_sub_f32_e32 v13, v13, v101
	s_delay_alu instid0(VALU_DEP_3) | instskip(NEXT) | instid1(VALU_DEP_2)
	v_add_f32_e32 v17, v98, v12
	v_add_f32_e32 v13, v15, v13
	s_delay_alu instid0(VALU_DEP_2) | instskip(NEXT) | instid1(VALU_DEP_2)
	v_sub_f32_e32 v15, v17, v98
	v_add_f32_e32 v13, v17, v13
	s_delay_alu instid0(VALU_DEP_2) | instskip(NEXT) | instid1(VALU_DEP_2)
	v_sub_f32_e32 v17, v17, v15
	v_dual_sub_f32 v12, v12, v15 :: v_dual_add_f32 v99, v97, v13
	s_delay_alu instid0(VALU_DEP_2) | instskip(NEXT) | instid1(VALU_DEP_2)
	v_sub_f32_e32 v17, v98, v17
	v_sub_f32_e32 v15, v99, v97
	s_delay_alu instid0(VALU_DEP_1) | instskip(NEXT) | instid1(VALU_DEP_1)
	v_dual_add_f32 v12, v12, v17 :: v_dual_sub_f32 v13, v13, v15
	v_add_f32_e32 v12, v12, v13
	s_delay_alu instid0(VALU_DEP_1) | instskip(NEXT) | instid1(VALU_DEP_1)
	v_add_f32_e32 v12, v99, v12
	v_cndmask_b32_e32 v97, v12, v14, vcc_lo
.LBB94_90:                              ;   in Loop: Header=BB94_12 Depth=1
	s_or_b32 exec_lo, exec_lo, s30
	s_waitcnt lgkmcnt(0)
	v_cvt_f32_f16_e32 v12, v8
	s_delay_alu instid0(VALU_DEP_1) | instskip(NEXT) | instid1(VALU_DEP_1)
	v_add_f32_e32 v98, s67, v12
	v_cmp_ge_f32_e32 vcc_lo, 0x41a00000, v98
	s_and_b32 s29, s80, vcc_lo
	s_delay_alu instid0(SALU_CYCLE_1)
	s_and_saveexec_b32 s30, s29
	s_cbranch_execz .LBB94_92
; %bb.91:                               ;   in Loop: Header=BB94_12 Depth=1
	v_mul_f32_e32 v12, 0x3fb8aa3b, v98
	v_cmp_ngt_f32_e32 vcc_lo, 0xc2ce8ed0, v98
	s_delay_alu instid0(VALU_DEP_2) | instskip(SKIP_1) | instid1(VALU_DEP_2)
	v_rndne_f32_e32 v13, v12
	v_fma_f32 v14, 0x3fb8aa3b, v98, -v12
	v_sub_f32_e32 v12, v12, v13
	s_delay_alu instid0(VALU_DEP_2) | instskip(SKIP_1) | instid1(VALU_DEP_2)
	v_fmac_f32_e32 v14, 0x32a5705f, v98
	v_cvt_i32_f32_e32 v13, v13
	v_add_f32_e32 v12, v12, v14
	s_delay_alu instid0(VALU_DEP_1) | instskip(SKIP_2) | instid1(VALU_DEP_1)
	v_exp_f32_e32 v12, v12
	s_waitcnt_depctr 0xfff
	v_ldexp_f32 v12, v12, v13
	v_cndmask_b32_e32 v12, 0, v12, vcc_lo
	v_cmp_nlt_f32_e32 vcc_lo, 0x42b17218, v98
	s_delay_alu instid0(VALU_DEP_2) | instskip(NEXT) | instid1(VALU_DEP_1)
	v_cndmask_b32_e32 v14, 0x7f800000, v12, vcc_lo
	v_add_f32_e32 v15, 1.0, v14
	s_delay_alu instid0(VALU_DEP_1) | instskip(NEXT) | instid1(VALU_DEP_1)
	v_cvt_f64_f32_e32 v[12:13], v15
	v_frexp_exp_i32_f64_e32 v12, v[12:13]
	v_frexp_mant_f32_e32 v13, v15
	s_delay_alu instid0(VALU_DEP_1) | instskip(SKIP_1) | instid1(VALU_DEP_1)
	v_cmp_gt_f32_e32 vcc_lo, 0x3f2aaaab, v13
	v_add_f32_e32 v13, -1.0, v15
	v_dual_sub_f32 v98, v13, v15 :: v_dual_sub_f32 v13, v14, v13
	s_delay_alu instid0(VALU_DEP_1) | instskip(NEXT) | instid1(VALU_DEP_1)
	v_add_f32_e32 v98, 1.0, v98
	v_add_f32_e32 v13, v13, v98
	v_subrev_co_ci_u32_e32 v12, vcc_lo, 0, v12, vcc_lo
	s_delay_alu instid0(VALU_DEP_1) | instskip(SKIP_1) | instid1(VALU_DEP_2)
	v_sub_nc_u32_e32 v17, 0, v12
	v_cvt_f32_i32_e32 v12, v12
	v_ldexp_f32 v15, v15, v17
	v_ldexp_f32 v13, v13, v17
	s_delay_alu instid0(VALU_DEP_2) | instskip(SKIP_3) | instid1(VALU_DEP_4)
	v_add_f32_e32 v99, 1.0, v15
	v_add_f32_e32 v17, -1.0, v15
	v_cmp_eq_f32_e32 vcc_lo, 0x7f800000, v14
	v_cmp_gt_f32_e64 s29, 0x33800000, v14
	v_add_f32_e32 v98, -1.0, v99
	s_delay_alu instid0(VALU_DEP_4) | instskip(NEXT) | instid1(VALU_DEP_3)
	v_add_f32_e32 v100, 1.0, v17
	s_or_b32 vcc_lo, s29, vcc_lo
	s_delay_alu instid0(VALU_DEP_2) | instskip(NEXT) | instid1(VALU_DEP_1)
	v_sub_f32_e32 v98, v15, v98
	v_dual_sub_f32 v15, v15, v100 :: v_dual_add_f32 v98, v13, v98
	s_delay_alu instid0(VALU_DEP_1) | instskip(NEXT) | instid1(VALU_DEP_1)
	v_add_f32_e32 v13, v13, v15
	v_dual_add_f32 v101, v17, v13 :: v_dual_add_f32 v100, v99, v98
	s_delay_alu instid0(VALU_DEP_1) | instskip(NEXT) | instid1(VALU_DEP_2)
	v_sub_f32_e32 v17, v17, v101
	v_rcp_f32_e32 v15, v100
	v_sub_f32_e32 v99, v99, v100
	s_delay_alu instid0(VALU_DEP_1) | instskip(SKIP_2) | instid1(VALU_DEP_1)
	v_dual_add_f32 v98, v98, v99 :: v_dual_add_f32 v13, v13, v17
	s_waitcnt_depctr 0xfff
	v_mul_f32_e32 v102, v101, v15
	v_mul_f32_e32 v103, v100, v102
	s_delay_alu instid0(VALU_DEP_1) | instskip(NEXT) | instid1(VALU_DEP_1)
	v_fma_f32 v99, v102, v100, -v103
	v_fmac_f32_e32 v99, v102, v98
	s_delay_alu instid0(VALU_DEP_1) | instskip(NEXT) | instid1(VALU_DEP_1)
	v_add_f32_e32 v104, v103, v99
	v_sub_f32_e32 v105, v101, v104
	s_delay_alu instid0(VALU_DEP_1) | instskip(SKIP_1) | instid1(VALU_DEP_2)
	v_sub_f32_e32 v101, v101, v105
	v_sub_f32_e32 v17, v104, v103
	;; [unrolled: 1-line block ×3, first 2 shown]
	s_delay_alu instid0(VALU_DEP_2) | instskip(NEXT) | instid1(VALU_DEP_2)
	v_sub_f32_e32 v17, v17, v99
	v_add_f32_e32 v13, v13, v101
	s_delay_alu instid0(VALU_DEP_1) | instskip(NEXT) | instid1(VALU_DEP_1)
	v_add_f32_e32 v13, v17, v13
	v_add_f32_e32 v17, v105, v13
	s_delay_alu instid0(VALU_DEP_1) | instskip(NEXT) | instid1(VALU_DEP_1)
	v_mul_f32_e32 v99, v15, v17
	v_dual_sub_f32 v104, v105, v17 :: v_dual_mul_f32 v101, v100, v99
	s_delay_alu instid0(VALU_DEP_1) | instskip(NEXT) | instid1(VALU_DEP_2)
	v_add_f32_e32 v13, v13, v104
	v_fma_f32 v100, v99, v100, -v101
	s_delay_alu instid0(VALU_DEP_1) | instskip(NEXT) | instid1(VALU_DEP_1)
	v_fmac_f32_e32 v100, v99, v98
	v_add_f32_e32 v98, v101, v100
	s_delay_alu instid0(VALU_DEP_1) | instskip(NEXT) | instid1(VALU_DEP_1)
	v_sub_f32_e32 v103, v17, v98
	v_sub_f32_e32 v17, v17, v103
	s_delay_alu instid0(VALU_DEP_1) | instskip(NEXT) | instid1(VALU_DEP_1)
	v_sub_f32_e32 v17, v17, v98
	v_add_f32_e32 v13, v13, v17
	v_add_f32_e32 v17, v102, v99
	v_sub_f32_e32 v101, v98, v101
	s_delay_alu instid0(VALU_DEP_1) | instskip(NEXT) | instid1(VALU_DEP_1)
	v_sub_f32_e32 v98, v101, v100
	v_dual_add_f32 v13, v98, v13 :: v_dual_sub_f32 v98, v17, v102
	s_delay_alu instid0(VALU_DEP_1) | instskip(NEXT) | instid1(VALU_DEP_2)
	v_add_f32_e32 v13, v103, v13
	v_sub_f32_e32 v98, v99, v98
	s_delay_alu instid0(VALU_DEP_2) | instskip(NEXT) | instid1(VALU_DEP_1)
	v_mul_f32_e32 v13, v15, v13
	v_add_f32_e32 v13, v98, v13
	s_delay_alu instid0(VALU_DEP_1) | instskip(NEXT) | instid1(VALU_DEP_1)
	v_add_f32_e32 v15, v17, v13
	v_mul_f32_e32 v98, v15, v15
	s_delay_alu instid0(VALU_DEP_1) | instskip(SKIP_1) | instid1(VALU_DEP_2)
	v_fmaak_f32 v99, s84, v98, 0x3ecc95a3
	v_mul_f32_e32 v100, v15, v98
	v_fmaak_f32 v98, v98, v99, 0x3f2aaada
	v_ldexp_f32 v99, v15, 1
	s_delay_alu instid0(VALU_DEP_2) | instskip(NEXT) | instid1(VALU_DEP_1)
	v_dual_sub_f32 v15, v15, v17 :: v_dual_mul_f32 v98, v100, v98
	v_dual_mul_f32 v100, 0x3f317218, v12 :: v_dual_sub_f32 v13, v13, v15
	s_delay_alu instid0(VALU_DEP_2) | instskip(NEXT) | instid1(VALU_DEP_2)
	v_add_f32_e32 v17, v99, v98
	v_ldexp_f32 v13, v13, 1
	s_delay_alu instid0(VALU_DEP_2) | instskip(NEXT) | instid1(VALU_DEP_4)
	v_sub_f32_e32 v15, v17, v99
	v_fma_f32 v99, 0x3f317218, v12, -v100
	s_delay_alu instid0(VALU_DEP_2) | instskip(NEXT) | instid1(VALU_DEP_1)
	v_sub_f32_e32 v15, v98, v15
	v_dual_fmac_f32 v99, 0xb102e308, v12 :: v_dual_add_f32 v12, v13, v15
	s_delay_alu instid0(VALU_DEP_1) | instskip(NEXT) | instid1(VALU_DEP_2)
	v_add_f32_e32 v13, v100, v99
	v_add_f32_e32 v15, v17, v12
	s_delay_alu instid0(VALU_DEP_2) | instskip(NEXT) | instid1(VALU_DEP_2)
	v_sub_f32_e32 v100, v13, v100
	v_dual_add_f32 v98, v13, v15 :: v_dual_sub_f32 v17, v15, v17
	s_delay_alu instid0(VALU_DEP_2) | instskip(NEXT) | instid1(VALU_DEP_2)
	v_sub_f32_e32 v99, v99, v100
	v_sub_f32_e32 v101, v98, v13
	s_delay_alu instid0(VALU_DEP_3) | instskip(NEXT) | instid1(VALU_DEP_2)
	v_sub_f32_e32 v12, v12, v17
	v_sub_f32_e32 v102, v98, v101
	v_sub_f32_e32 v15, v15, v101
	s_delay_alu instid0(VALU_DEP_3) | instskip(NEXT) | instid1(VALU_DEP_3)
	v_add_f32_e32 v17, v99, v12
	v_sub_f32_e32 v13, v13, v102
	s_delay_alu instid0(VALU_DEP_1) | instskip(NEXT) | instid1(VALU_DEP_3)
	v_add_f32_e32 v13, v15, v13
	v_sub_f32_e32 v15, v17, v99
	s_delay_alu instid0(VALU_DEP_2) | instskip(NEXT) | instid1(VALU_DEP_2)
	v_add_f32_e32 v13, v17, v13
	v_sub_f32_e32 v17, v17, v15
	v_sub_f32_e32 v12, v12, v15
	s_delay_alu instid0(VALU_DEP_3) | instskip(NEXT) | instid1(VALU_DEP_3)
	v_add_f32_e32 v100, v98, v13
	v_sub_f32_e32 v17, v99, v17
	s_delay_alu instid0(VALU_DEP_2) | instskip(NEXT) | instid1(VALU_DEP_1)
	v_sub_f32_e32 v15, v100, v98
	v_dual_add_f32 v12, v12, v17 :: v_dual_sub_f32 v13, v13, v15
	s_delay_alu instid0(VALU_DEP_1) | instskip(NEXT) | instid1(VALU_DEP_1)
	v_add_f32_e32 v12, v12, v13
	v_add_f32_e32 v12, v100, v12
	s_delay_alu instid0(VALU_DEP_1)
	v_cndmask_b32_e32 v98, v12, v14, vcc_lo
.LBB94_92:                              ;   in Loop: Header=BB94_12 Depth=1
	s_or_b32 exec_lo, exec_lo, s30
	v_lshrrev_b32_e32 v8, 16, v8
	s_delay_alu instid0(VALU_DEP_1) | instskip(NEXT) | instid1(VALU_DEP_1)
	v_cvt_f32_f16_e32 v8, v8
	v_add_f32_e32 v99, s67, v8
	s_delay_alu instid0(VALU_DEP_1) | instskip(SKIP_1) | instid1(SALU_CYCLE_1)
	v_cmp_ge_f32_e32 vcc_lo, 0x41a00000, v99
	s_and_b32 s29, s80, vcc_lo
	s_and_saveexec_b32 s30, s29
	s_cbranch_execz .LBB94_94
; %bb.93:                               ;   in Loop: Header=BB94_12 Depth=1
	v_mul_f32_e32 v8, 0x3fb8aa3b, v99
	v_cmp_ngt_f32_e32 vcc_lo, 0xc2ce8ed0, v99
	s_delay_alu instid0(VALU_DEP_2) | instskip(SKIP_1) | instid1(VALU_DEP_1)
	v_rndne_f32_e32 v12, v8
	v_fma_f32 v13, 0x3fb8aa3b, v99, -v8
	v_dual_sub_f32 v8, v8, v12 :: v_dual_fmac_f32 v13, 0x32a5705f, v99
	v_cvt_i32_f32_e32 v12, v12
	s_delay_alu instid0(VALU_DEP_2) | instskip(NEXT) | instid1(VALU_DEP_1)
	v_add_f32_e32 v8, v8, v13
	v_exp_f32_e32 v8, v8
	s_waitcnt_depctr 0xfff
	v_ldexp_f32 v8, v8, v12
	s_delay_alu instid0(VALU_DEP_1) | instskip(SKIP_1) | instid1(VALU_DEP_2)
	v_cndmask_b32_e32 v8, 0, v8, vcc_lo
	v_cmp_nlt_f32_e32 vcc_lo, 0x42b17218, v99
	v_cndmask_b32_e32 v8, 0x7f800000, v8, vcc_lo
	s_delay_alu instid0(VALU_DEP_1) | instskip(NEXT) | instid1(VALU_DEP_1)
	v_add_f32_e32 v14, 1.0, v8
	v_cvt_f64_f32_e32 v[12:13], v14
	s_delay_alu instid0(VALU_DEP_1) | instskip(SKIP_1) | instid1(VALU_DEP_1)
	v_frexp_exp_i32_f64_e32 v12, v[12:13]
	v_frexp_mant_f32_e32 v13, v14
	v_cmp_gt_f32_e32 vcc_lo, 0x3f2aaaab, v13
	v_add_f32_e32 v13, -1.0, v14
	s_delay_alu instid0(VALU_DEP_1) | instskip(NEXT) | instid1(VALU_DEP_1)
	v_sub_f32_e32 v17, v13, v14
	v_add_f32_e32 v17, 1.0, v17
	v_subrev_co_ci_u32_e32 v12, vcc_lo, 0, v12, vcc_lo
	s_delay_alu instid0(VALU_DEP_1) | instskip(SKIP_1) | instid1(VALU_DEP_2)
	v_sub_nc_u32_e32 v15, 0, v12
	v_cvt_f32_i32_e32 v12, v12
	v_ldexp_f32 v14, v14, v15
	s_delay_alu instid0(VALU_DEP_1) | instskip(SKIP_3) | instid1(VALU_DEP_3)
	v_add_f32_e32 v99, 1.0, v14
	v_sub_f32_e32 v13, v8, v13
	v_cmp_eq_f32_e32 vcc_lo, 0x7f800000, v8
	v_cmp_gt_f32_e64 s29, 0x33800000, v8
	v_add_f32_e32 v13, v13, v17
	s_delay_alu instid0(VALU_DEP_2) | instskip(NEXT) | instid1(VALU_DEP_1)
	s_or_b32 vcc_lo, s29, vcc_lo
	v_ldexp_f32 v13, v13, v15
	v_add_f32_e32 v15, -1.0, v14
	s_delay_alu instid0(VALU_DEP_1) | instskip(SKIP_1) | instid1(VALU_DEP_1)
	v_add_f32_e32 v100, 1.0, v15
	v_add_f32_e32 v17, -1.0, v99
	v_sub_f32_e32 v17, v14, v17
	s_delay_alu instid0(VALU_DEP_1) | instskip(NEXT) | instid1(VALU_DEP_1)
	v_dual_sub_f32 v14, v14, v100 :: v_dual_add_f32 v17, v13, v17
	v_add_f32_e32 v100, v99, v17
	s_delay_alu instid0(VALU_DEP_1) | instskip(NEXT) | instid1(VALU_DEP_1)
	v_sub_f32_e32 v99, v99, v100
	v_add_f32_e32 v17, v17, v99
	s_delay_alu instid0(VALU_DEP_4) | instskip(SKIP_1) | instid1(VALU_DEP_1)
	v_add_f32_e32 v13, v13, v14
	v_rcp_f32_e32 v14, v100
	v_add_f32_e32 v101, v15, v13
	s_waitcnt_depctr 0xfff
	v_dual_sub_f32 v15, v15, v101 :: v_dual_mul_f32 v102, v101, v14
	s_delay_alu instid0(VALU_DEP_1) | instskip(NEXT) | instid1(VALU_DEP_2)
	v_add_f32_e32 v13, v13, v15
	v_mul_f32_e32 v103, v100, v102
	s_delay_alu instid0(VALU_DEP_1) | instskip(NEXT) | instid1(VALU_DEP_1)
	v_fma_f32 v99, v102, v100, -v103
	v_fmac_f32_e32 v99, v102, v17
	s_delay_alu instid0(VALU_DEP_1) | instskip(NEXT) | instid1(VALU_DEP_1)
	v_add_f32_e32 v104, v103, v99
	v_sub_f32_e32 v105, v101, v104
	v_sub_f32_e32 v15, v104, v103
	s_delay_alu instid0(VALU_DEP_2) | instskip(NEXT) | instid1(VALU_DEP_2)
	v_sub_f32_e32 v101, v101, v105
	v_sub_f32_e32 v15, v15, v99
	s_delay_alu instid0(VALU_DEP_2) | instskip(NEXT) | instid1(VALU_DEP_1)
	v_sub_f32_e32 v101, v101, v104
	v_add_f32_e32 v13, v13, v101
	s_delay_alu instid0(VALU_DEP_1) | instskip(NEXT) | instid1(VALU_DEP_1)
	v_add_f32_e32 v13, v15, v13
	v_add_f32_e32 v15, v105, v13
	s_delay_alu instid0(VALU_DEP_1) | instskip(SKIP_1) | instid1(VALU_DEP_2)
	v_mul_f32_e32 v99, v14, v15
	v_sub_f32_e32 v104, v105, v15
	v_mul_f32_e32 v101, v100, v99
	s_delay_alu instid0(VALU_DEP_2) | instskip(NEXT) | instid1(VALU_DEP_2)
	v_add_f32_e32 v13, v13, v104
	v_fma_f32 v100, v99, v100, -v101
	s_delay_alu instid0(VALU_DEP_1) | instskip(NEXT) | instid1(VALU_DEP_1)
	v_fmac_f32_e32 v100, v99, v17
	v_add_f32_e32 v17, v101, v100
	s_delay_alu instid0(VALU_DEP_1) | instskip(SKIP_1) | instid1(VALU_DEP_2)
	v_sub_f32_e32 v103, v15, v17
	v_sub_f32_e32 v101, v17, v101
	;; [unrolled: 1-line block ×3, first 2 shown]
	s_delay_alu instid0(VALU_DEP_1) | instskip(NEXT) | instid1(VALU_DEP_3)
	v_sub_f32_e32 v15, v15, v17
	v_sub_f32_e32 v17, v101, v100
	s_delay_alu instid0(VALU_DEP_2) | instskip(SKIP_1) | instid1(VALU_DEP_2)
	v_add_f32_e32 v13, v13, v15
	v_add_f32_e32 v15, v102, v99
	;; [unrolled: 1-line block ×3, first 2 shown]
	s_delay_alu instid0(VALU_DEP_2) | instskip(NEXT) | instid1(VALU_DEP_2)
	v_sub_f32_e32 v17, v15, v102
	v_add_f32_e32 v13, v103, v13
	s_delay_alu instid0(VALU_DEP_2) | instskip(NEXT) | instid1(VALU_DEP_2)
	v_sub_f32_e32 v17, v99, v17
	v_mul_f32_e32 v13, v14, v13
	s_delay_alu instid0(VALU_DEP_1) | instskip(NEXT) | instid1(VALU_DEP_1)
	v_add_f32_e32 v13, v17, v13
	v_add_f32_e32 v14, v15, v13
	s_delay_alu instid0(VALU_DEP_1) | instskip(NEXT) | instid1(VALU_DEP_1)
	v_mul_f32_e32 v17, v14, v14
	v_fmaak_f32 v99, s84, v17, 0x3ecc95a3
	s_delay_alu instid0(VALU_DEP_1) | instskip(SKIP_1) | instid1(VALU_DEP_2)
	v_dual_mul_f32 v100, v14, v17 :: v_dual_fmaak_f32 v17, v17, v99, 0x3f2aaada
	v_ldexp_f32 v99, v14, 1
	v_dual_sub_f32 v14, v14, v15 :: v_dual_mul_f32 v17, v100, v17
	s_delay_alu instid0(VALU_DEP_1) | instskip(NEXT) | instid1(VALU_DEP_2)
	v_dual_mul_f32 v100, 0x3f317218, v12 :: v_dual_sub_f32 v13, v13, v14
	v_add_f32_e32 v15, v99, v17
	s_delay_alu instid0(VALU_DEP_2) | instskip(NEXT) | instid1(VALU_DEP_2)
	v_ldexp_f32 v13, v13, 1
	v_sub_f32_e32 v14, v15, v99
	s_delay_alu instid0(VALU_DEP_4) | instskip(NEXT) | instid1(VALU_DEP_1)
	v_fma_f32 v99, 0x3f317218, v12, -v100
	v_dual_sub_f32 v14, v17, v14 :: v_dual_fmac_f32 v99, 0xb102e308, v12
	s_delay_alu instid0(VALU_DEP_1) | instskip(NEXT) | instid1(VALU_DEP_1)
	v_dual_add_f32 v12, v13, v14 :: v_dual_add_f32 v13, v100, v99
	v_add_f32_e32 v14, v15, v12
	s_delay_alu instid0(VALU_DEP_2) | instskip(NEXT) | instid1(VALU_DEP_2)
	v_sub_f32_e32 v100, v13, v100
	v_add_f32_e32 v17, v13, v14
	v_sub_f32_e32 v15, v14, v15
	s_delay_alu instid0(VALU_DEP_3) | instskip(NEXT) | instid1(VALU_DEP_2)
	v_sub_f32_e32 v99, v99, v100
	v_dual_sub_f32 v101, v17, v13 :: v_dual_sub_f32 v12, v12, v15
	s_delay_alu instid0(VALU_DEP_1) | instskip(NEXT) | instid1(VALU_DEP_2)
	v_sub_f32_e32 v102, v17, v101
	v_dual_sub_f32 v14, v14, v101 :: v_dual_add_f32 v15, v99, v12
	s_delay_alu instid0(VALU_DEP_2) | instskip(NEXT) | instid1(VALU_DEP_1)
	v_sub_f32_e32 v13, v13, v102
	v_dual_add_f32 v13, v14, v13 :: v_dual_sub_f32 v14, v15, v99
	s_delay_alu instid0(VALU_DEP_1) | instskip(NEXT) | instid1(VALU_DEP_2)
	v_add_f32_e32 v13, v15, v13
	v_sub_f32_e32 v15, v15, v14
	v_sub_f32_e32 v12, v12, v14
	s_delay_alu instid0(VALU_DEP_2) | instskip(NEXT) | instid1(VALU_DEP_1)
	v_dual_add_f32 v100, v17, v13 :: v_dual_sub_f32 v15, v99, v15
	v_sub_f32_e32 v14, v100, v17
	s_delay_alu instid0(VALU_DEP_1) | instskip(NEXT) | instid1(VALU_DEP_1)
	v_dual_add_f32 v12, v12, v15 :: v_dual_sub_f32 v13, v13, v14
	v_add_f32_e32 v12, v12, v13
	s_delay_alu instid0(VALU_DEP_1) | instskip(NEXT) | instid1(VALU_DEP_1)
	v_add_f32_e32 v12, v100, v12
	v_cndmask_b32_e32 v99, v12, v8, vcc_lo
.LBB94_94:                              ;   in Loop: Header=BB94_12 Depth=1
	s_or_b32 exec_lo, exec_lo, s30
	v_cvt_f32_f16_e32 v8, v9
	s_delay_alu instid0(VALU_DEP_1) | instskip(NEXT) | instid1(VALU_DEP_1)
	v_add_f32_e32 v100, s67, v8
	v_cmp_ge_f32_e32 vcc_lo, 0x41a00000, v100
	s_and_b32 s29, s80, vcc_lo
	s_delay_alu instid0(SALU_CYCLE_1)
	s_and_saveexec_b32 s30, s29
	s_cbranch_execz .LBB94_96
; %bb.95:                               ;   in Loop: Header=BB94_12 Depth=1
	v_mul_f32_e32 v8, 0x3fb8aa3b, v100
	v_cmp_ngt_f32_e32 vcc_lo, 0xc2ce8ed0, v100
	s_delay_alu instid0(VALU_DEP_2) | instskip(SKIP_1) | instid1(VALU_DEP_2)
	v_rndne_f32_e32 v12, v8
	v_fma_f32 v13, 0x3fb8aa3b, v100, -v8
	v_sub_f32_e32 v8, v8, v12
	s_delay_alu instid0(VALU_DEP_2) | instskip(SKIP_1) | instid1(VALU_DEP_2)
	v_fmac_f32_e32 v13, 0x32a5705f, v100
	v_cvt_i32_f32_e32 v12, v12
	v_add_f32_e32 v8, v8, v13
	s_delay_alu instid0(VALU_DEP_1) | instskip(SKIP_2) | instid1(VALU_DEP_1)
	v_exp_f32_e32 v8, v8
	s_waitcnt_depctr 0xfff
	v_ldexp_f32 v8, v8, v12
	v_cndmask_b32_e32 v8, 0, v8, vcc_lo
	v_cmp_nlt_f32_e32 vcc_lo, 0x42b17218, v100
	s_delay_alu instid0(VALU_DEP_2) | instskip(NEXT) | instid1(VALU_DEP_1)
	v_cndmask_b32_e32 v8, 0x7f800000, v8, vcc_lo
	v_add_f32_e32 v14, 1.0, v8
	s_delay_alu instid0(VALU_DEP_1) | instskip(NEXT) | instid1(VALU_DEP_1)
	v_cvt_f64_f32_e32 v[12:13], v14
	v_frexp_exp_i32_f64_e32 v12, v[12:13]
	v_frexp_mant_f32_e32 v13, v14
	s_delay_alu instid0(VALU_DEP_1) | instskip(SKIP_1) | instid1(VALU_DEP_1)
	v_cmp_gt_f32_e32 vcc_lo, 0x3f2aaaab, v13
	v_add_f32_e32 v13, -1.0, v14
	v_sub_f32_e32 v17, v13, v14
	v_sub_f32_e32 v13, v8, v13
	s_delay_alu instid0(VALU_DEP_2) | instskip(NEXT) | instid1(VALU_DEP_1)
	v_add_f32_e32 v17, 1.0, v17
	v_add_f32_e32 v13, v13, v17
	v_cmp_gt_f32_e64 s29, 0x33800000, v8
	v_subrev_co_ci_u32_e32 v12, vcc_lo, 0, v12, vcc_lo
	v_cmp_eq_f32_e32 vcc_lo, 0x7f800000, v8
	s_delay_alu instid0(VALU_DEP_2) | instskip(SKIP_2) | instid1(VALU_DEP_2)
	v_sub_nc_u32_e32 v15, 0, v12
	v_cvt_f32_i32_e32 v12, v12
	s_or_b32 vcc_lo, s29, vcc_lo
	v_ldexp_f32 v14, v14, v15
	v_ldexp_f32 v13, v13, v15
	s_delay_alu instid0(VALU_DEP_2) | instskip(SKIP_1) | instid1(VALU_DEP_2)
	v_add_f32_e32 v100, 1.0, v14
	v_add_f32_e32 v15, -1.0, v14
	v_add_f32_e32 v17, -1.0, v100
	s_delay_alu instid0(VALU_DEP_2) | instskip(NEXT) | instid1(VALU_DEP_2)
	v_add_f32_e32 v101, 1.0, v15
	v_sub_f32_e32 v17, v14, v17
	s_delay_alu instid0(VALU_DEP_2) | instskip(NEXT) | instid1(VALU_DEP_2)
	v_sub_f32_e32 v14, v14, v101
	v_add_f32_e32 v17, v13, v17
	s_delay_alu instid0(VALU_DEP_1) | instskip(NEXT) | instid1(VALU_DEP_1)
	v_add_f32_e32 v101, v100, v17
	v_dual_add_f32 v13, v13, v14 :: v_dual_sub_f32 v100, v100, v101
	v_rcp_f32_e32 v14, v101
	s_delay_alu instid0(VALU_DEP_1) | instskip(NEXT) | instid1(VALU_DEP_1)
	v_dual_add_f32 v102, v15, v13 :: v_dual_add_f32 v17, v17, v100
	v_sub_f32_e32 v15, v15, v102
	s_waitcnt_depctr 0xfff
	v_mul_f32_e32 v103, v102, v14
	v_add_f32_e32 v13, v13, v15
	s_delay_alu instid0(VALU_DEP_2) | instskip(NEXT) | instid1(VALU_DEP_1)
	v_mul_f32_e32 v104, v101, v103
	v_fma_f32 v100, v103, v101, -v104
	s_delay_alu instid0(VALU_DEP_1) | instskip(NEXT) | instid1(VALU_DEP_1)
	v_fmac_f32_e32 v100, v103, v17
	v_add_f32_e32 v105, v104, v100
	s_delay_alu instid0(VALU_DEP_1) | instskip(NEXT) | instid1(VALU_DEP_1)
	v_dual_sub_f32 v106, v102, v105 :: v_dual_sub_f32 v15, v105, v104
	v_dual_sub_f32 v102, v102, v106 :: v_dual_sub_f32 v15, v15, v100
	s_delay_alu instid0(VALU_DEP_1) | instskip(NEXT) | instid1(VALU_DEP_1)
	v_sub_f32_e32 v102, v102, v105
	v_add_f32_e32 v13, v13, v102
	s_delay_alu instid0(VALU_DEP_1) | instskip(NEXT) | instid1(VALU_DEP_1)
	v_add_f32_e32 v13, v15, v13
	v_add_f32_e32 v15, v106, v13
	s_delay_alu instid0(VALU_DEP_1) | instskip(NEXT) | instid1(VALU_DEP_1)
	v_mul_f32_e32 v100, v14, v15
	v_dual_sub_f32 v105, v106, v15 :: v_dual_mul_f32 v102, v101, v100
	s_delay_alu instid0(VALU_DEP_1) | instskip(NEXT) | instid1(VALU_DEP_2)
	v_add_f32_e32 v13, v13, v105
	v_fma_f32 v101, v100, v101, -v102
	s_delay_alu instid0(VALU_DEP_1) | instskip(NEXT) | instid1(VALU_DEP_1)
	v_fmac_f32_e32 v101, v100, v17
	v_add_f32_e32 v17, v102, v101
	s_delay_alu instid0(VALU_DEP_1) | instskip(NEXT) | instid1(VALU_DEP_1)
	v_sub_f32_e32 v104, v15, v17
	v_dual_sub_f32 v102, v17, v102 :: v_dual_sub_f32 v15, v15, v104
	s_delay_alu instid0(VALU_DEP_1) | instskip(NEXT) | instid1(VALU_DEP_2)
	v_sub_f32_e32 v15, v15, v17
	v_sub_f32_e32 v17, v102, v101
	s_delay_alu instid0(VALU_DEP_2) | instskip(SKIP_1) | instid1(VALU_DEP_2)
	v_add_f32_e32 v13, v13, v15
	v_add_f32_e32 v15, v103, v100
	;; [unrolled: 1-line block ×3, first 2 shown]
	s_delay_alu instid0(VALU_DEP_2) | instskip(NEXT) | instid1(VALU_DEP_2)
	v_sub_f32_e32 v17, v15, v103
	v_add_f32_e32 v13, v104, v13
	s_delay_alu instid0(VALU_DEP_2) | instskip(NEXT) | instid1(VALU_DEP_2)
	v_sub_f32_e32 v17, v100, v17
	v_mul_f32_e32 v13, v14, v13
	s_delay_alu instid0(VALU_DEP_1) | instskip(NEXT) | instid1(VALU_DEP_1)
	v_add_f32_e32 v13, v17, v13
	v_add_f32_e32 v14, v15, v13
	s_delay_alu instid0(VALU_DEP_1) | instskip(NEXT) | instid1(VALU_DEP_1)
	v_mul_f32_e32 v17, v14, v14
	v_fmaak_f32 v100, s84, v17, 0x3ecc95a3
	v_mul_f32_e32 v101, v14, v17
	s_delay_alu instid0(VALU_DEP_2) | instskip(SKIP_1) | instid1(VALU_DEP_2)
	v_fmaak_f32 v17, v17, v100, 0x3f2aaada
	v_ldexp_f32 v100, v14, 1
	v_dual_sub_f32 v14, v14, v15 :: v_dual_mul_f32 v17, v101, v17
	v_mul_f32_e32 v101, 0x3f317218, v12
	s_delay_alu instid0(VALU_DEP_2) | instskip(NEXT) | instid1(VALU_DEP_3)
	v_sub_f32_e32 v13, v13, v14
	v_add_f32_e32 v15, v100, v17
	s_delay_alu instid0(VALU_DEP_2) | instskip(NEXT) | instid1(VALU_DEP_2)
	v_ldexp_f32 v13, v13, 1
	v_sub_f32_e32 v14, v15, v100
	v_fma_f32 v100, 0x3f317218, v12, -v101
	s_delay_alu instid0(VALU_DEP_2) | instskip(NEXT) | instid1(VALU_DEP_2)
	v_sub_f32_e32 v14, v17, v14
	v_fmac_f32_e32 v100, 0xb102e308, v12
	s_delay_alu instid0(VALU_DEP_2) | instskip(NEXT) | instid1(VALU_DEP_2)
	v_add_f32_e32 v12, v13, v14
	v_add_f32_e32 v13, v101, v100
	s_delay_alu instid0(VALU_DEP_1) | instskip(NEXT) | instid1(VALU_DEP_1)
	v_dual_add_f32 v14, v15, v12 :: v_dual_sub_f32 v101, v13, v101
	v_add_f32_e32 v17, v13, v14
	s_delay_alu instid0(VALU_DEP_2) | instskip(NEXT) | instid1(VALU_DEP_2)
	v_dual_sub_f32 v15, v14, v15 :: v_dual_sub_f32 v100, v100, v101
	v_sub_f32_e32 v102, v17, v13
	s_delay_alu instid0(VALU_DEP_1) | instskip(NEXT) | instid1(VALU_DEP_1)
	v_dual_sub_f32 v12, v12, v15 :: v_dual_sub_f32 v103, v17, v102
	v_dual_sub_f32 v14, v14, v102 :: v_dual_add_f32 v15, v100, v12
	s_delay_alu instid0(VALU_DEP_2) | instskip(NEXT) | instid1(VALU_DEP_1)
	v_sub_f32_e32 v13, v13, v103
	v_dual_add_f32 v13, v14, v13 :: v_dual_sub_f32 v14, v15, v100
	s_delay_alu instid0(VALU_DEP_1) | instskip(NEXT) | instid1(VALU_DEP_2)
	v_add_f32_e32 v13, v15, v13
	v_sub_f32_e32 v15, v15, v14
	s_delay_alu instid0(VALU_DEP_2) | instskip(NEXT) | instid1(VALU_DEP_1)
	v_dual_sub_f32 v12, v12, v14 :: v_dual_add_f32 v101, v17, v13
	v_dual_sub_f32 v15, v100, v15 :: v_dual_sub_f32 v14, v101, v17
	s_delay_alu instid0(VALU_DEP_1) | instskip(NEXT) | instid1(VALU_DEP_1)
	v_dual_add_f32 v12, v12, v15 :: v_dual_sub_f32 v13, v13, v14
	v_add_f32_e32 v12, v12, v13
	s_delay_alu instid0(VALU_DEP_1) | instskip(NEXT) | instid1(VALU_DEP_1)
	v_add_f32_e32 v12, v101, v12
	v_cndmask_b32_e32 v100, v12, v8, vcc_lo
.LBB94_96:                              ;   in Loop: Header=BB94_12 Depth=1
	s_or_b32 exec_lo, exec_lo, s30
	v_lshrrev_b32_e32 v8, 16, v9
	s_delay_alu instid0(VALU_DEP_1) | instskip(NEXT) | instid1(VALU_DEP_1)
	v_cvt_f32_f16_e32 v8, v8
	v_add_f32_e32 v101, s67, v8
	s_delay_alu instid0(VALU_DEP_1) | instskip(SKIP_1) | instid1(SALU_CYCLE_1)
	v_cmp_ge_f32_e32 vcc_lo, 0x41a00000, v101
	s_and_b32 s29, s80, vcc_lo
	s_and_saveexec_b32 s30, s29
	s_cbranch_execz .LBB94_98
; %bb.97:                               ;   in Loop: Header=BB94_12 Depth=1
	v_mul_f32_e32 v8, 0x3fb8aa3b, v101
	v_cmp_ngt_f32_e32 vcc_lo, 0xc2ce8ed0, v101
	s_delay_alu instid0(VALU_DEP_2) | instskip(SKIP_1) | instid1(VALU_DEP_2)
	v_rndne_f32_e32 v9, v8
	v_fma_f32 v12, 0x3fb8aa3b, v101, -v8
	v_sub_f32_e32 v8, v8, v9
	s_delay_alu instid0(VALU_DEP_2) | instskip(SKIP_1) | instid1(VALU_DEP_2)
	v_fmac_f32_e32 v12, 0x32a5705f, v101
	v_cvt_i32_f32_e32 v9, v9
	v_add_f32_e32 v8, v8, v12
	s_delay_alu instid0(VALU_DEP_1) | instskip(SKIP_2) | instid1(VALU_DEP_1)
	v_exp_f32_e32 v8, v8
	s_waitcnt_depctr 0xfff
	v_ldexp_f32 v8, v8, v9
	v_cndmask_b32_e32 v8, 0, v8, vcc_lo
	v_cmp_nlt_f32_e32 vcc_lo, 0x42b17218, v101
	s_delay_alu instid0(VALU_DEP_2) | instskip(NEXT) | instid1(VALU_DEP_1)
	v_cndmask_b32_e32 v12, 0x7f800000, v8, vcc_lo
	v_add_f32_e32 v13, 1.0, v12
	s_delay_alu instid0(VALU_DEP_1) | instskip(NEXT) | instid1(VALU_DEP_1)
	v_cvt_f64_f32_e32 v[8:9], v13
	v_frexp_exp_i32_f64_e32 v8, v[8:9]
	v_frexp_mant_f32_e32 v9, v13
	s_delay_alu instid0(VALU_DEP_1) | instskip(SKIP_1) | instid1(VALU_DEP_1)
	v_cmp_gt_f32_e32 vcc_lo, 0x3f2aaaab, v9
	v_add_f32_e32 v9, -1.0, v13
	v_sub_f32_e32 v15, v9, v13
	s_delay_alu instid0(VALU_DEP_1) | instskip(SKIP_1) | instid1(VALU_DEP_1)
	v_add_f32_e32 v15, 1.0, v15
	v_subrev_co_ci_u32_e32 v8, vcc_lo, 0, v8, vcc_lo
	v_sub_nc_u32_e32 v14, 0, v8
	v_cvt_f32_i32_e32 v8, v8
	s_delay_alu instid0(VALU_DEP_2) | instskip(NEXT) | instid1(VALU_DEP_1)
	v_ldexp_f32 v13, v13, v14
	v_add_f32_e32 v17, 1.0, v13
	v_sub_f32_e32 v9, v12, v9
	v_cmp_eq_f32_e32 vcc_lo, 0x7f800000, v12
	v_cmp_gt_f32_e64 s29, 0x33800000, v12
	s_delay_alu instid0(VALU_DEP_3) | instskip(NEXT) | instid1(VALU_DEP_2)
	v_add_f32_e32 v9, v9, v15
	s_or_b32 vcc_lo, s29, vcc_lo
	s_delay_alu instid0(VALU_DEP_1) | instskip(SKIP_2) | instid1(VALU_DEP_1)
	v_ldexp_f32 v9, v9, v14
	v_add_f32_e32 v14, -1.0, v13
	v_add_f32_e32 v15, -1.0, v17
	v_sub_f32_e32 v15, v13, v15
	s_delay_alu instid0(VALU_DEP_3) | instskip(NEXT) | instid1(VALU_DEP_2)
	v_add_f32_e32 v101, 1.0, v14
	v_add_f32_e32 v15, v9, v15
	s_delay_alu instid0(VALU_DEP_2) | instskip(NEXT) | instid1(VALU_DEP_2)
	v_sub_f32_e32 v13, v13, v101
	v_add_f32_e32 v101, v17, v15
	s_delay_alu instid0(VALU_DEP_2) | instskip(NEXT) | instid1(VALU_DEP_2)
	v_add_f32_e32 v9, v9, v13
	v_rcp_f32_e32 v13, v101
	s_delay_alu instid0(VALU_DEP_1) | instskip(NEXT) | instid1(VALU_DEP_1)
	v_add_f32_e32 v102, v14, v9
	v_dual_sub_f32 v17, v17, v101 :: v_dual_sub_f32 v14, v14, v102
	s_delay_alu instid0(VALU_DEP_1) | instskip(SKIP_2) | instid1(VALU_DEP_1)
	v_add_f32_e32 v15, v15, v17
	s_waitcnt_depctr 0xfff
	v_mul_f32_e32 v103, v102, v13
	v_mul_f32_e32 v104, v101, v103
	s_delay_alu instid0(VALU_DEP_1) | instskip(NEXT) | instid1(VALU_DEP_1)
	v_fma_f32 v17, v103, v101, -v104
	v_fmac_f32_e32 v17, v103, v15
	v_add_f32_e32 v9, v9, v14
	s_delay_alu instid0(VALU_DEP_2) | instskip(NEXT) | instid1(VALU_DEP_1)
	v_add_f32_e32 v105, v104, v17
	v_sub_f32_e32 v106, v102, v105
	v_sub_f32_e32 v14, v105, v104
	s_delay_alu instid0(VALU_DEP_2) | instskip(NEXT) | instid1(VALU_DEP_2)
	v_sub_f32_e32 v102, v102, v106
	v_sub_f32_e32 v14, v14, v17
	s_delay_alu instid0(VALU_DEP_2) | instskip(NEXT) | instid1(VALU_DEP_1)
	v_sub_f32_e32 v102, v102, v105
	v_add_f32_e32 v9, v9, v102
	s_delay_alu instid0(VALU_DEP_1) | instskip(NEXT) | instid1(VALU_DEP_1)
	v_add_f32_e32 v9, v14, v9
	v_add_f32_e32 v14, v106, v9
	s_delay_alu instid0(VALU_DEP_1) | instskip(NEXT) | instid1(VALU_DEP_1)
	v_mul_f32_e32 v17, v13, v14
	v_dual_sub_f32 v105, v106, v14 :: v_dual_mul_f32 v102, v101, v17
	s_delay_alu instid0(VALU_DEP_1) | instskip(NEXT) | instid1(VALU_DEP_2)
	v_add_f32_e32 v9, v9, v105
	v_fma_f32 v101, v17, v101, -v102
	s_delay_alu instid0(VALU_DEP_1) | instskip(NEXT) | instid1(VALU_DEP_1)
	v_fmac_f32_e32 v101, v17, v15
	v_add_f32_e32 v15, v102, v101
	s_delay_alu instid0(VALU_DEP_1) | instskip(SKIP_1) | instid1(VALU_DEP_2)
	v_sub_f32_e32 v104, v14, v15
	v_sub_f32_e32 v102, v15, v102
	;; [unrolled: 1-line block ×3, first 2 shown]
	s_delay_alu instid0(VALU_DEP_1) | instskip(NEXT) | instid1(VALU_DEP_1)
	v_sub_f32_e32 v14, v14, v15
	v_dual_add_f32 v9, v9, v14 :: v_dual_add_f32 v14, v103, v17
	s_delay_alu instid0(VALU_DEP_4) | instskip(NEXT) | instid1(VALU_DEP_1)
	v_sub_f32_e32 v15, v102, v101
	v_add_f32_e32 v9, v15, v9
	s_delay_alu instid0(VALU_DEP_3) | instskip(NEXT) | instid1(VALU_DEP_2)
	v_sub_f32_e32 v15, v14, v103
	v_add_f32_e32 v9, v104, v9
	s_delay_alu instid0(VALU_DEP_2) | instskip(NEXT) | instid1(VALU_DEP_2)
	v_sub_f32_e32 v15, v17, v15
	v_mul_f32_e32 v9, v13, v9
	s_delay_alu instid0(VALU_DEP_1) | instskip(NEXT) | instid1(VALU_DEP_1)
	v_add_f32_e32 v9, v15, v9
	v_add_f32_e32 v13, v14, v9
	s_delay_alu instid0(VALU_DEP_1) | instskip(NEXT) | instid1(VALU_DEP_1)
	v_mul_f32_e32 v15, v13, v13
	v_fmaak_f32 v17, s84, v15, 0x3ecc95a3
	v_mul_f32_e32 v101, v13, v15
	s_delay_alu instid0(VALU_DEP_2) | instskip(SKIP_2) | instid1(VALU_DEP_3)
	v_fmaak_f32 v15, v15, v17, 0x3f2aaada
	v_ldexp_f32 v17, v13, 1
	v_sub_f32_e32 v13, v13, v14
	v_mul_f32_e32 v15, v101, v15
	v_mul_f32_e32 v101, 0x3f317218, v8
	s_delay_alu instid0(VALU_DEP_3) | instskip(NEXT) | instid1(VALU_DEP_3)
	v_sub_f32_e32 v9, v9, v13
	v_add_f32_e32 v14, v17, v15
	s_delay_alu instid0(VALU_DEP_2) | instskip(NEXT) | instid1(VALU_DEP_2)
	v_ldexp_f32 v9, v9, 1
	v_sub_f32_e32 v13, v14, v17
	v_fma_f32 v17, 0x3f317218, v8, -v101
	s_delay_alu instid0(VALU_DEP_2) | instskip(NEXT) | instid1(VALU_DEP_1)
	v_sub_f32_e32 v13, v15, v13
	v_dual_fmac_f32 v17, 0xb102e308, v8 :: v_dual_add_f32 v8, v9, v13
	s_delay_alu instid0(VALU_DEP_1) | instskip(NEXT) | instid1(VALU_DEP_2)
	v_add_f32_e32 v9, v101, v17
	v_add_f32_e32 v13, v14, v8
	s_delay_alu instid0(VALU_DEP_2) | instskip(NEXT) | instid1(VALU_DEP_2)
	v_sub_f32_e32 v101, v9, v101
	v_add_f32_e32 v15, v9, v13
	v_sub_f32_e32 v14, v13, v14
	s_delay_alu instid0(VALU_DEP_3) | instskip(NEXT) | instid1(VALU_DEP_3)
	v_sub_f32_e32 v17, v17, v101
	v_sub_f32_e32 v102, v15, v9
	s_delay_alu instid0(VALU_DEP_3) | instskip(NEXT) | instid1(VALU_DEP_2)
	v_sub_f32_e32 v8, v8, v14
	v_sub_f32_e32 v103, v15, v102
	;; [unrolled: 1-line block ×3, first 2 shown]
	s_delay_alu instid0(VALU_DEP_3) | instskip(NEXT) | instid1(VALU_DEP_3)
	v_add_f32_e32 v14, v17, v8
	v_sub_f32_e32 v9, v9, v103
	s_delay_alu instid0(VALU_DEP_1) | instskip(NEXT) | instid1(VALU_DEP_3)
	v_add_f32_e32 v9, v13, v9
	v_sub_f32_e32 v13, v14, v17
	s_delay_alu instid0(VALU_DEP_2) | instskip(NEXT) | instid1(VALU_DEP_2)
	v_add_f32_e32 v9, v14, v9
	v_sub_f32_e32 v14, v14, v13
	v_sub_f32_e32 v8, v8, v13
	s_delay_alu instid0(VALU_DEP_2) | instskip(NEXT) | instid1(VALU_DEP_1)
	v_dual_add_f32 v101, v15, v9 :: v_dual_sub_f32 v14, v17, v14
	v_dual_sub_f32 v13, v101, v15 :: v_dual_add_f32 v8, v8, v14
	s_delay_alu instid0(VALU_DEP_1) | instskip(NEXT) | instid1(VALU_DEP_1)
	v_sub_f32_e32 v9, v9, v13
	v_add_f32_e32 v8, v8, v9
	s_delay_alu instid0(VALU_DEP_1) | instskip(NEXT) | instid1(VALU_DEP_1)
	v_add_f32_e32 v8, v101, v8
	v_cndmask_b32_e32 v101, v8, v12, vcc_lo
.LBB94_98:                              ;   in Loop: Header=BB94_12 Depth=1
	s_or_b32 exec_lo, exec_lo, s30
	v_cvt_f32_f16_e32 v8, v10
	s_delay_alu instid0(VALU_DEP_1) | instskip(NEXT) | instid1(VALU_DEP_1)
	v_add_f32_e32 v102, s67, v8
	v_cmp_ge_f32_e32 vcc_lo, 0x41a00000, v102
	s_and_b32 s29, s80, vcc_lo
	s_delay_alu instid0(SALU_CYCLE_1)
	s_and_saveexec_b32 s30, s29
	s_cbranch_execz .LBB94_100
; %bb.99:                               ;   in Loop: Header=BB94_12 Depth=1
	v_mul_f32_e32 v8, 0x3fb8aa3b, v102
	v_cmp_ngt_f32_e32 vcc_lo, 0xc2ce8ed0, v102
	s_delay_alu instid0(VALU_DEP_2) | instskip(SKIP_1) | instid1(VALU_DEP_2)
	v_rndne_f32_e32 v9, v8
	v_fma_f32 v12, 0x3fb8aa3b, v102, -v8
	v_sub_f32_e32 v8, v8, v9
	s_delay_alu instid0(VALU_DEP_2) | instskip(SKIP_1) | instid1(VALU_DEP_2)
	v_fmac_f32_e32 v12, 0x32a5705f, v102
	v_cvt_i32_f32_e32 v9, v9
	v_add_f32_e32 v8, v8, v12
	s_delay_alu instid0(VALU_DEP_1) | instskip(SKIP_2) | instid1(VALU_DEP_1)
	v_exp_f32_e32 v8, v8
	s_waitcnt_depctr 0xfff
	v_ldexp_f32 v8, v8, v9
	v_cndmask_b32_e32 v8, 0, v8, vcc_lo
	v_cmp_nlt_f32_e32 vcc_lo, 0x42b17218, v102
	s_delay_alu instid0(VALU_DEP_2) | instskip(NEXT) | instid1(VALU_DEP_1)
	v_cndmask_b32_e32 v12, 0x7f800000, v8, vcc_lo
	v_add_f32_e32 v13, 1.0, v12
	s_delay_alu instid0(VALU_DEP_1) | instskip(NEXT) | instid1(VALU_DEP_1)
	v_cvt_f64_f32_e32 v[8:9], v13
	v_frexp_exp_i32_f64_e32 v8, v[8:9]
	v_frexp_mant_f32_e32 v9, v13
	s_delay_alu instid0(VALU_DEP_1) | instskip(SKIP_1) | instid1(VALU_DEP_1)
	v_cmp_gt_f32_e32 vcc_lo, 0x3f2aaaab, v9
	v_add_f32_e32 v9, -1.0, v13
	v_sub_f32_e32 v15, v9, v13
	s_delay_alu instid0(VALU_DEP_1) | instskip(SKIP_1) | instid1(VALU_DEP_1)
	v_add_f32_e32 v15, 1.0, v15
	v_subrev_co_ci_u32_e32 v8, vcc_lo, 0, v8, vcc_lo
	v_sub_nc_u32_e32 v14, 0, v8
	v_cvt_f32_i32_e32 v8, v8
	s_delay_alu instid0(VALU_DEP_2) | instskip(NEXT) | instid1(VALU_DEP_1)
	v_ldexp_f32 v13, v13, v14
	v_add_f32_e32 v17, 1.0, v13
	v_sub_f32_e32 v9, v12, v9
	v_cmp_eq_f32_e32 vcc_lo, 0x7f800000, v12
	v_cmp_gt_f32_e64 s29, 0x33800000, v12
	s_delay_alu instid0(VALU_DEP_3) | instskip(NEXT) | instid1(VALU_DEP_2)
	v_add_f32_e32 v9, v9, v15
	s_or_b32 vcc_lo, s29, vcc_lo
	s_delay_alu instid0(VALU_DEP_1) | instskip(SKIP_1) | instid1(VALU_DEP_1)
	v_ldexp_f32 v9, v9, v14
	v_add_f32_e32 v14, -1.0, v13
	v_dual_add_f32 v15, -1.0, v17 :: v_dual_add_f32 v102, 1.0, v14
	s_delay_alu instid0(VALU_DEP_1) | instskip(NEXT) | instid1(VALU_DEP_2)
	v_sub_f32_e32 v15, v13, v15
	v_sub_f32_e32 v13, v13, v102
	s_delay_alu instid0(VALU_DEP_2) | instskip(NEXT) | instid1(VALU_DEP_2)
	v_add_f32_e32 v15, v9, v15
	v_add_f32_e32 v9, v9, v13
	s_delay_alu instid0(VALU_DEP_1) | instskip(NEXT) | instid1(VALU_DEP_1)
	v_dual_add_f32 v102, v17, v15 :: v_dual_add_f32 v103, v14, v9
	v_rcp_f32_e32 v13, v102
	s_delay_alu instid0(VALU_DEP_1) | instskip(NEXT) | instid1(VALU_DEP_1)
	v_dual_sub_f32 v17, v17, v102 :: v_dual_sub_f32 v14, v14, v103
	v_add_f32_e32 v15, v15, v17
	s_waitcnt_depctr 0xfff
	v_dual_add_f32 v9, v9, v14 :: v_dual_mul_f32 v104, v103, v13
	s_delay_alu instid0(VALU_DEP_1) | instskip(NEXT) | instid1(VALU_DEP_1)
	v_mul_f32_e32 v105, v102, v104
	v_fma_f32 v17, v104, v102, -v105
	s_delay_alu instid0(VALU_DEP_1) | instskip(NEXT) | instid1(VALU_DEP_1)
	v_fmac_f32_e32 v17, v104, v15
	v_add_f32_e32 v106, v105, v17
	s_delay_alu instid0(VALU_DEP_1) | instskip(NEXT) | instid1(VALU_DEP_1)
	v_sub_f32_e32 v107, v103, v106
	v_dual_sub_f32 v103, v103, v107 :: v_dual_sub_f32 v14, v106, v105
	s_delay_alu instid0(VALU_DEP_1) | instskip(NEXT) | instid1(VALU_DEP_1)
	v_dual_sub_f32 v103, v103, v106 :: v_dual_sub_f32 v14, v14, v17
	v_add_f32_e32 v9, v9, v103
	s_delay_alu instid0(VALU_DEP_1) | instskip(NEXT) | instid1(VALU_DEP_1)
	v_add_f32_e32 v9, v14, v9
	v_add_f32_e32 v14, v107, v9
	s_delay_alu instid0(VALU_DEP_1) | instskip(NEXT) | instid1(VALU_DEP_1)
	v_mul_f32_e32 v17, v13, v14
	v_dual_sub_f32 v106, v107, v14 :: v_dual_mul_f32 v103, v102, v17
	s_delay_alu instid0(VALU_DEP_1) | instskip(NEXT) | instid1(VALU_DEP_2)
	v_add_f32_e32 v9, v9, v106
	v_fma_f32 v102, v17, v102, -v103
	s_delay_alu instid0(VALU_DEP_1) | instskip(NEXT) | instid1(VALU_DEP_1)
	v_fmac_f32_e32 v102, v17, v15
	v_add_f32_e32 v15, v103, v102
	s_delay_alu instid0(VALU_DEP_1) | instskip(NEXT) | instid1(VALU_DEP_1)
	v_sub_f32_e32 v105, v14, v15
	v_dual_sub_f32 v103, v15, v103 :: v_dual_sub_f32 v14, v14, v105
	s_delay_alu instid0(VALU_DEP_1) | instskip(NEXT) | instid1(VALU_DEP_1)
	v_dual_sub_f32 v14, v14, v15 :: v_dual_sub_f32 v15, v103, v102
	v_dual_add_f32 v9, v9, v14 :: v_dual_add_f32 v14, v104, v17
	s_delay_alu instid0(VALU_DEP_1) | instskip(NEXT) | instid1(VALU_DEP_2)
	v_add_f32_e32 v9, v15, v9
	v_sub_f32_e32 v15, v14, v104
	s_delay_alu instid0(VALU_DEP_2) | instskip(NEXT) | instid1(VALU_DEP_2)
	v_add_f32_e32 v9, v105, v9
	v_sub_f32_e32 v15, v17, v15
	s_delay_alu instid0(VALU_DEP_2) | instskip(NEXT) | instid1(VALU_DEP_1)
	v_mul_f32_e32 v9, v13, v9
	v_add_f32_e32 v9, v15, v9
	s_delay_alu instid0(VALU_DEP_1) | instskip(NEXT) | instid1(VALU_DEP_1)
	v_add_f32_e32 v13, v14, v9
	v_mul_f32_e32 v15, v13, v13
	s_delay_alu instid0(VALU_DEP_1) | instskip(NEXT) | instid1(VALU_DEP_1)
	v_fmaak_f32 v17, s84, v15, 0x3ecc95a3
	v_dual_mul_f32 v102, v13, v15 :: v_dual_fmaak_f32 v15, v15, v17, 0x3f2aaada
	v_ldexp_f32 v17, v13, 1
	v_sub_f32_e32 v13, v13, v14
	s_delay_alu instid0(VALU_DEP_3) | instskip(NEXT) | instid1(VALU_DEP_2)
	v_dual_mul_f32 v15, v102, v15 :: v_dual_mul_f32 v102, 0x3f317218, v8
	v_sub_f32_e32 v9, v9, v13
	s_delay_alu instid0(VALU_DEP_2) | instskip(NEXT) | instid1(VALU_DEP_2)
	v_add_f32_e32 v14, v17, v15
	v_ldexp_f32 v9, v9, 1
	s_delay_alu instid0(VALU_DEP_2) | instskip(SKIP_1) | instid1(VALU_DEP_2)
	v_sub_f32_e32 v13, v14, v17
	v_fma_f32 v17, 0x3f317218, v8, -v102
	v_sub_f32_e32 v13, v15, v13
	s_delay_alu instid0(VALU_DEP_1) | instskip(NEXT) | instid1(VALU_DEP_1)
	v_dual_fmac_f32 v17, 0xb102e308, v8 :: v_dual_add_f32 v8, v9, v13
	v_add_f32_e32 v9, v102, v17
	s_delay_alu instid0(VALU_DEP_1) | instskip(NEXT) | instid1(VALU_DEP_1)
	v_dual_add_f32 v13, v14, v8 :: v_dual_sub_f32 v102, v9, v102
	v_add_f32_e32 v15, v9, v13
	v_sub_f32_e32 v14, v13, v14
	s_delay_alu instid0(VALU_DEP_3) | instskip(NEXT) | instid1(VALU_DEP_2)
	v_sub_f32_e32 v17, v17, v102
	v_dual_sub_f32 v103, v15, v9 :: v_dual_sub_f32 v8, v8, v14
	s_delay_alu instid0(VALU_DEP_1) | instskip(SKIP_1) | instid1(VALU_DEP_3)
	v_sub_f32_e32 v104, v15, v103
	v_sub_f32_e32 v13, v13, v103
	v_add_f32_e32 v14, v17, v8
	s_delay_alu instid0(VALU_DEP_3) | instskip(NEXT) | instid1(VALU_DEP_1)
	v_sub_f32_e32 v9, v9, v104
	v_add_f32_e32 v9, v13, v9
	s_delay_alu instid0(VALU_DEP_3) | instskip(NEXT) | instid1(VALU_DEP_2)
	v_sub_f32_e32 v13, v14, v17
	v_add_f32_e32 v9, v14, v9
	s_delay_alu instid0(VALU_DEP_2) | instskip(SKIP_1) | instid1(VALU_DEP_3)
	v_sub_f32_e32 v14, v14, v13
	v_sub_f32_e32 v8, v8, v13
	v_add_f32_e32 v102, v15, v9
	s_delay_alu instid0(VALU_DEP_1) | instskip(NEXT) | instid1(VALU_DEP_1)
	v_dual_sub_f32 v14, v17, v14 :: v_dual_sub_f32 v13, v102, v15
	v_dual_add_f32 v8, v8, v14 :: v_dual_sub_f32 v9, v9, v13
	s_delay_alu instid0(VALU_DEP_1) | instskip(NEXT) | instid1(VALU_DEP_1)
	v_add_f32_e32 v8, v8, v9
	v_add_f32_e32 v8, v102, v8
	s_delay_alu instid0(VALU_DEP_1)
	v_cndmask_b32_e32 v102, v8, v12, vcc_lo
.LBB94_100:                             ;   in Loop: Header=BB94_12 Depth=1
	s_or_b32 exec_lo, exec_lo, s30
	v_lshrrev_b32_e32 v8, 16, v10
	s_delay_alu instid0(VALU_DEP_1) | instskip(NEXT) | instid1(VALU_DEP_1)
	v_cvt_f32_f16_e32 v8, v8
	v_add_f32_e32 v103, s67, v8
	s_delay_alu instid0(VALU_DEP_1) | instskip(SKIP_1) | instid1(SALU_CYCLE_1)
	v_cmp_ge_f32_e32 vcc_lo, 0x41a00000, v103
	s_and_b32 s29, s80, vcc_lo
	s_and_saveexec_b32 s30, s29
	s_cbranch_execz .LBB94_102
; %bb.101:                              ;   in Loop: Header=BB94_12 Depth=1
	v_mul_f32_e32 v8, 0x3fb8aa3b, v103
	v_cmp_ngt_f32_e32 vcc_lo, 0xc2ce8ed0, v103
	s_delay_alu instid0(VALU_DEP_2) | instskip(SKIP_1) | instid1(VALU_DEP_2)
	v_rndne_f32_e32 v9, v8
	v_fma_f32 v10, 0x3fb8aa3b, v103, -v8
	v_sub_f32_e32 v8, v8, v9
	s_delay_alu instid0(VALU_DEP_2) | instskip(SKIP_1) | instid1(VALU_DEP_2)
	v_fmac_f32_e32 v10, 0x32a5705f, v103
	v_cvt_i32_f32_e32 v9, v9
	v_add_f32_e32 v8, v8, v10
	s_delay_alu instid0(VALU_DEP_1) | instskip(SKIP_2) | instid1(VALU_DEP_1)
	v_exp_f32_e32 v8, v8
	s_waitcnt_depctr 0xfff
	v_ldexp_f32 v8, v8, v9
	v_cndmask_b32_e32 v8, 0, v8, vcc_lo
	v_cmp_nlt_f32_e32 vcc_lo, 0x42b17218, v103
	s_delay_alu instid0(VALU_DEP_2) | instskip(NEXT) | instid1(VALU_DEP_1)
	v_cndmask_b32_e32 v10, 0x7f800000, v8, vcc_lo
	v_add_f32_e32 v12, 1.0, v10
	s_delay_alu instid0(VALU_DEP_1) | instskip(NEXT) | instid1(VALU_DEP_1)
	v_cvt_f64_f32_e32 v[8:9], v12
	v_frexp_exp_i32_f64_e32 v8, v[8:9]
	v_frexp_mant_f32_e32 v9, v12
	s_delay_alu instid0(VALU_DEP_1) | instskip(SKIP_1) | instid1(VALU_DEP_1)
	v_cmp_gt_f32_e32 vcc_lo, 0x3f2aaaab, v9
	v_add_f32_e32 v9, -1.0, v12
	v_dual_sub_f32 v14, v9, v12 :: v_dual_sub_f32 v9, v10, v9
	v_subrev_co_ci_u32_e32 v8, vcc_lo, 0, v8, vcc_lo
	s_delay_alu instid0(VALU_DEP_1) | instskip(SKIP_1) | instid1(VALU_DEP_2)
	v_sub_nc_u32_e32 v13, 0, v8
	v_cvt_f32_i32_e32 v8, v8
	v_ldexp_f32 v12, v12, v13
	s_delay_alu instid0(VALU_DEP_1) | instskip(NEXT) | instid1(VALU_DEP_1)
	v_dual_add_f32 v14, 1.0, v14 :: v_dual_add_f32 v15, 1.0, v12
	v_add_f32_e32 v9, v9, v14
	s_delay_alu instid0(VALU_DEP_1) | instskip(NEXT) | instid1(VALU_DEP_3)
	v_ldexp_f32 v9, v9, v13
	v_dual_add_f32 v13, -1.0, v12 :: v_dual_add_f32 v14, -1.0, v15
	s_delay_alu instid0(VALU_DEP_1) | instskip(NEXT) | instid1(VALU_DEP_1)
	v_dual_add_f32 v17, 1.0, v13 :: v_dual_sub_f32 v14, v12, v14
	v_sub_f32_e32 v12, v12, v17
	s_delay_alu instid0(VALU_DEP_2) | instskip(NEXT) | instid1(VALU_DEP_2)
	v_add_f32_e32 v14, v9, v14
	v_add_f32_e32 v9, v9, v12
	s_delay_alu instid0(VALU_DEP_2) | instskip(SKIP_2) | instid1(VALU_DEP_4)
	v_add_f32_e32 v17, v15, v14
	v_cmp_eq_f32_e32 vcc_lo, 0x7f800000, v10
	v_cmp_gt_f32_e64 s29, 0x33800000, v10
	v_add_f32_e32 v103, v13, v9
	s_delay_alu instid0(VALU_DEP_4) | instskip(SKIP_1) | instid1(VALU_DEP_3)
	v_rcp_f32_e32 v12, v17
	v_sub_f32_e32 v15, v15, v17
	s_or_b32 vcc_lo, s29, vcc_lo
	s_delay_alu instid0(VALU_DEP_2) | instskip(NEXT) | instid1(VALU_DEP_1)
	v_sub_f32_e32 v13, v13, v103
	v_dual_add_f32 v14, v14, v15 :: v_dual_add_f32 v9, v9, v13
	s_waitcnt_depctr 0xfff
	v_mul_f32_e32 v104, v103, v12
	s_delay_alu instid0(VALU_DEP_1) | instskip(NEXT) | instid1(VALU_DEP_1)
	v_mul_f32_e32 v105, v17, v104
	v_fma_f32 v15, v104, v17, -v105
	s_delay_alu instid0(VALU_DEP_1) | instskip(NEXT) | instid1(VALU_DEP_1)
	v_fmac_f32_e32 v15, v104, v14
	v_add_f32_e32 v106, v105, v15
	s_delay_alu instid0(VALU_DEP_1) | instskip(SKIP_1) | instid1(VALU_DEP_2)
	v_sub_f32_e32 v107, v103, v106
	v_sub_f32_e32 v13, v106, v105
	;; [unrolled: 1-line block ×3, first 2 shown]
	s_delay_alu instid0(VALU_DEP_2) | instskip(NEXT) | instid1(VALU_DEP_2)
	v_sub_f32_e32 v13, v13, v15
	v_sub_f32_e32 v103, v103, v106
	s_delay_alu instid0(VALU_DEP_1) | instskip(NEXT) | instid1(VALU_DEP_1)
	v_add_f32_e32 v9, v9, v103
	v_add_f32_e32 v9, v13, v9
	s_delay_alu instid0(VALU_DEP_1) | instskip(NEXT) | instid1(VALU_DEP_1)
	v_add_f32_e32 v13, v107, v9
	v_mul_f32_e32 v15, v12, v13
	s_delay_alu instid0(VALU_DEP_1) | instskip(NEXT) | instid1(VALU_DEP_1)
	v_dual_sub_f32 v106, v107, v13 :: v_dual_mul_f32 v103, v17, v15
	v_add_f32_e32 v9, v9, v106
	s_delay_alu instid0(VALU_DEP_2) | instskip(NEXT) | instid1(VALU_DEP_1)
	v_fma_f32 v17, v15, v17, -v103
	v_fmac_f32_e32 v17, v15, v14
	s_delay_alu instid0(VALU_DEP_1) | instskip(NEXT) | instid1(VALU_DEP_1)
	v_add_f32_e32 v14, v103, v17
	v_sub_f32_e32 v105, v13, v14
	v_sub_f32_e32 v103, v14, v103
	s_delay_alu instid0(VALU_DEP_2) | instskip(NEXT) | instid1(VALU_DEP_1)
	v_sub_f32_e32 v13, v13, v105
	v_dual_sub_f32 v13, v13, v14 :: v_dual_sub_f32 v14, v103, v17
	s_delay_alu instid0(VALU_DEP_1) | instskip(SKIP_1) | instid1(VALU_DEP_1)
	v_add_f32_e32 v9, v9, v13
	v_add_f32_e32 v13, v104, v15
	v_dual_add_f32 v9, v14, v9 :: v_dual_sub_f32 v14, v13, v104
	s_delay_alu instid0(VALU_DEP_1) | instskip(NEXT) | instid1(VALU_DEP_1)
	v_dual_add_f32 v9, v105, v9 :: v_dual_sub_f32 v14, v15, v14
	v_mul_f32_e32 v9, v12, v9
	s_delay_alu instid0(VALU_DEP_1) | instskip(NEXT) | instid1(VALU_DEP_1)
	v_add_f32_e32 v9, v14, v9
	v_add_f32_e32 v12, v13, v9
	s_delay_alu instid0(VALU_DEP_1) | instskip(NEXT) | instid1(VALU_DEP_1)
	v_mul_f32_e32 v14, v12, v12
	v_fmaak_f32 v15, s84, v14, 0x3ecc95a3
	s_delay_alu instid0(VALU_DEP_1) | instskip(SKIP_2) | instid1(VALU_DEP_3)
	v_dual_mul_f32 v17, v12, v14 :: v_dual_fmaak_f32 v14, v14, v15, 0x3f2aaada
	v_ldexp_f32 v15, v12, 1
	v_sub_f32_e32 v12, v12, v13
	v_dual_mul_f32 v14, v17, v14 :: v_dual_mul_f32 v17, 0x3f317218, v8
	s_delay_alu instid0(VALU_DEP_2) | instskip(NEXT) | instid1(VALU_DEP_2)
	v_sub_f32_e32 v9, v9, v12
	v_add_f32_e32 v13, v15, v14
	s_delay_alu instid0(VALU_DEP_2) | instskip(NEXT) | instid1(VALU_DEP_2)
	v_ldexp_f32 v9, v9, 1
	v_sub_f32_e32 v12, v13, v15
	v_fma_f32 v15, 0x3f317218, v8, -v17
	s_delay_alu instid0(VALU_DEP_2) | instskip(NEXT) | instid1(VALU_DEP_2)
	v_sub_f32_e32 v12, v14, v12
	v_fmac_f32_e32 v15, 0xb102e308, v8
	s_delay_alu instid0(VALU_DEP_2) | instskip(NEXT) | instid1(VALU_DEP_2)
	v_add_f32_e32 v8, v9, v12
	v_add_f32_e32 v9, v17, v15
	s_delay_alu instid0(VALU_DEP_2) | instskip(NEXT) | instid1(VALU_DEP_2)
	v_add_f32_e32 v12, v13, v8
	v_sub_f32_e32 v17, v9, v17
	s_delay_alu instid0(VALU_DEP_2) | instskip(NEXT) | instid1(VALU_DEP_2)
	v_dual_add_f32 v14, v9, v12 :: v_dual_sub_f32 v13, v12, v13
	v_sub_f32_e32 v15, v15, v17
	s_delay_alu instid0(VALU_DEP_2) | instskip(NEXT) | instid1(VALU_DEP_3)
	v_sub_f32_e32 v103, v14, v9
	v_sub_f32_e32 v8, v8, v13
	s_delay_alu instid0(VALU_DEP_2) | instskip(NEXT) | instid1(VALU_DEP_2)
	v_sub_f32_e32 v104, v14, v103
	v_dual_sub_f32 v12, v12, v103 :: v_dual_add_f32 v13, v15, v8
	s_delay_alu instid0(VALU_DEP_2) | instskip(NEXT) | instid1(VALU_DEP_1)
	v_sub_f32_e32 v9, v9, v104
	v_dual_add_f32 v9, v12, v9 :: v_dual_sub_f32 v12, v13, v15
	s_delay_alu instid0(VALU_DEP_1) | instskip(NEXT) | instid1(VALU_DEP_2)
	v_add_f32_e32 v9, v13, v9
	v_sub_f32_e32 v13, v13, v12
	s_delay_alu instid0(VALU_DEP_2) | instskip(NEXT) | instid1(VALU_DEP_1)
	v_dual_sub_f32 v8, v8, v12 :: v_dual_add_f32 v17, v14, v9
	v_dual_sub_f32 v13, v15, v13 :: v_dual_sub_f32 v12, v17, v14
	s_delay_alu instid0(VALU_DEP_1) | instskip(NEXT) | instid1(VALU_DEP_1)
	v_dual_add_f32 v8, v8, v13 :: v_dual_sub_f32 v9, v9, v12
	v_add_f32_e32 v8, v8, v9
	s_delay_alu instid0(VALU_DEP_1) | instskip(NEXT) | instid1(VALU_DEP_1)
	v_add_f32_e32 v8, v17, v8
	v_cndmask_b32_e32 v103, v8, v10, vcc_lo
.LBB94_102:                             ;   in Loop: Header=BB94_12 Depth=1
	s_or_b32 exec_lo, exec_lo, s30
	v_cvt_f32_f16_e32 v8, v11
	s_delay_alu instid0(VALU_DEP_1) | instskip(NEXT) | instid1(VALU_DEP_1)
	v_add_f32_e32 v104, s67, v8
	v_cmp_ge_f32_e32 vcc_lo, 0x41a00000, v104
	s_and_b32 s29, s80, vcc_lo
	s_delay_alu instid0(SALU_CYCLE_1)
	s_and_saveexec_b32 s30, s29
	s_cbranch_execz .LBB94_104
; %bb.103:                              ;   in Loop: Header=BB94_12 Depth=1
	v_mul_f32_e32 v8, 0x3fb8aa3b, v104
	v_cmp_ngt_f32_e32 vcc_lo, 0xc2ce8ed0, v104
	s_delay_alu instid0(VALU_DEP_2) | instskip(SKIP_1) | instid1(VALU_DEP_2)
	v_rndne_f32_e32 v9, v8
	v_fma_f32 v10, 0x3fb8aa3b, v104, -v8
	v_sub_f32_e32 v8, v8, v9
	s_delay_alu instid0(VALU_DEP_2) | instskip(SKIP_1) | instid1(VALU_DEP_2)
	v_fmac_f32_e32 v10, 0x32a5705f, v104
	v_cvt_i32_f32_e32 v9, v9
	v_add_f32_e32 v8, v8, v10
	s_delay_alu instid0(VALU_DEP_1) | instskip(SKIP_2) | instid1(VALU_DEP_1)
	v_exp_f32_e32 v8, v8
	s_waitcnt_depctr 0xfff
	v_ldexp_f32 v8, v8, v9
	v_cndmask_b32_e32 v8, 0, v8, vcc_lo
	v_cmp_nlt_f32_e32 vcc_lo, 0x42b17218, v104
	s_delay_alu instid0(VALU_DEP_2) | instskip(NEXT) | instid1(VALU_DEP_1)
	v_cndmask_b32_e32 v10, 0x7f800000, v8, vcc_lo
	v_add_f32_e32 v12, 1.0, v10
	s_delay_alu instid0(VALU_DEP_1) | instskip(NEXT) | instid1(VALU_DEP_1)
	v_cvt_f64_f32_e32 v[8:9], v12
	v_frexp_exp_i32_f64_e32 v8, v[8:9]
	v_frexp_mant_f32_e32 v9, v12
	s_delay_alu instid0(VALU_DEP_1) | instskip(SKIP_1) | instid1(VALU_DEP_1)
	v_cmp_gt_f32_e32 vcc_lo, 0x3f2aaaab, v9
	v_add_f32_e32 v9, -1.0, v12
	v_dual_sub_f32 v14, v9, v12 :: v_dual_sub_f32 v9, v10, v9
	v_subrev_co_ci_u32_e32 v8, vcc_lo, 0, v8, vcc_lo
	s_delay_alu instid0(VALU_DEP_1) | instskip(SKIP_1) | instid1(VALU_DEP_2)
	v_sub_nc_u32_e32 v13, 0, v8
	v_cvt_f32_i32_e32 v8, v8
	v_ldexp_f32 v12, v12, v13
	s_delay_alu instid0(VALU_DEP_1) | instskip(NEXT) | instid1(VALU_DEP_1)
	v_dual_add_f32 v14, 1.0, v14 :: v_dual_add_f32 v15, 1.0, v12
	v_add_f32_e32 v9, v9, v14
	s_delay_alu instid0(VALU_DEP_1) | instskip(NEXT) | instid1(VALU_DEP_3)
	v_ldexp_f32 v9, v9, v13
	v_dual_add_f32 v13, -1.0, v12 :: v_dual_add_f32 v14, -1.0, v15
	s_delay_alu instid0(VALU_DEP_1) | instskip(NEXT) | instid1(VALU_DEP_1)
	v_dual_add_f32 v17, 1.0, v13 :: v_dual_sub_f32 v14, v12, v14
	v_sub_f32_e32 v12, v12, v17
	s_delay_alu instid0(VALU_DEP_2) | instskip(NEXT) | instid1(VALU_DEP_2)
	v_add_f32_e32 v14, v9, v14
	v_add_f32_e32 v9, v9, v12
	s_delay_alu instid0(VALU_DEP_2) | instskip(SKIP_2) | instid1(VALU_DEP_4)
	v_add_f32_e32 v17, v15, v14
	v_cmp_eq_f32_e32 vcc_lo, 0x7f800000, v10
	v_cmp_gt_f32_e64 s29, 0x33800000, v10
	v_add_f32_e32 v104, v13, v9
	s_delay_alu instid0(VALU_DEP_4) | instskip(SKIP_1) | instid1(VALU_DEP_3)
	v_rcp_f32_e32 v12, v17
	v_sub_f32_e32 v15, v15, v17
	s_or_b32 vcc_lo, s29, vcc_lo
	s_delay_alu instid0(VALU_DEP_2) | instskip(NEXT) | instid1(VALU_DEP_1)
	v_sub_f32_e32 v13, v13, v104
	v_add_f32_e32 v9, v9, v13
	s_waitcnt_depctr 0xfff
	v_dual_mul_f32 v105, v104, v12 :: v_dual_add_f32 v14, v14, v15
	s_delay_alu instid0(VALU_DEP_1) | instskip(NEXT) | instid1(VALU_DEP_1)
	v_mul_f32_e32 v106, v17, v105
	v_fma_f32 v15, v105, v17, -v106
	s_delay_alu instid0(VALU_DEP_1) | instskip(NEXT) | instid1(VALU_DEP_1)
	v_fmac_f32_e32 v15, v105, v14
	v_add_f32_e32 v107, v106, v15
	s_delay_alu instid0(VALU_DEP_1) | instskip(NEXT) | instid1(VALU_DEP_1)
	v_dual_sub_f32 v13, v107, v106 :: v_dual_sub_f32 v108, v104, v107
	v_dual_sub_f32 v13, v13, v15 :: v_dual_sub_f32 v104, v104, v108
	s_delay_alu instid0(VALU_DEP_1) | instskip(NEXT) | instid1(VALU_DEP_1)
	v_sub_f32_e32 v104, v104, v107
	v_add_f32_e32 v9, v9, v104
	s_delay_alu instid0(VALU_DEP_1) | instskip(NEXT) | instid1(VALU_DEP_1)
	v_add_f32_e32 v9, v13, v9
	v_add_f32_e32 v13, v108, v9
	s_delay_alu instid0(VALU_DEP_1) | instskip(NEXT) | instid1(VALU_DEP_1)
	v_mul_f32_e32 v15, v12, v13
	v_mul_f32_e32 v104, v17, v15
	s_delay_alu instid0(VALU_DEP_1) | instskip(NEXT) | instid1(VALU_DEP_1)
	v_fma_f32 v17, v15, v17, -v104
	v_fmac_f32_e32 v17, v15, v14
	s_delay_alu instid0(VALU_DEP_1) | instskip(NEXT) | instid1(VALU_DEP_1)
	v_add_f32_e32 v14, v104, v17
	v_dual_sub_f32 v107, v108, v13 :: v_dual_sub_f32 v106, v13, v14
	s_delay_alu instid0(VALU_DEP_1) | instskip(NEXT) | instid1(VALU_DEP_2)
	v_dual_sub_f32 v13, v13, v106 :: v_dual_sub_f32 v104, v14, v104
	v_add_f32_e32 v9, v9, v107
	s_delay_alu instid0(VALU_DEP_2) | instskip(NEXT) | instid1(VALU_DEP_1)
	v_dual_sub_f32 v13, v13, v14 :: v_dual_sub_f32 v14, v104, v17
	v_add_f32_e32 v9, v9, v13
	v_add_f32_e32 v13, v105, v15
	s_delay_alu instid0(VALU_DEP_2) | instskip(NEXT) | instid1(VALU_DEP_2)
	v_add_f32_e32 v9, v14, v9
	v_sub_f32_e32 v14, v13, v105
	s_delay_alu instid0(VALU_DEP_1) | instskip(NEXT) | instid1(VALU_DEP_1)
	v_dual_add_f32 v9, v106, v9 :: v_dual_sub_f32 v14, v15, v14
	v_mul_f32_e32 v9, v12, v9
	s_delay_alu instid0(VALU_DEP_1) | instskip(NEXT) | instid1(VALU_DEP_1)
	v_add_f32_e32 v9, v14, v9
	v_add_f32_e32 v12, v13, v9
	s_delay_alu instid0(VALU_DEP_1) | instskip(NEXT) | instid1(VALU_DEP_1)
	v_mul_f32_e32 v14, v12, v12
	v_fmaak_f32 v15, s84, v14, 0x3ecc95a3
	s_delay_alu instid0(VALU_DEP_1) | instskip(SKIP_1) | instid1(VALU_DEP_2)
	v_dual_mul_f32 v17, v12, v14 :: v_dual_fmaak_f32 v14, v14, v15, 0x3f2aaada
	v_ldexp_f32 v15, v12, 1
	v_mul_f32_e32 v14, v17, v14
	v_dual_sub_f32 v12, v12, v13 :: v_dual_mul_f32 v17, 0x3f317218, v8
	s_delay_alu instid0(VALU_DEP_2) | instskip(NEXT) | instid1(VALU_DEP_2)
	v_add_f32_e32 v13, v15, v14
	v_sub_f32_e32 v9, v9, v12
	s_delay_alu instid0(VALU_DEP_2) | instskip(NEXT) | instid1(VALU_DEP_4)
	v_sub_f32_e32 v12, v13, v15
	v_fma_f32 v15, 0x3f317218, v8, -v17
	s_delay_alu instid0(VALU_DEP_3) | instskip(NEXT) | instid1(VALU_DEP_3)
	v_ldexp_f32 v9, v9, 1
	v_sub_f32_e32 v12, v14, v12
	s_delay_alu instid0(VALU_DEP_3) | instskip(NEXT) | instid1(VALU_DEP_2)
	v_fmac_f32_e32 v15, 0xb102e308, v8
	v_add_f32_e32 v8, v9, v12
	s_delay_alu instid0(VALU_DEP_1) | instskip(NEXT) | instid1(VALU_DEP_3)
	v_add_f32_e32 v12, v13, v8
	v_add_f32_e32 v9, v17, v15
	s_delay_alu instid0(VALU_DEP_1) | instskip(NEXT) | instid1(VALU_DEP_1)
	v_dual_sub_f32 v13, v12, v13 :: v_dual_add_f32 v14, v9, v12
	v_sub_f32_e32 v8, v8, v13
	s_delay_alu instid0(VALU_DEP_2) | instskip(NEXT) | instid1(VALU_DEP_1)
	v_sub_f32_e32 v104, v14, v9
	v_dual_sub_f32 v12, v12, v104 :: v_dual_sub_f32 v17, v9, v17
	s_delay_alu instid0(VALU_DEP_1) | instskip(NEXT) | instid1(VALU_DEP_1)
	v_sub_f32_e32 v15, v15, v17
	v_add_f32_e32 v13, v15, v8
	v_sub_f32_e32 v105, v14, v104
	s_delay_alu instid0(VALU_DEP_1) | instskip(NEXT) | instid1(VALU_DEP_1)
	v_sub_f32_e32 v9, v9, v105
	v_dual_add_f32 v9, v12, v9 :: v_dual_sub_f32 v12, v13, v15
	s_delay_alu instid0(VALU_DEP_1) | instskip(NEXT) | instid1(VALU_DEP_2)
	v_add_f32_e32 v9, v13, v9
	v_sub_f32_e32 v13, v13, v12
	s_delay_alu instid0(VALU_DEP_2) | instskip(NEXT) | instid1(VALU_DEP_1)
	v_dual_sub_f32 v8, v8, v12 :: v_dual_add_f32 v17, v14, v9
	v_dual_sub_f32 v12, v17, v14 :: v_dual_sub_f32 v13, v15, v13
	s_delay_alu instid0(VALU_DEP_1) | instskip(NEXT) | instid1(VALU_DEP_1)
	v_dual_sub_f32 v9, v9, v12 :: v_dual_add_f32 v8, v8, v13
	v_add_f32_e32 v8, v8, v9
	s_delay_alu instid0(VALU_DEP_1) | instskip(NEXT) | instid1(VALU_DEP_1)
	v_add_f32_e32 v8, v17, v8
	v_cndmask_b32_e32 v104, v8, v10, vcc_lo
.LBB94_104:                             ;   in Loop: Header=BB94_12 Depth=1
	s_or_b32 exec_lo, exec_lo, s30
	v_lshrrev_b32_e32 v8, 16, v11
	s_delay_alu instid0(VALU_DEP_1) | instskip(NEXT) | instid1(VALU_DEP_1)
	v_cvt_f32_f16_e32 v8, v8
	v_add_f32_e32 v111, s67, v8
	s_delay_alu instid0(VALU_DEP_1) | instskip(SKIP_1) | instid1(SALU_CYCLE_1)
	v_cmp_ge_f32_e32 vcc_lo, 0x41a00000, v111
	s_and_b32 s29, s80, vcc_lo
	s_and_saveexec_b32 s30, s29
	s_cbranch_execz .LBB94_106
; %bb.105:                              ;   in Loop: Header=BB94_12 Depth=1
	v_mul_f32_e32 v8, 0x3fb8aa3b, v111
	v_cmp_ngt_f32_e32 vcc_lo, 0xc2ce8ed0, v111
	s_delay_alu instid0(VALU_DEP_2) | instskip(SKIP_1) | instid1(VALU_DEP_2)
	v_rndne_f32_e32 v9, v8
	v_fma_f32 v10, 0x3fb8aa3b, v111, -v8
	v_sub_f32_e32 v8, v8, v9
	s_delay_alu instid0(VALU_DEP_2) | instskip(SKIP_1) | instid1(VALU_DEP_2)
	v_fmac_f32_e32 v10, 0x32a5705f, v111
	v_cvt_i32_f32_e32 v9, v9
	v_add_f32_e32 v8, v8, v10
	s_delay_alu instid0(VALU_DEP_1) | instskip(SKIP_2) | instid1(VALU_DEP_1)
	v_exp_f32_e32 v8, v8
	s_waitcnt_depctr 0xfff
	v_ldexp_f32 v8, v8, v9
	v_cndmask_b32_e32 v8, 0, v8, vcc_lo
	v_cmp_nlt_f32_e32 vcc_lo, 0x42b17218, v111
	s_delay_alu instid0(VALU_DEP_2) | instskip(NEXT) | instid1(VALU_DEP_1)
	v_cndmask_b32_e32 v10, 0x7f800000, v8, vcc_lo
	v_add_f32_e32 v11, 1.0, v10
	s_delay_alu instid0(VALU_DEP_1) | instskip(NEXT) | instid1(VALU_DEP_1)
	v_cvt_f64_f32_e32 v[8:9], v11
	v_frexp_exp_i32_f64_e32 v8, v[8:9]
	v_frexp_mant_f32_e32 v9, v11
	s_delay_alu instid0(VALU_DEP_1) | instskip(SKIP_1) | instid1(VALU_DEP_1)
	v_cmp_gt_f32_e32 vcc_lo, 0x3f2aaaab, v9
	v_add_f32_e32 v9, -1.0, v11
	v_sub_f32_e32 v13, v9, v11
	v_sub_f32_e32 v9, v10, v9
	s_delay_alu instid0(VALU_DEP_2) | instskip(NEXT) | instid1(VALU_DEP_1)
	v_add_f32_e32 v13, 1.0, v13
	v_add_f32_e32 v9, v9, v13
	v_cmp_gt_f32_e64 s29, 0x33800000, v10
	v_subrev_co_ci_u32_e32 v8, vcc_lo, 0, v8, vcc_lo
	v_cmp_eq_f32_e32 vcc_lo, 0x7f800000, v10
	s_delay_alu instid0(VALU_DEP_2) | instskip(SKIP_2) | instid1(VALU_DEP_2)
	v_sub_nc_u32_e32 v12, 0, v8
	v_cvt_f32_i32_e32 v8, v8
	s_or_b32 vcc_lo, s29, vcc_lo
	v_ldexp_f32 v11, v11, v12
	v_ldexp_f32 v9, v9, v12
	s_delay_alu instid0(VALU_DEP_2) | instskip(NEXT) | instid1(VALU_DEP_1)
	v_add_f32_e32 v14, 1.0, v11
	v_dual_add_f32 v12, -1.0, v11 :: v_dual_add_f32 v13, -1.0, v14
	s_delay_alu instid0(VALU_DEP_1) | instskip(NEXT) | instid1(VALU_DEP_2)
	v_add_f32_e32 v15, 1.0, v12
	v_sub_f32_e32 v13, v11, v13
	s_delay_alu instid0(VALU_DEP_2) | instskip(NEXT) | instid1(VALU_DEP_2)
	v_sub_f32_e32 v11, v11, v15
	v_add_f32_e32 v13, v9, v13
	s_delay_alu instid0(VALU_DEP_2) | instskip(NEXT) | instid1(VALU_DEP_1)
	v_add_f32_e32 v9, v9, v11
	v_add_f32_e32 v17, v12, v9
	s_delay_alu instid0(VALU_DEP_3) | instskip(NEXT) | instid1(VALU_DEP_2)
	v_add_f32_e32 v15, v14, v13
	v_sub_f32_e32 v12, v12, v17
	s_delay_alu instid0(VALU_DEP_2) | instskip(SKIP_1) | instid1(VALU_DEP_1)
	v_rcp_f32_e32 v11, v15
	v_sub_f32_e32 v14, v14, v15
	v_add_f32_e32 v13, v13, v14
	s_waitcnt_depctr 0xfff
	v_mul_f32_e32 v105, v17, v11
	s_delay_alu instid0(VALU_DEP_1) | instskip(NEXT) | instid1(VALU_DEP_1)
	v_dual_mul_f32 v106, v15, v105 :: v_dual_add_f32 v9, v9, v12
	v_fma_f32 v14, v105, v15, -v106
	s_delay_alu instid0(VALU_DEP_1) | instskip(NEXT) | instid1(VALU_DEP_1)
	v_fmac_f32_e32 v14, v105, v13
	v_add_f32_e32 v107, v106, v14
	s_delay_alu instid0(VALU_DEP_1) | instskip(SKIP_1) | instid1(VALU_DEP_1)
	v_sub_f32_e32 v12, v107, v106
	v_sub_f32_e32 v108, v17, v107
	v_dual_sub_f32 v12, v12, v14 :: v_dual_sub_f32 v17, v17, v108
	s_delay_alu instid0(VALU_DEP_1) | instskip(NEXT) | instid1(VALU_DEP_1)
	v_sub_f32_e32 v17, v17, v107
	v_add_f32_e32 v9, v9, v17
	s_delay_alu instid0(VALU_DEP_1) | instskip(NEXT) | instid1(VALU_DEP_1)
	v_add_f32_e32 v9, v12, v9
	v_add_f32_e32 v12, v108, v9
	s_delay_alu instid0(VALU_DEP_1) | instskip(SKIP_1) | instid1(VALU_DEP_2)
	v_mul_f32_e32 v14, v11, v12
	v_sub_f32_e32 v107, v108, v12
	v_mul_f32_e32 v17, v15, v14
	s_delay_alu instid0(VALU_DEP_2) | instskip(NEXT) | instid1(VALU_DEP_2)
	v_add_f32_e32 v9, v9, v107
	v_fma_f32 v15, v14, v15, -v17
	s_delay_alu instid0(VALU_DEP_1) | instskip(NEXT) | instid1(VALU_DEP_1)
	v_fmac_f32_e32 v15, v14, v13
	v_add_f32_e32 v13, v17, v15
	s_delay_alu instid0(VALU_DEP_1) | instskip(NEXT) | instid1(VALU_DEP_1)
	v_sub_f32_e32 v106, v12, v13
	v_dual_sub_f32 v17, v13, v17 :: v_dual_sub_f32 v12, v12, v106
	s_delay_alu instid0(VALU_DEP_1) | instskip(NEXT) | instid1(VALU_DEP_1)
	v_dual_sub_f32 v12, v12, v13 :: v_dual_sub_f32 v13, v17, v15
	v_add_f32_e32 v9, v9, v12
	v_add_f32_e32 v12, v105, v14
	s_delay_alu instid0(VALU_DEP_2) | instskip(NEXT) | instid1(VALU_DEP_2)
	v_add_f32_e32 v9, v13, v9
	v_sub_f32_e32 v13, v12, v105
	s_delay_alu instid0(VALU_DEP_2) | instskip(NEXT) | instid1(VALU_DEP_2)
	v_add_f32_e32 v9, v106, v9
	v_sub_f32_e32 v13, v14, v13
	s_delay_alu instid0(VALU_DEP_2) | instskip(NEXT) | instid1(VALU_DEP_1)
	v_mul_f32_e32 v9, v11, v9
	v_add_f32_e32 v9, v13, v9
	s_delay_alu instid0(VALU_DEP_1) | instskip(NEXT) | instid1(VALU_DEP_1)
	v_add_f32_e32 v11, v12, v9
	v_mul_f32_e32 v13, v11, v11
	s_delay_alu instid0(VALU_DEP_1) | instskip(SKIP_1) | instid1(VALU_DEP_2)
	v_fmaak_f32 v14, s84, v13, 0x3ecc95a3
	v_mul_f32_e32 v15, v11, v13
	v_fmaak_f32 v13, v13, v14, 0x3f2aaada
	v_ldexp_f32 v14, v11, 1
	v_sub_f32_e32 v11, v11, v12
	s_delay_alu instid0(VALU_DEP_3) | instskip(SKIP_1) | instid1(VALU_DEP_2)
	v_mul_f32_e32 v13, v15, v13
	v_mul_f32_e32 v15, 0x3f317218, v8
	v_dual_sub_f32 v9, v9, v11 :: v_dual_add_f32 v12, v14, v13
	s_delay_alu instid0(VALU_DEP_1) | instskip(NEXT) | instid1(VALU_DEP_2)
	v_ldexp_f32 v9, v9, 1
	v_sub_f32_e32 v11, v12, v14
	s_delay_alu instid0(VALU_DEP_4) | instskip(NEXT) | instid1(VALU_DEP_1)
	v_fma_f32 v14, 0x3f317218, v8, -v15
	v_dual_sub_f32 v11, v13, v11 :: v_dual_fmac_f32 v14, 0xb102e308, v8
	s_delay_alu instid0(VALU_DEP_1) | instskip(NEXT) | instid1(VALU_DEP_1)
	v_dual_add_f32 v8, v9, v11 :: v_dual_add_f32 v9, v15, v14
	v_add_f32_e32 v11, v12, v8
	s_delay_alu instid0(VALU_DEP_2) | instskip(NEXT) | instid1(VALU_DEP_2)
	v_sub_f32_e32 v15, v9, v15
	v_dual_add_f32 v13, v9, v11 :: v_dual_sub_f32 v12, v11, v12
	s_delay_alu instid0(VALU_DEP_1) | instskip(NEXT) | instid1(VALU_DEP_1)
	v_dual_sub_f32 v14, v14, v15 :: v_dual_sub_f32 v17, v13, v9
	v_dual_sub_f32 v8, v8, v12 :: v_dual_sub_f32 v105, v13, v17
	s_delay_alu instid0(VALU_DEP_1) | instskip(NEXT) | instid1(VALU_DEP_2)
	v_dual_sub_f32 v11, v11, v17 :: v_dual_add_f32 v12, v14, v8
	v_sub_f32_e32 v9, v9, v105
	s_delay_alu instid0(VALU_DEP_1) | instskip(NEXT) | instid1(VALU_DEP_3)
	v_add_f32_e32 v9, v11, v9
	v_sub_f32_e32 v11, v12, v14
	s_delay_alu instid0(VALU_DEP_2) | instskip(NEXT) | instid1(VALU_DEP_2)
	v_add_f32_e32 v9, v12, v9
	v_sub_f32_e32 v12, v12, v11
	s_delay_alu instid0(VALU_DEP_2) | instskip(NEXT) | instid1(VALU_DEP_1)
	v_dual_sub_f32 v8, v8, v11 :: v_dual_add_f32 v15, v13, v9
	v_dual_sub_f32 v12, v14, v12 :: v_dual_sub_f32 v11, v15, v13
	s_delay_alu instid0(VALU_DEP_1) | instskip(NEXT) | instid1(VALU_DEP_1)
	v_dual_add_f32 v8, v8, v12 :: v_dual_sub_f32 v9, v9, v11
	v_add_f32_e32 v8, v8, v9
	s_delay_alu instid0(VALU_DEP_1) | instskip(NEXT) | instid1(VALU_DEP_1)
	v_add_f32_e32 v8, v15, v8
	v_cndmask_b32_e32 v111, v8, v10, vcc_lo
.LBB94_106:                             ;   in Loop: Header=BB94_12 Depth=1
	s_or_b32 exec_lo, exec_lo, s30
	v_lshrrev_b32_e32 v9, 16, v6
	v_lshrrev_b32_e32 v10, 16, v7
	;; [unrolled: 1-line block ×6, first 2 shown]
	v_cvt_f32_f16_e32 v8, v7
	v_cvt_f32_f16_e32 v7, v9
	;; [unrolled: 1-line block ×7, first 2 shown]
	v_lshrrev_b32_e32 v14, 16, v1
	v_lshrrev_b32_e32 v15, 16, v0
	v_cvt_f32_f16_e32 v6, v6
	v_cvt_f32_f16_e32 v5, v5
	;; [unrolled: 1-line block ×9, first 2 shown]
	v_dual_mul_f32 v105, s68, v8 :: v_dual_mul_f32 v106, s68, v7
	v_dual_mul_f32 v107, s68, v6 :: v_dual_mul_f32 v108, s68, v9
	v_dual_mul_f32 v109, s68, v5 :: v_dual_mul_f32 v110, s68, v10
	v_dual_mul_f32 v112, s68, v4 :: v_dual_mul_f32 v115, s68, v13
	v_dual_mul_f32 v113, s68, v12 :: v_dual_mul_f32 v114, s68, v3
	v_dual_mul_f32 v117, s68, v2 :: v_dual_mul_f32 v120, s68, v15
	v_dual_mul_f32 v118, s68, v14 :: v_dual_mul_f32 v119, s68, v1
	v_dual_mul_f32 v121, s68, v0 :: v_dual_mul_f32 v116, s68, v11
	s_and_b32 vcc_lo, exec_lo, s81
	s_barrier
	buffer_gl0_inv
	s_cbranch_vccz .LBB94_204
; %bb.107:                              ;   in Loop: Header=BB94_12 Depth=1
	v_dual_mul_f32 v122, v111, v11 :: v_dual_mul_f32 v127, v104, v8
	v_add_co_u32 v11, s29, s53, v16
	s_delay_alu instid0(VALU_DEP_1) | instskip(SKIP_1) | instid1(VALU_DEP_1)
	v_add_co_ci_u32_e64 v17, null, s74, 0, s29
	v_add_co_u32 v16, s29, s57, v16
	v_add_co_ci_u32_e64 v126, null, s75, 0, s29
	s_delay_alu instid0(VALU_DEP_4) | instskip(NEXT) | instid1(VALU_DEP_4)
	v_add_co_u32 v123, vcc_lo, v11, v89
	v_add_co_ci_u32_e32 v124, vcc_lo, 0, v17, vcc_lo
	s_delay_alu instid0(VALU_DEP_4) | instskip(NEXT) | instid1(VALU_DEP_4)
	v_add_co_u32 v125, vcc_lo, v16, v89
	v_add_co_ci_u32_e32 v126, vcc_lo, 0, v126, vcc_lo
	v_cmp_gt_u32_e32 vcc_lo, s41, v18
	s_cmp_lg_u32 s86, 0
	v_cmp_gt_u32_e64 s31, s41, v75
	s_cselect_b32 s51, -1, 0
	s_cmp_eq_u32 s86, s83
	v_cmp_gt_u32_e64 s33, s41, v76
	s_cselect_b32 s87, -1, 0
	s_or_b32 s29, s82, vcc_lo
	v_cmp_gt_u32_e32 vcc_lo, s41, v74
	v_cmp_gt_u32_e64 s34, s41, v77
	v_cmp_gt_u32_e64 s35, s41, v78
	;; [unrolled: 1-line block ×4, first 2 shown]
	s_or_b32 s30, s82, vcc_lo
	v_cmp_gt_u32_e32 vcc_lo, s41, v79
	v_cmp_gt_u32_e64 s39, s41, v82
	v_cmp_gt_u32_e64 s40, s41, v83
	;; [unrolled: 1-line block ×4, first 2 shown]
	s_or_b32 s36, s82, vcc_lo
	v_cmp_gt_u32_e32 vcc_lo, s41, v84
	v_cmp_gt_u32_e64 s44, s41, v87
	v_cmp_gt_u32_e64 s45, s41, v88
	v_dual_mul_f32 v128, v103, v7 :: v_dual_mul_f32 v129, v102, v6
	v_dual_mul_f32 v130, v101, v9 :: v_dual_mul_f32 v133, v98, v4
	;; [unrolled: 1-line block ×7, first 2 shown]
	s_mov_b32 s64, 0
	s_or_b32 s31, s82, s31
	s_or_b32 s33, s82, s33
	;; [unrolled: 1-line block ×8, first 2 shown]
	s_or_b32 s41, s82, vcc_lo
	s_or_b32 s42, s82, s42
	s_or_b32 s43, s82, s43
	;; [unrolled: 1-line block ×4, first 2 shown]
	s_mov_b32 s54, s64
	s_mov_b32 s58, s64
	;; [unrolled: 1-line block ×5, first 2 shown]
	s_branch .LBB94_109
.LBB94_108:                             ;   in Loop: Header=BB94_109 Depth=2
	s_or_b32 exec_lo, exec_lo, s46
	v_cndmask_b32_e64 v9, v171, v11, s12
	v_cndmask_b32_e64 v10, v170, v10, s12
	s_add_i32 s88, s88, -1
	s_add_i32 s89, s89, 8
	s_add_i32 s60, s60, s62
	v_fma_f32 v9, v9, v142, v15
	v_mul_f32_e32 v10, v10, v142
	s_add_i32 s58, s58, s56
	s_add_i32 s54, s54, s52
	s_add_i32 s64, s64, s49
	v_cndmask_b32_e64 v9, v9, v15, s11
	v_cndmask_b32_e64 v10, v10, v142, s11
	s_cmp_eq_u32 s88, 0
	s_waitcnt lgkmcnt(0)
	s_delay_alu instid0(VALU_DEP_1) | instskip(NEXT) | instid1(VALU_DEP_1)
	v_fmac_f32_e32 v9, v8, v10
	v_fmac_f32_e32 v12, v9, v144
	s_delay_alu instid0(VALU_DEP_1) | instskip(NEXT) | instid1(VALU_DEP_1)
	v_fmac_f32_e32 v13, v12, v146
	v_fmac_f32_e32 v14, v13, v148
	v_fma_mix_f32 v121, v9, v4, v121 op_sel_hi:[0,1,0]
	s_delay_alu instid0(VALU_DEP_2) | instskip(SKIP_2) | instid1(VALU_DEP_3)
	v_fmac_f32_e32 v143, v14, v150
	v_fma_mix_f32 v120, v12, v4, v120 op_sel:[0,1,0] op_sel_hi:[0,1,0]
	v_fma_mix_f32 v118, v14, v5, v118 op_sel:[0,1,0] op_sel_hi:[0,1,0]
	v_fmac_f32_e32 v145, v143, v151
	v_fma_mix_f32 v117, v143, v6, v117 op_sel_hi:[0,1,0]
	s_delay_alu instid0(VALU_DEP_2) | instskip(SKIP_1) | instid1(VALU_DEP_2)
	v_fmac_f32_e32 v147, v145, v153
	v_fma_mix_f32 v115, v145, v6, v115 op_sel:[0,1,0] op_sel_hi:[0,1,0]
	v_fmac_f32_e32 v149, v147, v156
	s_delay_alu instid0(VALU_DEP_1) | instskip(SKIP_1) | instid1(VALU_DEP_2)
	v_fmac_f32_e32 v152, v149, v157
	v_fma_mix_f32 v119, v13, v5, v119 op_sel_hi:[0,1,0]
	v_fmac_f32_e32 v154, v152, v158
	v_fma_mix_f32 v114, v147, v7, v114 op_sel_hi:[0,1,0]
	v_fma_mix_f32 v112, v152, v0, v112 op_sel_hi:[0,1,0]
	s_delay_alu instid0(VALU_DEP_3) | instskip(SKIP_1) | instid1(VALU_DEP_2)
	v_fmac_f32_e32 v155, v154, v159
	v_fma_mix_f32 v110, v154, v0, v110 op_sel:[0,1,0] op_sel_hi:[0,1,0]
	v_fmac_f32_e32 v160, v155, v166
	v_fma_mix_f32 v109, v155, v1, v109 op_sel_hi:[0,1,0]
	s_delay_alu instid0(VALU_DEP_2) | instskip(NEXT) | instid1(VALU_DEP_1)
	v_fmac_f32_e32 v161, v160, v163
	v_fmac_f32_e32 v162, v161, v165
	v_fma_mix_f32 v113, v149, v7, v113 op_sel:[0,1,0] op_sel_hi:[0,1,0]
	s_delay_alu instid0(VALU_DEP_2) | instskip(SKIP_2) | instid1(VALU_DEP_3)
	v_fmac_f32_e32 v164, v162, v168
	v_fma_mix_f32 v107, v161, v2, v107 op_sel_hi:[0,1,0]
	v_fma_mix_f32 v106, v162, v2, v106 op_sel:[0,1,0] op_sel_hi:[0,1,0]
	v_fmac_f32_e32 v167, v164, v169
	v_fma_mix_f32 v108, v160, v1, v108 op_sel:[0,1,0] op_sel_hi:[0,1,0]
	v_fma_mix_f32 v105, v164, v3, v105 op_sel_hi:[0,1,0]
	s_delay_alu instid0(VALU_DEP_3)
	v_fma_mix_f32 v116, v167, v3, v116 op_sel:[0,1,0] op_sel_hi:[0,1,0]
	s_cbranch_scc1 .LBB94_204
.LBB94_109:                             ;   Parent Loop BB94_12 Depth=1
                                        ; =>  This Inner Loop Header: Depth=2
	s_lshl_b64 s[46:47], s[64:65], 2
	s_mov_b32 s55, s65
	s_add_u32 s46, s73, s46
	s_addc_u32 s47, s63, s47
	v_dual_mov_b32 v2, 0 :: v_dual_mov_b32 v3, 0
	global_load_b32 v142, v21, s[46:47]
	s_lshl_b64 s[46:47], s[54:55], 1
	s_delay_alu instid0(SALU_CYCLE_1)
	v_add_co_u32 v0, vcc_lo, v123, s46
	v_add_co_ci_u32_e32 v1, vcc_lo, s47, v124, vcc_lo
	s_and_saveexec_b32 s46, s13
	s_cbranch_execnz .LBB94_145
; %bb.110:                              ;   in Loop: Header=BB94_109 Depth=2
	s_or_b32 exec_lo, exec_lo, s46
	s_and_saveexec_b32 s46, s14
	s_cbranch_execnz .LBB94_146
.LBB94_111:                             ;   in Loop: Header=BB94_109 Depth=2
	s_or_b32 exec_lo, exec_lo, s46
	v_mov_b32_e32 v4, 0
	s_and_saveexec_b32 s46, s15
	s_cbranch_execnz .LBB94_147
.LBB94_112:                             ;   in Loop: Header=BB94_109 Depth=2
	s_or_b32 exec_lo, exec_lo, s46
	s_and_saveexec_b32 s46, s16
	s_cbranch_execnz .LBB94_148
.LBB94_113:                             ;   in Loop: Header=BB94_109 Depth=2
	s_or_b32 exec_lo, exec_lo, s46
	v_mov_b32_e32 v5, 0
	s_and_saveexec_b32 s46, s17
	s_cbranch_execnz .LBB94_149
.LBB94_114:                             ;   in Loop: Header=BB94_109 Depth=2
	s_or_b32 exec_lo, exec_lo, s46
	s_and_saveexec_b32 s46, s18
	s_cbranch_execnz .LBB94_150
.LBB94_115:                             ;   in Loop: Header=BB94_109 Depth=2
	s_or_b32 exec_lo, exec_lo, s46
	v_mov_b32_e32 v6, 0
	s_and_saveexec_b32 s46, s19
	s_cbranch_execnz .LBB94_151
.LBB94_116:                             ;   in Loop: Header=BB94_109 Depth=2
	s_or_b32 exec_lo, exec_lo, s46
	s_and_saveexec_b32 s46, s20
	s_cbranch_execnz .LBB94_152
.LBB94_117:                             ;   in Loop: Header=BB94_109 Depth=2
	s_or_b32 exec_lo, exec_lo, s46
	v_mov_b32_e32 v7, 0
	s_and_saveexec_b32 s46, s21
	s_cbranch_execnz .LBB94_153
.LBB94_118:                             ;   in Loop: Header=BB94_109 Depth=2
	s_or_b32 exec_lo, exec_lo, s46
	s_and_saveexec_b32 s46, s22
	s_cbranch_execnz .LBB94_154
.LBB94_119:                             ;   in Loop: Header=BB94_109 Depth=2
	s_or_b32 exec_lo, exec_lo, s46
	v_mov_b32_e32 v8, 0
	s_and_saveexec_b32 s46, s23
	s_cbranch_execnz .LBB94_155
.LBB94_120:                             ;   in Loop: Header=BB94_109 Depth=2
	s_or_b32 exec_lo, exec_lo, s46
	s_and_saveexec_b32 s46, s24
	s_cbranch_execnz .LBB94_156
.LBB94_121:                             ;   in Loop: Header=BB94_109 Depth=2
	s_or_b32 exec_lo, exec_lo, s46
	v_mov_b32_e32 v9, 0
	s_and_saveexec_b32 s46, s25
	s_cbranch_execnz .LBB94_157
.LBB94_122:                             ;   in Loop: Header=BB94_109 Depth=2
	s_or_b32 exec_lo, exec_lo, s46
	s_and_saveexec_b32 s46, s26
	s_cbranch_execnz .LBB94_158
.LBB94_123:                             ;   in Loop: Header=BB94_109 Depth=2
	s_or_b32 exec_lo, exec_lo, s46
	v_mov_b32_e32 v10, 0
	s_and_saveexec_b32 s46, s27
	s_cbranch_execnz .LBB94_159
.LBB94_124:                             ;   in Loop: Header=BB94_109 Depth=2
	s_or_b32 exec_lo, exec_lo, s46
	s_and_saveexec_b32 s46, s28
	s_cbranch_execz .LBB94_126
.LBB94_125:                             ;   in Loop: Header=BB94_109 Depth=2
	global_load_u16 v0, v[0:1], off offset:960
	s_waitcnt vmcnt(0)
	v_lshl_or_b32 v10, v0, 16, v10
.LBB94_126:                             ;   in Loop: Header=BB94_109 Depth=2
	s_or_b32 exec_lo, exec_lo, s46
	s_waitcnt vmcnt(0)
	ds_store_b16 v37, v3
	ds_store_b16 v37, v2 offset:64
	ds_store_b16 v38, v4 offset:128
	ds_store_b16_d16_hi v39, v4 offset:192
	ds_store_b16 v40, v5 offset:256
	ds_store_b16_d16_hi v41, v5 offset:320
	;; [unrolled: 2-line block ×7, first 2 shown]
	; wave barrier
	ds_load_b128 v[12:15], v52
	ds_load_b128 v[8:11], v52 offset:16
	s_mov_b32 s59, s65
	v_dual_mov_b32 v2, 0 :: v_dual_mov_b32 v3, 0
	s_lshl_b64 s[46:47], s[58:59], 1
	s_delay_alu instid0(SALU_CYCLE_1)
	v_add_co_u32 v0, vcc_lo, v125, s46
	v_add_co_ci_u32_e32 v1, vcc_lo, s47, v126, vcc_lo
	s_and_saveexec_b32 s46, s13
	s_cbranch_execnz .LBB94_160
; %bb.127:                              ;   in Loop: Header=BB94_109 Depth=2
	s_or_b32 exec_lo, exec_lo, s46
	s_and_saveexec_b32 s46, s14
	s_cbranch_execnz .LBB94_161
.LBB94_128:                             ;   in Loop: Header=BB94_109 Depth=2
	s_or_b32 exec_lo, exec_lo, s46
	v_mov_b32_e32 v4, 0
	s_and_saveexec_b32 s46, s15
	s_cbranch_execnz .LBB94_162
.LBB94_129:                             ;   in Loop: Header=BB94_109 Depth=2
	s_or_b32 exec_lo, exec_lo, s46
	s_and_saveexec_b32 s46, s16
	s_cbranch_execnz .LBB94_163
.LBB94_130:                             ;   in Loop: Header=BB94_109 Depth=2
	s_or_b32 exec_lo, exec_lo, s46
	v_mov_b32_e32 v5, 0
	s_and_saveexec_b32 s46, s17
	s_cbranch_execnz .LBB94_164
.LBB94_131:                             ;   in Loop: Header=BB94_109 Depth=2
	s_or_b32 exec_lo, exec_lo, s46
	s_and_saveexec_b32 s46, s18
	s_cbranch_execnz .LBB94_165
.LBB94_132:                             ;   in Loop: Header=BB94_109 Depth=2
	s_or_b32 exec_lo, exec_lo, s46
	v_mov_b32_e32 v6, 0
	s_and_saveexec_b32 s46, s19
	s_cbranch_execnz .LBB94_166
.LBB94_133:                             ;   in Loop: Header=BB94_109 Depth=2
	s_or_b32 exec_lo, exec_lo, s46
	s_and_saveexec_b32 s46, s20
	s_cbranch_execnz .LBB94_167
.LBB94_134:                             ;   in Loop: Header=BB94_109 Depth=2
	s_or_b32 exec_lo, exec_lo, s46
	v_mov_b32_e32 v7, 0
	s_and_saveexec_b32 s46, s21
	s_cbranch_execnz .LBB94_168
.LBB94_135:                             ;   in Loop: Header=BB94_109 Depth=2
	s_or_b32 exec_lo, exec_lo, s46
	s_and_saveexec_b32 s46, s22
	s_cbranch_execnz .LBB94_169
.LBB94_136:                             ;   in Loop: Header=BB94_109 Depth=2
	s_or_b32 exec_lo, exec_lo, s46
	v_mov_b32_e32 v16, 0
	s_and_saveexec_b32 s46, s23
	s_cbranch_execnz .LBB94_170
.LBB94_137:                             ;   in Loop: Header=BB94_109 Depth=2
	s_or_b32 exec_lo, exec_lo, s46
	s_and_saveexec_b32 s46, s24
	s_cbranch_execnz .LBB94_171
.LBB94_138:                             ;   in Loop: Header=BB94_109 Depth=2
	s_or_b32 exec_lo, exec_lo, s46
	v_mov_b32_e32 v17, 0
	s_and_saveexec_b32 s46, s25
	s_cbranch_execnz .LBB94_172
.LBB94_139:                             ;   in Loop: Header=BB94_109 Depth=2
	s_or_b32 exec_lo, exec_lo, s46
	s_and_saveexec_b32 s46, s26
	s_cbranch_execnz .LBB94_173
.LBB94_140:                             ;   in Loop: Header=BB94_109 Depth=2
	s_or_b32 exec_lo, exec_lo, s46
	v_mov_b32_e32 v143, 0
	s_and_saveexec_b32 s46, s27
	s_cbranch_execnz .LBB94_174
.LBB94_141:                             ;   in Loop: Header=BB94_109 Depth=2
	s_or_b32 exec_lo, exec_lo, s46
	s_and_saveexec_b32 s46, s28
	s_cbranch_execz .LBB94_143
.LBB94_142:                             ;   in Loop: Header=BB94_109 Depth=2
	global_load_u16 v0, v[0:1], off offset:960
	s_waitcnt vmcnt(0)
	v_lshl_or_b32 v143, v0, 16, v143
.LBB94_143:                             ;   in Loop: Header=BB94_109 Depth=2
	s_or_b32 exec_lo, exec_lo, s46
	s_waitcnt vmcnt(0)
	ds_store_b16 v37, v3 offset:4224
	ds_store_b16 v53, v2 offset:64
	;; [unrolled: 1-line block ×3, first 2 shown]
	ds_store_b16_d16_hi v55, v4 offset:192
	ds_store_b16 v56, v5 offset:256
	ds_store_b16_d16_hi v57, v5 offset:320
	ds_store_b16 v58, v6 offset:384
	;; [unrolled: 2-line block ×6, first 2 shown]
	ds_store_b16_d16_hi v67, v143 offset:960
	; wave barrier
	ds_load_b128 v[4:7], v52 offset:4224
	ds_load_b128 v[0:3], v68 offset:16
	s_and_not1_b32 vcc_lo, exec_lo, s51
	s_cbranch_vccnz .LBB94_175
; %bb.144:                              ;   in Loop: Header=BB94_109 Depth=2
	v_mov_b32_e32 v16, s89
	ds_load_b64 v[16:17], v16
	s_cbranch_execz .LBB94_176
	s_branch .LBB94_179
.LBB94_145:                             ;   in Loop: Header=BB94_109 Depth=2
	global_load_u16 v3, v[0:1], off
	s_or_b32 exec_lo, exec_lo, s46
	s_and_saveexec_b32 s46, s14
	s_cbranch_execz .LBB94_111
.LBB94_146:                             ;   in Loop: Header=BB94_109 Depth=2
	global_load_u16 v2, v[0:1], off offset:64
	s_or_b32 exec_lo, exec_lo, s46
	v_mov_b32_e32 v4, 0
	s_and_saveexec_b32 s46, s15
	s_cbranch_execz .LBB94_112
.LBB94_147:                             ;   in Loop: Header=BB94_109 Depth=2
	global_load_u16 v4, v[0:1], off offset:128
	s_or_b32 exec_lo, exec_lo, s46
	s_and_saveexec_b32 s46, s16
	s_cbranch_execz .LBB94_113
.LBB94_148:                             ;   in Loop: Header=BB94_109 Depth=2
	global_load_u16 v5, v[0:1], off offset:192
	s_waitcnt vmcnt(0)
	v_lshl_or_b32 v4, v5, 16, v4
	s_or_b32 exec_lo, exec_lo, s46
	v_mov_b32_e32 v5, 0
	s_and_saveexec_b32 s46, s17
	s_cbranch_execz .LBB94_114
.LBB94_149:                             ;   in Loop: Header=BB94_109 Depth=2
	global_load_u16 v5, v[0:1], off offset:256
	s_or_b32 exec_lo, exec_lo, s46
	s_and_saveexec_b32 s46, s18
	s_cbranch_execz .LBB94_115
.LBB94_150:                             ;   in Loop: Header=BB94_109 Depth=2
	global_load_u16 v6, v[0:1], off offset:320
	s_waitcnt vmcnt(0)
	v_lshl_or_b32 v5, v6, 16, v5
	s_or_b32 exec_lo, exec_lo, s46
	v_mov_b32_e32 v6, 0
	s_and_saveexec_b32 s46, s19
	s_cbranch_execz .LBB94_116
.LBB94_151:                             ;   in Loop: Header=BB94_109 Depth=2
	global_load_u16 v6, v[0:1], off offset:384
	s_or_b32 exec_lo, exec_lo, s46
	s_and_saveexec_b32 s46, s20
	s_cbranch_execz .LBB94_117
.LBB94_152:                             ;   in Loop: Header=BB94_109 Depth=2
	global_load_u16 v7, v[0:1], off offset:448
	s_waitcnt vmcnt(0)
	v_lshl_or_b32 v6, v7, 16, v6
	s_or_b32 exec_lo, exec_lo, s46
	v_mov_b32_e32 v7, 0
	s_and_saveexec_b32 s46, s21
	s_cbranch_execz .LBB94_118
.LBB94_153:                             ;   in Loop: Header=BB94_109 Depth=2
	global_load_u16 v7, v[0:1], off offset:512
	s_or_b32 exec_lo, exec_lo, s46
	s_and_saveexec_b32 s46, s22
	s_cbranch_execz .LBB94_119
.LBB94_154:                             ;   in Loop: Header=BB94_109 Depth=2
	global_load_u16 v8, v[0:1], off offset:576
	s_waitcnt vmcnt(0)
	v_lshl_or_b32 v7, v8, 16, v7
	s_or_b32 exec_lo, exec_lo, s46
	v_mov_b32_e32 v8, 0
	s_and_saveexec_b32 s46, s23
	s_cbranch_execz .LBB94_120
.LBB94_155:                             ;   in Loop: Header=BB94_109 Depth=2
	global_load_u16 v8, v[0:1], off offset:640
	s_or_b32 exec_lo, exec_lo, s46
	s_and_saveexec_b32 s46, s24
	s_cbranch_execz .LBB94_121
.LBB94_156:                             ;   in Loop: Header=BB94_109 Depth=2
	global_load_u16 v9, v[0:1], off offset:704
	s_waitcnt vmcnt(0)
	v_lshl_or_b32 v8, v9, 16, v8
	s_or_b32 exec_lo, exec_lo, s46
	v_mov_b32_e32 v9, 0
	s_and_saveexec_b32 s46, s25
	s_cbranch_execz .LBB94_122
.LBB94_157:                             ;   in Loop: Header=BB94_109 Depth=2
	global_load_u16 v9, v[0:1], off offset:768
	s_or_b32 exec_lo, exec_lo, s46
	s_and_saveexec_b32 s46, s26
	s_cbranch_execz .LBB94_123
.LBB94_158:                             ;   in Loop: Header=BB94_109 Depth=2
	global_load_u16 v10, v[0:1], off offset:832
	s_waitcnt vmcnt(0)
	v_lshl_or_b32 v9, v10, 16, v9
	s_or_b32 exec_lo, exec_lo, s46
	v_mov_b32_e32 v10, 0
	s_and_saveexec_b32 s46, s27
	s_cbranch_execz .LBB94_124
.LBB94_159:                             ;   in Loop: Header=BB94_109 Depth=2
	global_load_u16 v10, v[0:1], off offset:896
	s_or_b32 exec_lo, exec_lo, s46
	s_and_saveexec_b32 s46, s28
	s_cbranch_execnz .LBB94_125
	s_branch .LBB94_126
.LBB94_160:                             ;   in Loop: Header=BB94_109 Depth=2
	global_load_u16 v3, v[0:1], off
	s_or_b32 exec_lo, exec_lo, s46
	s_and_saveexec_b32 s46, s14
	s_cbranch_execz .LBB94_128
.LBB94_161:                             ;   in Loop: Header=BB94_109 Depth=2
	global_load_u16 v2, v[0:1], off offset:64
	s_or_b32 exec_lo, exec_lo, s46
	v_mov_b32_e32 v4, 0
	s_and_saveexec_b32 s46, s15
	s_cbranch_execz .LBB94_129
.LBB94_162:                             ;   in Loop: Header=BB94_109 Depth=2
	global_load_u16 v4, v[0:1], off offset:128
	s_or_b32 exec_lo, exec_lo, s46
	s_and_saveexec_b32 s46, s16
	s_cbranch_execz .LBB94_130
.LBB94_163:                             ;   in Loop: Header=BB94_109 Depth=2
	global_load_u16 v5, v[0:1], off offset:192
	s_waitcnt vmcnt(0)
	v_lshl_or_b32 v4, v5, 16, v4
	s_or_b32 exec_lo, exec_lo, s46
	v_mov_b32_e32 v5, 0
	s_and_saveexec_b32 s46, s17
	s_cbranch_execz .LBB94_131
.LBB94_164:                             ;   in Loop: Header=BB94_109 Depth=2
	global_load_u16 v5, v[0:1], off offset:256
	s_or_b32 exec_lo, exec_lo, s46
	s_and_saveexec_b32 s46, s18
	s_cbranch_execz .LBB94_132
.LBB94_165:                             ;   in Loop: Header=BB94_109 Depth=2
	global_load_u16 v6, v[0:1], off offset:320
	s_waitcnt vmcnt(0)
	v_lshl_or_b32 v5, v6, 16, v5
	s_or_b32 exec_lo, exec_lo, s46
	v_mov_b32_e32 v6, 0
	s_and_saveexec_b32 s46, s19
	s_cbranch_execz .LBB94_133
.LBB94_166:                             ;   in Loop: Header=BB94_109 Depth=2
	global_load_u16 v6, v[0:1], off offset:384
	s_or_b32 exec_lo, exec_lo, s46
	s_and_saveexec_b32 s46, s20
	s_cbranch_execz .LBB94_134
.LBB94_167:                             ;   in Loop: Header=BB94_109 Depth=2
	global_load_u16 v7, v[0:1], off offset:448
	s_waitcnt vmcnt(0)
	v_lshl_or_b32 v6, v7, 16, v6
	s_or_b32 exec_lo, exec_lo, s46
	v_mov_b32_e32 v7, 0
	s_and_saveexec_b32 s46, s21
	s_cbranch_execz .LBB94_135
.LBB94_168:                             ;   in Loop: Header=BB94_109 Depth=2
	global_load_u16 v7, v[0:1], off offset:512
	s_or_b32 exec_lo, exec_lo, s46
	s_and_saveexec_b32 s46, s22
	s_cbranch_execz .LBB94_136
.LBB94_169:                             ;   in Loop: Header=BB94_109 Depth=2
	global_load_u16 v16, v[0:1], off offset:576
	s_waitcnt vmcnt(0)
	v_lshl_or_b32 v7, v16, 16, v7
	s_or_b32 exec_lo, exec_lo, s46
	v_mov_b32_e32 v16, 0
	s_and_saveexec_b32 s46, s23
	s_cbranch_execz .LBB94_137
.LBB94_170:                             ;   in Loop: Header=BB94_109 Depth=2
	global_load_u16 v16, v[0:1], off offset:640
	s_or_b32 exec_lo, exec_lo, s46
	s_and_saveexec_b32 s46, s24
	s_cbranch_execz .LBB94_138
.LBB94_171:                             ;   in Loop: Header=BB94_109 Depth=2
	global_load_u16 v17, v[0:1], off offset:704
	s_waitcnt vmcnt(0)
	v_lshl_or_b32 v16, v17, 16, v16
	s_or_b32 exec_lo, exec_lo, s46
	v_mov_b32_e32 v17, 0
	s_and_saveexec_b32 s46, s25
	s_cbranch_execz .LBB94_139
.LBB94_172:                             ;   in Loop: Header=BB94_109 Depth=2
	global_load_u16 v17, v[0:1], off offset:768
	s_or_b32 exec_lo, exec_lo, s46
	s_and_saveexec_b32 s46, s26
	s_cbranch_execz .LBB94_140
.LBB94_173:                             ;   in Loop: Header=BB94_109 Depth=2
	global_load_u16 v143, v[0:1], off offset:832
	s_waitcnt vmcnt(0)
	v_lshl_or_b32 v17, v143, 16, v17
	s_or_b32 exec_lo, exec_lo, s46
	v_mov_b32_e32 v143, 0
	s_and_saveexec_b32 s46, s27
	s_cbranch_execz .LBB94_141
.LBB94_174:                             ;   in Loop: Header=BB94_109 Depth=2
	global_load_u16 v143, v[0:1], off offset:896
	s_or_b32 exec_lo, exec_lo, s46
	s_and_saveexec_b32 s46, s28
	s_cbranch_execnz .LBB94_142
	s_branch .LBB94_143
.LBB94_175:                             ;   in Loop: Header=BB94_109 Depth=2
                                        ; implicit-def: $vgpr16
.LBB94_176:                             ;   in Loop: Header=BB94_109 Depth=2
	s_waitcnt lgkmcnt(0)
	v_mov_b32_e32 v17, 0
	s_and_not1_b32 vcc_lo, exec_lo, s66
	s_cbranch_vccnz .LBB94_178
; %bb.177:                              ;   in Loop: Header=BB94_109 Depth=2
	s_mov_b32 s61, s65
	s_delay_alu instid0(SALU_CYCLE_1) | instskip(NEXT) | instid1(SALU_CYCLE_1)
	s_lshl_b64 s[46:47], s[60:61], 1
	s_add_u32 s46, s76, s46
	s_addc_u32 s47, s77, s47
	global_load_u16 v16, v21, s[46:47]
	s_waitcnt vmcnt(0)
	v_cvt_f32_f16_e32 v17, v16
.LBB94_178:                             ;   in Loop: Header=BB94_109 Depth=2
	v_mov_b32_e32 v16, 1.0
.LBB94_179:                             ;   in Loop: Header=BB94_109 Depth=2
	v_mul_f32_e32 v164, 0x3fb8aa3b, v142
	s_waitcnt lgkmcnt(19)
	v_lshrrev_b32_e32 v144, 16, v13
	v_lshrrev_b32_e32 v145, 16, v14
	v_cvt_f32_f16_e32 v13, v13
	v_cvt_f32_f16_e64 v152, v14
	v_mul_f32_e32 v14, v164, v90
	v_lshrrev_b32_e32 v143, 16, v12
	v_lshrrev_b32_e32 v146, 16, v15
	v_mul_f32_e32 v13, v139, v13
	v_cvt_f32_f16_e32 v12, v12
	v_cmp_gt_f32_e32 vcc_lo, 0xc2fc0000, v14
	v_cvt_f32_f16_e64 v153, v15
	v_mul_f32_e32 v15, v164, v91
	v_cvt_f32_f16_e64 v151, v144
	v_mul_f32_e32 v12, v141, v12
	v_cndmask_b32_e64 v14, 0, 0x42800000, vcc_lo
	v_mul_f32_e32 v142, v164, v92
	v_cmp_gt_f32_e64 s46, 0xc2fc0000, v15
	v_cndmask_b32_e64 v144, 1.0, 0x1f800000, vcc_lo
	s_waitcnt lgkmcnt(18)
	v_lshrrev_b32_e32 v147, 16, v8
	v_fmac_f32_e32 v14, v164, v90
	v_cvt_f32_f16_e64 v143, v143
	v_cndmask_b32_e64 v15, 0, 0x42800000, s46
	v_cvt_f32_f16_e64 v154, v146
	v_cmp_gt_f32_e32 vcc_lo, 0xc2fc0000, v142
	v_exp_f32_e32 v14, v14
	v_mul_f32_e32 v142, v164, v93
	v_fmac_f32_e32 v15, v164, v91
	v_cvt_f32_f16_e64 v155, v147
	v_cndmask_b32_e64 v147, 0, 0x42800000, vcc_lo
	v_lshrrev_b32_e32 v148, 16, v9
	v_lshrrev_b32_e32 v149, 16, v10
	;; [unrolled: 1-line block ×3, first 2 shown]
	v_cvt_f32_f16_e32 v9, v9
	v_cvt_f32_f16_e32 v8, v8
	v_mul_f32_e32 v14, v14, v144
	v_exp_f32_e32 v146, v15
	v_cndmask_b32_e64 v15, 0, v12, s29
	v_cndmask_b32_e64 v12, 1.0, 0x1f800000, s46
	v_cmp_gt_f32_e64 s46, 0xc2fc0000, v142
	v_cndmask_b32_e64 v142, 1.0, v14, s29
	v_mul_f32_e32 v14, v140, v143
	v_cvt_f32_f16_e64 v160, v148
	v_cvt_f32_f16_e64 v162, v149
	v_cndmask_b32_e64 v144, 0, 0x42800000, s46
	v_cvt_f32_f16_e64 v167, v150
	v_mul_f32_e32 v143, v146, v12
	v_cndmask_b32_e64 v12, 0, v14, s30
	v_cndmask_b32_e64 v14, 1.0, 0x1f800000, vcc_lo
	v_fmac_f32_e32 v147, v164, v92
	v_fmac_f32_e32 v144, v164, v93
	v_dual_mul_f32 v149, v164, v95 :: v_dual_mul_f32 v154, v134, v154
	v_dual_mul_f32 v150, v164, v96 :: v_dual_mul_f32 v9, v131, v9
	s_delay_alu instid0(VALU_DEP_4)
	v_exp_f32_e32 v146, v147
	v_mul_f32_e32 v147, v164, v94
	v_exp_f32_e32 v148, v144
	v_cndmask_b32_e64 v144, 1.0, v143, s30
	v_cndmask_b32_e64 v143, 1.0, 0x1f800000, s46
	v_cmp_gt_f32_e64 s46, 0xc2fc0000, v149
	v_cvt_f32_f16_e32 v10, v10
	v_cvt_f32_f16_e32 v11, v11
	v_mul_f32_e32 v165, v164, v102
	s_delay_alu instid0(TRANS32_DEP_2) | instskip(SKIP_1) | instid1(TRANS32_DEP_1)
	v_dual_mul_f32 v155, v132, v155 :: v_dual_mul_f32 v14, v146, v14
	v_cndmask_b32_e64 v149, 0, 0x42800000, s46
	v_dual_mul_f32 v143, v148, v143 :: v_dual_mul_f32 v10, v129, v10
	v_cndmask_b32_e64 v13, 0, v13, s31
	s_delay_alu instid0(VALU_DEP_4)
	v_cndmask_b32_e64 v146, 1.0, v14, s31
	v_mul_f32_e32 v14, v138, v151
	v_cmp_gt_f32_e32 vcc_lo, 0xc2fc0000, v147
	v_cndmask_b32_e64 v148, 1.0, v143, s33
	v_dual_fmac_f32 v149, v164, v95 :: v_dual_mul_f32 v8, v133, v8
	v_mul_f32_e32 v151, v164, v97
	v_cndmask_b32_e64 v147, 0, 0x42800000, vcc_lo
	v_cndmask_b32_e64 v143, 1.0, 0x1f800000, vcc_lo
	v_cmp_gt_f32_e32 vcc_lo, 0xc2fc0000, v150
	v_exp_f32_e32 v149, v149
	v_cmp_gt_f32_e64 s47, 0xc2fc0000, v151
	v_fmac_f32_e32 v147, v164, v94
	v_mul_f32_e32 v158, v164, v99
	v_cndmask_b32_e64 v150, 0, 0x42800000, vcc_lo
	v_cvt_f32_f16_e64 v145, v145
	v_cndmask_b32_e64 v151, 0, 0x42800000, s47
	v_exp_f32_e32 v147, v147
	v_cndmask_b32_e64 v14, 0, v14, s33
	v_dual_fmac_f32 v150, v164, v96 :: v_dual_mul_f32 v11, v127, v11
	s_delay_alu instid0(VALU_DEP_3) | instskip(SKIP_2) | instid1(VALU_DEP_4)
	v_fmac_f32_e32 v151, v164, v97
	v_mul_f32_e32 v166, v164, v103
	v_mul_f32_e32 v162, v128, v162
	v_exp_f32_e32 v156, v150
	s_delay_alu instid0(TRANS32_DEP_2)
	v_mul_f32_e32 v147, v147, v143
	v_mul_f32_e32 v143, v137, v152
	v_cndmask_b32_e64 v152, 1.0, 0x1f800000, s46
	v_cmp_gt_f32_e64 s46, 0xc2fc0000, v158
	v_mul_f32_e32 v158, v164, v101
	v_cndmask_b32_e64 v150, 1.0, v147, s34
	v_cndmask_b32_e64 v143, 0, v143, s34
	v_mul_f32_e32 v147, v149, v152
	v_cndmask_b32_e64 v149, 1.0, 0x1f800000, vcc_lo
	v_exp_f32_e32 v152, v151
	v_cndmask_b32_e64 v162, 0, v162, s43
	s_delay_alu instid0(VALU_DEP_3) | instskip(NEXT) | instid1(VALU_DEP_3)
	v_cndmask_b32_e64 v151, 1.0, v147, s35
	v_mul_f32_e32 v149, v156, v149
	v_mul_f32_e32 v147, v135, v153
	v_cndmask_b32_e64 v156, 1.0, 0x1f800000, s47
	s_delay_alu instid0(VALU_DEP_3)
	v_cndmask_b32_e64 v153, 1.0, v149, s36
	v_mul_f32_e32 v157, v164, v98
	v_cndmask_b32_e64 v149, 0, v154, s37
	v_mul_f32_e32 v154, v164, v100
	v_mul_f32_e32 v152, v152, v156
	v_cndmask_b32_e64 v147, 0, v147, s36
	v_cmp_gt_f32_e32 vcc_lo, 0xc2fc0000, v157
	s_delay_alu instid0(VALU_DEP_4) | instskip(NEXT) | instid1(VALU_DEP_4)
	v_cmp_gt_f32_e64 s47, 0xc2fc0000, v154
	v_cndmask_b32_e64 v156, 1.0, v152, s37
	v_cndmask_b32_e64 v157, 0, 0x42800000, vcc_lo
	v_cndmask_b32_e64 v159, 1.0, 0x1f800000, vcc_lo
	s_delay_alu instid0(VALU_DEP_4) | instskip(SKIP_1) | instid1(VALU_DEP_4)
	v_cndmask_b32_e64 v154, 0, 0x42800000, s47
	v_cmp_gt_f32_e32 vcc_lo, 0xc2fc0000, v158
	v_fmac_f32_e32 v157, v164, v98
	s_delay_alu instid0(VALU_DEP_3) | instskip(SKIP_1) | instid1(VALU_DEP_3)
	v_fmac_f32_e32 v154, v164, v100
	v_cndmask_b32_e64 v158, 0, 0x42800000, vcc_lo
	v_exp_f32_e32 v152, v157
	v_cndmask_b32_e64 v157, 0, 0x42800000, s46
	s_delay_alu instid0(VALU_DEP_2) | instskip(NEXT) | instid1(VALU_DEP_2)
	v_fmac_f32_e32 v158, v164, v101
	v_fmac_f32_e32 v157, v164, v99
	s_delay_alu instid0(VALU_DEP_2) | instskip(NEXT) | instid1(VALU_DEP_1)
	v_exp_f32_e32 v163, v158
	v_exp_f32_e32 v161, v157
	s_delay_alu instid0(TRANS32_DEP_3)
	v_mul_f32_e32 v157, v152, v159
	v_cndmask_b32_e64 v152, 0, v8, s38
	v_exp_f32_e32 v8, v154
	v_cndmask_b32_e64 v154, 1.0, 0x1f800000, s46
	v_cndmask_b32_e64 v159, 1.0, 0x1f800000, s47
	v_cmp_gt_f32_e64 s46, 0xc2fc0000, v166
	v_cndmask_b32_e64 v157, 1.0, v157, s38
	s_delay_alu instid0(TRANS32_DEP_2) | instid1(VALU_DEP_4)
	v_mul_f32_e32 v158, v161, v154
	v_cndmask_b32_e64 v161, 1.0, 0x1f800000, vcc_lo
	v_cmp_gt_f32_e32 vcc_lo, 0xc2fc0000, v165
	s_delay_alu instid0(TRANS32_DEP_1)
	v_mul_f32_e32 v8, v8, v159
	v_cndmask_b32_e64 v154, 0, v155, s39
	v_cndmask_b32_e64 v155, 0, v9, s40
	v_mul_f32_e32 v9, v130, v160
	v_fma_f32 v165, v144, v15, v12
	v_cndmask_b32_e64 v159, 1.0, v8, s40
	v_mul_f32_e32 v8, v163, v161
	v_cndmask_b32_e64 v161, 0, 0x42800000, vcc_lo
	v_mul_f32_e32 v163, v144, v142
	v_cndmask_b32_e64 v160, 0, v9, s41
	v_cndmask_b32_e64 v158, 1.0, v158, s39
	v_cndmask_b32_e64 v166, 1.0, v8, s41
	v_fmac_f32_e32 v161, v164, v102
	v_mul_f32_e32 v9, v163, v146
	v_fma_f32 v163, v165, v146, v13
	v_cndmask_b32_e64 v8, 1.0, 0x1f800000, vcc_lo
	v_cndmask_b32_e64 v165, 0, 0x42800000, s46
	v_exp_f32_e32 v161, v161
	v_mul_f32_e32 v145, v136, v145
	v_mul_f32_e32 v9, v9, v148
	v_fma_f32 v163, v163, v148, v14
	v_fmac_f32_e32 v165, v164, v103
	s_delay_alu instid0(VALU_DEP_3) | instskip(NEXT) | instid1(VALU_DEP_3)
	v_mul_f32_e32 v9, v9, v150
	v_fma_f32 v163, v163, v150, v143
	s_delay_alu instid0(VALU_DEP_3) | instskip(NEXT) | instid1(TRANS32_DEP_2)
	v_exp_f32_e32 v165, v165
	v_mul_f32_e32 v8, v161, v8
	v_cndmask_b32_e64 v145, 0, v145, s35
	v_mul_f32_e32 v9, v9, v151
	v_cndmask_b32_e64 v161, 0, v10, s42
	v_cndmask_b32_e64 v10, 1.0, 0x1f800000, s46
	s_delay_alu instid0(VALU_DEP_4)
	v_fma_f32 v168, v163, v151, v145
	v_cndmask_b32_e64 v163, 1.0, v8, s42
	v_mul_f32_e32 v8, v9, v153
	s_delay_alu instid0(TRANS32_DEP_1) | instid1(VALU_DEP_4)
	v_mul_f32_e32 v10, v165, v10
	s_delay_alu instid0(VALU_DEP_4) | instskip(SKIP_1) | instid1(VALU_DEP_4)
	v_fma_f32 v9, v168, v153, v147
	v_mul_f32_e32 v168, v164, v104
	v_mul_f32_e32 v8, v8, v156
	s_delay_alu instid0(VALU_DEP_3) | instskip(NEXT) | instid1(VALU_DEP_3)
	v_fma_f32 v9, v9, v156, v149
	v_cmp_gt_f32_e32 vcc_lo, 0xc2fc0000, v168
	v_mul_f32_e32 v168, v164, v111
	s_delay_alu instid0(VALU_DEP_4) | instskip(NEXT) | instid1(VALU_DEP_4)
	v_mul_f32_e32 v8, v8, v157
	v_fma_f32 v9, v9, v157, v152
	v_cndmask_b32_e64 v165, 0, 0x42800000, vcc_lo
	s_delay_alu instid0(VALU_DEP_4) | instskip(NEXT) | instid1(VALU_DEP_4)
	v_cmp_gt_f32_e64 s46, 0xc2fc0000, v168
	v_mul_f32_e32 v8, v8, v158
	s_delay_alu instid0(VALU_DEP_4) | instskip(NEXT) | instid1(VALU_DEP_4)
	v_fma_f32 v9, v9, v158, v154
	v_fmac_f32_e32 v165, v164, v104
	s_delay_alu instid0(VALU_DEP_4) | instskip(NEXT) | instid1(VALU_DEP_4)
	v_cndmask_b32_e64 v168, 0, 0x42800000, s46
	v_mul_f32_e32 v8, v8, v159
	s_delay_alu instid0(VALU_DEP_4) | instskip(NEXT) | instid1(VALU_DEP_4)
	v_fma_f32 v9, v9, v159, v155
	v_exp_f32_e32 v169, v165
	s_delay_alu instid0(VALU_DEP_3)
	v_fmac_f32_e32 v168, v164, v111
	v_cndmask_b32_e64 v165, 1.0, v10, s43
	v_cndmask_b32_e64 v10, 1.0, 0x1f800000, vcc_lo
	v_mul_f32_e32 v8, v8, v166
	v_fma_f32 v9, v9, v166, v160
	v_exp_f32_e32 v170, v168
	v_cndmask_b32_e64 v164, 0, v11, s44
	v_cndmask_b32_e64 v11, 1.0, 0x1f800000, s46
	v_mul_f32_e32 v8, v8, v163
	v_mul_f32_e32 v10, v169, v10
	v_fma_f32 v9, v9, v163, v161
	s_delay_alu instid0(VALU_DEP_3) | instskip(NEXT) | instid1(VALU_DEP_3)
	v_mul_f32_e32 v8, v8, v165
	v_cndmask_b32_e64 v168, 1.0, v10, s44
	v_mul_f32_e32 v10, v122, v167
	s_delay_alu instid0(TRANS32_DEP_1) | instskip(SKIP_1) | instid1(VALU_DEP_4)
	v_mul_f32_e32 v11, v170, v11
	v_fma_f32 v9, v9, v165, v162
	v_mul_f32_e32 v8, v8, v168
	s_delay_alu instid0(VALU_DEP_4) | instskip(NEXT) | instid1(VALU_DEP_4)
	v_cndmask_b32_e64 v167, 0, v10, s45
	v_cndmask_b32_e64 v169, 1.0, v11, s45
	s_delay_alu instid0(VALU_DEP_4) | instskip(NEXT) | instid1(VALU_DEP_2)
	v_fma_f32 v9, v9, v168, v164
	v_mul_f32_e32 v8, v8, v169
	s_delay_alu instid0(VALU_DEP_2) | instskip(NEXT) | instid1(VALU_DEP_2)
	v_fma_f32 v9, v9, v169, v167
	v_mov_b32_dpp v11, v8 row_shr:1 row_mask:0xf bank_mask:0xf
	s_delay_alu instid0(VALU_DEP_2)
	v_mov_b32_dpp v10, v9 row_shr:1 row_mask:0xf bank_mask:0xf
	s_and_saveexec_b32 s46, s0
; %bb.180:                              ;   in Loop: Header=BB94_109 Depth=2
	s_delay_alu instid0(VALU_DEP_2) | instskip(NEXT) | instid1(VALU_DEP_1)
	v_mul_f32_e32 v11, v8, v11
	v_dual_fmac_f32 v9, v8, v10 :: v_dual_mov_b32 v8, v11
; %bb.181:                              ;   in Loop: Header=BB94_109 Depth=2
	s_or_b32 exec_lo, exec_lo, s46
	s_delay_alu instid0(VALU_DEP_1) | instskip(NEXT) | instid1(VALU_DEP_2)
	v_mov_b32_dpp v10, v8 row_shr:2 row_mask:0xf bank_mask:0xf
	v_mov_b32_dpp v11, v9 row_shr:2 row_mask:0xf bank_mask:0xf
	s_and_saveexec_b32 s46, s1
; %bb.182:                              ;   in Loop: Header=BB94_109 Depth=2
	s_delay_alu instid0(VALU_DEP_1) | instskip(NEXT) | instid1(VALU_DEP_3)
	v_fmac_f32_e32 v9, v8, v11
	v_mul_f32_e32 v8, v8, v10
; %bb.183:                              ;   in Loop: Header=BB94_109 Depth=2
	s_or_b32 exec_lo, exec_lo, s46
	s_delay_alu instid0(VALU_DEP_1) | instskip(NEXT) | instid1(VALU_DEP_3)
	v_mov_b32_dpp v10, v8 row_shr:4 row_mask:0xf bank_mask:0xf
	v_mov_b32_dpp v11, v9 row_shr:4 row_mask:0xf bank_mask:0xf
	s_and_saveexec_b32 s46, s2
; %bb.184:                              ;   in Loop: Header=BB94_109 Depth=2
	s_delay_alu instid0(VALU_DEP_1) | instskip(NEXT) | instid1(VALU_DEP_3)
	v_fmac_f32_e32 v9, v8, v11
	v_mul_f32_e32 v8, v8, v10
; %bb.185:                              ;   in Loop: Header=BB94_109 Depth=2
	s_or_b32 exec_lo, exec_lo, s46
	s_delay_alu instid0(VALU_DEP_1) | instskip(NEXT) | instid1(VALU_DEP_3)
	v_mov_b32_dpp v10, v8 row_shr:8 row_mask:0xf bank_mask:0xf
	v_mov_b32_dpp v11, v9 row_shr:8 row_mask:0xf bank_mask:0xf
	s_and_saveexec_b32 s46, s3
; %bb.186:                              ;   in Loop: Header=BB94_109 Depth=2
	s_delay_alu instid0(VALU_DEP_1) | instskip(NEXT) | instid1(VALU_DEP_3)
	v_fmac_f32_e32 v9, v8, v11
	v_mul_f32_e32 v8, v8, v10
; %bb.187:                              ;   in Loop: Header=BB94_109 Depth=2
	s_or_b32 exec_lo, exec_lo, s46
	ds_swizzle_b32 v11, v8 offset:swizzle(BROADCAST,32,15)
	ds_swizzle_b32 v10, v9 offset:swizzle(BROADCAST,32,15)
	s_and_saveexec_b32 s46, s4
	s_cbranch_execz .LBB94_189
; %bb.188:                              ;   in Loop: Header=BB94_109 Depth=2
	s_waitcnt lgkmcnt(1)
	v_mul_f32_e32 v11, v8, v11
	s_waitcnt lgkmcnt(0)
	s_delay_alu instid0(VALU_DEP_1)
	v_dual_fmac_f32 v9, v8, v10 :: v_dual_mov_b32 v8, v11
.LBB94_189:                             ;   in Loop: Header=BB94_109 Depth=2
	s_or_b32 exec_lo, exec_lo, s46
	s_and_saveexec_b32 s46, s5
	s_cbranch_execz .LBB94_191
; %bb.190:                              ;   in Loop: Header=BB94_109 Depth=2
	ds_store_b64 v69, v[8:9] offset:8448
.LBB94_191:                             ;   in Loop: Header=BB94_109 Depth=2
	s_or_b32 exec_lo, exec_lo, s46
	s_waitcnt lgkmcnt(0)
	s_waitcnt_vscnt null, 0x0
	s_barrier
	buffer_gl0_inv
	s_and_saveexec_b32 s46, s6
	s_cbranch_execz .LBB94_195
; %bb.192:                              ;   in Loop: Header=BB94_109 Depth=2
	ds_load_b64 v[10:11], v70 offset:8448
	s_waitcnt lgkmcnt(0)
	v_mov_b32_dpp v172, v10 row_shr:1 row_mask:0xf bank_mask:0xf
	v_mov_b32_dpp v171, v11 row_shr:1 row_mask:0xf bank_mask:0xf
	v_mov_b32_e32 v170, v10
	s_and_saveexec_b32 s47, s7
; %bb.193:                              ;   in Loop: Header=BB94_109 Depth=2
	s_delay_alu instid0(VALU_DEP_3) | instskip(NEXT) | instid1(VALU_DEP_3)
	v_mul_f32_e32 v170, v10, v172
	v_fmac_f32_e32 v11, v10, v171
	s_delay_alu instid0(VALU_DEP_2)
	v_mov_b32_e32 v10, v170
; %bb.194:                              ;   in Loop: Header=BB94_109 Depth=2
	s_or_b32 exec_lo, exec_lo, s47
	v_mov_b32_dpp v170, v170 row_shr:2 row_mask:0xf bank_mask:0xf
	s_delay_alu instid0(VALU_DEP_3) | instskip(NEXT) | instid1(VALU_DEP_2)
	v_mov_b32_dpp v171, v11 row_shr:2 row_mask:0xf bank_mask:0xf
	v_mul_f32_e32 v170, v10, v170
	s_delay_alu instid0(VALU_DEP_2) | instskip(NEXT) | instid1(VALU_DEP_2)
	v_fma_f32 v171, v10, v171, v11
	v_cndmask_b32_e64 v10, v10, v170, s8
	s_delay_alu instid0(VALU_DEP_2)
	v_cndmask_b32_e64 v11, v11, v171, s8
	ds_store_b64 v70, v[10:11] offset:8448
.LBB94_195:                             ;   in Loop: Header=BB94_109 Depth=2
	s_or_b32 exec_lo, exec_lo, s46
	s_waitcnt lgkmcnt(0)
	s_barrier
	buffer_gl0_inv
                                        ; implicit-def: $vgpr11
	s_and_saveexec_b32 s46, s10
	s_cbranch_execz .LBB94_197
; %bb.196:                              ;   in Loop: Header=BB94_109 Depth=2
	ds_load_b64 v[10:11], v69 offset:8440
	s_waitcnt lgkmcnt(0)
	v_mul_f32_e32 v170, v8, v10
	s_delay_alu instid0(VALU_DEP_1)
	v_dual_fmac_f32 v9, v8, v11 :: v_dual_mov_b32 v8, v170
.LBB94_197:                             ;   in Loop: Header=BB94_109 Depth=2
	s_or_b32 exec_lo, exec_lo, s46
	ds_bpermute_b32 v170, v71, v8
	ds_bpermute_b32 v171, v71, v9
	s_and_saveexec_b32 s46, s9
	s_cbranch_execz .LBB94_201
; %bb.198:                              ;   in Loop: Header=BB94_109 Depth=2
	ds_load_b64 v[8:9], v21 offset:8472
	s_and_saveexec_b32 s47, s11
	s_cbranch_execz .LBB94_200
; %bb.199:                              ;   in Loop: Header=BB94_109 Depth=2
	ds_store_b64 v21, v[16:17] offset:8472
.LBB94_200:                             ;   in Loop: Header=BB94_109 Depth=2
	s_or_b32 exec_lo, exec_lo, s47
	s_waitcnt lgkmcnt(0)
	v_fmac_f32_e32 v9, v17, v8
	s_delay_alu instid0(VALU_DEP_1)
	v_dual_mul_f32 v16, v16, v8 :: v_dual_mov_b32 v17, v9
.LBB94_201:                             ;   in Loop: Header=BB94_109 Depth=2
	s_or_b32 exec_lo, exec_lo, s46
	s_waitcnt lgkmcnt(0)
	s_barrier
	buffer_gl0_inv
	ds_load_b32 v8, v21 offset:8476
	s_and_saveexec_b32 s46, s11
	s_cbranch_execz .LBB94_108
; %bb.202:                              ;   in Loop: Header=BB94_109 Depth=2
	v_mov_b32_e32 v9, s89
	s_and_not1_b32 vcc_lo, exec_lo, s87
	ds_store_b64 v9, v[16:17]
	s_cbranch_vccnz .LBB94_108
; %bb.203:                              ;   in Loop: Header=BB94_109 Depth=2
	s_mov_b32 s61, s65
	v_cvt_f16_f32_e32 v9, v17
	s_lshl_b64 s[90:91], s[60:61], 1
	s_delay_alu instid0(SALU_CYCLE_1)
	s_add_u32 s90, s76, s90
	s_addc_u32 s91, s77, s91
	global_store_b16 v21, v9, s[90:91]
	s_branch .LBB94_108
.LBB94_204:                             ;   in Loop: Header=BB94_12 Depth=1
	v_cvt_f16_f32_e32 v0, v121
	v_cvt_f16_f32_e32 v4, v120
	;; [unrolled: 1-line block ×16, first 2 shown]
	v_pack_b32_f16 v3, v3, v7
	v_pack_b32_f16 v2, v2, v6
	;; [unrolled: 1-line block ×8, first 2 shown]
	s_waitcnt_vscnt null, 0x0
	s_barrier
	buffer_gl0_inv
	ds_store_b128 v52, v[0:3]
	ds_store_b128 v52, v[4:7] offset:16
	; wave barrier
	ds_load_u16 v16, v37 offset:64
	ds_load_u16 v15, v38 offset:128
	;; [unrolled: 1-line block ×15, first 2 shown]
	s_mov_b32 s51, s65
	s_delay_alu instid0(SALU_CYCLE_1) | instskip(NEXT) | instid1(SALU_CYCLE_1)
	s_lshl_b64 s[30:31], s[50:51], 1
	v_add_co_u32 v0, vcc_lo, v72, s30
	v_add_co_ci_u32_e32 v1, vcc_lo, s31, v73, vcc_lo
	s_and_saveexec_b32 s29, s13
	s_cbranch_execnz .LBB94_222
; %bb.205:                              ;   in Loop: Header=BB94_12 Depth=1
	s_or_b32 exec_lo, exec_lo, s29
	s_and_saveexec_b32 s13, s14
	s_cbranch_execnz .LBB94_223
.LBB94_206:                             ;   in Loop: Header=BB94_12 Depth=1
	s_or_b32 exec_lo, exec_lo, s13
	s_and_saveexec_b32 s13, s15
	s_cbranch_execnz .LBB94_224
.LBB94_207:                             ;   in Loop: Header=BB94_12 Depth=1
	s_or_b32 exec_lo, exec_lo, s13
	s_and_saveexec_b32 s13, s16
	s_cbranch_execnz .LBB94_225
.LBB94_208:                             ;   in Loop: Header=BB94_12 Depth=1
	s_or_b32 exec_lo, exec_lo, s13
	s_and_saveexec_b32 s13, s17
	s_cbranch_execnz .LBB94_226
.LBB94_209:                             ;   in Loop: Header=BB94_12 Depth=1
	s_or_b32 exec_lo, exec_lo, s13
	s_and_saveexec_b32 s13, s18
	s_cbranch_execnz .LBB94_227
.LBB94_210:                             ;   in Loop: Header=BB94_12 Depth=1
	s_or_b32 exec_lo, exec_lo, s13
	s_and_saveexec_b32 s13, s19
	s_cbranch_execnz .LBB94_228
.LBB94_211:                             ;   in Loop: Header=BB94_12 Depth=1
	s_or_b32 exec_lo, exec_lo, s13
	s_and_saveexec_b32 s13, s20
	s_cbranch_execnz .LBB94_229
.LBB94_212:                             ;   in Loop: Header=BB94_12 Depth=1
	s_or_b32 exec_lo, exec_lo, s13
	s_and_saveexec_b32 s13, s21
	s_cbranch_execnz .LBB94_230
.LBB94_213:                             ;   in Loop: Header=BB94_12 Depth=1
	s_or_b32 exec_lo, exec_lo, s13
	s_and_saveexec_b32 s13, s22
	s_cbranch_execnz .LBB94_231
.LBB94_214:                             ;   in Loop: Header=BB94_12 Depth=1
	s_or_b32 exec_lo, exec_lo, s13
	s_and_saveexec_b32 s13, s23
	s_cbranch_execnz .LBB94_232
.LBB94_215:                             ;   in Loop: Header=BB94_12 Depth=1
	s_or_b32 exec_lo, exec_lo, s13
	s_and_saveexec_b32 s13, s24
	s_cbranch_execnz .LBB94_233
.LBB94_216:                             ;   in Loop: Header=BB94_12 Depth=1
	s_or_b32 exec_lo, exec_lo, s13
	s_and_saveexec_b32 s13, s25
	s_cbranch_execnz .LBB94_234
.LBB94_217:                             ;   in Loop: Header=BB94_12 Depth=1
	s_or_b32 exec_lo, exec_lo, s13
	s_and_saveexec_b32 s13, s26
	s_cbranch_execnz .LBB94_235
.LBB94_218:                             ;   in Loop: Header=BB94_12 Depth=1
	s_or_b32 exec_lo, exec_lo, s13
	s_and_saveexec_b32 s13, s27
	s_cbranch_execnz .LBB94_236
.LBB94_219:                             ;   in Loop: Header=BB94_12 Depth=1
	s_or_b32 exec_lo, exec_lo, s13
	s_and_saveexec_b32 s13, s28
	s_cbranch_execz .LBB94_11
	s_branch .LBB94_237
.LBB94_220:                             ;   in Loop: Header=BB94_12 Depth=1
	global_load_u16 v97, v[8:9], off offset:832
	s_or_b32 exec_lo, exec_lo, s29
	s_and_saveexec_b32 s29, s27
	s_cbranch_execz .LBB94_72
.LBB94_221:                             ;   in Loop: Header=BB94_12 Depth=1
	global_load_u16 v96, v[8:9], off offset:896
	s_or_b32 exec_lo, exec_lo, s29
	v_mov_b32_e32 v98, 0
	s_and_saveexec_b32 s29, s28
	s_cbranch_execnz .LBB94_73
	s_branch .LBB94_74
.LBB94_222:                             ;   in Loop: Header=BB94_12 Depth=1
	ds_load_u16 v17, v37
	s_waitcnt lgkmcnt(0)
	global_store_b16 v[0:1], v17, off
	s_or_b32 exec_lo, exec_lo, s29
	s_and_saveexec_b32 s13, s14
	s_cbranch_execz .LBB94_206
.LBB94_223:                             ;   in Loop: Header=BB94_12 Depth=1
	s_waitcnt lgkmcnt(14)
	global_store_b16 v[0:1], v16, off offset:64
	s_or_b32 exec_lo, exec_lo, s13
	s_and_saveexec_b32 s13, s15
	s_cbranch_execz .LBB94_207
.LBB94_224:                             ;   in Loop: Header=BB94_12 Depth=1
	s_waitcnt lgkmcnt(13)
	global_store_b16 v[0:1], v15, off offset:128
	s_or_b32 exec_lo, exec_lo, s13
	s_and_saveexec_b32 s13, s16
	s_cbranch_execz .LBB94_208
.LBB94_225:                             ;   in Loop: Header=BB94_12 Depth=1
	s_waitcnt lgkmcnt(12)
	global_store_b16 v[0:1], v14, off offset:192
	s_or_b32 exec_lo, exec_lo, s13
	s_and_saveexec_b32 s13, s17
	s_cbranch_execz .LBB94_209
.LBB94_226:                             ;   in Loop: Header=BB94_12 Depth=1
	s_waitcnt lgkmcnt(11)
	global_store_b16 v[0:1], v13, off offset:256
	s_or_b32 exec_lo, exec_lo, s13
	s_and_saveexec_b32 s13, s18
	s_cbranch_execz .LBB94_210
.LBB94_227:                             ;   in Loop: Header=BB94_12 Depth=1
	s_waitcnt lgkmcnt(10)
	global_store_b16 v[0:1], v12, off offset:320
	s_or_b32 exec_lo, exec_lo, s13
	s_and_saveexec_b32 s13, s19
	s_cbranch_execz .LBB94_211
.LBB94_228:                             ;   in Loop: Header=BB94_12 Depth=1
	s_waitcnt lgkmcnt(9)
	global_store_b16 v[0:1], v11, off offset:384
	s_or_b32 exec_lo, exec_lo, s13
	s_and_saveexec_b32 s13, s20
	s_cbranch_execz .LBB94_212
.LBB94_229:                             ;   in Loop: Header=BB94_12 Depth=1
	s_waitcnt lgkmcnt(8)
	global_store_b16 v[0:1], v10, off offset:448
	s_or_b32 exec_lo, exec_lo, s13
	s_and_saveexec_b32 s13, s21
	s_cbranch_execz .LBB94_213
.LBB94_230:                             ;   in Loop: Header=BB94_12 Depth=1
	s_waitcnt lgkmcnt(7)
	global_store_b16 v[0:1], v9, off offset:512
	s_or_b32 exec_lo, exec_lo, s13
	s_and_saveexec_b32 s13, s22
	s_cbranch_execz .LBB94_214
.LBB94_231:                             ;   in Loop: Header=BB94_12 Depth=1
	s_waitcnt lgkmcnt(6)
	global_store_b16 v[0:1], v8, off offset:576
	s_or_b32 exec_lo, exec_lo, s13
	s_and_saveexec_b32 s13, s23
	s_cbranch_execz .LBB94_215
.LBB94_232:                             ;   in Loop: Header=BB94_12 Depth=1
	s_waitcnt lgkmcnt(5)
	global_store_b16 v[0:1], v7, off offset:640
	s_or_b32 exec_lo, exec_lo, s13
	s_and_saveexec_b32 s13, s24
	s_cbranch_execz .LBB94_216
.LBB94_233:                             ;   in Loop: Header=BB94_12 Depth=1
	s_waitcnt lgkmcnt(4)
	global_store_b16 v[0:1], v6, off offset:704
	s_or_b32 exec_lo, exec_lo, s13
	s_and_saveexec_b32 s13, s25
	s_cbranch_execz .LBB94_217
.LBB94_234:                             ;   in Loop: Header=BB94_12 Depth=1
	s_waitcnt lgkmcnt(3)
	global_store_b16 v[0:1], v5, off offset:768
	s_or_b32 exec_lo, exec_lo, s13
	s_and_saveexec_b32 s13, s26
	s_cbranch_execz .LBB94_218
.LBB94_235:                             ;   in Loop: Header=BB94_12 Depth=1
	s_waitcnt lgkmcnt(2)
	global_store_b16 v[0:1], v4, off offset:832
	s_or_b32 exec_lo, exec_lo, s13
	s_and_saveexec_b32 s13, s27
	s_cbranch_execz .LBB94_219
.LBB94_236:                             ;   in Loop: Header=BB94_12 Depth=1
	s_waitcnt lgkmcnt(1)
	global_store_b16 v[0:1], v3, off offset:896
	s_or_b32 exec_lo, exec_lo, s13
	s_and_saveexec_b32 s13, s28
	s_cbranch_execz .LBB94_11
.LBB94_237:                             ;   in Loop: Header=BB94_12 Depth=1
	s_waitcnt lgkmcnt(0)
	global_store_b16 v[0:1], v2, off offset:960
	s_branch .LBB94_11
.LBB94_238:
	s_nop 0
	s_sendmsg sendmsg(MSG_DEALLOC_VGPRS)
	s_endpgm
	.section	.rodata,"a",@progbits
	.p2align	6, 0x0
	.amdhsa_kernel _Z25selective_scan_fwd_kernelI32Selective_Scan_fwd_kernel_traitsILi128ELi16ELi1ELb0ELb1ELb1ELb0ELb1EN3c104HalfEfS2_EEv13SSMParamsBase
		.amdhsa_group_segment_fixed_size 0
		.amdhsa_private_segment_fixed_size 0
		.amdhsa_kernarg_size 248
		.amdhsa_user_sgpr_count 14
		.amdhsa_user_sgpr_dispatch_ptr 0
		.amdhsa_user_sgpr_queue_ptr 0
		.amdhsa_user_sgpr_kernarg_segment_ptr 1
		.amdhsa_user_sgpr_dispatch_id 0
		.amdhsa_user_sgpr_private_segment_size 0
		.amdhsa_wavefront_size32 1
		.amdhsa_uses_dynamic_stack 0
		.amdhsa_enable_private_segment 0
		.amdhsa_system_sgpr_workgroup_id_x 1
		.amdhsa_system_sgpr_workgroup_id_y 1
		.amdhsa_system_sgpr_workgroup_id_z 0
		.amdhsa_system_sgpr_workgroup_info 0
		.amdhsa_system_vgpr_workitem_id 0
		.amdhsa_next_free_vgpr 173
		.amdhsa_next_free_sgpr 92
		.amdhsa_reserve_vcc 1
		.amdhsa_float_round_mode_32 0
		.amdhsa_float_round_mode_16_64 0
		.amdhsa_float_denorm_mode_32 3
		.amdhsa_float_denorm_mode_16_64 3
		.amdhsa_dx10_clamp 1
		.amdhsa_ieee_mode 1
		.amdhsa_fp16_overflow 0
		.amdhsa_workgroup_processor_mode 1
		.amdhsa_memory_ordered 1
		.amdhsa_forward_progress 0
		.amdhsa_shared_vgpr_count 0
		.amdhsa_exception_fp_ieee_invalid_op 0
		.amdhsa_exception_fp_denorm_src 0
		.amdhsa_exception_fp_ieee_div_zero 0
		.amdhsa_exception_fp_ieee_overflow 0
		.amdhsa_exception_fp_ieee_underflow 0
		.amdhsa_exception_fp_ieee_inexact 0
		.amdhsa_exception_int_div_zero 0
	.end_amdhsa_kernel
	.section	.text._Z25selective_scan_fwd_kernelI32Selective_Scan_fwd_kernel_traitsILi128ELi16ELi1ELb0ELb1ELb1ELb0ELb1EN3c104HalfEfS2_EEv13SSMParamsBase,"axG",@progbits,_Z25selective_scan_fwd_kernelI32Selective_Scan_fwd_kernel_traitsILi128ELi16ELi1ELb0ELb1ELb1ELb0ELb1EN3c104HalfEfS2_EEv13SSMParamsBase,comdat
.Lfunc_end94:
	.size	_Z25selective_scan_fwd_kernelI32Selective_Scan_fwd_kernel_traitsILi128ELi16ELi1ELb0ELb1ELb1ELb0ELb1EN3c104HalfEfS2_EEv13SSMParamsBase, .Lfunc_end94-_Z25selective_scan_fwd_kernelI32Selective_Scan_fwd_kernel_traitsILi128ELi16ELi1ELb0ELb1ELb1ELb0ELb1EN3c104HalfEfS2_EEv13SSMParamsBase
                                        ; -- End function
	.section	.AMDGPU.csdata,"",@progbits
; Kernel info:
; codeLenInByte = 21484
; NumSgprs: 94
; NumVgprs: 173
; ScratchSize: 0
; MemoryBound: 0
; FloatMode: 240
; IeeeMode: 1
; LDSByteSize: 0 bytes/workgroup (compile time only)
; SGPRBlocks: 11
; VGPRBlocks: 21
; NumSGPRsForWavesPerEU: 94
; NumVGPRsForWavesPerEU: 173
; Occupancy: 8
; WaveLimiterHint : 1
; COMPUTE_PGM_RSRC2:SCRATCH_EN: 0
; COMPUTE_PGM_RSRC2:USER_SGPR: 14
; COMPUTE_PGM_RSRC2:TRAP_HANDLER: 0
; COMPUTE_PGM_RSRC2:TGID_X_EN: 1
; COMPUTE_PGM_RSRC2:TGID_Y_EN: 1
; COMPUTE_PGM_RSRC2:TGID_Z_EN: 0
; COMPUTE_PGM_RSRC2:TIDIG_COMP_CNT: 0
	.section	.text._Z25selective_scan_fwd_kernelI32Selective_Scan_fwd_kernel_traitsILi128ELi16ELi1ELb0ELb1ELb1ELb0ELb0EN3c104HalfEfS2_EEv13SSMParamsBase,"axG",@progbits,_Z25selective_scan_fwd_kernelI32Selective_Scan_fwd_kernel_traitsILi128ELi16ELi1ELb0ELb1ELb1ELb0ELb0EN3c104HalfEfS2_EEv13SSMParamsBase,comdat
	.protected	_Z25selective_scan_fwd_kernelI32Selective_Scan_fwd_kernel_traitsILi128ELi16ELi1ELb0ELb1ELb1ELb0ELb0EN3c104HalfEfS2_EEv13SSMParamsBase ; -- Begin function _Z25selective_scan_fwd_kernelI32Selective_Scan_fwd_kernel_traitsILi128ELi16ELi1ELb0ELb1ELb1ELb0ELb0EN3c104HalfEfS2_EEv13SSMParamsBase
	.globl	_Z25selective_scan_fwd_kernelI32Selective_Scan_fwd_kernel_traitsILi128ELi16ELi1ELb0ELb1ELb1ELb0ELb0EN3c104HalfEfS2_EEv13SSMParamsBase
	.p2align	8
	.type	_Z25selective_scan_fwd_kernelI32Selective_Scan_fwd_kernel_traitsILi128ELi16ELi1ELb0ELb1ELb1ELb0ELb0EN3c104HalfEfS2_EEv13SSMParamsBase,@function
_Z25selective_scan_fwd_kernelI32Selective_Scan_fwd_kernel_traitsILi128ELi16ELi1ELb0ELb1ELb1ELb0ELb0EN3c104HalfEfS2_EEv13SSMParamsBase: ; @_Z25selective_scan_fwd_kernelI32Selective_Scan_fwd_kernel_traitsILi128ELi16ELi1ELb0ELb1ELb1ELb0ELb0EN3c104HalfEfS2_EEv13SSMParamsBase
; %bb.0:
	s_clause 0x1
	s_load_b32 s9, s[0:1], 0x18
	s_load_b128 s[4:7], s[0:1], 0xe8
	s_mov_b32 s12, s15
	s_mov_b32 s68, 0
	s_waitcnt lgkmcnt(0)
	s_abs_i32 s8, s9
	s_cmp_eq_u64 s[6:7], 0
	v_cvt_f32_u32_e32 v1, s8
	s_delay_alu instid0(VALU_DEP_1) | instskip(SKIP_2) | instid1(VALU_DEP_1)
	v_rcp_iflag_f32_e32 v1, v1
	s_waitcnt_depctr 0xfff
	v_mul_f32_e32 v1, 0x4f7ffffe, v1
	v_cvt_u32_f32_e32 v1, v1
	s_delay_alu instid0(VALU_DEP_1)
	v_readfirstlane_b32 s10, v1
	s_cbranch_scc1 .LBB95_2
; %bb.1:
	v_mov_b32_e32 v1, 0
	s_ashr_i32 s3, s14, 31
	s_add_u32 s2, s6, s14
	s_addc_u32 s3, s7, s3
	global_load_u8 v1, v1, s[2:3]
	s_waitcnt vmcnt(0)
	v_and_b32_e32 v1, 1, v1
	s_delay_alu instid0(VALU_DEP_1)
	v_cmp_eq_u32_e64 s68, 1, v1
.LBB95_2:
	s_load_b64 s[6:7], s[0:1], 0x20
	s_cmp_eq_u64 s[4:5], 0
	s_cbranch_scc1 .LBB95_4
; %bb.3:
	s_ashr_i32 s15, s14, 31
	s_delay_alu instid0(SALU_CYCLE_1) | instskip(NEXT) | instid1(SALU_CYCLE_1)
	s_lshl_b64 s[2:3], s[14:15], 2
	s_add_u32 s2, s4, s2
	s_addc_u32 s3, s5, s3
	s_load_b32 s2, s[2:3], 0x0
	s_waitcnt lgkmcnt(0)
	s_ashr_i32 s3, s2, 31
	s_delay_alu instid0(SALU_CYCLE_1)
	s_cmp_eq_u64 s[6:7], s[2:3]
	s_cbranch_scc0 .LBB95_5
	s_branch .LBB95_238
.LBB95_4:
	s_mov_b32 s2, s14
	s_delay_alu instid0(SALU_CYCLE_1)
	s_ashr_i32 s3, s2, 31
	s_waitcnt lgkmcnt(0)
	s_cmp_eq_u64 s[6:7], s[2:3]
	s_cbranch_scc1 .LBB95_238
.LBB95_5:
	s_clause 0x1
	s_load_b512 s[16:31], s[0:1], 0x88
	s_load_b64 s[64:65], s[0:1], 0x8
	s_mov_b32 s69, 0
	s_mov_b32 s70, 0
	s_waitcnt lgkmcnt(0)
	s_cmp_eq_u64 s[22:23], 0
	s_cbranch_scc1 .LBB95_7
; %bb.6:
	s_ashr_i32 s13, s12, 31
	s_delay_alu instid0(SALU_CYCLE_1) | instskip(NEXT) | instid1(SALU_CYCLE_1)
	s_lshl_b64 s[4:5], s[12:13], 2
	s_add_u32 s4, s22, s4
	s_addc_u32 s5, s23, s5
	s_load_b32 s70, s[4:5], 0x0
.LBB95_7:
	s_cmp_eq_u64 s[28:29], 0
	s_cbranch_scc1 .LBB95_9
; %bb.8:
	s_ashr_i32 s13, s12, 31
	s_delay_alu instid0(SALU_CYCLE_1) | instskip(NEXT) | instid1(SALU_CYCLE_1)
	s_lshl_b64 s[4:5], s[12:13], 2
	s_add_u32 s4, s28, s4
	s_addc_u32 s5, s29, s5
	s_load_b32 s69, s[4:5], 0x0
.LBB95_9:
	s_cmp_lt_i32 s64, 1
	s_cbranch_scc1 .LBB95_238
; %bb.10:
	s_sub_i32 s3, 0, s8
	s_clause 0x1
	s_load_b64 s[4:5], s[0:1], 0x5c
	s_load_b128 s[56:59], s[0:1], 0x4c
	s_mul_i32 s3, s3, s10
	s_abs_i32 s6, s12
	s_mul_hi_u32 s3, s10, s3
	s_ashr_i32 s9, s9, 31
	s_add_i32 s10, s10, s3
	s_ashr_i32 s3, s12, 31
	s_mul_hi_u32 s7, s6, s10
	s_xor_b32 s3, s3, s9
	s_mul_i32 s10, s7, s8
	s_add_i32 s9, s7, 1
	s_sub_i32 s6, s6, s10
	s_load_b256 s[48:55], s[0:1], 0x2c
	s_sub_i32 s10, s6, s8
	s_cmp_ge_u32 s6, s8
	s_mov_b32 s67, 0
	s_cselect_b32 s7, s9, s7
	s_cselect_b32 s6, s10, s6
	s_add_i32 s9, s7, 1
	s_cmp_ge_u32 s6, s8
	s_waitcnt lgkmcnt(0)
	s_mul_i32 s66, s58, s14
	s_cselect_b32 s6, s9, s7
	s_load_b128 s[60:63], s[0:1], 0x7c
	s_xor_b32 s8, s6, s3
	s_lshl_b64 s[6:7], s[66:67], 1
	s_sub_i32 s3, s8, s3
	s_mul_i32 s66, s59, s12
	s_add_u32 s8, s24, s6
	s_addc_u32 s9, s25, s7
	s_lshl_b64 s[6:7], s[66:67], 1
	s_mul_i32 s66, s4, s14
	s_add_u32 s71, s8, s6
	s_addc_u32 s72, s9, s7
	s_lshl_b64 s[6:7], s[66:67], 1
	;; [unrolled: 4-line block ×3, first 2 shown]
	v_dual_mov_b32 v21, 0 :: v_dual_lshlrev_b32 v18, 4, v0
	s_add_u32 s73, s6, s4
	s_mul_i32 s66, s48, s12
	s_addc_u32 s48, s7, s5
	s_load_b64 s[6:7], s[0:1], 0xc8
	s_lshl_b64 s[4:5], s[66:67], 2
	v_mbcnt_lo_u32_b32 v19, -1, 0
	v_and_b32_e32 v1, 0x600, v18
	s_mul_i32 s66, s50, s14
	s_add_u32 s74, s16, s4
	s_waitcnt lgkmcnt(0)
	s_addc_u32 s63, s17, s5
	s_lshl_b64 s[4:5], s[66:67], 1
	s_mul_i32 s66, s3, s53
	s_clause 0x1
	s_load_b64 s[16:17], s[0:1], 0x6c
	s_load_b32 s0, s[0:1], 0x28
	s_add_u32 s8, s18, s4
	v_or_b32_e32 v20, v19, v1
	s_addc_u32 s9, s19, s5
	s_lshl_b64 s[4:5], s[66:67], 1
	s_mul_i32 s66, s54, s14
	s_add_u32 s53, s8, s4
	s_addc_u32 s75, s9, s5
	s_lshl_b64 s[4:5], s[66:67], 1
	s_mul_i32 s66, s3, s57
	v_or_b32_e32 v24, 0x60, v20
	v_and_b32_e32 v14, 0x60, v0
	s_add_u32 s8, s20, s4
	s_addc_u32 s3, s21, s5
	s_lshl_b64 s[4:5], s[66:67], 1
	s_mul_i32 s66, s2, s60
	s_add_u32 s57, s8, s4
	s_addc_u32 s76, s3, s5
	s_lshl_b64 s[2:3], s[66:67], 1
	v_or_b32_e32 v26, 0xa0, v20
	v_or_b32_e32 v28, 0xe0, v20
	;; [unrolled: 1-line block ×5, first 2 shown]
	v_lshrrev_b32_e32 v2, 5, v24
	v_or_b32_e32 v36, 0x1e0, v20
	v_or_b32_e32 v16, v19, v14
	s_mul_i32 s66, s61, s12
	s_add_u32 s4, s6, s2
	s_addc_u32 s5, s7, s3
	s_lshl_b64 s[2:3], s[66:67], 1
	v_or_b32_e32 v23, 64, v20
	s_add_u32 s77, s4, s2
	v_or_b32_e32 v25, 0x80, v20
	v_or_b32_e32 v27, 0xc0, v20
	;; [unrolled: 1-line block ×6, first 2 shown]
	v_and_b32_e32 v2, 50, v2
	v_lshrrev_b32_e32 v5, 5, v26
	v_lshrrev_b32_e32 v8, 5, v28
	;; [unrolled: 1-line block ×6, first 2 shown]
	v_lshrrev_b16 v50, 1, v16
	s_addc_u32 s78, s5, s3
	s_add_i32 s2, s64, 0x7ff
	v_lshrrev_b32_e32 v3, 5, v1
	s_lshr_b32 s79, s2, 11
	s_waitcnt lgkmcnt(0)
	s_bitcmp1_b32 s0, 0
	v_lshrrev_b32_e32 v4, 5, v23
	v_lshrrev_b32_e32 v6, 5, v25
	v_add_lshl_u32 v2, v2, v20, 1
	v_and_b32_e32 v5, 52, v5
	v_lshrrev_b32_e32 v7, 5, v27
	v_and_b32_e32 v8, 54, v8
	v_lshrrev_b32_e32 v10, 5, v29
	v_and_b32_e32 v9, 56, v9
	v_lshrrev_b32_e32 v12, 5, v31
	v_and_b32_e32 v11, 58, v11
	v_lshrrev_b32_e32 v13, 5, v33
	v_and_b32_e32 v15, 60, v15
	v_lshrrev_b32_e32 v17, 5, v35
	v_and_b32_e32 v51, 62, v49
	v_lshlrev_b32_e32 v16, 4, v16
	v_and_b32_e32 v52, 62, v50
	s_cselect_b32 s80, -1, 0
	s_cmp_gt_i32 s65, 0
	v_add_lshl_u32 v3, v3, v20, 1
	s_cselect_b32 s81, -1, 0
	s_add_i32 s0, 0, 0x1080
	v_add_lshl_u32 v4, v4, v20, 1
	v_add_lshl_u32 v6, v6, v20, 1
	v_add_nc_u32_e32 v39, 0, v2
	v_add_lshl_u32 v5, v5, v20, 1
	v_add_lshl_u32 v7, v7, v20, 1
	;; [unrolled: 1-line block ×12, first 2 shown]
	v_add_nc_u32_e32 v55, s0, v2
	v_and_b32_e32 v2, 15, v19
	s_and_b32 s1, s64, 0x7ff
	v_add_nc_u32_e32 v51, 0, v67
	v_add_nc_u32_e32 v53, s0, v3
	;; [unrolled: 1-line block ×15, first 2 shown]
	s_cmp_eq_u32 s1, 0
	v_add_nc_u32_e32 v68, s0, v16
	v_cmp_ne_u32_e64 s0, 0, v2
	v_cmp_lt_u32_e64 s1, 1, v2
	v_cmp_lt_u32_e64 s2, 3, v2
	;; [unrolled: 1-line block ×3, first 2 shown]
	v_add_nc_u32_e32 v2, -1, v19
	v_add_nc_u32_e32 v37, 0, v3
	v_lshrrev_b32_e32 v3, 2, v0
	v_add_nc_u32_e32 v41, 0, v5
	v_or_b32_e32 v5, 31, v14
	v_cmp_gt_i32_e32 vcc_lo, 0, v2
	s_mul_i32 s66, s16, s14
	v_and_b32_e32 v3, 24, v3
	s_cselect_b32 s82, -1, 0
	s_lshl_b64 s[14:15], s[66:67], 1
	v_cndmask_b32_e32 v2, v2, v19, vcc_lo
	s_add_i32 s83, s79, -1
	s_mul_i32 s66, s17, s12
	v_cmp_eq_u32_e64 s5, v5, v0
	v_cmp_gt_u32_e64 s6, 4, v0
	v_lshl_add_u32 v70, v0, 3, 0
	v_cmp_gt_u32_e64 s9, 32, v0
	v_cmp_lt_u32_e64 s10, 31, v0
	v_cmp_eq_u32_e64 s11, 0, v0
	s_add_u32 s14, s30, s14
	v_lshlrev_b32_e32 v0, 1, v19
	s_addc_u32 s15, s31, s15
	s_lshl_b64 s[12:13], s[66:67], 1
	v_add_nc_u32_e32 v69, 0, v3
	v_and_b32_e32 v3, 3, v19
	s_add_u32 s12, s14, s12
	v_lshlrev_b32_e32 v71, 2, v2
	s_addc_u32 s13, s15, s13
	v_lshlrev_b32_e32 v2, 1, v1
	v_add_co_u32 v0, s12, s12, v0
	v_add_nc_u32_e32 v38, 0, v4
	v_and_b32_e32 v4, 16, v19
	v_cmp_ne_u32_e64 s7, 0, v3
	v_cmp_lt_u32_e64 s8, 1, v3
	v_add_co_ci_u32_e64 v3, null, s13, 0, s12
	v_add_co_u32 v72, vcc_lo, v0, v2
	v_or_b32_e32 v22, 32, v20
	v_add_nc_u32_e32 v40, 0, v6
	v_add_nc_u32_e32 v42, 0, v7
	v_add_nc_u32_e32 v43, 0, v8
	v_add_nc_u32_e32 v44, 0, v10
	v_add_nc_u32_e32 v45, 0, v9
	v_add_nc_u32_e32 v46, 0, v12
	v_add_nc_u32_e32 v47, 0, v11
	v_add_nc_u32_e32 v48, 0, v13
	v_add_nc_u32_e32 v49, 0, v15
	v_add_nc_u32_e32 v50, 0, v17
	v_add_nc_u32_e32 v52, 0, v16
	v_cmp_ne_u32_e64 s4, 0, v4
	v_cmp_eq_u32_e64 s12, 0, v19
	v_add_co_ci_u32_e32 v73, vcc_lo, 0, v3, vcc_lo
	v_or_b32_e32 v74, 1, v18
	v_or_b32_e32 v75, 2, v18
	;; [unrolled: 1-line block ×15, first 2 shown]
	v_lshlrev_b32_e32 v89, 1, v1
	s_mov_b32 s84, 0x3e9b6dac
	s_add_i32 s85, 0, 0x2120
	s_mov_b32 s86, 0
	s_branch .LBB95_12
.LBB95_11:                              ;   in Loop: Header=BB95_12 Depth=1
	s_or_b32 exec_lo, exec_lo, s13
	s_add_u32 s73, s73, 0x1000
	s_addc_u32 s48, s48, 0
	s_add_u32 s71, s71, 0x1000
	s_addc_u32 s72, s72, 0
	;; [unrolled: 2-line block ×4, first 2 shown]
	s_add_i32 s86, s86, 1
	s_delay_alu instid0(SALU_CYCLE_1)
	s_cmp_eq_u32 s86, s79
	s_cbranch_scc1 .LBB95_238
.LBB95_12:                              ; =>This Loop Header: Depth=1
                                        ;     Child Loop BB95_109 Depth 2
	s_waitcnt lgkmcnt(14)
	v_lshlrev_b32_e32 v16, 1, v19
	s_lshl_b32 s50, s86, 11
	s_waitcnt lgkmcnt(0)
	v_mov_b32_e32 v2, 0
	s_sub_i32 s41, s64, s50
	v_add_co_u32 v0, s13, s71, v16
	s_delay_alu instid0(VALU_DEP_1) | instskip(SKIP_1) | instid1(VALU_DEP_3)
	v_add_co_ci_u32_e64 v1, null, s72, 0, s13
	v_cmp_gt_u32_e64 s13, s41, v20
	v_add_co_u32 v0, vcc_lo, v0, v89
	s_delay_alu instid0(VALU_DEP_3)
	v_add_co_ci_u32_e32 v1, vcc_lo, 0, v1, vcc_lo
	s_waitcnt_vscnt null, 0x0
	s_barrier
	buffer_gl0_inv
	s_and_saveexec_b32 s14, s13
	s_cbranch_execz .LBB95_14
; %bb.13:                               ;   in Loop: Header=BB95_12 Depth=1
	global_load_u16 v2, v[0:1], off
.LBB95_14:                              ;   in Loop: Header=BB95_12 Depth=1
	s_or_b32 exec_lo, exec_lo, s14
	v_cmp_gt_u32_e64 s14, s41, v22
	v_dual_mov_b32 v3, 0 :: v_dual_mov_b32 v4, 0
	s_delay_alu instid0(VALU_DEP_2)
	s_and_saveexec_b32 s15, s14
	s_cbranch_execz .LBB95_16
; %bb.15:                               ;   in Loop: Header=BB95_12 Depth=1
	global_load_u16 v4, v[0:1], off offset:64
.LBB95_16:                              ;   in Loop: Header=BB95_12 Depth=1
	s_or_b32 exec_lo, exec_lo, s15
	v_cmp_gt_u32_e64 s15, s41, v23
	s_delay_alu instid0(VALU_DEP_1)
	s_and_saveexec_b32 s16, s15
	s_cbranch_execz .LBB95_18
; %bb.17:                               ;   in Loop: Header=BB95_12 Depth=1
	global_load_u16 v3, v[0:1], off offset:128
.LBB95_18:                              ;   in Loop: Header=BB95_12 Depth=1
	s_or_b32 exec_lo, exec_lo, s16
	v_cmp_gt_u32_e64 s16, s41, v24
	v_dual_mov_b32 v5, 0 :: v_dual_mov_b32 v6, 0
	s_delay_alu instid0(VALU_DEP_2)
	s_and_saveexec_b32 s17, s16
	s_cbranch_execz .LBB95_20
; %bb.19:                               ;   in Loop: Header=BB95_12 Depth=1
	global_load_u16 v6, v[0:1], off offset:192
.LBB95_20:                              ;   in Loop: Header=BB95_12 Depth=1
	s_or_b32 exec_lo, exec_lo, s17
	v_cmp_gt_u32_e64 s17, s41, v25
	s_delay_alu instid0(VALU_DEP_1)
	s_and_saveexec_b32 s18, s17
	s_cbranch_execz .LBB95_22
; %bb.21:                               ;   in Loop: Header=BB95_12 Depth=1
	global_load_u16 v5, v[0:1], off offset:256
.LBB95_22:                              ;   in Loop: Header=BB95_12 Depth=1
	;; [unrolled: 17-line block ×3, first 2 shown]
	s_or_b32 exec_lo, exec_lo, s20
	v_cmp_gt_u32_e64 s20, s41, v28
	v_mov_b32_e32 v9, 0
	v_mov_b32_e32 v11, 0
	s_delay_alu instid0(VALU_DEP_3)
	s_and_saveexec_b32 s21, s20
	s_cbranch_execz .LBB95_28
; %bb.27:                               ;   in Loop: Header=BB95_12 Depth=1
	global_load_u16 v11, v[0:1], off offset:448
.LBB95_28:                              ;   in Loop: Header=BB95_12 Depth=1
	s_or_b32 exec_lo, exec_lo, s21
	v_cmp_gt_u32_e64 s21, s41, v29
	s_delay_alu instid0(VALU_DEP_1)
	s_and_saveexec_b32 s22, s21
	s_cbranch_execz .LBB95_30
; %bb.29:                               ;   in Loop: Header=BB95_12 Depth=1
	global_load_u16 v9, v[0:1], off offset:512
.LBB95_30:                              ;   in Loop: Header=BB95_12 Depth=1
	s_or_b32 exec_lo, exec_lo, s22
	v_cmp_gt_u32_e64 s22, s41, v30
	v_dual_mov_b32 v12, 0 :: v_dual_mov_b32 v13, 0
	s_delay_alu instid0(VALU_DEP_2)
	s_and_saveexec_b32 s23, s22
	s_cbranch_execz .LBB95_32
; %bb.31:                               ;   in Loop: Header=BB95_12 Depth=1
	global_load_u16 v13, v[0:1], off offset:576
.LBB95_32:                              ;   in Loop: Header=BB95_12 Depth=1
	s_or_b32 exec_lo, exec_lo, s23
	v_cmp_gt_u32_e64 s23, s41, v31
	s_delay_alu instid0(VALU_DEP_1)
	s_and_saveexec_b32 s24, s23
	s_cbranch_execz .LBB95_34
; %bb.33:                               ;   in Loop: Header=BB95_12 Depth=1
	global_load_u16 v12, v[0:1], off offset:640
.LBB95_34:                              ;   in Loop: Header=BB95_12 Depth=1
	s_or_b32 exec_lo, exec_lo, s24
	v_cmp_gt_u32_e64 s24, s41, v32
	v_dual_mov_b32 v14, 0 :: v_dual_mov_b32 v15, 0
	s_delay_alu instid0(VALU_DEP_2)
	;; [unrolled: 17-line block ×4, first 2 shown]
	s_and_saveexec_b32 s29, s28
	s_cbranch_execz .LBB95_44
; %bb.43:                               ;   in Loop: Header=BB95_12 Depth=1
	global_load_u16 v91, v[0:1], off offset:960
.LBB95_44:                              ;   in Loop: Header=BB95_12 Depth=1
	s_or_b32 exec_lo, exec_lo, s29
	s_waitcnt vmcnt(0)
	ds_store_b16 v37, v2
	ds_store_b16 v37, v4 offset:64
	ds_store_b16 v38, v3 offset:128
	;; [unrolled: 1-line block ×15, first 2 shown]
	; wave barrier
	ds_load_b128 v[0:3], v52
	ds_load_b128 v[4:7], v52 offset:16
	v_add_co_u32 v8, s29, s73, v16
	s_delay_alu instid0(VALU_DEP_1) | instskip(SKIP_1) | instid1(VALU_DEP_2)
	v_add_co_ci_u32_e64 v9, null, s48, 0, s29
	s_waitcnt lgkmcnt(0)
	v_add_co_u32 v8, vcc_lo, v8, v89
	s_delay_alu instid0(VALU_DEP_2)
	v_add_co_ci_u32_e32 v9, vcc_lo, 0, v9, vcc_lo
	s_barrier
	buffer_gl0_inv
	s_and_saveexec_b32 s29, s13
	s_cbranch_execz .LBB95_46
; %bb.45:                               ;   in Loop: Header=BB95_12 Depth=1
	global_load_u16 v10, v[8:9], off
.LBB95_46:                              ;   in Loop: Header=BB95_12 Depth=1
	s_or_b32 exec_lo, exec_lo, s29
	v_dual_mov_b32 v11, 0 :: v_dual_mov_b32 v12, 0
	s_and_saveexec_b32 s29, s14
	s_cbranch_execz .LBB95_48
; %bb.47:                               ;   in Loop: Header=BB95_12 Depth=1
	global_load_u16 v12, v[8:9], off offset:64
.LBB95_48:                              ;   in Loop: Header=BB95_12 Depth=1
	s_or_b32 exec_lo, exec_lo, s29
	s_and_saveexec_b32 s29, s15
	s_cbranch_execz .LBB95_50
; %bb.49:                               ;   in Loop: Header=BB95_12 Depth=1
	global_load_u16 v11, v[8:9], off offset:128
.LBB95_50:                              ;   in Loop: Header=BB95_12 Depth=1
	s_or_b32 exec_lo, exec_lo, s29
	v_dual_mov_b32 v13, 0 :: v_dual_mov_b32 v14, 0
	s_and_saveexec_b32 s29, s16
	s_cbranch_execz .LBB95_52
; %bb.51:                               ;   in Loop: Header=BB95_12 Depth=1
	global_load_u16 v14, v[8:9], off offset:192
.LBB95_52:                              ;   in Loop: Header=BB95_12 Depth=1
	s_or_b32 exec_lo, exec_lo, s29
	s_and_saveexec_b32 s29, s17
	s_cbranch_execz .LBB95_54
; %bb.53:                               ;   in Loop: Header=BB95_12 Depth=1
	global_load_u16 v13, v[8:9], off offset:256
.LBB95_54:                              ;   in Loop: Header=BB95_12 Depth=1
	s_or_b32 exec_lo, exec_lo, s29
	v_mov_b32_e32 v15, 0
	v_mov_b32_e32 v17, 0
	s_and_saveexec_b32 s29, s18
	s_cbranch_execz .LBB95_56
; %bb.55:                               ;   in Loop: Header=BB95_12 Depth=1
	global_load_u16 v17, v[8:9], off offset:320
.LBB95_56:                              ;   in Loop: Header=BB95_12 Depth=1
	s_or_b32 exec_lo, exec_lo, s29
	s_and_saveexec_b32 s29, s19
	s_cbranch_execz .LBB95_58
; %bb.57:                               ;   in Loop: Header=BB95_12 Depth=1
	global_load_u16 v15, v[8:9], off offset:384
.LBB95_58:                              ;   in Loop: Header=BB95_12 Depth=1
	s_or_b32 exec_lo, exec_lo, s29
	v_dual_mov_b32 v90, 0 :: v_dual_mov_b32 v91, 0
	s_and_saveexec_b32 s29, s20
	s_cbranch_execz .LBB95_60
; %bb.59:                               ;   in Loop: Header=BB95_12 Depth=1
	global_load_u16 v91, v[8:9], off offset:448
.LBB95_60:                              ;   in Loop: Header=BB95_12 Depth=1
	s_or_b32 exec_lo, exec_lo, s29
	s_and_saveexec_b32 s29, s21
	s_cbranch_execz .LBB95_62
; %bb.61:                               ;   in Loop: Header=BB95_12 Depth=1
	global_load_u16 v90, v[8:9], off offset:512
.LBB95_62:                              ;   in Loop: Header=BB95_12 Depth=1
	s_or_b32 exec_lo, exec_lo, s29
	v_dual_mov_b32 v92, 0 :: v_dual_mov_b32 v93, 0
	;; [unrolled: 13-line block ×4, first 2 shown]
	s_and_saveexec_b32 s29, s26
	s_cbranch_execnz .LBB95_220
; %bb.71:                               ;   in Loop: Header=BB95_12 Depth=1
	s_or_b32 exec_lo, exec_lo, s29
	s_and_saveexec_b32 s29, s27
	s_cbranch_execnz .LBB95_221
.LBB95_72:                              ;   in Loop: Header=BB95_12 Depth=1
	s_or_b32 exec_lo, exec_lo, s29
	v_mov_b32_e32 v98, 0
	s_and_saveexec_b32 s29, s28
	s_cbranch_execz .LBB95_74
.LBB95_73:                              ;   in Loop: Header=BB95_12 Depth=1
	global_load_u16 v98, v[8:9], off offset:960
.LBB95_74:                              ;   in Loop: Header=BB95_12 Depth=1
	s_or_b32 exec_lo, exec_lo, s29
	s_waitcnt vmcnt(0)
	ds_store_b16 v37, v10
	ds_store_b16 v37, v12 offset:64
	ds_store_b16 v38, v11 offset:128
	;; [unrolled: 1-line block ×15, first 2 shown]
	; wave barrier
	ds_load_b128 v[12:15], v52
	ds_load_b128 v[8:11], v52 offset:16
	s_waitcnt lgkmcnt(1)
	v_cvt_f32_f16_e32 v17, v12
	s_delay_alu instid0(VALU_DEP_1) | instskip(NEXT) | instid1(VALU_DEP_1)
	v_add_f32_e32 v90, s69, v17
	v_cmp_ge_f32_e32 vcc_lo, 0x41a00000, v90
	s_and_b32 s29, s80, vcc_lo
	s_delay_alu instid0(SALU_CYCLE_1)
	s_and_saveexec_b32 s30, s29
	s_cbranch_execz .LBB95_76
; %bb.75:                               ;   in Loop: Header=BB95_12 Depth=1
	v_mul_f32_e32 v17, 0x3fb8aa3b, v90
	v_cmp_ngt_f32_e32 vcc_lo, 0xc2ce8ed0, v90
	s_delay_alu instid0(VALU_DEP_2) | instskip(SKIP_1) | instid1(VALU_DEP_1)
	v_rndne_f32_e32 v91, v17
	v_fma_f32 v92, 0x3fb8aa3b, v90, -v17
	v_dual_sub_f32 v17, v17, v91 :: v_dual_fmac_f32 v92, 0x32a5705f, v90
	v_cvt_i32_f32_e32 v91, v91
	s_delay_alu instid0(VALU_DEP_2) | instskip(NEXT) | instid1(VALU_DEP_1)
	v_add_f32_e32 v17, v17, v92
	v_exp_f32_e32 v17, v17
	s_waitcnt_depctr 0xfff
	v_ldexp_f32 v17, v17, v91
	s_delay_alu instid0(VALU_DEP_1) | instskip(SKIP_1) | instid1(VALU_DEP_2)
	v_cndmask_b32_e32 v17, 0, v17, vcc_lo
	v_cmp_nlt_f32_e32 vcc_lo, 0x42b17218, v90
	v_cndmask_b32_e32 v17, 0x7f800000, v17, vcc_lo
	s_delay_alu instid0(VALU_DEP_1) | instskip(NEXT) | instid1(VALU_DEP_1)
	v_add_f32_e32 v92, 1.0, v17
	v_cvt_f64_f32_e32 v[90:91], v92
	s_delay_alu instid0(VALU_DEP_1) | instskip(SKIP_1) | instid1(VALU_DEP_1)
	v_frexp_exp_i32_f64_e32 v90, v[90:91]
	v_frexp_mant_f32_e32 v91, v92
	v_cmp_gt_f32_e32 vcc_lo, 0x3f2aaaab, v91
	v_add_f32_e32 v91, -1.0, v92
	s_delay_alu instid0(VALU_DEP_1) | instskip(NEXT) | instid1(VALU_DEP_1)
	v_dual_sub_f32 v94, v91, v92 :: v_dual_sub_f32 v91, v17, v91
	v_add_f32_e32 v94, 1.0, v94
	v_subrev_co_ci_u32_e32 v90, vcc_lo, 0, v90, vcc_lo
	s_delay_alu instid0(VALU_DEP_1) | instskip(SKIP_1) | instid1(VALU_DEP_2)
	v_sub_nc_u32_e32 v93, 0, v90
	v_cvt_f32_i32_e32 v90, v90
	v_ldexp_f32 v92, v92, v93
	v_add_f32_e32 v91, v91, v94
	s_delay_alu instid0(VALU_DEP_1) | instskip(NEXT) | instid1(VALU_DEP_3)
	v_ldexp_f32 v91, v91, v93
	v_add_f32_e32 v95, 1.0, v92
	s_delay_alu instid0(VALU_DEP_1) | instskip(NEXT) | instid1(VALU_DEP_1)
	v_add_f32_e32 v94, -1.0, v95
	v_sub_f32_e32 v94, v92, v94
	v_cmp_eq_f32_e32 vcc_lo, 0x7f800000, v17
	v_cmp_gt_f32_e64 s29, 0x33800000, v17
	s_delay_alu instid0(VALU_DEP_3) | instskip(NEXT) | instid1(VALU_DEP_2)
	v_dual_add_f32 v94, v91, v94 :: v_dual_add_f32 v93, -1.0, v92
	s_or_b32 vcc_lo, s29, vcc_lo
	s_delay_alu instid0(VALU_DEP_1) | instskip(NEXT) | instid1(VALU_DEP_1)
	v_add_f32_e32 v96, 1.0, v93
	v_sub_f32_e32 v92, v92, v96
	s_delay_alu instid0(VALU_DEP_3) | instskip(NEXT) | instid1(VALU_DEP_1)
	v_add_f32_e32 v96, v95, v94
	v_sub_f32_e32 v95, v95, v96
	s_delay_alu instid0(VALU_DEP_3) | instskip(SKIP_1) | instid1(VALU_DEP_2)
	v_add_f32_e32 v91, v91, v92
	v_rcp_f32_e32 v92, v96
	v_add_f32_e32 v94, v94, v95
	s_delay_alu instid0(VALU_DEP_2) | instskip(NEXT) | instid1(VALU_DEP_1)
	v_add_f32_e32 v97, v93, v91
	v_sub_f32_e32 v93, v93, v97
	s_waitcnt_depctr 0xfff
	v_dual_mul_f32 v98, v97, v92 :: v_dual_add_f32 v91, v91, v93
	s_delay_alu instid0(VALU_DEP_1) | instskip(NEXT) | instid1(VALU_DEP_1)
	v_mul_f32_e32 v99, v96, v98
	v_fma_f32 v95, v98, v96, -v99
	s_delay_alu instid0(VALU_DEP_1) | instskip(NEXT) | instid1(VALU_DEP_1)
	v_fmac_f32_e32 v95, v98, v94
	v_add_f32_e32 v100, v99, v95
	s_delay_alu instid0(VALU_DEP_1) | instskip(NEXT) | instid1(VALU_DEP_1)
	v_sub_f32_e32 v101, v97, v100
	v_sub_f32_e32 v97, v97, v101
	;; [unrolled: 1-line block ×3, first 2 shown]
	s_delay_alu instid0(VALU_DEP_2) | instskip(NEXT) | instid1(VALU_DEP_2)
	v_sub_f32_e32 v97, v97, v100
	v_sub_f32_e32 v93, v93, v95
	s_delay_alu instid0(VALU_DEP_2) | instskip(NEXT) | instid1(VALU_DEP_1)
	v_add_f32_e32 v91, v91, v97
	v_add_f32_e32 v91, v93, v91
	s_delay_alu instid0(VALU_DEP_1) | instskip(NEXT) | instid1(VALU_DEP_1)
	v_add_f32_e32 v93, v101, v91
	v_mul_f32_e32 v95, v92, v93
	s_delay_alu instid0(VALU_DEP_1) | instskip(NEXT) | instid1(VALU_DEP_1)
	v_dual_sub_f32 v100, v101, v93 :: v_dual_mul_f32 v97, v96, v95
	v_add_f32_e32 v91, v91, v100
	s_delay_alu instid0(VALU_DEP_2) | instskip(NEXT) | instid1(VALU_DEP_1)
	v_fma_f32 v96, v95, v96, -v97
	v_fmac_f32_e32 v96, v95, v94
	s_delay_alu instid0(VALU_DEP_1) | instskip(NEXT) | instid1(VALU_DEP_1)
	v_add_f32_e32 v94, v97, v96
	v_sub_f32_e32 v99, v93, v94
	v_sub_f32_e32 v97, v94, v97
	s_delay_alu instid0(VALU_DEP_2) | instskip(NEXT) | instid1(VALU_DEP_1)
	v_sub_f32_e32 v93, v93, v99
	v_sub_f32_e32 v93, v93, v94
	s_delay_alu instid0(VALU_DEP_1) | instskip(SKIP_1) | instid1(VALU_DEP_1)
	v_dual_sub_f32 v94, v97, v96 :: v_dual_add_f32 v91, v91, v93
	v_add_f32_e32 v93, v98, v95
	v_dual_add_f32 v91, v94, v91 :: v_dual_sub_f32 v94, v93, v98
	s_delay_alu instid0(VALU_DEP_1) | instskip(NEXT) | instid1(VALU_DEP_1)
	v_add_f32_e32 v91, v99, v91
	v_dual_sub_f32 v94, v95, v94 :: v_dual_mul_f32 v91, v92, v91
	s_delay_alu instid0(VALU_DEP_1) | instskip(NEXT) | instid1(VALU_DEP_1)
	v_add_f32_e32 v91, v94, v91
	v_add_f32_e32 v92, v93, v91
	s_delay_alu instid0(VALU_DEP_1) | instskip(NEXT) | instid1(VALU_DEP_1)
	v_mul_f32_e32 v94, v92, v92
	v_fmaak_f32 v95, s84, v94, 0x3ecc95a3
	v_mul_f32_e32 v96, v92, v94
	s_delay_alu instid0(VALU_DEP_2) | instskip(SKIP_2) | instid1(VALU_DEP_3)
	v_fmaak_f32 v94, v94, v95, 0x3f2aaada
	v_ldexp_f32 v95, v92, 1
	v_sub_f32_e32 v92, v92, v93
	v_mul_f32_e32 v94, v96, v94
	s_delay_alu instid0(VALU_DEP_2) | instskip(NEXT) | instid1(VALU_DEP_2)
	v_dual_mul_f32 v96, 0x3f317218, v90 :: v_dual_sub_f32 v91, v91, v92
	v_add_f32_e32 v93, v95, v94
	s_delay_alu instid0(VALU_DEP_2) | instskip(NEXT) | instid1(VALU_DEP_2)
	v_ldexp_f32 v91, v91, 1
	v_sub_f32_e32 v92, v93, v95
	s_delay_alu instid0(VALU_DEP_4) | instskip(NEXT) | instid1(VALU_DEP_1)
	v_fma_f32 v95, 0x3f317218, v90, -v96
	v_dual_sub_f32 v92, v94, v92 :: v_dual_fmac_f32 v95, 0xb102e308, v90
	s_delay_alu instid0(VALU_DEP_1) | instskip(NEXT) | instid1(VALU_DEP_1)
	v_dual_add_f32 v90, v91, v92 :: v_dual_add_f32 v91, v96, v95
	v_add_f32_e32 v92, v93, v90
	s_delay_alu instid0(VALU_DEP_2) | instskip(NEXT) | instid1(VALU_DEP_2)
	v_sub_f32_e32 v96, v91, v96
	v_dual_add_f32 v94, v91, v92 :: v_dual_sub_f32 v93, v92, v93
	s_delay_alu instid0(VALU_DEP_2) | instskip(NEXT) | instid1(VALU_DEP_2)
	v_sub_f32_e32 v95, v95, v96
	v_sub_f32_e32 v97, v94, v91
	s_delay_alu instid0(VALU_DEP_3) | instskip(NEXT) | instid1(VALU_DEP_2)
	v_sub_f32_e32 v90, v90, v93
	v_sub_f32_e32 v98, v94, v97
	s_delay_alu instid0(VALU_DEP_2) | instskip(NEXT) | instid1(VALU_DEP_2)
	v_dual_sub_f32 v92, v92, v97 :: v_dual_add_f32 v93, v95, v90
	v_sub_f32_e32 v91, v91, v98
	s_delay_alu instid0(VALU_DEP_1) | instskip(NEXT) | instid1(VALU_DEP_3)
	v_add_f32_e32 v91, v92, v91
	v_sub_f32_e32 v92, v93, v95
	s_delay_alu instid0(VALU_DEP_2) | instskip(NEXT) | instid1(VALU_DEP_2)
	v_add_f32_e32 v91, v93, v91
	v_sub_f32_e32 v93, v93, v92
	v_sub_f32_e32 v90, v90, v92
	s_delay_alu instid0(VALU_DEP_2) | instskip(NEXT) | instid1(VALU_DEP_1)
	v_dual_add_f32 v96, v94, v91 :: v_dual_sub_f32 v93, v95, v93
	v_sub_f32_e32 v92, v96, v94
	s_delay_alu instid0(VALU_DEP_1) | instskip(NEXT) | instid1(VALU_DEP_1)
	v_dual_add_f32 v90, v90, v93 :: v_dual_sub_f32 v91, v91, v92
	v_add_f32_e32 v90, v90, v91
	s_delay_alu instid0(VALU_DEP_1) | instskip(NEXT) | instid1(VALU_DEP_1)
	v_add_f32_e32 v90, v96, v90
	v_cndmask_b32_e32 v90, v90, v17, vcc_lo
.LBB95_76:                              ;   in Loop: Header=BB95_12 Depth=1
	s_or_b32 exec_lo, exec_lo, s30
	v_lshrrev_b32_e32 v12, 16, v12
	s_delay_alu instid0(VALU_DEP_1) | instskip(NEXT) | instid1(VALU_DEP_1)
	v_cvt_f32_f16_e32 v12, v12
	v_add_f32_e32 v91, s69, v12
	s_delay_alu instid0(VALU_DEP_1) | instskip(SKIP_1) | instid1(SALU_CYCLE_1)
	v_cmp_ge_f32_e32 vcc_lo, 0x41a00000, v91
	s_and_b32 s29, s80, vcc_lo
	s_and_saveexec_b32 s30, s29
	s_cbranch_execz .LBB95_78
; %bb.77:                               ;   in Loop: Header=BB95_12 Depth=1
	v_mul_f32_e32 v12, 0x3fb8aa3b, v91
	v_cmp_ngt_f32_e32 vcc_lo, 0xc2ce8ed0, v91
	s_delay_alu instid0(VALU_DEP_2) | instskip(SKIP_1) | instid1(VALU_DEP_2)
	v_rndne_f32_e32 v17, v12
	v_fma_f32 v92, 0x3fb8aa3b, v91, -v12
	v_sub_f32_e32 v12, v12, v17
	s_delay_alu instid0(VALU_DEP_2) | instskip(SKIP_1) | instid1(VALU_DEP_2)
	v_fmac_f32_e32 v92, 0x32a5705f, v91
	v_cvt_i32_f32_e32 v17, v17
	v_add_f32_e32 v12, v12, v92
	s_delay_alu instid0(VALU_DEP_1) | instskip(SKIP_2) | instid1(VALU_DEP_1)
	v_exp_f32_e32 v12, v12
	s_waitcnt_depctr 0xfff
	v_ldexp_f32 v12, v12, v17
	v_cndmask_b32_e32 v12, 0, v12, vcc_lo
	v_cmp_nlt_f32_e32 vcc_lo, 0x42b17218, v91
	s_delay_alu instid0(VALU_DEP_2) | instskip(NEXT) | instid1(VALU_DEP_1)
	v_cndmask_b32_e32 v12, 0x7f800000, v12, vcc_lo
	v_add_f32_e32 v17, 1.0, v12
	s_delay_alu instid0(VALU_DEP_1) | instskip(NEXT) | instid1(VALU_DEP_1)
	v_cvt_f64_f32_e32 v[91:92], v17
	v_frexp_exp_i32_f64_e32 v91, v[91:92]
	v_frexp_mant_f32_e32 v92, v17
	s_delay_alu instid0(VALU_DEP_1) | instskip(SKIP_1) | instid1(VALU_DEP_1)
	v_cmp_gt_f32_e32 vcc_lo, 0x3f2aaaab, v92
	v_add_f32_e32 v92, -1.0, v17
	v_sub_f32_e32 v94, v92, v17
	v_sub_f32_e32 v92, v12, v92
	s_delay_alu instid0(VALU_DEP_2) | instskip(NEXT) | instid1(VALU_DEP_1)
	v_add_f32_e32 v94, 1.0, v94
	v_add_f32_e32 v92, v92, v94
	v_subrev_co_ci_u32_e32 v91, vcc_lo, 0, v91, vcc_lo
	s_delay_alu instid0(VALU_DEP_1) | instskip(SKIP_1) | instid1(VALU_DEP_2)
	v_sub_nc_u32_e32 v93, 0, v91
	v_cvt_f32_i32_e32 v91, v91
	v_ldexp_f32 v17, v17, v93
	v_ldexp_f32 v92, v92, v93
	s_delay_alu instid0(VALU_DEP_2) | instskip(NEXT) | instid1(VALU_DEP_1)
	v_add_f32_e32 v95, 1.0, v17
	v_dual_add_f32 v93, -1.0, v17 :: v_dual_add_f32 v94, -1.0, v95
	s_delay_alu instid0(VALU_DEP_1) | instskip(NEXT) | instid1(VALU_DEP_2)
	v_add_f32_e32 v96, 1.0, v93
	v_sub_f32_e32 v94, v17, v94
	s_delay_alu instid0(VALU_DEP_2) | instskip(NEXT) | instid1(VALU_DEP_1)
	v_sub_f32_e32 v17, v17, v96
	v_add_f32_e32 v17, v92, v17
	s_delay_alu instid0(VALU_DEP_1) | instskip(SKIP_2) | instid1(VALU_DEP_3)
	v_add_f32_e32 v97, v93, v17
	v_cmp_eq_f32_e32 vcc_lo, 0x7f800000, v12
	v_cmp_gt_f32_e64 s29, 0x33800000, v12
	v_dual_sub_f32 v93, v93, v97 :: v_dual_add_f32 v94, v92, v94
	s_delay_alu instid0(VALU_DEP_2) | instskip(NEXT) | instid1(VALU_DEP_1)
	s_or_b32 vcc_lo, s29, vcc_lo
	v_dual_add_f32 v17, v17, v93 :: v_dual_add_f32 v96, v95, v94
	s_delay_alu instid0(VALU_DEP_1) | instskip(SKIP_1) | instid1(VALU_DEP_1)
	v_rcp_f32_e32 v92, v96
	v_sub_f32_e32 v95, v95, v96
	v_add_f32_e32 v94, v94, v95
	s_waitcnt_depctr 0xfff
	v_mul_f32_e32 v98, v97, v92
	s_delay_alu instid0(VALU_DEP_1) | instskip(NEXT) | instid1(VALU_DEP_1)
	v_mul_f32_e32 v99, v96, v98
	v_fma_f32 v95, v98, v96, -v99
	s_delay_alu instid0(VALU_DEP_1) | instskip(NEXT) | instid1(VALU_DEP_1)
	v_fmac_f32_e32 v95, v98, v94
	v_add_f32_e32 v100, v99, v95
	s_delay_alu instid0(VALU_DEP_1) | instskip(SKIP_1) | instid1(VALU_DEP_2)
	v_sub_f32_e32 v101, v97, v100
	v_sub_f32_e32 v93, v100, v99
	;; [unrolled: 1-line block ×3, first 2 shown]
	s_delay_alu instid0(VALU_DEP_2) | instskip(NEXT) | instid1(VALU_DEP_2)
	v_sub_f32_e32 v93, v93, v95
	v_sub_f32_e32 v97, v97, v100
	s_delay_alu instid0(VALU_DEP_1) | instskip(NEXT) | instid1(VALU_DEP_1)
	v_add_f32_e32 v17, v17, v97
	v_add_f32_e32 v17, v93, v17
	s_delay_alu instid0(VALU_DEP_1) | instskip(NEXT) | instid1(VALU_DEP_1)
	v_add_f32_e32 v93, v101, v17
	v_mul_f32_e32 v95, v92, v93
	s_delay_alu instid0(VALU_DEP_1) | instskip(NEXT) | instid1(VALU_DEP_1)
	v_mul_f32_e32 v97, v96, v95
	v_fma_f32 v96, v95, v96, -v97
	s_delay_alu instid0(VALU_DEP_1) | instskip(SKIP_1) | instid1(VALU_DEP_2)
	v_fmac_f32_e32 v96, v95, v94
	v_sub_f32_e32 v100, v101, v93
	v_add_f32_e32 v94, v97, v96
	s_delay_alu instid0(VALU_DEP_2) | instskip(NEXT) | instid1(VALU_DEP_2)
	v_add_f32_e32 v17, v17, v100
	v_sub_f32_e32 v99, v93, v94
	s_delay_alu instid0(VALU_DEP_1) | instskip(NEXT) | instid1(VALU_DEP_1)
	v_sub_f32_e32 v93, v93, v99
	v_sub_f32_e32 v93, v93, v94
	s_delay_alu instid0(VALU_DEP_1) | instskip(SKIP_2) | instid1(VALU_DEP_1)
	v_add_f32_e32 v17, v17, v93
	v_add_f32_e32 v93, v98, v95
	v_sub_f32_e32 v97, v94, v97
	v_sub_f32_e32 v94, v97, v96
	s_delay_alu instid0(VALU_DEP_1) | instskip(NEXT) | instid1(VALU_DEP_1)
	v_dual_add_f32 v17, v94, v17 :: v_dual_sub_f32 v94, v93, v98
	v_add_f32_e32 v17, v99, v17
	s_delay_alu instid0(VALU_DEP_1) | instskip(NEXT) | instid1(VALU_DEP_1)
	v_dual_sub_f32 v94, v95, v94 :: v_dual_mul_f32 v17, v92, v17
	v_add_f32_e32 v17, v94, v17
	s_delay_alu instid0(VALU_DEP_1) | instskip(NEXT) | instid1(VALU_DEP_1)
	v_add_f32_e32 v92, v93, v17
	v_mul_f32_e32 v94, v92, v92
	s_delay_alu instid0(VALU_DEP_1) | instskip(SKIP_1) | instid1(VALU_DEP_2)
	v_fmaak_f32 v95, s84, v94, 0x3ecc95a3
	v_mul_f32_e32 v96, v92, v94
	v_fmaak_f32 v94, v94, v95, 0x3f2aaada
	v_ldexp_f32 v95, v92, 1
	s_delay_alu instid0(VALU_DEP_2) | instskip(SKIP_1) | instid1(VALU_DEP_2)
	v_mul_f32_e32 v94, v96, v94
	v_sub_f32_e32 v92, v92, v93
	v_dual_mul_f32 v96, 0x3f317218, v91 :: v_dual_add_f32 v93, v95, v94
	s_delay_alu instid0(VALU_DEP_2) | instskip(NEXT) | instid1(VALU_DEP_2)
	v_sub_f32_e32 v17, v17, v92
	v_sub_f32_e32 v92, v93, v95
	s_delay_alu instid0(VALU_DEP_3) | instskip(NEXT) | instid1(VALU_DEP_3)
	v_fma_f32 v95, 0x3f317218, v91, -v96
	v_ldexp_f32 v17, v17, 1
	s_delay_alu instid0(VALU_DEP_2) | instskip(NEXT) | instid1(VALU_DEP_1)
	v_dual_sub_f32 v92, v94, v92 :: v_dual_fmac_f32 v95, 0xb102e308, v91
	v_add_f32_e32 v17, v17, v92
	s_delay_alu instid0(VALU_DEP_1) | instskip(NEXT) | instid1(VALU_DEP_1)
	v_dual_add_f32 v91, v96, v95 :: v_dual_add_f32 v92, v93, v17
	v_sub_f32_e32 v96, v91, v96
	s_delay_alu instid0(VALU_DEP_2) | instskip(NEXT) | instid1(VALU_DEP_2)
	v_dual_add_f32 v94, v91, v92 :: v_dual_sub_f32 v93, v92, v93
	v_sub_f32_e32 v95, v95, v96
	s_delay_alu instid0(VALU_DEP_2) | instskip(NEXT) | instid1(VALU_DEP_1)
	v_sub_f32_e32 v97, v94, v91
	v_sub_f32_e32 v98, v94, v97
	;; [unrolled: 1-line block ×4, first 2 shown]
	s_delay_alu instid0(VALU_DEP_1) | instskip(NEXT) | instid1(VALU_DEP_4)
	v_add_f32_e32 v93, v95, v17
	v_sub_f32_e32 v91, v91, v98
	s_delay_alu instid0(VALU_DEP_1) | instskip(NEXT) | instid1(VALU_DEP_3)
	v_add_f32_e32 v91, v92, v91
	v_sub_f32_e32 v92, v93, v95
	s_delay_alu instid0(VALU_DEP_2) | instskip(NEXT) | instid1(VALU_DEP_2)
	v_add_f32_e32 v91, v93, v91
	v_sub_f32_e32 v93, v93, v92
	s_delay_alu instid0(VALU_DEP_2) | instskip(NEXT) | instid1(VALU_DEP_1)
	v_dual_sub_f32 v17, v17, v92 :: v_dual_add_f32 v96, v94, v91
	v_dual_sub_f32 v92, v96, v94 :: v_dual_sub_f32 v93, v95, v93
	s_delay_alu instid0(VALU_DEP_1) | instskip(NEXT) | instid1(VALU_DEP_2)
	v_sub_f32_e32 v91, v91, v92
	v_add_f32_e32 v17, v17, v93
	s_delay_alu instid0(VALU_DEP_1) | instskip(NEXT) | instid1(VALU_DEP_1)
	v_add_f32_e32 v17, v17, v91
	v_add_f32_e32 v17, v96, v17
	s_delay_alu instid0(VALU_DEP_1)
	v_cndmask_b32_e32 v91, v17, v12, vcc_lo
.LBB95_78:                              ;   in Loop: Header=BB95_12 Depth=1
	s_or_b32 exec_lo, exec_lo, s30
	v_cvt_f32_f16_e32 v12, v13
	s_delay_alu instid0(VALU_DEP_1) | instskip(NEXT) | instid1(VALU_DEP_1)
	v_add_f32_e32 v92, s69, v12
	v_cmp_ge_f32_e32 vcc_lo, 0x41a00000, v92
	s_and_b32 s29, s80, vcc_lo
	s_delay_alu instid0(SALU_CYCLE_1)
	s_and_saveexec_b32 s30, s29
	s_cbranch_execz .LBB95_80
; %bb.79:                               ;   in Loop: Header=BB95_12 Depth=1
	v_mul_f32_e32 v12, 0x3fb8aa3b, v92
	v_cmp_ngt_f32_e32 vcc_lo, 0xc2ce8ed0, v92
	s_delay_alu instid0(VALU_DEP_2) | instskip(SKIP_1) | instid1(VALU_DEP_1)
	v_rndne_f32_e32 v17, v12
	v_fma_f32 v93, 0x3fb8aa3b, v92, -v12
	v_dual_sub_f32 v12, v12, v17 :: v_dual_fmac_f32 v93, 0x32a5705f, v92
	v_cvt_i32_f32_e32 v17, v17
	s_delay_alu instid0(VALU_DEP_2) | instskip(NEXT) | instid1(VALU_DEP_1)
	v_add_f32_e32 v12, v12, v93
	v_exp_f32_e32 v12, v12
	s_waitcnt_depctr 0xfff
	v_ldexp_f32 v12, v12, v17
	s_delay_alu instid0(VALU_DEP_1) | instskip(SKIP_1) | instid1(VALU_DEP_2)
	v_cndmask_b32_e32 v12, 0, v12, vcc_lo
	v_cmp_nlt_f32_e32 vcc_lo, 0x42b17218, v92
	v_cndmask_b32_e32 v12, 0x7f800000, v12, vcc_lo
	s_delay_alu instid0(VALU_DEP_1) | instskip(NEXT) | instid1(VALU_DEP_1)
	v_add_f32_e32 v17, 1.0, v12
	v_cvt_f64_f32_e32 v[92:93], v17
	s_delay_alu instid0(VALU_DEP_1) | instskip(SKIP_1) | instid1(VALU_DEP_1)
	v_frexp_exp_i32_f64_e32 v92, v[92:93]
	v_frexp_mant_f32_e32 v93, v17
	v_cmp_gt_f32_e32 vcc_lo, 0x3f2aaaab, v93
	v_add_f32_e32 v93, -1.0, v17
	s_delay_alu instid0(VALU_DEP_1) | instskip(SKIP_1) | instid1(VALU_DEP_2)
	v_sub_f32_e32 v95, v93, v17
	v_sub_f32_e32 v93, v12, v93
	v_add_f32_e32 v95, 1.0, v95
	s_delay_alu instid0(VALU_DEP_1) | instskip(SKIP_3) | instid1(VALU_DEP_2)
	v_add_f32_e32 v93, v93, v95
	v_cmp_gt_f32_e64 s29, 0x33800000, v12
	v_subrev_co_ci_u32_e32 v92, vcc_lo, 0, v92, vcc_lo
	v_cmp_eq_f32_e32 vcc_lo, 0x7f800000, v12
	v_sub_nc_u32_e32 v94, 0, v92
	v_cvt_f32_i32_e32 v92, v92
	s_or_b32 vcc_lo, s29, vcc_lo
	s_delay_alu instid0(VALU_DEP_2) | instskip(SKIP_1) | instid1(VALU_DEP_2)
	v_ldexp_f32 v17, v17, v94
	v_ldexp_f32 v93, v93, v94
	v_add_f32_e32 v96, 1.0, v17
	s_delay_alu instid0(VALU_DEP_1) | instskip(NEXT) | instid1(VALU_DEP_1)
	v_dual_add_f32 v94, -1.0, v17 :: v_dual_add_f32 v95, -1.0, v96
	v_add_f32_e32 v97, 1.0, v94
	s_delay_alu instid0(VALU_DEP_2) | instskip(NEXT) | instid1(VALU_DEP_2)
	v_sub_f32_e32 v95, v17, v95
	v_sub_f32_e32 v17, v17, v97
	s_delay_alu instid0(VALU_DEP_1) | instskip(NEXT) | instid1(VALU_DEP_1)
	v_add_f32_e32 v17, v93, v17
	v_dual_add_f32 v98, v94, v17 :: v_dual_add_f32 v95, v93, v95
	s_delay_alu instid0(VALU_DEP_1) | instskip(NEXT) | instid1(VALU_DEP_1)
	v_dual_sub_f32 v94, v94, v98 :: v_dual_add_f32 v97, v96, v95
	v_rcp_f32_e32 v93, v97
	v_sub_f32_e32 v96, v96, v97
	s_delay_alu instid0(VALU_DEP_1) | instskip(SKIP_2) | instid1(VALU_DEP_1)
	v_add_f32_e32 v95, v95, v96
	s_waitcnt_depctr 0xfff
	v_mul_f32_e32 v99, v98, v93
	v_mul_f32_e32 v100, v97, v99
	s_delay_alu instid0(VALU_DEP_1) | instskip(NEXT) | instid1(VALU_DEP_1)
	v_fma_f32 v96, v99, v97, -v100
	v_fmac_f32_e32 v96, v99, v95
	s_delay_alu instid0(VALU_DEP_1) | instskip(NEXT) | instid1(VALU_DEP_1)
	v_add_f32_e32 v101, v100, v96
	v_sub_f32_e32 v102, v98, v101
	s_delay_alu instid0(VALU_DEP_1) | instskip(SKIP_2) | instid1(VALU_DEP_3)
	v_sub_f32_e32 v98, v98, v102
	v_add_f32_e32 v17, v17, v94
	v_sub_f32_e32 v94, v101, v100
	v_sub_f32_e32 v98, v98, v101
	s_delay_alu instid0(VALU_DEP_1) | instskip(NEXT) | instid1(VALU_DEP_1)
	v_dual_sub_f32 v94, v94, v96 :: v_dual_add_f32 v17, v17, v98
	v_add_f32_e32 v17, v94, v17
	s_delay_alu instid0(VALU_DEP_1) | instskip(NEXT) | instid1(VALU_DEP_1)
	v_add_f32_e32 v94, v102, v17
	v_mul_f32_e32 v96, v93, v94
	s_delay_alu instid0(VALU_DEP_1) | instskip(NEXT) | instid1(VALU_DEP_1)
	v_dual_sub_f32 v101, v102, v94 :: v_dual_mul_f32 v98, v97, v96
	v_add_f32_e32 v17, v17, v101
	s_delay_alu instid0(VALU_DEP_2) | instskip(NEXT) | instid1(VALU_DEP_1)
	v_fma_f32 v97, v96, v97, -v98
	v_fmac_f32_e32 v97, v96, v95
	s_delay_alu instid0(VALU_DEP_1) | instskip(NEXT) | instid1(VALU_DEP_1)
	v_add_f32_e32 v95, v98, v97
	v_sub_f32_e32 v100, v94, v95
	s_delay_alu instid0(VALU_DEP_1) | instskip(NEXT) | instid1(VALU_DEP_1)
	v_sub_f32_e32 v94, v94, v100
	v_sub_f32_e32 v94, v94, v95
	s_delay_alu instid0(VALU_DEP_1) | instskip(SKIP_1) | instid1(VALU_DEP_1)
	v_dual_add_f32 v17, v17, v94 :: v_dual_add_f32 v94, v99, v96
	v_sub_f32_e32 v98, v95, v98
	v_sub_f32_e32 v95, v98, v97
	s_delay_alu instid0(VALU_DEP_1) | instskip(NEXT) | instid1(VALU_DEP_4)
	v_add_f32_e32 v17, v95, v17
	v_sub_f32_e32 v95, v94, v99
	s_delay_alu instid0(VALU_DEP_2) | instskip(NEXT) | instid1(VALU_DEP_2)
	v_add_f32_e32 v17, v100, v17
	v_sub_f32_e32 v95, v96, v95
	s_delay_alu instid0(VALU_DEP_2) | instskip(NEXT) | instid1(VALU_DEP_1)
	v_mul_f32_e32 v17, v93, v17
	v_add_f32_e32 v17, v95, v17
	s_delay_alu instid0(VALU_DEP_1) | instskip(NEXT) | instid1(VALU_DEP_1)
	v_add_f32_e32 v93, v94, v17
	v_mul_f32_e32 v95, v93, v93
	s_delay_alu instid0(VALU_DEP_1) | instskip(SKIP_1) | instid1(VALU_DEP_2)
	v_fmaak_f32 v96, s84, v95, 0x3ecc95a3
	v_mul_f32_e32 v97, v93, v95
	v_fmaak_f32 v95, v95, v96, 0x3f2aaada
	v_ldexp_f32 v96, v93, 1
	v_sub_f32_e32 v93, v93, v94
	s_delay_alu instid0(VALU_DEP_3) | instskip(SKIP_1) | instid1(VALU_DEP_2)
	v_mul_f32_e32 v95, v97, v95
	v_mul_f32_e32 v97, 0x3f317218, v92
	v_dual_sub_f32 v17, v17, v93 :: v_dual_add_f32 v94, v96, v95
	s_delay_alu instid0(VALU_DEP_1) | instskip(NEXT) | instid1(VALU_DEP_2)
	v_ldexp_f32 v17, v17, 1
	v_sub_f32_e32 v93, v94, v96
	s_delay_alu instid0(VALU_DEP_4) | instskip(NEXT) | instid1(VALU_DEP_1)
	v_fma_f32 v96, 0x3f317218, v92, -v97
	v_dual_sub_f32 v93, v95, v93 :: v_dual_fmac_f32 v96, 0xb102e308, v92
	s_delay_alu instid0(VALU_DEP_1) | instskip(NEXT) | instid1(VALU_DEP_1)
	v_add_f32_e32 v17, v17, v93
	v_dual_add_f32 v92, v97, v96 :: v_dual_add_f32 v93, v94, v17
	s_delay_alu instid0(VALU_DEP_1) | instskip(NEXT) | instid1(VALU_DEP_2)
	v_sub_f32_e32 v97, v92, v97
	v_dual_add_f32 v95, v92, v93 :: v_dual_sub_f32 v94, v93, v94
	s_delay_alu instid0(VALU_DEP_2) | instskip(NEXT) | instid1(VALU_DEP_2)
	v_sub_f32_e32 v96, v96, v97
	v_dual_sub_f32 v98, v95, v92 :: v_dual_sub_f32 v17, v17, v94
	s_delay_alu instid0(VALU_DEP_1) | instskip(NEXT) | instid1(VALU_DEP_2)
	v_sub_f32_e32 v99, v95, v98
	v_dual_sub_f32 v93, v93, v98 :: v_dual_add_f32 v94, v96, v17
	s_delay_alu instid0(VALU_DEP_2) | instskip(NEXT) | instid1(VALU_DEP_1)
	v_sub_f32_e32 v92, v92, v99
	v_add_f32_e32 v92, v93, v92
	s_delay_alu instid0(VALU_DEP_3) | instskip(NEXT) | instid1(VALU_DEP_2)
	v_sub_f32_e32 v93, v94, v96
	v_add_f32_e32 v92, v94, v92
	s_delay_alu instid0(VALU_DEP_2) | instskip(SKIP_1) | instid1(VALU_DEP_2)
	v_sub_f32_e32 v94, v94, v93
	v_sub_f32_e32 v17, v17, v93
	v_dual_add_f32 v97, v95, v92 :: v_dual_sub_f32 v94, v96, v94
	s_delay_alu instid0(VALU_DEP_1) | instskip(NEXT) | instid1(VALU_DEP_1)
	v_sub_f32_e32 v93, v97, v95
	v_dual_add_f32 v17, v17, v94 :: v_dual_sub_f32 v92, v92, v93
	s_delay_alu instid0(VALU_DEP_1) | instskip(NEXT) | instid1(VALU_DEP_1)
	v_add_f32_e32 v17, v17, v92
	v_add_f32_e32 v17, v97, v17
	s_delay_alu instid0(VALU_DEP_1)
	v_cndmask_b32_e32 v92, v17, v12, vcc_lo
.LBB95_80:                              ;   in Loop: Header=BB95_12 Depth=1
	s_or_b32 exec_lo, exec_lo, s30
	v_lshrrev_b32_e32 v12, 16, v13
	s_delay_alu instid0(VALU_DEP_1) | instskip(NEXT) | instid1(VALU_DEP_1)
	v_cvt_f32_f16_e32 v12, v12
	v_add_f32_e32 v93, s69, v12
	s_delay_alu instid0(VALU_DEP_1) | instskip(SKIP_1) | instid1(SALU_CYCLE_1)
	v_cmp_ge_f32_e32 vcc_lo, 0x41a00000, v93
	s_and_b32 s29, s80, vcc_lo
	s_and_saveexec_b32 s30, s29
	s_cbranch_execz .LBB95_82
; %bb.81:                               ;   in Loop: Header=BB95_12 Depth=1
	v_mul_f32_e32 v12, 0x3fb8aa3b, v93
	v_cmp_ngt_f32_e32 vcc_lo, 0xc2ce8ed0, v93
	s_delay_alu instid0(VALU_DEP_2) | instskip(SKIP_1) | instid1(VALU_DEP_2)
	v_rndne_f32_e32 v13, v12
	v_fma_f32 v17, 0x3fb8aa3b, v93, -v12
	v_sub_f32_e32 v12, v12, v13
	s_delay_alu instid0(VALU_DEP_2) | instskip(SKIP_1) | instid1(VALU_DEP_2)
	v_fmac_f32_e32 v17, 0x32a5705f, v93
	v_cvt_i32_f32_e32 v13, v13
	v_add_f32_e32 v12, v12, v17
	s_delay_alu instid0(VALU_DEP_1) | instskip(SKIP_2) | instid1(VALU_DEP_1)
	v_exp_f32_e32 v12, v12
	s_waitcnt_depctr 0xfff
	v_ldexp_f32 v12, v12, v13
	v_cndmask_b32_e32 v12, 0, v12, vcc_lo
	v_cmp_nlt_f32_e32 vcc_lo, 0x42b17218, v93
	s_delay_alu instid0(VALU_DEP_2) | instskip(NEXT) | instid1(VALU_DEP_1)
	v_cndmask_b32_e32 v17, 0x7f800000, v12, vcc_lo
	v_add_f32_e32 v93, 1.0, v17
	s_delay_alu instid0(VALU_DEP_1) | instskip(NEXT) | instid1(VALU_DEP_1)
	v_cvt_f64_f32_e32 v[12:13], v93
	v_frexp_exp_i32_f64_e32 v12, v[12:13]
	v_frexp_mant_f32_e32 v13, v93
	s_delay_alu instid0(VALU_DEP_1) | instskip(SKIP_1) | instid1(VALU_DEP_1)
	v_cmp_gt_f32_e32 vcc_lo, 0x3f2aaaab, v13
	v_add_f32_e32 v13, -1.0, v93
	v_sub_f32_e32 v95, v13, v93
	s_delay_alu instid0(VALU_DEP_1) | instskip(SKIP_1) | instid1(VALU_DEP_1)
	v_add_f32_e32 v95, 1.0, v95
	v_subrev_co_ci_u32_e32 v12, vcc_lo, 0, v12, vcc_lo
	v_sub_nc_u32_e32 v94, 0, v12
	v_cvt_f32_i32_e32 v12, v12
	s_delay_alu instid0(VALU_DEP_2) | instskip(NEXT) | instid1(VALU_DEP_1)
	v_ldexp_f32 v93, v93, v94
	v_add_f32_e32 v96, 1.0, v93
	v_sub_f32_e32 v13, v17, v13
	v_cmp_eq_f32_e32 vcc_lo, 0x7f800000, v17
	v_cmp_gt_f32_e64 s29, 0x33800000, v17
	s_delay_alu instid0(VALU_DEP_3) | instskip(SKIP_1) | instid1(VALU_DEP_3)
	v_add_f32_e32 v13, v13, v95
	v_add_f32_e32 v95, -1.0, v96
	s_or_b32 vcc_lo, s29, vcc_lo
	s_delay_alu instid0(VALU_DEP_2) | instskip(NEXT) | instid1(VALU_DEP_2)
	v_ldexp_f32 v13, v13, v94
	v_dual_add_f32 v94, -1.0, v93 :: v_dual_sub_f32 v95, v93, v95
	s_delay_alu instid0(VALU_DEP_1) | instskip(NEXT) | instid1(VALU_DEP_2)
	v_add_f32_e32 v97, 1.0, v94
	v_add_f32_e32 v95, v13, v95
	s_delay_alu instid0(VALU_DEP_2) | instskip(NEXT) | instid1(VALU_DEP_1)
	v_sub_f32_e32 v93, v93, v97
	v_add_f32_e32 v13, v13, v93
	s_delay_alu instid0(VALU_DEP_1) | instskip(NEXT) | instid1(VALU_DEP_1)
	v_dual_add_f32 v98, v94, v13 :: v_dual_add_f32 v97, v96, v95
	v_sub_f32_e32 v94, v94, v98
	s_delay_alu instid0(VALU_DEP_2) | instskip(NEXT) | instid1(VALU_DEP_1)
	v_rcp_f32_e32 v93, v97
	v_dual_sub_f32 v96, v96, v97 :: v_dual_add_f32 v13, v13, v94
	s_delay_alu instid0(VALU_DEP_1) | instskip(SKIP_2) | instid1(VALU_DEP_1)
	v_add_f32_e32 v95, v95, v96
	s_waitcnt_depctr 0xfff
	v_mul_f32_e32 v99, v98, v93
	v_mul_f32_e32 v100, v97, v99
	s_delay_alu instid0(VALU_DEP_1) | instskip(NEXT) | instid1(VALU_DEP_1)
	v_fma_f32 v96, v99, v97, -v100
	v_fmac_f32_e32 v96, v99, v95
	s_delay_alu instid0(VALU_DEP_1) | instskip(NEXT) | instid1(VALU_DEP_1)
	v_add_f32_e32 v101, v100, v96
	v_sub_f32_e32 v102, v98, v101
	v_sub_f32_e32 v94, v101, v100
	s_delay_alu instid0(VALU_DEP_2) | instskip(NEXT) | instid1(VALU_DEP_2)
	v_sub_f32_e32 v98, v98, v102
	v_sub_f32_e32 v94, v94, v96
	s_delay_alu instid0(VALU_DEP_2) | instskip(NEXT) | instid1(VALU_DEP_1)
	v_sub_f32_e32 v98, v98, v101
	v_add_f32_e32 v13, v13, v98
	s_delay_alu instid0(VALU_DEP_1) | instskip(NEXT) | instid1(VALU_DEP_1)
	v_add_f32_e32 v13, v94, v13
	v_add_f32_e32 v94, v102, v13
	s_delay_alu instid0(VALU_DEP_1) | instskip(NEXT) | instid1(VALU_DEP_1)
	v_mul_f32_e32 v96, v93, v94
	v_dual_sub_f32 v101, v102, v94 :: v_dual_mul_f32 v98, v97, v96
	s_delay_alu instid0(VALU_DEP_1) | instskip(NEXT) | instid1(VALU_DEP_1)
	v_fma_f32 v97, v96, v97, -v98
	v_fmac_f32_e32 v97, v96, v95
	s_delay_alu instid0(VALU_DEP_1) | instskip(NEXT) | instid1(VALU_DEP_1)
	v_add_f32_e32 v95, v98, v97
	v_dual_add_f32 v13, v13, v101 :: v_dual_sub_f32 v100, v94, v95
	s_delay_alu instid0(VALU_DEP_1) | instskip(NEXT) | instid1(VALU_DEP_1)
	v_sub_f32_e32 v94, v94, v100
	v_sub_f32_e32 v94, v94, v95
	s_delay_alu instid0(VALU_DEP_1) | instskip(SKIP_1) | instid1(VALU_DEP_1)
	v_dual_add_f32 v13, v13, v94 :: v_dual_add_f32 v94, v99, v96
	v_sub_f32_e32 v98, v95, v98
	v_sub_f32_e32 v95, v98, v97
	s_delay_alu instid0(VALU_DEP_1) | instskip(NEXT) | instid1(VALU_DEP_4)
	v_add_f32_e32 v13, v95, v13
	v_sub_f32_e32 v95, v94, v99
	s_delay_alu instid0(VALU_DEP_2) | instskip(NEXT) | instid1(VALU_DEP_2)
	v_add_f32_e32 v13, v100, v13
	v_sub_f32_e32 v95, v96, v95
	s_delay_alu instid0(VALU_DEP_2) | instskip(NEXT) | instid1(VALU_DEP_1)
	v_mul_f32_e32 v13, v93, v13
	v_add_f32_e32 v13, v95, v13
	s_delay_alu instid0(VALU_DEP_1) | instskip(NEXT) | instid1(VALU_DEP_1)
	v_add_f32_e32 v93, v94, v13
	v_mul_f32_e32 v95, v93, v93
	s_delay_alu instid0(VALU_DEP_1) | instskip(SKIP_1) | instid1(VALU_DEP_2)
	v_fmaak_f32 v96, s84, v95, 0x3ecc95a3
	v_mul_f32_e32 v97, v93, v95
	v_fmaak_f32 v95, v95, v96, 0x3f2aaada
	v_ldexp_f32 v96, v93, 1
	v_sub_f32_e32 v93, v93, v94
	s_delay_alu instid0(VALU_DEP_3) | instskip(SKIP_1) | instid1(VALU_DEP_2)
	v_mul_f32_e32 v95, v97, v95
	v_mul_f32_e32 v97, 0x3f317218, v12
	v_dual_sub_f32 v13, v13, v93 :: v_dual_add_f32 v94, v96, v95
	s_delay_alu instid0(VALU_DEP_1) | instskip(NEXT) | instid1(VALU_DEP_2)
	v_ldexp_f32 v13, v13, 1
	v_sub_f32_e32 v93, v94, v96
	s_delay_alu instid0(VALU_DEP_4) | instskip(NEXT) | instid1(VALU_DEP_1)
	v_fma_f32 v96, 0x3f317218, v12, -v97
	v_dual_sub_f32 v93, v95, v93 :: v_dual_fmac_f32 v96, 0xb102e308, v12
	s_delay_alu instid0(VALU_DEP_1) | instskip(NEXT) | instid1(VALU_DEP_2)
	v_add_f32_e32 v12, v13, v93
	v_add_f32_e32 v13, v97, v96
	s_delay_alu instid0(VALU_DEP_2) | instskip(NEXT) | instid1(VALU_DEP_2)
	v_add_f32_e32 v93, v94, v12
	v_sub_f32_e32 v97, v13, v97
	s_delay_alu instid0(VALU_DEP_2) | instskip(SKIP_1) | instid1(VALU_DEP_3)
	v_add_f32_e32 v95, v13, v93
	v_sub_f32_e32 v94, v93, v94
	v_sub_f32_e32 v96, v96, v97
	s_delay_alu instid0(VALU_DEP_3) | instskip(NEXT) | instid1(VALU_DEP_3)
	v_sub_f32_e32 v98, v95, v13
	v_sub_f32_e32 v12, v12, v94
	s_delay_alu instid0(VALU_DEP_2) | instskip(NEXT) | instid1(VALU_DEP_2)
	v_sub_f32_e32 v99, v95, v98
	v_dual_sub_f32 v93, v93, v98 :: v_dual_add_f32 v94, v96, v12
	s_delay_alu instid0(VALU_DEP_2) | instskip(NEXT) | instid1(VALU_DEP_1)
	v_sub_f32_e32 v13, v13, v99
	v_add_f32_e32 v13, v93, v13
	s_delay_alu instid0(VALU_DEP_3) | instskip(NEXT) | instid1(VALU_DEP_2)
	v_sub_f32_e32 v93, v94, v96
	v_add_f32_e32 v13, v94, v13
	s_delay_alu instid0(VALU_DEP_2) | instskip(SKIP_1) | instid1(VALU_DEP_1)
	v_sub_f32_e32 v12, v12, v93
	v_sub_f32_e32 v94, v94, v93
	v_dual_add_f32 v97, v95, v13 :: v_dual_sub_f32 v94, v96, v94
	s_delay_alu instid0(VALU_DEP_1) | instskip(NEXT) | instid1(VALU_DEP_1)
	v_dual_sub_f32 v93, v97, v95 :: v_dual_add_f32 v12, v12, v94
	v_sub_f32_e32 v13, v13, v93
	s_delay_alu instid0(VALU_DEP_1) | instskip(NEXT) | instid1(VALU_DEP_1)
	v_add_f32_e32 v12, v12, v13
	v_add_f32_e32 v12, v97, v12
	s_delay_alu instid0(VALU_DEP_1)
	v_cndmask_b32_e32 v93, v12, v17, vcc_lo
.LBB95_82:                              ;   in Loop: Header=BB95_12 Depth=1
	s_or_b32 exec_lo, exec_lo, s30
	v_cvt_f32_f16_e32 v12, v14
	s_delay_alu instid0(VALU_DEP_1) | instskip(NEXT) | instid1(VALU_DEP_1)
	v_add_f32_e32 v94, s69, v12
	v_cmp_ge_f32_e32 vcc_lo, 0x41a00000, v94
	s_and_b32 s29, s80, vcc_lo
	s_delay_alu instid0(SALU_CYCLE_1)
	s_and_saveexec_b32 s30, s29
	s_cbranch_execz .LBB95_84
; %bb.83:                               ;   in Loop: Header=BB95_12 Depth=1
	v_mul_f32_e32 v12, 0x3fb8aa3b, v94
	v_cmp_ngt_f32_e32 vcc_lo, 0xc2ce8ed0, v94
	s_delay_alu instid0(VALU_DEP_2) | instskip(SKIP_1) | instid1(VALU_DEP_1)
	v_rndne_f32_e32 v13, v12
	v_fma_f32 v17, 0x3fb8aa3b, v94, -v12
	v_dual_sub_f32 v12, v12, v13 :: v_dual_fmac_f32 v17, 0x32a5705f, v94
	v_cvt_i32_f32_e32 v13, v13
	s_delay_alu instid0(VALU_DEP_2) | instskip(NEXT) | instid1(VALU_DEP_1)
	v_add_f32_e32 v12, v12, v17
	v_exp_f32_e32 v12, v12
	s_waitcnt_depctr 0xfff
	v_ldexp_f32 v12, v12, v13
	s_delay_alu instid0(VALU_DEP_1) | instskip(SKIP_1) | instid1(VALU_DEP_2)
	v_cndmask_b32_e32 v12, 0, v12, vcc_lo
	v_cmp_nlt_f32_e32 vcc_lo, 0x42b17218, v94
	v_cndmask_b32_e32 v17, 0x7f800000, v12, vcc_lo
	s_delay_alu instid0(VALU_DEP_1) | instskip(NEXT) | instid1(VALU_DEP_1)
	v_add_f32_e32 v94, 1.0, v17
	v_cvt_f64_f32_e32 v[12:13], v94
	s_delay_alu instid0(VALU_DEP_1) | instskip(SKIP_1) | instid1(VALU_DEP_1)
	v_frexp_exp_i32_f64_e32 v12, v[12:13]
	v_frexp_mant_f32_e32 v13, v94
	v_cmp_gt_f32_e32 vcc_lo, 0x3f2aaaab, v13
	v_add_f32_e32 v13, -1.0, v94
	s_delay_alu instid0(VALU_DEP_1) | instskip(SKIP_2) | instid1(VALU_DEP_3)
	v_sub_f32_e32 v96, v13, v94
	v_sub_f32_e32 v13, v17, v13
	v_cmp_gt_f32_e64 s29, 0x33800000, v17
	v_add_f32_e32 v96, 1.0, v96
	s_delay_alu instid0(VALU_DEP_1) | instskip(SKIP_2) | instid1(VALU_DEP_2)
	v_add_f32_e32 v13, v13, v96
	v_subrev_co_ci_u32_e32 v12, vcc_lo, 0, v12, vcc_lo
	v_cmp_eq_f32_e32 vcc_lo, 0x7f800000, v17
	v_sub_nc_u32_e32 v95, 0, v12
	v_cvt_f32_i32_e32 v12, v12
	s_or_b32 vcc_lo, s29, vcc_lo
	s_delay_alu instid0(VALU_DEP_2) | instskip(SKIP_1) | instid1(VALU_DEP_2)
	v_ldexp_f32 v94, v94, v95
	v_ldexp_f32 v13, v13, v95
	v_add_f32_e32 v95, -1.0, v94
	s_delay_alu instid0(VALU_DEP_1) | instskip(NEXT) | instid1(VALU_DEP_1)
	v_dual_add_f32 v97, 1.0, v94 :: v_dual_add_f32 v98, 1.0, v95
	v_add_f32_e32 v96, -1.0, v97
	s_delay_alu instid0(VALU_DEP_1) | instskip(NEXT) | instid1(VALU_DEP_3)
	v_sub_f32_e32 v96, v94, v96
	v_sub_f32_e32 v94, v94, v98
	s_delay_alu instid0(VALU_DEP_2) | instskip(NEXT) | instid1(VALU_DEP_2)
	v_add_f32_e32 v96, v13, v96
	v_add_f32_e32 v13, v13, v94
	s_delay_alu instid0(VALU_DEP_1) | instskip(NEXT) | instid1(VALU_DEP_1)
	v_dual_add_f32 v99, v95, v13 :: v_dual_add_f32 v98, v97, v96
	v_sub_f32_e32 v95, v95, v99
	s_delay_alu instid0(VALU_DEP_2) | instskip(SKIP_1) | instid1(VALU_DEP_1)
	v_rcp_f32_e32 v94, v98
	v_sub_f32_e32 v97, v97, v98
	v_dual_add_f32 v13, v13, v95 :: v_dual_add_f32 v96, v96, v97
	s_waitcnt_depctr 0xfff
	v_mul_f32_e32 v100, v99, v94
	s_delay_alu instid0(VALU_DEP_1) | instskip(NEXT) | instid1(VALU_DEP_1)
	v_mul_f32_e32 v101, v98, v100
	v_fma_f32 v97, v100, v98, -v101
	s_delay_alu instid0(VALU_DEP_1) | instskip(NEXT) | instid1(VALU_DEP_1)
	v_fmac_f32_e32 v97, v100, v96
	v_add_f32_e32 v102, v101, v97
	s_delay_alu instid0(VALU_DEP_1) | instskip(SKIP_1) | instid1(VALU_DEP_2)
	v_sub_f32_e32 v103, v99, v102
	v_sub_f32_e32 v95, v102, v101
	;; [unrolled: 1-line block ×3, first 2 shown]
	s_delay_alu instid0(VALU_DEP_2) | instskip(NEXT) | instid1(VALU_DEP_2)
	v_sub_f32_e32 v95, v95, v97
	v_sub_f32_e32 v99, v99, v102
	s_delay_alu instid0(VALU_DEP_1) | instskip(NEXT) | instid1(VALU_DEP_1)
	v_add_f32_e32 v13, v13, v99
	v_add_f32_e32 v13, v95, v13
	s_delay_alu instid0(VALU_DEP_1) | instskip(NEXT) | instid1(VALU_DEP_1)
	v_add_f32_e32 v95, v103, v13
	v_mul_f32_e32 v97, v94, v95
	s_delay_alu instid0(VALU_DEP_1) | instskip(NEXT) | instid1(VALU_DEP_1)
	v_dual_sub_f32 v102, v103, v95 :: v_dual_mul_f32 v99, v98, v97
	v_add_f32_e32 v13, v13, v102
	s_delay_alu instid0(VALU_DEP_2) | instskip(NEXT) | instid1(VALU_DEP_1)
	v_fma_f32 v98, v97, v98, -v99
	v_fmac_f32_e32 v98, v97, v96
	s_delay_alu instid0(VALU_DEP_1) | instskip(NEXT) | instid1(VALU_DEP_1)
	v_add_f32_e32 v96, v99, v98
	v_sub_f32_e32 v101, v95, v96
	s_delay_alu instid0(VALU_DEP_1) | instskip(NEXT) | instid1(VALU_DEP_1)
	v_sub_f32_e32 v95, v95, v101
	v_sub_f32_e32 v95, v95, v96
	s_delay_alu instid0(VALU_DEP_1) | instskip(SKIP_2) | instid1(VALU_DEP_1)
	v_add_f32_e32 v13, v13, v95
	v_add_f32_e32 v95, v100, v97
	v_sub_f32_e32 v99, v96, v99
	v_sub_f32_e32 v96, v99, v98
	s_delay_alu instid0(VALU_DEP_1) | instskip(NEXT) | instid1(VALU_DEP_1)
	v_dual_add_f32 v13, v96, v13 :: v_dual_sub_f32 v96, v95, v100
	v_add_f32_e32 v13, v101, v13
	s_delay_alu instid0(VALU_DEP_1) | instskip(NEXT) | instid1(VALU_DEP_1)
	v_dual_sub_f32 v96, v97, v96 :: v_dual_mul_f32 v13, v94, v13
	v_add_f32_e32 v13, v96, v13
	s_delay_alu instid0(VALU_DEP_1) | instskip(NEXT) | instid1(VALU_DEP_1)
	v_add_f32_e32 v94, v95, v13
	v_mul_f32_e32 v96, v94, v94
	s_delay_alu instid0(VALU_DEP_1) | instskip(SKIP_1) | instid1(VALU_DEP_2)
	v_fmaak_f32 v97, s84, v96, 0x3ecc95a3
	v_mul_f32_e32 v98, v94, v96
	v_fmaak_f32 v96, v96, v97, 0x3f2aaada
	v_ldexp_f32 v97, v94, 1
	v_sub_f32_e32 v94, v94, v95
	s_delay_alu instid0(VALU_DEP_3) | instskip(NEXT) | instid1(VALU_DEP_2)
	v_mul_f32_e32 v96, v98, v96
	v_dual_mul_f32 v98, 0x3f317218, v12 :: v_dual_sub_f32 v13, v13, v94
	s_delay_alu instid0(VALU_DEP_2) | instskip(NEXT) | instid1(VALU_DEP_2)
	v_add_f32_e32 v95, v97, v96
	v_ldexp_f32 v13, v13, 1
	s_delay_alu instid0(VALU_DEP_2) | instskip(NEXT) | instid1(VALU_DEP_4)
	v_sub_f32_e32 v94, v95, v97
	v_fma_f32 v97, 0x3f317218, v12, -v98
	s_delay_alu instid0(VALU_DEP_1) | instskip(NEXT) | instid1(VALU_DEP_1)
	v_dual_sub_f32 v94, v96, v94 :: v_dual_fmac_f32 v97, 0xb102e308, v12
	v_add_f32_e32 v12, v13, v94
	s_delay_alu instid0(VALU_DEP_1) | instskip(NEXT) | instid1(VALU_DEP_1)
	v_add_f32_e32 v94, v95, v12
	v_sub_f32_e32 v95, v94, v95
	s_delay_alu instid0(VALU_DEP_1) | instskip(NEXT) | instid1(VALU_DEP_1)
	v_dual_sub_f32 v12, v12, v95 :: v_dual_add_f32 v13, v98, v97
	v_add_f32_e32 v96, v13, v94
	s_delay_alu instid0(VALU_DEP_1) | instskip(NEXT) | instid1(VALU_DEP_1)
	v_dual_sub_f32 v98, v13, v98 :: v_dual_sub_f32 v99, v96, v13
	v_dual_sub_f32 v97, v97, v98 :: v_dual_sub_f32 v100, v96, v99
	s_delay_alu instid0(VALU_DEP_1) | instskip(NEXT) | instid1(VALU_DEP_2)
	v_dual_sub_f32 v94, v94, v99 :: v_dual_add_f32 v95, v97, v12
	v_sub_f32_e32 v13, v13, v100
	s_delay_alu instid0(VALU_DEP_1) | instskip(NEXT) | instid1(VALU_DEP_3)
	v_add_f32_e32 v13, v94, v13
	v_sub_f32_e32 v94, v95, v97
	s_delay_alu instid0(VALU_DEP_2) | instskip(NEXT) | instid1(VALU_DEP_2)
	v_add_f32_e32 v13, v95, v13
	v_sub_f32_e32 v95, v95, v94
	v_sub_f32_e32 v12, v12, v94
	s_delay_alu instid0(VALU_DEP_2) | instskip(NEXT) | instid1(VALU_DEP_1)
	v_dual_add_f32 v98, v96, v13 :: v_dual_sub_f32 v95, v97, v95
	v_sub_f32_e32 v94, v98, v96
	s_delay_alu instid0(VALU_DEP_1) | instskip(NEXT) | instid1(VALU_DEP_1)
	v_dual_add_f32 v12, v12, v95 :: v_dual_sub_f32 v13, v13, v94
	v_add_f32_e32 v12, v12, v13
	s_delay_alu instid0(VALU_DEP_1) | instskip(NEXT) | instid1(VALU_DEP_1)
	v_add_f32_e32 v12, v98, v12
	v_cndmask_b32_e32 v94, v12, v17, vcc_lo
.LBB95_84:                              ;   in Loop: Header=BB95_12 Depth=1
	s_or_b32 exec_lo, exec_lo, s30
	v_lshrrev_b32_e32 v12, 16, v14
	s_delay_alu instid0(VALU_DEP_1) | instskip(NEXT) | instid1(VALU_DEP_1)
	v_cvt_f32_f16_e32 v12, v12
	v_add_f32_e32 v95, s69, v12
	s_delay_alu instid0(VALU_DEP_1) | instskip(SKIP_1) | instid1(SALU_CYCLE_1)
	v_cmp_ge_f32_e32 vcc_lo, 0x41a00000, v95
	s_and_b32 s29, s80, vcc_lo
	s_and_saveexec_b32 s30, s29
	s_cbranch_execz .LBB95_86
; %bb.85:                               ;   in Loop: Header=BB95_12 Depth=1
	v_mul_f32_e32 v12, 0x3fb8aa3b, v95
	v_cmp_ngt_f32_e32 vcc_lo, 0xc2ce8ed0, v95
	s_delay_alu instid0(VALU_DEP_2) | instskip(SKIP_1) | instid1(VALU_DEP_2)
	v_rndne_f32_e32 v13, v12
	v_fma_f32 v14, 0x3fb8aa3b, v95, -v12
	v_sub_f32_e32 v12, v12, v13
	s_delay_alu instid0(VALU_DEP_2) | instskip(SKIP_1) | instid1(VALU_DEP_2)
	v_fmac_f32_e32 v14, 0x32a5705f, v95
	v_cvt_i32_f32_e32 v13, v13
	v_add_f32_e32 v12, v12, v14
	s_delay_alu instid0(VALU_DEP_1) | instskip(SKIP_2) | instid1(VALU_DEP_1)
	v_exp_f32_e32 v12, v12
	s_waitcnt_depctr 0xfff
	v_ldexp_f32 v12, v12, v13
	v_cndmask_b32_e32 v12, 0, v12, vcc_lo
	v_cmp_nlt_f32_e32 vcc_lo, 0x42b17218, v95
	s_delay_alu instid0(VALU_DEP_2) | instskip(NEXT) | instid1(VALU_DEP_1)
	v_cndmask_b32_e32 v14, 0x7f800000, v12, vcc_lo
	v_add_f32_e32 v17, 1.0, v14
	s_delay_alu instid0(VALU_DEP_1) | instskip(NEXT) | instid1(VALU_DEP_1)
	v_cvt_f64_f32_e32 v[12:13], v17
	v_frexp_exp_i32_f64_e32 v12, v[12:13]
	v_frexp_mant_f32_e32 v13, v17
	s_delay_alu instid0(VALU_DEP_1) | instskip(SKIP_1) | instid1(VALU_DEP_1)
	v_cmp_gt_f32_e32 vcc_lo, 0x3f2aaaab, v13
	v_add_f32_e32 v13, -1.0, v17
	v_sub_f32_e32 v96, v13, v17
	v_sub_f32_e32 v13, v14, v13
	v_subrev_co_ci_u32_e32 v12, vcc_lo, 0, v12, vcc_lo
	s_delay_alu instid0(VALU_DEP_1) | instskip(SKIP_1) | instid1(VALU_DEP_2)
	v_sub_nc_u32_e32 v95, 0, v12
	v_cvt_f32_i32_e32 v12, v12
	v_ldexp_f32 v17, v17, v95
	s_delay_alu instid0(VALU_DEP_1) | instskip(NEXT) | instid1(VALU_DEP_1)
	v_dual_add_f32 v96, 1.0, v96 :: v_dual_add_f32 v97, 1.0, v17
	v_dual_add_f32 v13, v13, v96 :: v_dual_add_f32 v96, -1.0, v97
	s_delay_alu instid0(VALU_DEP_1) | instskip(SKIP_4) | instid1(VALU_DEP_4)
	v_ldexp_f32 v13, v13, v95
	v_add_f32_e32 v95, -1.0, v17
	v_cmp_eq_f32_e32 vcc_lo, 0x7f800000, v14
	v_cmp_gt_f32_e64 s29, 0x33800000, v14
	v_sub_f32_e32 v96, v17, v96
	v_add_f32_e32 v98, 1.0, v95
	s_delay_alu instid0(VALU_DEP_3) | instskip(NEXT) | instid1(VALU_DEP_2)
	s_or_b32 vcc_lo, s29, vcc_lo
	v_add_f32_e32 v96, v13, v96
	s_delay_alu instid0(VALU_DEP_2) | instskip(NEXT) | instid1(VALU_DEP_1)
	v_sub_f32_e32 v17, v17, v98
	v_add_f32_e32 v13, v13, v17
	s_delay_alu instid0(VALU_DEP_1) | instskip(NEXT) | instid1(VALU_DEP_1)
	v_dual_add_f32 v99, v95, v13 :: v_dual_add_f32 v98, v97, v96
	v_sub_f32_e32 v95, v95, v99
	s_delay_alu instid0(VALU_DEP_2) | instskip(SKIP_1) | instid1(VALU_DEP_1)
	v_rcp_f32_e32 v17, v98
	v_sub_f32_e32 v97, v97, v98
	v_dual_add_f32 v13, v13, v95 :: v_dual_add_f32 v96, v96, v97
	s_waitcnt_depctr 0xfff
	v_mul_f32_e32 v100, v99, v17
	s_delay_alu instid0(VALU_DEP_1) | instskip(NEXT) | instid1(VALU_DEP_1)
	v_mul_f32_e32 v101, v98, v100
	v_fma_f32 v97, v100, v98, -v101
	s_delay_alu instid0(VALU_DEP_1) | instskip(NEXT) | instid1(VALU_DEP_1)
	v_fmac_f32_e32 v97, v100, v96
	v_add_f32_e32 v102, v101, v97
	s_delay_alu instid0(VALU_DEP_1) | instskip(NEXT) | instid1(VALU_DEP_1)
	v_sub_f32_e32 v103, v99, v102
	v_sub_f32_e32 v99, v99, v103
	;; [unrolled: 1-line block ×3, first 2 shown]
	s_delay_alu instid0(VALU_DEP_2) | instskip(NEXT) | instid1(VALU_DEP_2)
	v_sub_f32_e32 v99, v99, v102
	v_sub_f32_e32 v95, v95, v97
	s_delay_alu instid0(VALU_DEP_2) | instskip(NEXT) | instid1(VALU_DEP_1)
	v_add_f32_e32 v13, v13, v99
	v_add_f32_e32 v13, v95, v13
	s_delay_alu instid0(VALU_DEP_1) | instskip(NEXT) | instid1(VALU_DEP_1)
	v_add_f32_e32 v95, v103, v13
	v_mul_f32_e32 v97, v17, v95
	s_delay_alu instid0(VALU_DEP_1) | instskip(NEXT) | instid1(VALU_DEP_1)
	v_dual_sub_f32 v102, v103, v95 :: v_dual_mul_f32 v99, v98, v97
	v_add_f32_e32 v13, v13, v102
	s_delay_alu instid0(VALU_DEP_2) | instskip(NEXT) | instid1(VALU_DEP_1)
	v_fma_f32 v98, v97, v98, -v99
	v_fmac_f32_e32 v98, v97, v96
	s_delay_alu instid0(VALU_DEP_1) | instskip(NEXT) | instid1(VALU_DEP_1)
	v_add_f32_e32 v96, v99, v98
	v_sub_f32_e32 v101, v95, v96
	v_sub_f32_e32 v99, v96, v99
	s_delay_alu instid0(VALU_DEP_2) | instskip(NEXT) | instid1(VALU_DEP_1)
	v_sub_f32_e32 v95, v95, v101
	v_sub_f32_e32 v95, v95, v96
	s_delay_alu instid0(VALU_DEP_1) | instskip(SKIP_1) | instid1(VALU_DEP_1)
	v_dual_sub_f32 v96, v99, v98 :: v_dual_add_f32 v13, v13, v95
	v_add_f32_e32 v95, v100, v97
	v_dual_add_f32 v13, v96, v13 :: v_dual_sub_f32 v96, v95, v100
	s_delay_alu instid0(VALU_DEP_1) | instskip(NEXT) | instid1(VALU_DEP_2)
	v_add_f32_e32 v13, v101, v13
	v_sub_f32_e32 v96, v97, v96
	s_delay_alu instid0(VALU_DEP_2) | instskip(NEXT) | instid1(VALU_DEP_1)
	v_mul_f32_e32 v13, v17, v13
	v_add_f32_e32 v13, v96, v13
	s_delay_alu instid0(VALU_DEP_1) | instskip(NEXT) | instid1(VALU_DEP_1)
	v_add_f32_e32 v17, v95, v13
	v_mul_f32_e32 v96, v17, v17
	s_delay_alu instid0(VALU_DEP_1) | instskip(SKIP_1) | instid1(VALU_DEP_2)
	v_fmaak_f32 v97, s84, v96, 0x3ecc95a3
	v_mul_f32_e32 v98, v17, v96
	v_fmaak_f32 v96, v96, v97, 0x3f2aaada
	v_ldexp_f32 v97, v17, 1
	s_delay_alu instid0(VALU_DEP_2) | instskip(NEXT) | instid1(VALU_DEP_1)
	v_dual_sub_f32 v17, v17, v95 :: v_dual_mul_f32 v96, v98, v96
	v_dual_mul_f32 v98, 0x3f317218, v12 :: v_dual_sub_f32 v13, v13, v17
	s_delay_alu instid0(VALU_DEP_2) | instskip(NEXT) | instid1(VALU_DEP_2)
	v_add_f32_e32 v95, v97, v96
	v_ldexp_f32 v13, v13, 1
	s_delay_alu instid0(VALU_DEP_2) | instskip(NEXT) | instid1(VALU_DEP_4)
	v_sub_f32_e32 v17, v95, v97
	v_fma_f32 v97, 0x3f317218, v12, -v98
	s_delay_alu instid0(VALU_DEP_2) | instskip(NEXT) | instid1(VALU_DEP_1)
	v_sub_f32_e32 v17, v96, v17
	v_dual_fmac_f32 v97, 0xb102e308, v12 :: v_dual_add_f32 v12, v13, v17
	s_delay_alu instid0(VALU_DEP_1) | instskip(NEXT) | instid1(VALU_DEP_1)
	v_add_f32_e32 v13, v98, v97
	v_dual_add_f32 v17, v95, v12 :: v_dual_sub_f32 v98, v13, v98
	s_delay_alu instid0(VALU_DEP_1) | instskip(SKIP_1) | instid1(VALU_DEP_3)
	v_add_f32_e32 v96, v13, v17
	v_sub_f32_e32 v95, v17, v95
	v_sub_f32_e32 v97, v97, v98
	s_delay_alu instid0(VALU_DEP_3) | instskip(NEXT) | instid1(VALU_DEP_3)
	v_sub_f32_e32 v99, v96, v13
	v_sub_f32_e32 v12, v12, v95
	s_delay_alu instid0(VALU_DEP_2) | instskip(SKIP_1) | instid1(VALU_DEP_3)
	v_sub_f32_e32 v100, v96, v99
	v_sub_f32_e32 v17, v17, v99
	v_add_f32_e32 v95, v97, v12
	s_delay_alu instid0(VALU_DEP_3) | instskip(NEXT) | instid1(VALU_DEP_1)
	v_sub_f32_e32 v13, v13, v100
	v_add_f32_e32 v13, v17, v13
	s_delay_alu instid0(VALU_DEP_3) | instskip(NEXT) | instid1(VALU_DEP_2)
	v_sub_f32_e32 v17, v95, v97
	v_add_f32_e32 v13, v95, v13
	s_delay_alu instid0(VALU_DEP_2) | instskip(SKIP_1) | instid1(VALU_DEP_2)
	v_sub_f32_e32 v95, v95, v17
	v_sub_f32_e32 v12, v12, v17
	v_dual_add_f32 v98, v96, v13 :: v_dual_sub_f32 v95, v97, v95
	s_delay_alu instid0(VALU_DEP_1) | instskip(NEXT) | instid1(VALU_DEP_1)
	v_dual_sub_f32 v17, v98, v96 :: v_dual_add_f32 v12, v12, v95
	v_sub_f32_e32 v13, v13, v17
	s_delay_alu instid0(VALU_DEP_1) | instskip(NEXT) | instid1(VALU_DEP_1)
	v_add_f32_e32 v12, v12, v13
	v_add_f32_e32 v12, v98, v12
	s_delay_alu instid0(VALU_DEP_1)
	v_cndmask_b32_e32 v95, v12, v14, vcc_lo
.LBB95_86:                              ;   in Loop: Header=BB95_12 Depth=1
	s_or_b32 exec_lo, exec_lo, s30
	v_cvt_f32_f16_e32 v12, v15
	s_delay_alu instid0(VALU_DEP_1) | instskip(NEXT) | instid1(VALU_DEP_1)
	v_add_f32_e32 v96, s69, v12
	v_cmp_ge_f32_e32 vcc_lo, 0x41a00000, v96
	s_and_b32 s29, s80, vcc_lo
	s_delay_alu instid0(SALU_CYCLE_1)
	s_and_saveexec_b32 s30, s29
	s_cbranch_execz .LBB95_88
; %bb.87:                               ;   in Loop: Header=BB95_12 Depth=1
	v_mul_f32_e32 v12, 0x3fb8aa3b, v96
	v_cmp_ngt_f32_e32 vcc_lo, 0xc2ce8ed0, v96
	s_delay_alu instid0(VALU_DEP_2) | instskip(SKIP_1) | instid1(VALU_DEP_2)
	v_rndne_f32_e32 v13, v12
	v_fma_f32 v14, 0x3fb8aa3b, v96, -v12
	v_sub_f32_e32 v12, v12, v13
	s_delay_alu instid0(VALU_DEP_2) | instskip(SKIP_1) | instid1(VALU_DEP_2)
	v_fmac_f32_e32 v14, 0x32a5705f, v96
	v_cvt_i32_f32_e32 v13, v13
	v_add_f32_e32 v12, v12, v14
	s_delay_alu instid0(VALU_DEP_1) | instskip(SKIP_2) | instid1(VALU_DEP_1)
	v_exp_f32_e32 v12, v12
	s_waitcnt_depctr 0xfff
	v_ldexp_f32 v12, v12, v13
	v_cndmask_b32_e32 v12, 0, v12, vcc_lo
	v_cmp_nlt_f32_e32 vcc_lo, 0x42b17218, v96
	s_delay_alu instid0(VALU_DEP_2) | instskip(NEXT) | instid1(VALU_DEP_1)
	v_cndmask_b32_e32 v14, 0x7f800000, v12, vcc_lo
	v_add_f32_e32 v17, 1.0, v14
	s_delay_alu instid0(VALU_DEP_1) | instskip(NEXT) | instid1(VALU_DEP_1)
	v_cvt_f64_f32_e32 v[12:13], v17
	v_frexp_exp_i32_f64_e32 v12, v[12:13]
	v_frexp_mant_f32_e32 v13, v17
	s_delay_alu instid0(VALU_DEP_1) | instskip(SKIP_1) | instid1(VALU_DEP_1)
	v_cmp_gt_f32_e32 vcc_lo, 0x3f2aaaab, v13
	v_add_f32_e32 v13, -1.0, v17
	v_sub_f32_e32 v97, v13, v17
	s_delay_alu instid0(VALU_DEP_1) | instskip(SKIP_2) | instid1(VALU_DEP_2)
	v_add_f32_e32 v97, 1.0, v97
	v_sub_f32_e32 v13, v14, v13
	v_cmp_gt_f32_e64 s29, 0x33800000, v14
	v_add_f32_e32 v13, v13, v97
	v_subrev_co_ci_u32_e32 v12, vcc_lo, 0, v12, vcc_lo
	v_cmp_eq_f32_e32 vcc_lo, 0x7f800000, v14
	s_delay_alu instid0(VALU_DEP_2) | instskip(SKIP_2) | instid1(VALU_DEP_2)
	v_sub_nc_u32_e32 v96, 0, v12
	v_cvt_f32_i32_e32 v12, v12
	s_or_b32 vcc_lo, s29, vcc_lo
	v_ldexp_f32 v17, v17, v96
	v_ldexp_f32 v13, v13, v96
	s_delay_alu instid0(VALU_DEP_2) | instskip(NEXT) | instid1(VALU_DEP_1)
	v_add_f32_e32 v96, -1.0, v17
	v_dual_add_f32 v98, 1.0, v17 :: v_dual_add_f32 v99, 1.0, v96
	s_delay_alu instid0(VALU_DEP_1) | instskip(NEXT) | instid1(VALU_DEP_1)
	v_add_f32_e32 v97, -1.0, v98
	v_sub_f32_e32 v97, v17, v97
	s_delay_alu instid0(VALU_DEP_3) | instskip(NEXT) | instid1(VALU_DEP_2)
	v_sub_f32_e32 v17, v17, v99
	v_add_f32_e32 v97, v13, v97
	s_delay_alu instid0(VALU_DEP_2) | instskip(NEXT) | instid1(VALU_DEP_1)
	v_add_f32_e32 v13, v13, v17
	v_add_f32_e32 v100, v96, v13
	s_delay_alu instid0(VALU_DEP_1) | instskip(NEXT) | instid1(VALU_DEP_1)
	v_dual_sub_f32 v96, v96, v100 :: v_dual_add_f32 v99, v98, v97
	v_add_f32_e32 v13, v13, v96
	s_delay_alu instid0(VALU_DEP_2) | instskip(SKIP_1) | instid1(VALU_DEP_1)
	v_rcp_f32_e32 v17, v99
	v_sub_f32_e32 v98, v98, v99
	v_add_f32_e32 v97, v97, v98
	s_waitcnt_depctr 0xfff
	v_mul_f32_e32 v101, v100, v17
	s_delay_alu instid0(VALU_DEP_1) | instskip(NEXT) | instid1(VALU_DEP_1)
	v_mul_f32_e32 v102, v99, v101
	v_fma_f32 v98, v101, v99, -v102
	s_delay_alu instid0(VALU_DEP_1) | instskip(NEXT) | instid1(VALU_DEP_1)
	v_fmac_f32_e32 v98, v101, v97
	v_add_f32_e32 v103, v102, v98
	s_delay_alu instid0(VALU_DEP_1) | instskip(SKIP_1) | instid1(VALU_DEP_2)
	v_sub_f32_e32 v104, v100, v103
	v_sub_f32_e32 v96, v103, v102
	v_sub_f32_e32 v100, v100, v104
	s_delay_alu instid0(VALU_DEP_1) | instskip(NEXT) | instid1(VALU_DEP_1)
	v_sub_f32_e32 v100, v100, v103
	v_dual_sub_f32 v96, v96, v98 :: v_dual_add_f32 v13, v13, v100
	s_delay_alu instid0(VALU_DEP_1) | instskip(NEXT) | instid1(VALU_DEP_1)
	v_add_f32_e32 v13, v96, v13
	v_add_f32_e32 v96, v104, v13
	s_delay_alu instid0(VALU_DEP_1) | instskip(NEXT) | instid1(VALU_DEP_1)
	v_mul_f32_e32 v98, v17, v96
	v_dual_sub_f32 v103, v104, v96 :: v_dual_mul_f32 v100, v99, v98
	s_delay_alu instid0(VALU_DEP_1) | instskip(NEXT) | instid1(VALU_DEP_2)
	v_add_f32_e32 v13, v13, v103
	v_fma_f32 v99, v98, v99, -v100
	s_delay_alu instid0(VALU_DEP_1) | instskip(NEXT) | instid1(VALU_DEP_1)
	v_fmac_f32_e32 v99, v98, v97
	v_add_f32_e32 v97, v100, v99
	s_delay_alu instid0(VALU_DEP_1) | instskip(NEXT) | instid1(VALU_DEP_1)
	v_sub_f32_e32 v102, v96, v97
	v_sub_f32_e32 v96, v96, v102
	s_delay_alu instid0(VALU_DEP_1) | instskip(NEXT) | instid1(VALU_DEP_1)
	v_sub_f32_e32 v96, v96, v97
	v_add_f32_e32 v13, v13, v96
	v_add_f32_e32 v96, v101, v98
	v_sub_f32_e32 v100, v97, v100
	s_delay_alu instid0(VALU_DEP_1) | instskip(NEXT) | instid1(VALU_DEP_1)
	v_sub_f32_e32 v97, v100, v99
	v_add_f32_e32 v13, v97, v13
	s_delay_alu instid0(VALU_DEP_4) | instskip(NEXT) | instid1(VALU_DEP_2)
	v_sub_f32_e32 v97, v96, v101
	v_add_f32_e32 v13, v102, v13
	s_delay_alu instid0(VALU_DEP_2) | instskip(NEXT) | instid1(VALU_DEP_2)
	v_sub_f32_e32 v97, v98, v97
	v_mul_f32_e32 v13, v17, v13
	s_delay_alu instid0(VALU_DEP_1) | instskip(NEXT) | instid1(VALU_DEP_1)
	v_add_f32_e32 v13, v97, v13
	v_add_f32_e32 v17, v96, v13
	s_delay_alu instid0(VALU_DEP_1) | instskip(NEXT) | instid1(VALU_DEP_1)
	v_mul_f32_e32 v97, v17, v17
	v_fmaak_f32 v98, s84, v97, 0x3ecc95a3
	v_mul_f32_e32 v99, v17, v97
	s_delay_alu instid0(VALU_DEP_2) | instskip(SKIP_1) | instid1(VALU_DEP_2)
	v_fmaak_f32 v97, v97, v98, 0x3f2aaada
	v_ldexp_f32 v98, v17, 1
	v_mul_f32_e32 v97, v99, v97
	s_delay_alu instid0(VALU_DEP_1) | instskip(NEXT) | instid1(VALU_DEP_1)
	v_dual_sub_f32 v17, v17, v96 :: v_dual_add_f32 v96, v98, v97
	v_sub_f32_e32 v13, v13, v17
	s_delay_alu instid0(VALU_DEP_2) | instskip(NEXT) | instid1(VALU_DEP_2)
	v_sub_f32_e32 v17, v96, v98
	v_ldexp_f32 v13, v13, 1
	s_delay_alu instid0(VALU_DEP_2) | instskip(SKIP_1) | instid1(VALU_DEP_1)
	v_sub_f32_e32 v17, v97, v17
	v_mul_f32_e32 v99, 0x3f317218, v12
	v_fma_f32 v98, 0x3f317218, v12, -v99
	s_delay_alu instid0(VALU_DEP_1) | instskip(NEXT) | instid1(VALU_DEP_1)
	v_fmac_f32_e32 v98, 0xb102e308, v12
	v_dual_add_f32 v12, v13, v17 :: v_dual_add_f32 v13, v99, v98
	s_delay_alu instid0(VALU_DEP_1) | instskip(NEXT) | instid1(VALU_DEP_1)
	v_add_f32_e32 v17, v96, v12
	v_add_f32_e32 v97, v13, v17
	v_sub_f32_e32 v96, v17, v96
	s_delay_alu instid0(VALU_DEP_2) | instskip(NEXT) | instid1(VALU_DEP_2)
	v_sub_f32_e32 v100, v97, v13
	v_dual_sub_f32 v12, v12, v96 :: v_dual_sub_f32 v99, v13, v99
	s_delay_alu instid0(VALU_DEP_2) | instskip(NEXT) | instid1(VALU_DEP_2)
	v_sub_f32_e32 v101, v97, v100
	v_dual_sub_f32 v17, v17, v100 :: v_dual_sub_f32 v98, v98, v99
	s_delay_alu instid0(VALU_DEP_1) | instskip(NEXT) | instid1(VALU_DEP_1)
	v_dual_sub_f32 v13, v13, v101 :: v_dual_add_f32 v96, v98, v12
	v_add_f32_e32 v13, v17, v13
	s_delay_alu instid0(VALU_DEP_2) | instskip(NEXT) | instid1(VALU_DEP_2)
	v_sub_f32_e32 v17, v96, v98
	v_add_f32_e32 v13, v96, v13
	s_delay_alu instid0(VALU_DEP_2) | instskip(SKIP_1) | instid1(VALU_DEP_2)
	v_sub_f32_e32 v96, v96, v17
	v_sub_f32_e32 v12, v12, v17
	v_dual_add_f32 v99, v97, v13 :: v_dual_sub_f32 v96, v98, v96
	s_delay_alu instid0(VALU_DEP_1) | instskip(NEXT) | instid1(VALU_DEP_1)
	v_dual_sub_f32 v17, v99, v97 :: v_dual_add_f32 v12, v12, v96
	v_sub_f32_e32 v13, v13, v17
	s_delay_alu instid0(VALU_DEP_1) | instskip(NEXT) | instid1(VALU_DEP_1)
	v_add_f32_e32 v12, v12, v13
	v_add_f32_e32 v12, v99, v12
	s_delay_alu instid0(VALU_DEP_1)
	v_cndmask_b32_e32 v96, v12, v14, vcc_lo
.LBB95_88:                              ;   in Loop: Header=BB95_12 Depth=1
	s_or_b32 exec_lo, exec_lo, s30
	v_lshrrev_b32_e32 v12, 16, v15
	s_delay_alu instid0(VALU_DEP_1) | instskip(NEXT) | instid1(VALU_DEP_1)
	v_cvt_f32_f16_e32 v12, v12
	v_add_f32_e32 v97, s69, v12
	s_delay_alu instid0(VALU_DEP_1) | instskip(SKIP_1) | instid1(SALU_CYCLE_1)
	v_cmp_ge_f32_e32 vcc_lo, 0x41a00000, v97
	s_and_b32 s29, s80, vcc_lo
	s_and_saveexec_b32 s30, s29
	s_cbranch_execz .LBB95_90
; %bb.89:                               ;   in Loop: Header=BB95_12 Depth=1
	v_mul_f32_e32 v12, 0x3fb8aa3b, v97
	v_cmp_ngt_f32_e32 vcc_lo, 0xc2ce8ed0, v97
	s_delay_alu instid0(VALU_DEP_2) | instskip(SKIP_1) | instid1(VALU_DEP_2)
	v_rndne_f32_e32 v13, v12
	v_fma_f32 v14, 0x3fb8aa3b, v97, -v12
	v_sub_f32_e32 v12, v12, v13
	s_delay_alu instid0(VALU_DEP_2) | instskip(SKIP_1) | instid1(VALU_DEP_2)
	v_fmac_f32_e32 v14, 0x32a5705f, v97
	v_cvt_i32_f32_e32 v13, v13
	v_add_f32_e32 v12, v12, v14
	s_delay_alu instid0(VALU_DEP_1) | instskip(SKIP_2) | instid1(VALU_DEP_1)
	v_exp_f32_e32 v12, v12
	s_waitcnt_depctr 0xfff
	v_ldexp_f32 v12, v12, v13
	v_cndmask_b32_e32 v12, 0, v12, vcc_lo
	v_cmp_nlt_f32_e32 vcc_lo, 0x42b17218, v97
	s_delay_alu instid0(VALU_DEP_2) | instskip(NEXT) | instid1(VALU_DEP_1)
	v_cndmask_b32_e32 v14, 0x7f800000, v12, vcc_lo
	v_add_f32_e32 v15, 1.0, v14
	s_delay_alu instid0(VALU_DEP_1) | instskip(NEXT) | instid1(VALU_DEP_1)
	v_cvt_f64_f32_e32 v[12:13], v15
	v_frexp_exp_i32_f64_e32 v12, v[12:13]
	v_frexp_mant_f32_e32 v13, v15
	s_delay_alu instid0(VALU_DEP_1) | instskip(SKIP_1) | instid1(VALU_DEP_1)
	v_cmp_gt_f32_e32 vcc_lo, 0x3f2aaaab, v13
	v_add_f32_e32 v13, -1.0, v15
	v_sub_f32_e32 v97, v13, v15
	v_sub_f32_e32 v13, v14, v13
	s_delay_alu instid0(VALU_DEP_2) | instskip(NEXT) | instid1(VALU_DEP_1)
	v_add_f32_e32 v97, 1.0, v97
	v_add_f32_e32 v13, v13, v97
	v_cmp_gt_f32_e64 s29, 0x33800000, v14
	v_subrev_co_ci_u32_e32 v12, vcc_lo, 0, v12, vcc_lo
	v_cmp_eq_f32_e32 vcc_lo, 0x7f800000, v14
	s_delay_alu instid0(VALU_DEP_2) | instskip(SKIP_2) | instid1(VALU_DEP_2)
	v_sub_nc_u32_e32 v17, 0, v12
	v_cvt_f32_i32_e32 v12, v12
	s_or_b32 vcc_lo, s29, vcc_lo
	v_ldexp_f32 v15, v15, v17
	v_ldexp_f32 v13, v13, v17
	s_delay_alu instid0(VALU_DEP_2) | instskip(SKIP_1) | instid1(VALU_DEP_2)
	v_add_f32_e32 v98, 1.0, v15
	v_add_f32_e32 v17, -1.0, v15
	v_add_f32_e32 v97, -1.0, v98
	s_delay_alu instid0(VALU_DEP_2) | instskip(NEXT) | instid1(VALU_DEP_2)
	v_add_f32_e32 v99, 1.0, v17
	v_sub_f32_e32 v97, v15, v97
	s_delay_alu instid0(VALU_DEP_2) | instskip(NEXT) | instid1(VALU_DEP_2)
	v_sub_f32_e32 v15, v15, v99
	v_add_f32_e32 v97, v13, v97
	s_delay_alu instid0(VALU_DEP_2) | instskip(NEXT) | instid1(VALU_DEP_1)
	v_add_f32_e32 v13, v13, v15
	v_add_f32_e32 v100, v17, v13
	s_delay_alu instid0(VALU_DEP_3) | instskip(NEXT) | instid1(VALU_DEP_1)
	v_add_f32_e32 v99, v98, v97
	v_rcp_f32_e32 v15, v99
	v_sub_f32_e32 v98, v98, v99
	s_delay_alu instid0(VALU_DEP_1) | instskip(SKIP_2) | instid1(VALU_DEP_1)
	v_add_f32_e32 v97, v97, v98
	s_waitcnt_depctr 0xfff
	v_mul_f32_e32 v101, v100, v15
	v_dual_mul_f32 v102, v99, v101 :: v_dual_sub_f32 v17, v17, v100
	s_delay_alu instid0(VALU_DEP_1) | instskip(NEXT) | instid1(VALU_DEP_2)
	v_fma_f32 v98, v101, v99, -v102
	v_add_f32_e32 v13, v13, v17
	s_delay_alu instid0(VALU_DEP_2) | instskip(NEXT) | instid1(VALU_DEP_1)
	v_fmac_f32_e32 v98, v101, v97
	v_add_f32_e32 v103, v102, v98
	s_delay_alu instid0(VALU_DEP_1) | instskip(NEXT) | instid1(VALU_DEP_1)
	v_dual_sub_f32 v104, v100, v103 :: v_dual_sub_f32 v17, v103, v102
	v_dual_sub_f32 v100, v100, v104 :: v_dual_sub_f32 v17, v17, v98
	s_delay_alu instid0(VALU_DEP_1) | instskip(NEXT) | instid1(VALU_DEP_1)
	v_sub_f32_e32 v100, v100, v103
	v_add_f32_e32 v13, v13, v100
	s_delay_alu instid0(VALU_DEP_1) | instskip(NEXT) | instid1(VALU_DEP_1)
	v_add_f32_e32 v13, v17, v13
	v_add_f32_e32 v17, v104, v13
	s_delay_alu instid0(VALU_DEP_1) | instskip(NEXT) | instid1(VALU_DEP_1)
	v_mul_f32_e32 v98, v15, v17
	v_dual_sub_f32 v103, v104, v17 :: v_dual_mul_f32 v100, v99, v98
	s_delay_alu instid0(VALU_DEP_1) | instskip(NEXT) | instid1(VALU_DEP_2)
	v_add_f32_e32 v13, v13, v103
	v_fma_f32 v99, v98, v99, -v100
	s_delay_alu instid0(VALU_DEP_1) | instskip(NEXT) | instid1(VALU_DEP_1)
	v_fmac_f32_e32 v99, v98, v97
	v_add_f32_e32 v97, v100, v99
	s_delay_alu instid0(VALU_DEP_1) | instskip(SKIP_1) | instid1(VALU_DEP_2)
	v_sub_f32_e32 v102, v17, v97
	v_sub_f32_e32 v100, v97, v100
	;; [unrolled: 1-line block ×3, first 2 shown]
	s_delay_alu instid0(VALU_DEP_1) | instskip(NEXT) | instid1(VALU_DEP_3)
	v_sub_f32_e32 v17, v17, v97
	v_sub_f32_e32 v97, v100, v99
	s_delay_alu instid0(VALU_DEP_2) | instskip(SKIP_1) | instid1(VALU_DEP_2)
	v_add_f32_e32 v13, v13, v17
	v_add_f32_e32 v17, v101, v98
	v_add_f32_e32 v13, v97, v13
	s_delay_alu instid0(VALU_DEP_2) | instskip(NEXT) | instid1(VALU_DEP_2)
	v_sub_f32_e32 v97, v17, v101
	v_add_f32_e32 v13, v102, v13
	s_delay_alu instid0(VALU_DEP_2) | instskip(NEXT) | instid1(VALU_DEP_2)
	v_sub_f32_e32 v97, v98, v97
	v_mul_f32_e32 v13, v15, v13
	s_delay_alu instid0(VALU_DEP_1) | instskip(NEXT) | instid1(VALU_DEP_1)
	v_add_f32_e32 v13, v97, v13
	v_add_f32_e32 v15, v17, v13
	s_delay_alu instid0(VALU_DEP_1) | instskip(NEXT) | instid1(VALU_DEP_1)
	v_mul_f32_e32 v97, v15, v15
	v_fmaak_f32 v98, s84, v97, 0x3ecc95a3
	v_mul_f32_e32 v99, v15, v97
	s_delay_alu instid0(VALU_DEP_2) | instskip(SKIP_2) | instid1(VALU_DEP_3)
	v_fmaak_f32 v97, v97, v98, 0x3f2aaada
	v_ldexp_f32 v98, v15, 1
	v_sub_f32_e32 v15, v15, v17
	v_mul_f32_e32 v97, v99, v97
	v_mul_f32_e32 v99, 0x3f317218, v12
	s_delay_alu instid0(VALU_DEP_3) | instskip(NEXT) | instid1(VALU_DEP_3)
	v_sub_f32_e32 v13, v13, v15
	v_add_f32_e32 v17, v98, v97
	s_delay_alu instid0(VALU_DEP_2) | instskip(NEXT) | instid1(VALU_DEP_2)
	v_ldexp_f32 v13, v13, 1
	v_sub_f32_e32 v15, v17, v98
	v_fma_f32 v98, 0x3f317218, v12, -v99
	s_delay_alu instid0(VALU_DEP_1) | instskip(NEXT) | instid1(VALU_DEP_1)
	v_dual_sub_f32 v15, v97, v15 :: v_dual_fmac_f32 v98, 0xb102e308, v12
	v_dual_add_f32 v12, v13, v15 :: v_dual_add_f32 v13, v99, v98
	s_delay_alu instid0(VALU_DEP_1) | instskip(NEXT) | instid1(VALU_DEP_1)
	v_add_f32_e32 v15, v17, v12
	v_add_f32_e32 v97, v13, v15
	v_sub_f32_e32 v17, v15, v17
	s_delay_alu instid0(VALU_DEP_2) | instskip(NEXT) | instid1(VALU_DEP_2)
	v_sub_f32_e32 v100, v97, v13
	v_dual_sub_f32 v99, v13, v99 :: v_dual_sub_f32 v12, v12, v17
	s_delay_alu instid0(VALU_DEP_1) | instskip(SKIP_1) | instid1(VALU_DEP_2)
	v_dual_sub_f32 v101, v97, v100 :: v_dual_sub_f32 v98, v98, v99
	v_sub_f32_e32 v15, v15, v100
	v_sub_f32_e32 v13, v13, v101
	s_delay_alu instid0(VALU_DEP_3) | instskip(NEXT) | instid1(VALU_DEP_2)
	v_add_f32_e32 v17, v98, v12
	v_add_f32_e32 v13, v15, v13
	s_delay_alu instid0(VALU_DEP_2) | instskip(NEXT) | instid1(VALU_DEP_2)
	v_sub_f32_e32 v15, v17, v98
	v_add_f32_e32 v13, v17, v13
	s_delay_alu instid0(VALU_DEP_2) | instskip(NEXT) | instid1(VALU_DEP_2)
	v_sub_f32_e32 v17, v17, v15
	v_dual_sub_f32 v12, v12, v15 :: v_dual_add_f32 v99, v97, v13
	s_delay_alu instid0(VALU_DEP_2) | instskip(NEXT) | instid1(VALU_DEP_2)
	v_sub_f32_e32 v17, v98, v17
	v_sub_f32_e32 v15, v99, v97
	s_delay_alu instid0(VALU_DEP_1) | instskip(NEXT) | instid1(VALU_DEP_1)
	v_dual_add_f32 v12, v12, v17 :: v_dual_sub_f32 v13, v13, v15
	v_add_f32_e32 v12, v12, v13
	s_delay_alu instid0(VALU_DEP_1) | instskip(NEXT) | instid1(VALU_DEP_1)
	v_add_f32_e32 v12, v99, v12
	v_cndmask_b32_e32 v97, v12, v14, vcc_lo
.LBB95_90:                              ;   in Loop: Header=BB95_12 Depth=1
	s_or_b32 exec_lo, exec_lo, s30
	s_waitcnt lgkmcnt(0)
	v_cvt_f32_f16_e32 v12, v8
	s_delay_alu instid0(VALU_DEP_1) | instskip(NEXT) | instid1(VALU_DEP_1)
	v_add_f32_e32 v98, s69, v12
	v_cmp_ge_f32_e32 vcc_lo, 0x41a00000, v98
	s_and_b32 s29, s80, vcc_lo
	s_delay_alu instid0(SALU_CYCLE_1)
	s_and_saveexec_b32 s30, s29
	s_cbranch_execz .LBB95_92
; %bb.91:                               ;   in Loop: Header=BB95_12 Depth=1
	v_mul_f32_e32 v12, 0x3fb8aa3b, v98
	v_cmp_ngt_f32_e32 vcc_lo, 0xc2ce8ed0, v98
	s_delay_alu instid0(VALU_DEP_2) | instskip(SKIP_1) | instid1(VALU_DEP_2)
	v_rndne_f32_e32 v13, v12
	v_fma_f32 v14, 0x3fb8aa3b, v98, -v12
	v_sub_f32_e32 v12, v12, v13
	s_delay_alu instid0(VALU_DEP_2) | instskip(SKIP_1) | instid1(VALU_DEP_2)
	v_fmac_f32_e32 v14, 0x32a5705f, v98
	v_cvt_i32_f32_e32 v13, v13
	v_add_f32_e32 v12, v12, v14
	s_delay_alu instid0(VALU_DEP_1) | instskip(SKIP_2) | instid1(VALU_DEP_1)
	v_exp_f32_e32 v12, v12
	s_waitcnt_depctr 0xfff
	v_ldexp_f32 v12, v12, v13
	v_cndmask_b32_e32 v12, 0, v12, vcc_lo
	v_cmp_nlt_f32_e32 vcc_lo, 0x42b17218, v98
	s_delay_alu instid0(VALU_DEP_2) | instskip(NEXT) | instid1(VALU_DEP_1)
	v_cndmask_b32_e32 v14, 0x7f800000, v12, vcc_lo
	v_add_f32_e32 v15, 1.0, v14
	s_delay_alu instid0(VALU_DEP_1) | instskip(NEXT) | instid1(VALU_DEP_1)
	v_cvt_f64_f32_e32 v[12:13], v15
	v_frexp_exp_i32_f64_e32 v12, v[12:13]
	v_frexp_mant_f32_e32 v13, v15
	s_delay_alu instid0(VALU_DEP_1) | instskip(SKIP_1) | instid1(VALU_DEP_1)
	v_cmp_gt_f32_e32 vcc_lo, 0x3f2aaaab, v13
	v_add_f32_e32 v13, -1.0, v15
	v_dual_sub_f32 v98, v13, v15 :: v_dual_sub_f32 v13, v14, v13
	s_delay_alu instid0(VALU_DEP_1) | instskip(NEXT) | instid1(VALU_DEP_1)
	v_add_f32_e32 v98, 1.0, v98
	v_add_f32_e32 v13, v13, v98
	v_subrev_co_ci_u32_e32 v12, vcc_lo, 0, v12, vcc_lo
	s_delay_alu instid0(VALU_DEP_1) | instskip(SKIP_1) | instid1(VALU_DEP_2)
	v_sub_nc_u32_e32 v17, 0, v12
	v_cvt_f32_i32_e32 v12, v12
	v_ldexp_f32 v15, v15, v17
	v_ldexp_f32 v13, v13, v17
	s_delay_alu instid0(VALU_DEP_2) | instskip(SKIP_3) | instid1(VALU_DEP_4)
	v_add_f32_e32 v99, 1.0, v15
	v_add_f32_e32 v17, -1.0, v15
	v_cmp_eq_f32_e32 vcc_lo, 0x7f800000, v14
	v_cmp_gt_f32_e64 s29, 0x33800000, v14
	v_add_f32_e32 v98, -1.0, v99
	s_delay_alu instid0(VALU_DEP_4) | instskip(NEXT) | instid1(VALU_DEP_3)
	v_add_f32_e32 v100, 1.0, v17
	s_or_b32 vcc_lo, s29, vcc_lo
	s_delay_alu instid0(VALU_DEP_2) | instskip(NEXT) | instid1(VALU_DEP_1)
	v_sub_f32_e32 v98, v15, v98
	v_dual_sub_f32 v15, v15, v100 :: v_dual_add_f32 v98, v13, v98
	s_delay_alu instid0(VALU_DEP_1) | instskip(NEXT) | instid1(VALU_DEP_1)
	v_add_f32_e32 v13, v13, v15
	v_dual_add_f32 v101, v17, v13 :: v_dual_add_f32 v100, v99, v98
	s_delay_alu instid0(VALU_DEP_1) | instskip(NEXT) | instid1(VALU_DEP_2)
	v_sub_f32_e32 v17, v17, v101
	v_rcp_f32_e32 v15, v100
	v_sub_f32_e32 v99, v99, v100
	s_delay_alu instid0(VALU_DEP_1) | instskip(SKIP_2) | instid1(VALU_DEP_1)
	v_dual_add_f32 v98, v98, v99 :: v_dual_add_f32 v13, v13, v17
	s_waitcnt_depctr 0xfff
	v_mul_f32_e32 v102, v101, v15
	v_mul_f32_e32 v103, v100, v102
	s_delay_alu instid0(VALU_DEP_1) | instskip(NEXT) | instid1(VALU_DEP_1)
	v_fma_f32 v99, v102, v100, -v103
	v_fmac_f32_e32 v99, v102, v98
	s_delay_alu instid0(VALU_DEP_1) | instskip(NEXT) | instid1(VALU_DEP_1)
	v_add_f32_e32 v104, v103, v99
	v_sub_f32_e32 v105, v101, v104
	s_delay_alu instid0(VALU_DEP_1) | instskip(SKIP_1) | instid1(VALU_DEP_2)
	v_sub_f32_e32 v101, v101, v105
	v_sub_f32_e32 v17, v104, v103
	;; [unrolled: 1-line block ×3, first 2 shown]
	s_delay_alu instid0(VALU_DEP_2) | instskip(NEXT) | instid1(VALU_DEP_2)
	v_sub_f32_e32 v17, v17, v99
	v_add_f32_e32 v13, v13, v101
	s_delay_alu instid0(VALU_DEP_1) | instskip(NEXT) | instid1(VALU_DEP_1)
	v_add_f32_e32 v13, v17, v13
	v_add_f32_e32 v17, v105, v13
	s_delay_alu instid0(VALU_DEP_1) | instskip(NEXT) | instid1(VALU_DEP_1)
	v_mul_f32_e32 v99, v15, v17
	v_dual_sub_f32 v104, v105, v17 :: v_dual_mul_f32 v101, v100, v99
	s_delay_alu instid0(VALU_DEP_1) | instskip(NEXT) | instid1(VALU_DEP_2)
	v_add_f32_e32 v13, v13, v104
	v_fma_f32 v100, v99, v100, -v101
	s_delay_alu instid0(VALU_DEP_1) | instskip(NEXT) | instid1(VALU_DEP_1)
	v_fmac_f32_e32 v100, v99, v98
	v_add_f32_e32 v98, v101, v100
	s_delay_alu instid0(VALU_DEP_1) | instskip(NEXT) | instid1(VALU_DEP_1)
	v_sub_f32_e32 v103, v17, v98
	v_sub_f32_e32 v17, v17, v103
	s_delay_alu instid0(VALU_DEP_1) | instskip(NEXT) | instid1(VALU_DEP_1)
	v_sub_f32_e32 v17, v17, v98
	v_add_f32_e32 v13, v13, v17
	v_add_f32_e32 v17, v102, v99
	v_sub_f32_e32 v101, v98, v101
	s_delay_alu instid0(VALU_DEP_1) | instskip(NEXT) | instid1(VALU_DEP_1)
	v_sub_f32_e32 v98, v101, v100
	v_dual_add_f32 v13, v98, v13 :: v_dual_sub_f32 v98, v17, v102
	s_delay_alu instid0(VALU_DEP_1) | instskip(NEXT) | instid1(VALU_DEP_2)
	v_add_f32_e32 v13, v103, v13
	v_sub_f32_e32 v98, v99, v98
	s_delay_alu instid0(VALU_DEP_2) | instskip(NEXT) | instid1(VALU_DEP_1)
	v_mul_f32_e32 v13, v15, v13
	v_add_f32_e32 v13, v98, v13
	s_delay_alu instid0(VALU_DEP_1) | instskip(NEXT) | instid1(VALU_DEP_1)
	v_add_f32_e32 v15, v17, v13
	v_mul_f32_e32 v98, v15, v15
	s_delay_alu instid0(VALU_DEP_1) | instskip(SKIP_1) | instid1(VALU_DEP_2)
	v_fmaak_f32 v99, s84, v98, 0x3ecc95a3
	v_mul_f32_e32 v100, v15, v98
	v_fmaak_f32 v98, v98, v99, 0x3f2aaada
	v_ldexp_f32 v99, v15, 1
	s_delay_alu instid0(VALU_DEP_2) | instskip(NEXT) | instid1(VALU_DEP_1)
	v_dual_sub_f32 v15, v15, v17 :: v_dual_mul_f32 v98, v100, v98
	v_dual_mul_f32 v100, 0x3f317218, v12 :: v_dual_sub_f32 v13, v13, v15
	s_delay_alu instid0(VALU_DEP_2) | instskip(NEXT) | instid1(VALU_DEP_2)
	v_add_f32_e32 v17, v99, v98
	v_ldexp_f32 v13, v13, 1
	s_delay_alu instid0(VALU_DEP_2) | instskip(NEXT) | instid1(VALU_DEP_4)
	v_sub_f32_e32 v15, v17, v99
	v_fma_f32 v99, 0x3f317218, v12, -v100
	s_delay_alu instid0(VALU_DEP_2) | instskip(NEXT) | instid1(VALU_DEP_1)
	v_sub_f32_e32 v15, v98, v15
	v_dual_fmac_f32 v99, 0xb102e308, v12 :: v_dual_add_f32 v12, v13, v15
	s_delay_alu instid0(VALU_DEP_1) | instskip(NEXT) | instid1(VALU_DEP_2)
	v_add_f32_e32 v13, v100, v99
	v_add_f32_e32 v15, v17, v12
	s_delay_alu instid0(VALU_DEP_2) | instskip(NEXT) | instid1(VALU_DEP_2)
	v_sub_f32_e32 v100, v13, v100
	v_dual_add_f32 v98, v13, v15 :: v_dual_sub_f32 v17, v15, v17
	s_delay_alu instid0(VALU_DEP_2) | instskip(NEXT) | instid1(VALU_DEP_2)
	v_sub_f32_e32 v99, v99, v100
	v_sub_f32_e32 v101, v98, v13
	s_delay_alu instid0(VALU_DEP_3) | instskip(NEXT) | instid1(VALU_DEP_2)
	v_sub_f32_e32 v12, v12, v17
	v_sub_f32_e32 v102, v98, v101
	;; [unrolled: 1-line block ×3, first 2 shown]
	s_delay_alu instid0(VALU_DEP_3) | instskip(NEXT) | instid1(VALU_DEP_3)
	v_add_f32_e32 v17, v99, v12
	v_sub_f32_e32 v13, v13, v102
	s_delay_alu instid0(VALU_DEP_1) | instskip(NEXT) | instid1(VALU_DEP_3)
	v_add_f32_e32 v13, v15, v13
	v_sub_f32_e32 v15, v17, v99
	s_delay_alu instid0(VALU_DEP_2) | instskip(NEXT) | instid1(VALU_DEP_2)
	v_add_f32_e32 v13, v17, v13
	v_sub_f32_e32 v17, v17, v15
	v_sub_f32_e32 v12, v12, v15
	s_delay_alu instid0(VALU_DEP_3) | instskip(NEXT) | instid1(VALU_DEP_3)
	v_add_f32_e32 v100, v98, v13
	v_sub_f32_e32 v17, v99, v17
	s_delay_alu instid0(VALU_DEP_2) | instskip(NEXT) | instid1(VALU_DEP_1)
	v_sub_f32_e32 v15, v100, v98
	v_dual_add_f32 v12, v12, v17 :: v_dual_sub_f32 v13, v13, v15
	s_delay_alu instid0(VALU_DEP_1) | instskip(NEXT) | instid1(VALU_DEP_1)
	v_add_f32_e32 v12, v12, v13
	v_add_f32_e32 v12, v100, v12
	s_delay_alu instid0(VALU_DEP_1)
	v_cndmask_b32_e32 v98, v12, v14, vcc_lo
.LBB95_92:                              ;   in Loop: Header=BB95_12 Depth=1
	s_or_b32 exec_lo, exec_lo, s30
	v_lshrrev_b32_e32 v8, 16, v8
	s_delay_alu instid0(VALU_DEP_1) | instskip(NEXT) | instid1(VALU_DEP_1)
	v_cvt_f32_f16_e32 v8, v8
	v_add_f32_e32 v99, s69, v8
	s_delay_alu instid0(VALU_DEP_1) | instskip(SKIP_1) | instid1(SALU_CYCLE_1)
	v_cmp_ge_f32_e32 vcc_lo, 0x41a00000, v99
	s_and_b32 s29, s80, vcc_lo
	s_and_saveexec_b32 s30, s29
	s_cbranch_execz .LBB95_94
; %bb.93:                               ;   in Loop: Header=BB95_12 Depth=1
	v_mul_f32_e32 v8, 0x3fb8aa3b, v99
	v_cmp_ngt_f32_e32 vcc_lo, 0xc2ce8ed0, v99
	s_delay_alu instid0(VALU_DEP_2) | instskip(SKIP_1) | instid1(VALU_DEP_1)
	v_rndne_f32_e32 v12, v8
	v_fma_f32 v13, 0x3fb8aa3b, v99, -v8
	v_dual_sub_f32 v8, v8, v12 :: v_dual_fmac_f32 v13, 0x32a5705f, v99
	v_cvt_i32_f32_e32 v12, v12
	s_delay_alu instid0(VALU_DEP_2) | instskip(NEXT) | instid1(VALU_DEP_1)
	v_add_f32_e32 v8, v8, v13
	v_exp_f32_e32 v8, v8
	s_waitcnt_depctr 0xfff
	v_ldexp_f32 v8, v8, v12
	s_delay_alu instid0(VALU_DEP_1) | instskip(SKIP_1) | instid1(VALU_DEP_2)
	v_cndmask_b32_e32 v8, 0, v8, vcc_lo
	v_cmp_nlt_f32_e32 vcc_lo, 0x42b17218, v99
	v_cndmask_b32_e32 v8, 0x7f800000, v8, vcc_lo
	s_delay_alu instid0(VALU_DEP_1) | instskip(NEXT) | instid1(VALU_DEP_1)
	v_add_f32_e32 v14, 1.0, v8
	v_cvt_f64_f32_e32 v[12:13], v14
	s_delay_alu instid0(VALU_DEP_1) | instskip(SKIP_1) | instid1(VALU_DEP_1)
	v_frexp_exp_i32_f64_e32 v12, v[12:13]
	v_frexp_mant_f32_e32 v13, v14
	v_cmp_gt_f32_e32 vcc_lo, 0x3f2aaaab, v13
	v_add_f32_e32 v13, -1.0, v14
	s_delay_alu instid0(VALU_DEP_1) | instskip(NEXT) | instid1(VALU_DEP_1)
	v_sub_f32_e32 v17, v13, v14
	v_add_f32_e32 v17, 1.0, v17
	v_subrev_co_ci_u32_e32 v12, vcc_lo, 0, v12, vcc_lo
	s_delay_alu instid0(VALU_DEP_1) | instskip(SKIP_1) | instid1(VALU_DEP_2)
	v_sub_nc_u32_e32 v15, 0, v12
	v_cvt_f32_i32_e32 v12, v12
	v_ldexp_f32 v14, v14, v15
	s_delay_alu instid0(VALU_DEP_1) | instskip(SKIP_3) | instid1(VALU_DEP_3)
	v_add_f32_e32 v99, 1.0, v14
	v_sub_f32_e32 v13, v8, v13
	v_cmp_eq_f32_e32 vcc_lo, 0x7f800000, v8
	v_cmp_gt_f32_e64 s29, 0x33800000, v8
	v_add_f32_e32 v13, v13, v17
	s_delay_alu instid0(VALU_DEP_2) | instskip(NEXT) | instid1(VALU_DEP_1)
	s_or_b32 vcc_lo, s29, vcc_lo
	v_ldexp_f32 v13, v13, v15
	v_add_f32_e32 v15, -1.0, v14
	s_delay_alu instid0(VALU_DEP_1) | instskip(SKIP_1) | instid1(VALU_DEP_1)
	v_add_f32_e32 v100, 1.0, v15
	v_add_f32_e32 v17, -1.0, v99
	v_sub_f32_e32 v17, v14, v17
	s_delay_alu instid0(VALU_DEP_1) | instskip(NEXT) | instid1(VALU_DEP_1)
	v_dual_sub_f32 v14, v14, v100 :: v_dual_add_f32 v17, v13, v17
	v_add_f32_e32 v100, v99, v17
	s_delay_alu instid0(VALU_DEP_1) | instskip(NEXT) | instid1(VALU_DEP_1)
	v_sub_f32_e32 v99, v99, v100
	v_add_f32_e32 v17, v17, v99
	s_delay_alu instid0(VALU_DEP_4) | instskip(SKIP_1) | instid1(VALU_DEP_1)
	v_add_f32_e32 v13, v13, v14
	v_rcp_f32_e32 v14, v100
	v_add_f32_e32 v101, v15, v13
	s_waitcnt_depctr 0xfff
	v_dual_sub_f32 v15, v15, v101 :: v_dual_mul_f32 v102, v101, v14
	s_delay_alu instid0(VALU_DEP_1) | instskip(NEXT) | instid1(VALU_DEP_2)
	v_add_f32_e32 v13, v13, v15
	v_mul_f32_e32 v103, v100, v102
	s_delay_alu instid0(VALU_DEP_1) | instskip(NEXT) | instid1(VALU_DEP_1)
	v_fma_f32 v99, v102, v100, -v103
	v_fmac_f32_e32 v99, v102, v17
	s_delay_alu instid0(VALU_DEP_1) | instskip(NEXT) | instid1(VALU_DEP_1)
	v_add_f32_e32 v104, v103, v99
	v_sub_f32_e32 v105, v101, v104
	v_sub_f32_e32 v15, v104, v103
	s_delay_alu instid0(VALU_DEP_2) | instskip(NEXT) | instid1(VALU_DEP_2)
	v_sub_f32_e32 v101, v101, v105
	v_sub_f32_e32 v15, v15, v99
	s_delay_alu instid0(VALU_DEP_2) | instskip(NEXT) | instid1(VALU_DEP_1)
	v_sub_f32_e32 v101, v101, v104
	v_add_f32_e32 v13, v13, v101
	s_delay_alu instid0(VALU_DEP_1) | instskip(NEXT) | instid1(VALU_DEP_1)
	v_add_f32_e32 v13, v15, v13
	v_add_f32_e32 v15, v105, v13
	s_delay_alu instid0(VALU_DEP_1) | instskip(SKIP_1) | instid1(VALU_DEP_2)
	v_mul_f32_e32 v99, v14, v15
	v_sub_f32_e32 v104, v105, v15
	v_mul_f32_e32 v101, v100, v99
	s_delay_alu instid0(VALU_DEP_2) | instskip(NEXT) | instid1(VALU_DEP_2)
	v_add_f32_e32 v13, v13, v104
	v_fma_f32 v100, v99, v100, -v101
	s_delay_alu instid0(VALU_DEP_1) | instskip(NEXT) | instid1(VALU_DEP_1)
	v_fmac_f32_e32 v100, v99, v17
	v_add_f32_e32 v17, v101, v100
	s_delay_alu instid0(VALU_DEP_1) | instskip(SKIP_1) | instid1(VALU_DEP_2)
	v_sub_f32_e32 v103, v15, v17
	v_sub_f32_e32 v101, v17, v101
	;; [unrolled: 1-line block ×3, first 2 shown]
	s_delay_alu instid0(VALU_DEP_1) | instskip(NEXT) | instid1(VALU_DEP_3)
	v_sub_f32_e32 v15, v15, v17
	v_sub_f32_e32 v17, v101, v100
	s_delay_alu instid0(VALU_DEP_2) | instskip(SKIP_1) | instid1(VALU_DEP_2)
	v_add_f32_e32 v13, v13, v15
	v_add_f32_e32 v15, v102, v99
	;; [unrolled: 1-line block ×3, first 2 shown]
	s_delay_alu instid0(VALU_DEP_2) | instskip(NEXT) | instid1(VALU_DEP_2)
	v_sub_f32_e32 v17, v15, v102
	v_add_f32_e32 v13, v103, v13
	s_delay_alu instid0(VALU_DEP_2) | instskip(NEXT) | instid1(VALU_DEP_2)
	v_sub_f32_e32 v17, v99, v17
	v_mul_f32_e32 v13, v14, v13
	s_delay_alu instid0(VALU_DEP_1) | instskip(NEXT) | instid1(VALU_DEP_1)
	v_add_f32_e32 v13, v17, v13
	v_add_f32_e32 v14, v15, v13
	s_delay_alu instid0(VALU_DEP_1) | instskip(NEXT) | instid1(VALU_DEP_1)
	v_mul_f32_e32 v17, v14, v14
	v_fmaak_f32 v99, s84, v17, 0x3ecc95a3
	s_delay_alu instid0(VALU_DEP_1) | instskip(SKIP_1) | instid1(VALU_DEP_2)
	v_dual_mul_f32 v100, v14, v17 :: v_dual_fmaak_f32 v17, v17, v99, 0x3f2aaada
	v_ldexp_f32 v99, v14, 1
	v_dual_sub_f32 v14, v14, v15 :: v_dual_mul_f32 v17, v100, v17
	s_delay_alu instid0(VALU_DEP_1) | instskip(NEXT) | instid1(VALU_DEP_2)
	v_dual_mul_f32 v100, 0x3f317218, v12 :: v_dual_sub_f32 v13, v13, v14
	v_add_f32_e32 v15, v99, v17
	s_delay_alu instid0(VALU_DEP_2) | instskip(NEXT) | instid1(VALU_DEP_2)
	v_ldexp_f32 v13, v13, 1
	v_sub_f32_e32 v14, v15, v99
	s_delay_alu instid0(VALU_DEP_4) | instskip(NEXT) | instid1(VALU_DEP_1)
	v_fma_f32 v99, 0x3f317218, v12, -v100
	v_dual_sub_f32 v14, v17, v14 :: v_dual_fmac_f32 v99, 0xb102e308, v12
	s_delay_alu instid0(VALU_DEP_1) | instskip(NEXT) | instid1(VALU_DEP_1)
	v_dual_add_f32 v12, v13, v14 :: v_dual_add_f32 v13, v100, v99
	v_add_f32_e32 v14, v15, v12
	s_delay_alu instid0(VALU_DEP_2) | instskip(NEXT) | instid1(VALU_DEP_2)
	v_sub_f32_e32 v100, v13, v100
	v_add_f32_e32 v17, v13, v14
	v_sub_f32_e32 v15, v14, v15
	s_delay_alu instid0(VALU_DEP_3) | instskip(NEXT) | instid1(VALU_DEP_2)
	v_sub_f32_e32 v99, v99, v100
	v_dual_sub_f32 v101, v17, v13 :: v_dual_sub_f32 v12, v12, v15
	s_delay_alu instid0(VALU_DEP_1) | instskip(NEXT) | instid1(VALU_DEP_2)
	v_sub_f32_e32 v102, v17, v101
	v_dual_sub_f32 v14, v14, v101 :: v_dual_add_f32 v15, v99, v12
	s_delay_alu instid0(VALU_DEP_2) | instskip(NEXT) | instid1(VALU_DEP_1)
	v_sub_f32_e32 v13, v13, v102
	v_dual_add_f32 v13, v14, v13 :: v_dual_sub_f32 v14, v15, v99
	s_delay_alu instid0(VALU_DEP_1) | instskip(NEXT) | instid1(VALU_DEP_2)
	v_add_f32_e32 v13, v15, v13
	v_sub_f32_e32 v15, v15, v14
	v_sub_f32_e32 v12, v12, v14
	s_delay_alu instid0(VALU_DEP_2) | instskip(NEXT) | instid1(VALU_DEP_1)
	v_dual_add_f32 v100, v17, v13 :: v_dual_sub_f32 v15, v99, v15
	v_sub_f32_e32 v14, v100, v17
	s_delay_alu instid0(VALU_DEP_1) | instskip(NEXT) | instid1(VALU_DEP_1)
	v_dual_add_f32 v12, v12, v15 :: v_dual_sub_f32 v13, v13, v14
	v_add_f32_e32 v12, v12, v13
	s_delay_alu instid0(VALU_DEP_1) | instskip(NEXT) | instid1(VALU_DEP_1)
	v_add_f32_e32 v12, v100, v12
	v_cndmask_b32_e32 v99, v12, v8, vcc_lo
.LBB95_94:                              ;   in Loop: Header=BB95_12 Depth=1
	s_or_b32 exec_lo, exec_lo, s30
	v_cvt_f32_f16_e32 v8, v9
	s_delay_alu instid0(VALU_DEP_1) | instskip(NEXT) | instid1(VALU_DEP_1)
	v_add_f32_e32 v100, s69, v8
	v_cmp_ge_f32_e32 vcc_lo, 0x41a00000, v100
	s_and_b32 s29, s80, vcc_lo
	s_delay_alu instid0(SALU_CYCLE_1)
	s_and_saveexec_b32 s30, s29
	s_cbranch_execz .LBB95_96
; %bb.95:                               ;   in Loop: Header=BB95_12 Depth=1
	v_mul_f32_e32 v8, 0x3fb8aa3b, v100
	v_cmp_ngt_f32_e32 vcc_lo, 0xc2ce8ed0, v100
	s_delay_alu instid0(VALU_DEP_2) | instskip(SKIP_1) | instid1(VALU_DEP_2)
	v_rndne_f32_e32 v12, v8
	v_fma_f32 v13, 0x3fb8aa3b, v100, -v8
	v_sub_f32_e32 v8, v8, v12
	s_delay_alu instid0(VALU_DEP_2) | instskip(SKIP_1) | instid1(VALU_DEP_2)
	v_fmac_f32_e32 v13, 0x32a5705f, v100
	v_cvt_i32_f32_e32 v12, v12
	v_add_f32_e32 v8, v8, v13
	s_delay_alu instid0(VALU_DEP_1) | instskip(SKIP_2) | instid1(VALU_DEP_1)
	v_exp_f32_e32 v8, v8
	s_waitcnt_depctr 0xfff
	v_ldexp_f32 v8, v8, v12
	v_cndmask_b32_e32 v8, 0, v8, vcc_lo
	v_cmp_nlt_f32_e32 vcc_lo, 0x42b17218, v100
	s_delay_alu instid0(VALU_DEP_2) | instskip(NEXT) | instid1(VALU_DEP_1)
	v_cndmask_b32_e32 v8, 0x7f800000, v8, vcc_lo
	v_add_f32_e32 v14, 1.0, v8
	s_delay_alu instid0(VALU_DEP_1) | instskip(NEXT) | instid1(VALU_DEP_1)
	v_cvt_f64_f32_e32 v[12:13], v14
	v_frexp_exp_i32_f64_e32 v12, v[12:13]
	v_frexp_mant_f32_e32 v13, v14
	s_delay_alu instid0(VALU_DEP_1) | instskip(SKIP_1) | instid1(VALU_DEP_1)
	v_cmp_gt_f32_e32 vcc_lo, 0x3f2aaaab, v13
	v_add_f32_e32 v13, -1.0, v14
	v_sub_f32_e32 v17, v13, v14
	v_sub_f32_e32 v13, v8, v13
	s_delay_alu instid0(VALU_DEP_2) | instskip(NEXT) | instid1(VALU_DEP_1)
	v_add_f32_e32 v17, 1.0, v17
	v_add_f32_e32 v13, v13, v17
	v_cmp_gt_f32_e64 s29, 0x33800000, v8
	v_subrev_co_ci_u32_e32 v12, vcc_lo, 0, v12, vcc_lo
	v_cmp_eq_f32_e32 vcc_lo, 0x7f800000, v8
	s_delay_alu instid0(VALU_DEP_2) | instskip(SKIP_2) | instid1(VALU_DEP_2)
	v_sub_nc_u32_e32 v15, 0, v12
	v_cvt_f32_i32_e32 v12, v12
	s_or_b32 vcc_lo, s29, vcc_lo
	v_ldexp_f32 v14, v14, v15
	v_ldexp_f32 v13, v13, v15
	s_delay_alu instid0(VALU_DEP_2) | instskip(SKIP_1) | instid1(VALU_DEP_2)
	v_add_f32_e32 v100, 1.0, v14
	v_add_f32_e32 v15, -1.0, v14
	v_add_f32_e32 v17, -1.0, v100
	s_delay_alu instid0(VALU_DEP_2) | instskip(NEXT) | instid1(VALU_DEP_2)
	v_add_f32_e32 v101, 1.0, v15
	v_sub_f32_e32 v17, v14, v17
	s_delay_alu instid0(VALU_DEP_2) | instskip(NEXT) | instid1(VALU_DEP_2)
	v_sub_f32_e32 v14, v14, v101
	v_add_f32_e32 v17, v13, v17
	s_delay_alu instid0(VALU_DEP_1) | instskip(NEXT) | instid1(VALU_DEP_1)
	v_add_f32_e32 v101, v100, v17
	v_dual_add_f32 v13, v13, v14 :: v_dual_sub_f32 v100, v100, v101
	v_rcp_f32_e32 v14, v101
	s_delay_alu instid0(VALU_DEP_1) | instskip(NEXT) | instid1(VALU_DEP_1)
	v_dual_add_f32 v102, v15, v13 :: v_dual_add_f32 v17, v17, v100
	v_sub_f32_e32 v15, v15, v102
	s_waitcnt_depctr 0xfff
	v_mul_f32_e32 v103, v102, v14
	v_add_f32_e32 v13, v13, v15
	s_delay_alu instid0(VALU_DEP_2) | instskip(NEXT) | instid1(VALU_DEP_1)
	v_mul_f32_e32 v104, v101, v103
	v_fma_f32 v100, v103, v101, -v104
	s_delay_alu instid0(VALU_DEP_1) | instskip(NEXT) | instid1(VALU_DEP_1)
	v_fmac_f32_e32 v100, v103, v17
	v_add_f32_e32 v105, v104, v100
	s_delay_alu instid0(VALU_DEP_1) | instskip(NEXT) | instid1(VALU_DEP_1)
	v_dual_sub_f32 v106, v102, v105 :: v_dual_sub_f32 v15, v105, v104
	v_dual_sub_f32 v102, v102, v106 :: v_dual_sub_f32 v15, v15, v100
	s_delay_alu instid0(VALU_DEP_1) | instskip(NEXT) | instid1(VALU_DEP_1)
	v_sub_f32_e32 v102, v102, v105
	v_add_f32_e32 v13, v13, v102
	s_delay_alu instid0(VALU_DEP_1) | instskip(NEXT) | instid1(VALU_DEP_1)
	v_add_f32_e32 v13, v15, v13
	v_add_f32_e32 v15, v106, v13
	s_delay_alu instid0(VALU_DEP_1) | instskip(NEXT) | instid1(VALU_DEP_1)
	v_mul_f32_e32 v100, v14, v15
	v_dual_sub_f32 v105, v106, v15 :: v_dual_mul_f32 v102, v101, v100
	s_delay_alu instid0(VALU_DEP_1) | instskip(NEXT) | instid1(VALU_DEP_2)
	v_add_f32_e32 v13, v13, v105
	v_fma_f32 v101, v100, v101, -v102
	s_delay_alu instid0(VALU_DEP_1) | instskip(NEXT) | instid1(VALU_DEP_1)
	v_fmac_f32_e32 v101, v100, v17
	v_add_f32_e32 v17, v102, v101
	s_delay_alu instid0(VALU_DEP_1) | instskip(NEXT) | instid1(VALU_DEP_1)
	v_sub_f32_e32 v104, v15, v17
	v_dual_sub_f32 v102, v17, v102 :: v_dual_sub_f32 v15, v15, v104
	s_delay_alu instid0(VALU_DEP_1) | instskip(NEXT) | instid1(VALU_DEP_2)
	v_sub_f32_e32 v15, v15, v17
	v_sub_f32_e32 v17, v102, v101
	s_delay_alu instid0(VALU_DEP_2) | instskip(SKIP_1) | instid1(VALU_DEP_2)
	v_add_f32_e32 v13, v13, v15
	v_add_f32_e32 v15, v103, v100
	;; [unrolled: 1-line block ×3, first 2 shown]
	s_delay_alu instid0(VALU_DEP_2) | instskip(NEXT) | instid1(VALU_DEP_2)
	v_sub_f32_e32 v17, v15, v103
	v_add_f32_e32 v13, v104, v13
	s_delay_alu instid0(VALU_DEP_2) | instskip(NEXT) | instid1(VALU_DEP_2)
	v_sub_f32_e32 v17, v100, v17
	v_mul_f32_e32 v13, v14, v13
	s_delay_alu instid0(VALU_DEP_1) | instskip(NEXT) | instid1(VALU_DEP_1)
	v_add_f32_e32 v13, v17, v13
	v_add_f32_e32 v14, v15, v13
	s_delay_alu instid0(VALU_DEP_1) | instskip(NEXT) | instid1(VALU_DEP_1)
	v_mul_f32_e32 v17, v14, v14
	v_fmaak_f32 v100, s84, v17, 0x3ecc95a3
	v_mul_f32_e32 v101, v14, v17
	s_delay_alu instid0(VALU_DEP_2) | instskip(SKIP_1) | instid1(VALU_DEP_2)
	v_fmaak_f32 v17, v17, v100, 0x3f2aaada
	v_ldexp_f32 v100, v14, 1
	v_dual_sub_f32 v14, v14, v15 :: v_dual_mul_f32 v17, v101, v17
	v_mul_f32_e32 v101, 0x3f317218, v12
	s_delay_alu instid0(VALU_DEP_2) | instskip(NEXT) | instid1(VALU_DEP_3)
	v_sub_f32_e32 v13, v13, v14
	v_add_f32_e32 v15, v100, v17
	s_delay_alu instid0(VALU_DEP_2) | instskip(NEXT) | instid1(VALU_DEP_2)
	v_ldexp_f32 v13, v13, 1
	v_sub_f32_e32 v14, v15, v100
	v_fma_f32 v100, 0x3f317218, v12, -v101
	s_delay_alu instid0(VALU_DEP_2) | instskip(NEXT) | instid1(VALU_DEP_2)
	v_sub_f32_e32 v14, v17, v14
	v_fmac_f32_e32 v100, 0xb102e308, v12
	s_delay_alu instid0(VALU_DEP_2) | instskip(NEXT) | instid1(VALU_DEP_2)
	v_add_f32_e32 v12, v13, v14
	v_add_f32_e32 v13, v101, v100
	s_delay_alu instid0(VALU_DEP_1) | instskip(NEXT) | instid1(VALU_DEP_1)
	v_dual_add_f32 v14, v15, v12 :: v_dual_sub_f32 v101, v13, v101
	v_add_f32_e32 v17, v13, v14
	s_delay_alu instid0(VALU_DEP_2) | instskip(NEXT) | instid1(VALU_DEP_2)
	v_dual_sub_f32 v15, v14, v15 :: v_dual_sub_f32 v100, v100, v101
	v_sub_f32_e32 v102, v17, v13
	s_delay_alu instid0(VALU_DEP_1) | instskip(NEXT) | instid1(VALU_DEP_1)
	v_dual_sub_f32 v12, v12, v15 :: v_dual_sub_f32 v103, v17, v102
	v_dual_sub_f32 v14, v14, v102 :: v_dual_add_f32 v15, v100, v12
	s_delay_alu instid0(VALU_DEP_2) | instskip(NEXT) | instid1(VALU_DEP_1)
	v_sub_f32_e32 v13, v13, v103
	v_dual_add_f32 v13, v14, v13 :: v_dual_sub_f32 v14, v15, v100
	s_delay_alu instid0(VALU_DEP_1) | instskip(NEXT) | instid1(VALU_DEP_2)
	v_add_f32_e32 v13, v15, v13
	v_sub_f32_e32 v15, v15, v14
	s_delay_alu instid0(VALU_DEP_2) | instskip(NEXT) | instid1(VALU_DEP_1)
	v_dual_sub_f32 v12, v12, v14 :: v_dual_add_f32 v101, v17, v13
	v_dual_sub_f32 v15, v100, v15 :: v_dual_sub_f32 v14, v101, v17
	s_delay_alu instid0(VALU_DEP_1) | instskip(NEXT) | instid1(VALU_DEP_1)
	v_dual_add_f32 v12, v12, v15 :: v_dual_sub_f32 v13, v13, v14
	v_add_f32_e32 v12, v12, v13
	s_delay_alu instid0(VALU_DEP_1) | instskip(NEXT) | instid1(VALU_DEP_1)
	v_add_f32_e32 v12, v101, v12
	v_cndmask_b32_e32 v100, v12, v8, vcc_lo
.LBB95_96:                              ;   in Loop: Header=BB95_12 Depth=1
	s_or_b32 exec_lo, exec_lo, s30
	v_lshrrev_b32_e32 v8, 16, v9
	s_delay_alu instid0(VALU_DEP_1) | instskip(NEXT) | instid1(VALU_DEP_1)
	v_cvt_f32_f16_e32 v8, v8
	v_add_f32_e32 v101, s69, v8
	s_delay_alu instid0(VALU_DEP_1) | instskip(SKIP_1) | instid1(SALU_CYCLE_1)
	v_cmp_ge_f32_e32 vcc_lo, 0x41a00000, v101
	s_and_b32 s29, s80, vcc_lo
	s_and_saveexec_b32 s30, s29
	s_cbranch_execz .LBB95_98
; %bb.97:                               ;   in Loop: Header=BB95_12 Depth=1
	v_mul_f32_e32 v8, 0x3fb8aa3b, v101
	v_cmp_ngt_f32_e32 vcc_lo, 0xc2ce8ed0, v101
	s_delay_alu instid0(VALU_DEP_2) | instskip(SKIP_1) | instid1(VALU_DEP_2)
	v_rndne_f32_e32 v9, v8
	v_fma_f32 v12, 0x3fb8aa3b, v101, -v8
	v_sub_f32_e32 v8, v8, v9
	s_delay_alu instid0(VALU_DEP_2) | instskip(SKIP_1) | instid1(VALU_DEP_2)
	v_fmac_f32_e32 v12, 0x32a5705f, v101
	v_cvt_i32_f32_e32 v9, v9
	v_add_f32_e32 v8, v8, v12
	s_delay_alu instid0(VALU_DEP_1) | instskip(SKIP_2) | instid1(VALU_DEP_1)
	v_exp_f32_e32 v8, v8
	s_waitcnt_depctr 0xfff
	v_ldexp_f32 v8, v8, v9
	v_cndmask_b32_e32 v8, 0, v8, vcc_lo
	v_cmp_nlt_f32_e32 vcc_lo, 0x42b17218, v101
	s_delay_alu instid0(VALU_DEP_2) | instskip(NEXT) | instid1(VALU_DEP_1)
	v_cndmask_b32_e32 v12, 0x7f800000, v8, vcc_lo
	v_add_f32_e32 v13, 1.0, v12
	s_delay_alu instid0(VALU_DEP_1) | instskip(NEXT) | instid1(VALU_DEP_1)
	v_cvt_f64_f32_e32 v[8:9], v13
	v_frexp_exp_i32_f64_e32 v8, v[8:9]
	v_frexp_mant_f32_e32 v9, v13
	s_delay_alu instid0(VALU_DEP_1) | instskip(SKIP_1) | instid1(VALU_DEP_1)
	v_cmp_gt_f32_e32 vcc_lo, 0x3f2aaaab, v9
	v_add_f32_e32 v9, -1.0, v13
	v_sub_f32_e32 v15, v9, v13
	s_delay_alu instid0(VALU_DEP_1) | instskip(SKIP_1) | instid1(VALU_DEP_1)
	v_add_f32_e32 v15, 1.0, v15
	v_subrev_co_ci_u32_e32 v8, vcc_lo, 0, v8, vcc_lo
	v_sub_nc_u32_e32 v14, 0, v8
	v_cvt_f32_i32_e32 v8, v8
	s_delay_alu instid0(VALU_DEP_2) | instskip(NEXT) | instid1(VALU_DEP_1)
	v_ldexp_f32 v13, v13, v14
	v_add_f32_e32 v17, 1.0, v13
	v_sub_f32_e32 v9, v12, v9
	v_cmp_eq_f32_e32 vcc_lo, 0x7f800000, v12
	v_cmp_gt_f32_e64 s29, 0x33800000, v12
	s_delay_alu instid0(VALU_DEP_3) | instskip(NEXT) | instid1(VALU_DEP_2)
	v_add_f32_e32 v9, v9, v15
	s_or_b32 vcc_lo, s29, vcc_lo
	s_delay_alu instid0(VALU_DEP_1) | instskip(SKIP_2) | instid1(VALU_DEP_1)
	v_ldexp_f32 v9, v9, v14
	v_add_f32_e32 v14, -1.0, v13
	v_add_f32_e32 v15, -1.0, v17
	v_sub_f32_e32 v15, v13, v15
	s_delay_alu instid0(VALU_DEP_3) | instskip(NEXT) | instid1(VALU_DEP_2)
	v_add_f32_e32 v101, 1.0, v14
	v_add_f32_e32 v15, v9, v15
	s_delay_alu instid0(VALU_DEP_2) | instskip(NEXT) | instid1(VALU_DEP_2)
	v_sub_f32_e32 v13, v13, v101
	v_add_f32_e32 v101, v17, v15
	s_delay_alu instid0(VALU_DEP_2) | instskip(NEXT) | instid1(VALU_DEP_2)
	v_add_f32_e32 v9, v9, v13
	v_rcp_f32_e32 v13, v101
	s_delay_alu instid0(VALU_DEP_1) | instskip(NEXT) | instid1(VALU_DEP_1)
	v_add_f32_e32 v102, v14, v9
	v_dual_sub_f32 v17, v17, v101 :: v_dual_sub_f32 v14, v14, v102
	s_delay_alu instid0(VALU_DEP_1) | instskip(SKIP_2) | instid1(VALU_DEP_1)
	v_add_f32_e32 v15, v15, v17
	s_waitcnt_depctr 0xfff
	v_mul_f32_e32 v103, v102, v13
	v_mul_f32_e32 v104, v101, v103
	s_delay_alu instid0(VALU_DEP_1) | instskip(NEXT) | instid1(VALU_DEP_1)
	v_fma_f32 v17, v103, v101, -v104
	v_fmac_f32_e32 v17, v103, v15
	v_add_f32_e32 v9, v9, v14
	s_delay_alu instid0(VALU_DEP_2) | instskip(NEXT) | instid1(VALU_DEP_1)
	v_add_f32_e32 v105, v104, v17
	v_sub_f32_e32 v106, v102, v105
	v_sub_f32_e32 v14, v105, v104
	s_delay_alu instid0(VALU_DEP_2) | instskip(NEXT) | instid1(VALU_DEP_2)
	v_sub_f32_e32 v102, v102, v106
	v_sub_f32_e32 v14, v14, v17
	s_delay_alu instid0(VALU_DEP_2) | instskip(NEXT) | instid1(VALU_DEP_1)
	v_sub_f32_e32 v102, v102, v105
	v_add_f32_e32 v9, v9, v102
	s_delay_alu instid0(VALU_DEP_1) | instskip(NEXT) | instid1(VALU_DEP_1)
	v_add_f32_e32 v9, v14, v9
	v_add_f32_e32 v14, v106, v9
	s_delay_alu instid0(VALU_DEP_1) | instskip(NEXT) | instid1(VALU_DEP_1)
	v_mul_f32_e32 v17, v13, v14
	v_dual_sub_f32 v105, v106, v14 :: v_dual_mul_f32 v102, v101, v17
	s_delay_alu instid0(VALU_DEP_1) | instskip(NEXT) | instid1(VALU_DEP_2)
	v_add_f32_e32 v9, v9, v105
	v_fma_f32 v101, v17, v101, -v102
	s_delay_alu instid0(VALU_DEP_1) | instskip(NEXT) | instid1(VALU_DEP_1)
	v_fmac_f32_e32 v101, v17, v15
	v_add_f32_e32 v15, v102, v101
	s_delay_alu instid0(VALU_DEP_1) | instskip(SKIP_1) | instid1(VALU_DEP_2)
	v_sub_f32_e32 v104, v14, v15
	v_sub_f32_e32 v102, v15, v102
	;; [unrolled: 1-line block ×3, first 2 shown]
	s_delay_alu instid0(VALU_DEP_1) | instskip(NEXT) | instid1(VALU_DEP_1)
	v_sub_f32_e32 v14, v14, v15
	v_dual_add_f32 v9, v9, v14 :: v_dual_add_f32 v14, v103, v17
	s_delay_alu instid0(VALU_DEP_4) | instskip(NEXT) | instid1(VALU_DEP_1)
	v_sub_f32_e32 v15, v102, v101
	v_add_f32_e32 v9, v15, v9
	s_delay_alu instid0(VALU_DEP_3) | instskip(NEXT) | instid1(VALU_DEP_2)
	v_sub_f32_e32 v15, v14, v103
	v_add_f32_e32 v9, v104, v9
	s_delay_alu instid0(VALU_DEP_2) | instskip(NEXT) | instid1(VALU_DEP_2)
	v_sub_f32_e32 v15, v17, v15
	v_mul_f32_e32 v9, v13, v9
	s_delay_alu instid0(VALU_DEP_1) | instskip(NEXT) | instid1(VALU_DEP_1)
	v_add_f32_e32 v9, v15, v9
	v_add_f32_e32 v13, v14, v9
	s_delay_alu instid0(VALU_DEP_1) | instskip(NEXT) | instid1(VALU_DEP_1)
	v_mul_f32_e32 v15, v13, v13
	v_fmaak_f32 v17, s84, v15, 0x3ecc95a3
	v_mul_f32_e32 v101, v13, v15
	s_delay_alu instid0(VALU_DEP_2) | instskip(SKIP_2) | instid1(VALU_DEP_3)
	v_fmaak_f32 v15, v15, v17, 0x3f2aaada
	v_ldexp_f32 v17, v13, 1
	v_sub_f32_e32 v13, v13, v14
	v_mul_f32_e32 v15, v101, v15
	v_mul_f32_e32 v101, 0x3f317218, v8
	s_delay_alu instid0(VALU_DEP_3) | instskip(NEXT) | instid1(VALU_DEP_3)
	v_sub_f32_e32 v9, v9, v13
	v_add_f32_e32 v14, v17, v15
	s_delay_alu instid0(VALU_DEP_2) | instskip(NEXT) | instid1(VALU_DEP_2)
	v_ldexp_f32 v9, v9, 1
	v_sub_f32_e32 v13, v14, v17
	v_fma_f32 v17, 0x3f317218, v8, -v101
	s_delay_alu instid0(VALU_DEP_2) | instskip(NEXT) | instid1(VALU_DEP_1)
	v_sub_f32_e32 v13, v15, v13
	v_dual_fmac_f32 v17, 0xb102e308, v8 :: v_dual_add_f32 v8, v9, v13
	s_delay_alu instid0(VALU_DEP_1) | instskip(NEXT) | instid1(VALU_DEP_2)
	v_add_f32_e32 v9, v101, v17
	v_add_f32_e32 v13, v14, v8
	s_delay_alu instid0(VALU_DEP_2) | instskip(NEXT) | instid1(VALU_DEP_2)
	v_sub_f32_e32 v101, v9, v101
	v_add_f32_e32 v15, v9, v13
	v_sub_f32_e32 v14, v13, v14
	s_delay_alu instid0(VALU_DEP_3) | instskip(NEXT) | instid1(VALU_DEP_3)
	v_sub_f32_e32 v17, v17, v101
	v_sub_f32_e32 v102, v15, v9
	s_delay_alu instid0(VALU_DEP_3) | instskip(NEXT) | instid1(VALU_DEP_2)
	v_sub_f32_e32 v8, v8, v14
	v_sub_f32_e32 v103, v15, v102
	;; [unrolled: 1-line block ×3, first 2 shown]
	s_delay_alu instid0(VALU_DEP_3) | instskip(NEXT) | instid1(VALU_DEP_3)
	v_add_f32_e32 v14, v17, v8
	v_sub_f32_e32 v9, v9, v103
	s_delay_alu instid0(VALU_DEP_1) | instskip(NEXT) | instid1(VALU_DEP_3)
	v_add_f32_e32 v9, v13, v9
	v_sub_f32_e32 v13, v14, v17
	s_delay_alu instid0(VALU_DEP_2) | instskip(NEXT) | instid1(VALU_DEP_2)
	v_add_f32_e32 v9, v14, v9
	v_sub_f32_e32 v14, v14, v13
	v_sub_f32_e32 v8, v8, v13
	s_delay_alu instid0(VALU_DEP_2) | instskip(NEXT) | instid1(VALU_DEP_1)
	v_dual_add_f32 v101, v15, v9 :: v_dual_sub_f32 v14, v17, v14
	v_dual_sub_f32 v13, v101, v15 :: v_dual_add_f32 v8, v8, v14
	s_delay_alu instid0(VALU_DEP_1) | instskip(NEXT) | instid1(VALU_DEP_1)
	v_sub_f32_e32 v9, v9, v13
	v_add_f32_e32 v8, v8, v9
	s_delay_alu instid0(VALU_DEP_1) | instskip(NEXT) | instid1(VALU_DEP_1)
	v_add_f32_e32 v8, v101, v8
	v_cndmask_b32_e32 v101, v8, v12, vcc_lo
.LBB95_98:                              ;   in Loop: Header=BB95_12 Depth=1
	s_or_b32 exec_lo, exec_lo, s30
	v_cvt_f32_f16_e32 v8, v10
	s_delay_alu instid0(VALU_DEP_1) | instskip(NEXT) | instid1(VALU_DEP_1)
	v_add_f32_e32 v102, s69, v8
	v_cmp_ge_f32_e32 vcc_lo, 0x41a00000, v102
	s_and_b32 s29, s80, vcc_lo
	s_delay_alu instid0(SALU_CYCLE_1)
	s_and_saveexec_b32 s30, s29
	s_cbranch_execz .LBB95_100
; %bb.99:                               ;   in Loop: Header=BB95_12 Depth=1
	v_mul_f32_e32 v8, 0x3fb8aa3b, v102
	v_cmp_ngt_f32_e32 vcc_lo, 0xc2ce8ed0, v102
	s_delay_alu instid0(VALU_DEP_2) | instskip(SKIP_1) | instid1(VALU_DEP_2)
	v_rndne_f32_e32 v9, v8
	v_fma_f32 v12, 0x3fb8aa3b, v102, -v8
	v_sub_f32_e32 v8, v8, v9
	s_delay_alu instid0(VALU_DEP_2) | instskip(SKIP_1) | instid1(VALU_DEP_2)
	v_fmac_f32_e32 v12, 0x32a5705f, v102
	v_cvt_i32_f32_e32 v9, v9
	v_add_f32_e32 v8, v8, v12
	s_delay_alu instid0(VALU_DEP_1) | instskip(SKIP_2) | instid1(VALU_DEP_1)
	v_exp_f32_e32 v8, v8
	s_waitcnt_depctr 0xfff
	v_ldexp_f32 v8, v8, v9
	v_cndmask_b32_e32 v8, 0, v8, vcc_lo
	v_cmp_nlt_f32_e32 vcc_lo, 0x42b17218, v102
	s_delay_alu instid0(VALU_DEP_2) | instskip(NEXT) | instid1(VALU_DEP_1)
	v_cndmask_b32_e32 v12, 0x7f800000, v8, vcc_lo
	v_add_f32_e32 v13, 1.0, v12
	s_delay_alu instid0(VALU_DEP_1) | instskip(NEXT) | instid1(VALU_DEP_1)
	v_cvt_f64_f32_e32 v[8:9], v13
	v_frexp_exp_i32_f64_e32 v8, v[8:9]
	v_frexp_mant_f32_e32 v9, v13
	s_delay_alu instid0(VALU_DEP_1) | instskip(SKIP_1) | instid1(VALU_DEP_1)
	v_cmp_gt_f32_e32 vcc_lo, 0x3f2aaaab, v9
	v_add_f32_e32 v9, -1.0, v13
	v_sub_f32_e32 v15, v9, v13
	s_delay_alu instid0(VALU_DEP_1) | instskip(SKIP_1) | instid1(VALU_DEP_1)
	v_add_f32_e32 v15, 1.0, v15
	v_subrev_co_ci_u32_e32 v8, vcc_lo, 0, v8, vcc_lo
	v_sub_nc_u32_e32 v14, 0, v8
	v_cvt_f32_i32_e32 v8, v8
	s_delay_alu instid0(VALU_DEP_2) | instskip(NEXT) | instid1(VALU_DEP_1)
	v_ldexp_f32 v13, v13, v14
	v_add_f32_e32 v17, 1.0, v13
	v_sub_f32_e32 v9, v12, v9
	v_cmp_eq_f32_e32 vcc_lo, 0x7f800000, v12
	v_cmp_gt_f32_e64 s29, 0x33800000, v12
	s_delay_alu instid0(VALU_DEP_3) | instskip(NEXT) | instid1(VALU_DEP_2)
	v_add_f32_e32 v9, v9, v15
	s_or_b32 vcc_lo, s29, vcc_lo
	s_delay_alu instid0(VALU_DEP_1) | instskip(SKIP_1) | instid1(VALU_DEP_1)
	v_ldexp_f32 v9, v9, v14
	v_add_f32_e32 v14, -1.0, v13
	v_dual_add_f32 v15, -1.0, v17 :: v_dual_add_f32 v102, 1.0, v14
	s_delay_alu instid0(VALU_DEP_1) | instskip(NEXT) | instid1(VALU_DEP_2)
	v_sub_f32_e32 v15, v13, v15
	v_sub_f32_e32 v13, v13, v102
	s_delay_alu instid0(VALU_DEP_2) | instskip(NEXT) | instid1(VALU_DEP_2)
	v_add_f32_e32 v15, v9, v15
	v_add_f32_e32 v9, v9, v13
	s_delay_alu instid0(VALU_DEP_1) | instskip(NEXT) | instid1(VALU_DEP_1)
	v_dual_add_f32 v102, v17, v15 :: v_dual_add_f32 v103, v14, v9
	v_rcp_f32_e32 v13, v102
	s_delay_alu instid0(VALU_DEP_1) | instskip(NEXT) | instid1(VALU_DEP_1)
	v_dual_sub_f32 v17, v17, v102 :: v_dual_sub_f32 v14, v14, v103
	v_add_f32_e32 v15, v15, v17
	s_waitcnt_depctr 0xfff
	v_dual_add_f32 v9, v9, v14 :: v_dual_mul_f32 v104, v103, v13
	s_delay_alu instid0(VALU_DEP_1) | instskip(NEXT) | instid1(VALU_DEP_1)
	v_mul_f32_e32 v105, v102, v104
	v_fma_f32 v17, v104, v102, -v105
	s_delay_alu instid0(VALU_DEP_1) | instskip(NEXT) | instid1(VALU_DEP_1)
	v_fmac_f32_e32 v17, v104, v15
	v_add_f32_e32 v106, v105, v17
	s_delay_alu instid0(VALU_DEP_1) | instskip(NEXT) | instid1(VALU_DEP_1)
	v_sub_f32_e32 v107, v103, v106
	v_dual_sub_f32 v103, v103, v107 :: v_dual_sub_f32 v14, v106, v105
	s_delay_alu instid0(VALU_DEP_1) | instskip(NEXT) | instid1(VALU_DEP_1)
	v_dual_sub_f32 v103, v103, v106 :: v_dual_sub_f32 v14, v14, v17
	v_add_f32_e32 v9, v9, v103
	s_delay_alu instid0(VALU_DEP_1) | instskip(NEXT) | instid1(VALU_DEP_1)
	v_add_f32_e32 v9, v14, v9
	v_add_f32_e32 v14, v107, v9
	s_delay_alu instid0(VALU_DEP_1) | instskip(NEXT) | instid1(VALU_DEP_1)
	v_mul_f32_e32 v17, v13, v14
	v_dual_sub_f32 v106, v107, v14 :: v_dual_mul_f32 v103, v102, v17
	s_delay_alu instid0(VALU_DEP_1) | instskip(NEXT) | instid1(VALU_DEP_2)
	v_add_f32_e32 v9, v9, v106
	v_fma_f32 v102, v17, v102, -v103
	s_delay_alu instid0(VALU_DEP_1) | instskip(NEXT) | instid1(VALU_DEP_1)
	v_fmac_f32_e32 v102, v17, v15
	v_add_f32_e32 v15, v103, v102
	s_delay_alu instid0(VALU_DEP_1) | instskip(NEXT) | instid1(VALU_DEP_1)
	v_sub_f32_e32 v105, v14, v15
	v_dual_sub_f32 v103, v15, v103 :: v_dual_sub_f32 v14, v14, v105
	s_delay_alu instid0(VALU_DEP_1) | instskip(NEXT) | instid1(VALU_DEP_1)
	v_dual_sub_f32 v14, v14, v15 :: v_dual_sub_f32 v15, v103, v102
	v_dual_add_f32 v9, v9, v14 :: v_dual_add_f32 v14, v104, v17
	s_delay_alu instid0(VALU_DEP_1) | instskip(NEXT) | instid1(VALU_DEP_2)
	v_add_f32_e32 v9, v15, v9
	v_sub_f32_e32 v15, v14, v104
	s_delay_alu instid0(VALU_DEP_2) | instskip(NEXT) | instid1(VALU_DEP_2)
	v_add_f32_e32 v9, v105, v9
	v_sub_f32_e32 v15, v17, v15
	s_delay_alu instid0(VALU_DEP_2) | instskip(NEXT) | instid1(VALU_DEP_1)
	v_mul_f32_e32 v9, v13, v9
	v_add_f32_e32 v9, v15, v9
	s_delay_alu instid0(VALU_DEP_1) | instskip(NEXT) | instid1(VALU_DEP_1)
	v_add_f32_e32 v13, v14, v9
	v_mul_f32_e32 v15, v13, v13
	s_delay_alu instid0(VALU_DEP_1) | instskip(NEXT) | instid1(VALU_DEP_1)
	v_fmaak_f32 v17, s84, v15, 0x3ecc95a3
	v_dual_mul_f32 v102, v13, v15 :: v_dual_fmaak_f32 v15, v15, v17, 0x3f2aaada
	v_ldexp_f32 v17, v13, 1
	v_sub_f32_e32 v13, v13, v14
	s_delay_alu instid0(VALU_DEP_3) | instskip(NEXT) | instid1(VALU_DEP_2)
	v_dual_mul_f32 v15, v102, v15 :: v_dual_mul_f32 v102, 0x3f317218, v8
	v_sub_f32_e32 v9, v9, v13
	s_delay_alu instid0(VALU_DEP_2) | instskip(NEXT) | instid1(VALU_DEP_2)
	v_add_f32_e32 v14, v17, v15
	v_ldexp_f32 v9, v9, 1
	s_delay_alu instid0(VALU_DEP_2) | instskip(SKIP_1) | instid1(VALU_DEP_2)
	v_sub_f32_e32 v13, v14, v17
	v_fma_f32 v17, 0x3f317218, v8, -v102
	v_sub_f32_e32 v13, v15, v13
	s_delay_alu instid0(VALU_DEP_1) | instskip(NEXT) | instid1(VALU_DEP_1)
	v_dual_fmac_f32 v17, 0xb102e308, v8 :: v_dual_add_f32 v8, v9, v13
	v_add_f32_e32 v9, v102, v17
	s_delay_alu instid0(VALU_DEP_1) | instskip(NEXT) | instid1(VALU_DEP_1)
	v_dual_add_f32 v13, v14, v8 :: v_dual_sub_f32 v102, v9, v102
	v_add_f32_e32 v15, v9, v13
	v_sub_f32_e32 v14, v13, v14
	s_delay_alu instid0(VALU_DEP_3) | instskip(NEXT) | instid1(VALU_DEP_2)
	v_sub_f32_e32 v17, v17, v102
	v_dual_sub_f32 v103, v15, v9 :: v_dual_sub_f32 v8, v8, v14
	s_delay_alu instid0(VALU_DEP_1) | instskip(SKIP_1) | instid1(VALU_DEP_3)
	v_sub_f32_e32 v104, v15, v103
	v_sub_f32_e32 v13, v13, v103
	v_add_f32_e32 v14, v17, v8
	s_delay_alu instid0(VALU_DEP_3) | instskip(NEXT) | instid1(VALU_DEP_1)
	v_sub_f32_e32 v9, v9, v104
	v_add_f32_e32 v9, v13, v9
	s_delay_alu instid0(VALU_DEP_3) | instskip(NEXT) | instid1(VALU_DEP_2)
	v_sub_f32_e32 v13, v14, v17
	v_add_f32_e32 v9, v14, v9
	s_delay_alu instid0(VALU_DEP_2) | instskip(SKIP_1) | instid1(VALU_DEP_3)
	v_sub_f32_e32 v14, v14, v13
	v_sub_f32_e32 v8, v8, v13
	v_add_f32_e32 v102, v15, v9
	s_delay_alu instid0(VALU_DEP_1) | instskip(NEXT) | instid1(VALU_DEP_1)
	v_dual_sub_f32 v14, v17, v14 :: v_dual_sub_f32 v13, v102, v15
	v_dual_add_f32 v8, v8, v14 :: v_dual_sub_f32 v9, v9, v13
	s_delay_alu instid0(VALU_DEP_1) | instskip(NEXT) | instid1(VALU_DEP_1)
	v_add_f32_e32 v8, v8, v9
	v_add_f32_e32 v8, v102, v8
	s_delay_alu instid0(VALU_DEP_1)
	v_cndmask_b32_e32 v102, v8, v12, vcc_lo
.LBB95_100:                             ;   in Loop: Header=BB95_12 Depth=1
	s_or_b32 exec_lo, exec_lo, s30
	v_lshrrev_b32_e32 v8, 16, v10
	s_delay_alu instid0(VALU_DEP_1) | instskip(NEXT) | instid1(VALU_DEP_1)
	v_cvt_f32_f16_e32 v8, v8
	v_add_f32_e32 v103, s69, v8
	s_delay_alu instid0(VALU_DEP_1) | instskip(SKIP_1) | instid1(SALU_CYCLE_1)
	v_cmp_ge_f32_e32 vcc_lo, 0x41a00000, v103
	s_and_b32 s29, s80, vcc_lo
	s_and_saveexec_b32 s30, s29
	s_cbranch_execz .LBB95_102
; %bb.101:                              ;   in Loop: Header=BB95_12 Depth=1
	v_mul_f32_e32 v8, 0x3fb8aa3b, v103
	v_cmp_ngt_f32_e32 vcc_lo, 0xc2ce8ed0, v103
	s_delay_alu instid0(VALU_DEP_2) | instskip(SKIP_1) | instid1(VALU_DEP_2)
	v_rndne_f32_e32 v9, v8
	v_fma_f32 v10, 0x3fb8aa3b, v103, -v8
	v_sub_f32_e32 v8, v8, v9
	s_delay_alu instid0(VALU_DEP_2) | instskip(SKIP_1) | instid1(VALU_DEP_2)
	v_fmac_f32_e32 v10, 0x32a5705f, v103
	v_cvt_i32_f32_e32 v9, v9
	v_add_f32_e32 v8, v8, v10
	s_delay_alu instid0(VALU_DEP_1) | instskip(SKIP_2) | instid1(VALU_DEP_1)
	v_exp_f32_e32 v8, v8
	s_waitcnt_depctr 0xfff
	v_ldexp_f32 v8, v8, v9
	v_cndmask_b32_e32 v8, 0, v8, vcc_lo
	v_cmp_nlt_f32_e32 vcc_lo, 0x42b17218, v103
	s_delay_alu instid0(VALU_DEP_2) | instskip(NEXT) | instid1(VALU_DEP_1)
	v_cndmask_b32_e32 v10, 0x7f800000, v8, vcc_lo
	v_add_f32_e32 v12, 1.0, v10
	s_delay_alu instid0(VALU_DEP_1) | instskip(NEXT) | instid1(VALU_DEP_1)
	v_cvt_f64_f32_e32 v[8:9], v12
	v_frexp_exp_i32_f64_e32 v8, v[8:9]
	v_frexp_mant_f32_e32 v9, v12
	s_delay_alu instid0(VALU_DEP_1) | instskip(SKIP_1) | instid1(VALU_DEP_1)
	v_cmp_gt_f32_e32 vcc_lo, 0x3f2aaaab, v9
	v_add_f32_e32 v9, -1.0, v12
	v_dual_sub_f32 v14, v9, v12 :: v_dual_sub_f32 v9, v10, v9
	v_subrev_co_ci_u32_e32 v8, vcc_lo, 0, v8, vcc_lo
	s_delay_alu instid0(VALU_DEP_1) | instskip(SKIP_1) | instid1(VALU_DEP_2)
	v_sub_nc_u32_e32 v13, 0, v8
	v_cvt_f32_i32_e32 v8, v8
	v_ldexp_f32 v12, v12, v13
	s_delay_alu instid0(VALU_DEP_1) | instskip(NEXT) | instid1(VALU_DEP_1)
	v_dual_add_f32 v14, 1.0, v14 :: v_dual_add_f32 v15, 1.0, v12
	v_add_f32_e32 v9, v9, v14
	s_delay_alu instid0(VALU_DEP_1) | instskip(NEXT) | instid1(VALU_DEP_3)
	v_ldexp_f32 v9, v9, v13
	v_dual_add_f32 v13, -1.0, v12 :: v_dual_add_f32 v14, -1.0, v15
	s_delay_alu instid0(VALU_DEP_1) | instskip(NEXT) | instid1(VALU_DEP_1)
	v_dual_add_f32 v17, 1.0, v13 :: v_dual_sub_f32 v14, v12, v14
	v_sub_f32_e32 v12, v12, v17
	s_delay_alu instid0(VALU_DEP_2) | instskip(NEXT) | instid1(VALU_DEP_2)
	v_add_f32_e32 v14, v9, v14
	v_add_f32_e32 v9, v9, v12
	s_delay_alu instid0(VALU_DEP_2) | instskip(SKIP_2) | instid1(VALU_DEP_4)
	v_add_f32_e32 v17, v15, v14
	v_cmp_eq_f32_e32 vcc_lo, 0x7f800000, v10
	v_cmp_gt_f32_e64 s29, 0x33800000, v10
	v_add_f32_e32 v103, v13, v9
	s_delay_alu instid0(VALU_DEP_4) | instskip(SKIP_1) | instid1(VALU_DEP_3)
	v_rcp_f32_e32 v12, v17
	v_sub_f32_e32 v15, v15, v17
	s_or_b32 vcc_lo, s29, vcc_lo
	s_delay_alu instid0(VALU_DEP_2) | instskip(NEXT) | instid1(VALU_DEP_1)
	v_sub_f32_e32 v13, v13, v103
	v_dual_add_f32 v14, v14, v15 :: v_dual_add_f32 v9, v9, v13
	s_waitcnt_depctr 0xfff
	v_mul_f32_e32 v104, v103, v12
	s_delay_alu instid0(VALU_DEP_1) | instskip(NEXT) | instid1(VALU_DEP_1)
	v_mul_f32_e32 v105, v17, v104
	v_fma_f32 v15, v104, v17, -v105
	s_delay_alu instid0(VALU_DEP_1) | instskip(NEXT) | instid1(VALU_DEP_1)
	v_fmac_f32_e32 v15, v104, v14
	v_add_f32_e32 v106, v105, v15
	s_delay_alu instid0(VALU_DEP_1) | instskip(SKIP_1) | instid1(VALU_DEP_2)
	v_sub_f32_e32 v107, v103, v106
	v_sub_f32_e32 v13, v106, v105
	v_sub_f32_e32 v103, v103, v107
	s_delay_alu instid0(VALU_DEP_2) | instskip(NEXT) | instid1(VALU_DEP_2)
	v_sub_f32_e32 v13, v13, v15
	v_sub_f32_e32 v103, v103, v106
	s_delay_alu instid0(VALU_DEP_1) | instskip(NEXT) | instid1(VALU_DEP_1)
	v_add_f32_e32 v9, v9, v103
	v_add_f32_e32 v9, v13, v9
	s_delay_alu instid0(VALU_DEP_1) | instskip(NEXT) | instid1(VALU_DEP_1)
	v_add_f32_e32 v13, v107, v9
	v_mul_f32_e32 v15, v12, v13
	s_delay_alu instid0(VALU_DEP_1) | instskip(NEXT) | instid1(VALU_DEP_1)
	v_dual_sub_f32 v106, v107, v13 :: v_dual_mul_f32 v103, v17, v15
	v_add_f32_e32 v9, v9, v106
	s_delay_alu instid0(VALU_DEP_2) | instskip(NEXT) | instid1(VALU_DEP_1)
	v_fma_f32 v17, v15, v17, -v103
	v_fmac_f32_e32 v17, v15, v14
	s_delay_alu instid0(VALU_DEP_1) | instskip(NEXT) | instid1(VALU_DEP_1)
	v_add_f32_e32 v14, v103, v17
	v_sub_f32_e32 v105, v13, v14
	v_sub_f32_e32 v103, v14, v103
	s_delay_alu instid0(VALU_DEP_2) | instskip(NEXT) | instid1(VALU_DEP_1)
	v_sub_f32_e32 v13, v13, v105
	v_dual_sub_f32 v13, v13, v14 :: v_dual_sub_f32 v14, v103, v17
	s_delay_alu instid0(VALU_DEP_1) | instskip(SKIP_1) | instid1(VALU_DEP_1)
	v_add_f32_e32 v9, v9, v13
	v_add_f32_e32 v13, v104, v15
	v_dual_add_f32 v9, v14, v9 :: v_dual_sub_f32 v14, v13, v104
	s_delay_alu instid0(VALU_DEP_1) | instskip(NEXT) | instid1(VALU_DEP_1)
	v_dual_add_f32 v9, v105, v9 :: v_dual_sub_f32 v14, v15, v14
	v_mul_f32_e32 v9, v12, v9
	s_delay_alu instid0(VALU_DEP_1) | instskip(NEXT) | instid1(VALU_DEP_1)
	v_add_f32_e32 v9, v14, v9
	v_add_f32_e32 v12, v13, v9
	s_delay_alu instid0(VALU_DEP_1) | instskip(NEXT) | instid1(VALU_DEP_1)
	v_mul_f32_e32 v14, v12, v12
	v_fmaak_f32 v15, s84, v14, 0x3ecc95a3
	s_delay_alu instid0(VALU_DEP_1) | instskip(SKIP_2) | instid1(VALU_DEP_3)
	v_dual_mul_f32 v17, v12, v14 :: v_dual_fmaak_f32 v14, v14, v15, 0x3f2aaada
	v_ldexp_f32 v15, v12, 1
	v_sub_f32_e32 v12, v12, v13
	v_dual_mul_f32 v14, v17, v14 :: v_dual_mul_f32 v17, 0x3f317218, v8
	s_delay_alu instid0(VALU_DEP_2) | instskip(NEXT) | instid1(VALU_DEP_2)
	v_sub_f32_e32 v9, v9, v12
	v_add_f32_e32 v13, v15, v14
	s_delay_alu instid0(VALU_DEP_2) | instskip(NEXT) | instid1(VALU_DEP_2)
	v_ldexp_f32 v9, v9, 1
	v_sub_f32_e32 v12, v13, v15
	v_fma_f32 v15, 0x3f317218, v8, -v17
	s_delay_alu instid0(VALU_DEP_2) | instskip(NEXT) | instid1(VALU_DEP_2)
	v_sub_f32_e32 v12, v14, v12
	v_fmac_f32_e32 v15, 0xb102e308, v8
	s_delay_alu instid0(VALU_DEP_2) | instskip(NEXT) | instid1(VALU_DEP_2)
	v_add_f32_e32 v8, v9, v12
	v_add_f32_e32 v9, v17, v15
	s_delay_alu instid0(VALU_DEP_2) | instskip(NEXT) | instid1(VALU_DEP_2)
	v_add_f32_e32 v12, v13, v8
	v_sub_f32_e32 v17, v9, v17
	s_delay_alu instid0(VALU_DEP_2) | instskip(NEXT) | instid1(VALU_DEP_2)
	v_dual_add_f32 v14, v9, v12 :: v_dual_sub_f32 v13, v12, v13
	v_sub_f32_e32 v15, v15, v17
	s_delay_alu instid0(VALU_DEP_2) | instskip(NEXT) | instid1(VALU_DEP_3)
	v_sub_f32_e32 v103, v14, v9
	v_sub_f32_e32 v8, v8, v13
	s_delay_alu instid0(VALU_DEP_2) | instskip(NEXT) | instid1(VALU_DEP_2)
	v_sub_f32_e32 v104, v14, v103
	v_dual_sub_f32 v12, v12, v103 :: v_dual_add_f32 v13, v15, v8
	s_delay_alu instid0(VALU_DEP_2) | instskip(NEXT) | instid1(VALU_DEP_1)
	v_sub_f32_e32 v9, v9, v104
	v_dual_add_f32 v9, v12, v9 :: v_dual_sub_f32 v12, v13, v15
	s_delay_alu instid0(VALU_DEP_1) | instskip(NEXT) | instid1(VALU_DEP_2)
	v_add_f32_e32 v9, v13, v9
	v_sub_f32_e32 v13, v13, v12
	s_delay_alu instid0(VALU_DEP_2) | instskip(NEXT) | instid1(VALU_DEP_1)
	v_dual_sub_f32 v8, v8, v12 :: v_dual_add_f32 v17, v14, v9
	v_dual_sub_f32 v13, v15, v13 :: v_dual_sub_f32 v12, v17, v14
	s_delay_alu instid0(VALU_DEP_1) | instskip(NEXT) | instid1(VALU_DEP_1)
	v_dual_add_f32 v8, v8, v13 :: v_dual_sub_f32 v9, v9, v12
	v_add_f32_e32 v8, v8, v9
	s_delay_alu instid0(VALU_DEP_1) | instskip(NEXT) | instid1(VALU_DEP_1)
	v_add_f32_e32 v8, v17, v8
	v_cndmask_b32_e32 v103, v8, v10, vcc_lo
.LBB95_102:                             ;   in Loop: Header=BB95_12 Depth=1
	s_or_b32 exec_lo, exec_lo, s30
	v_cvt_f32_f16_e32 v8, v11
	s_delay_alu instid0(VALU_DEP_1) | instskip(NEXT) | instid1(VALU_DEP_1)
	v_add_f32_e32 v104, s69, v8
	v_cmp_ge_f32_e32 vcc_lo, 0x41a00000, v104
	s_and_b32 s29, s80, vcc_lo
	s_delay_alu instid0(SALU_CYCLE_1)
	s_and_saveexec_b32 s30, s29
	s_cbranch_execz .LBB95_104
; %bb.103:                              ;   in Loop: Header=BB95_12 Depth=1
	v_mul_f32_e32 v8, 0x3fb8aa3b, v104
	v_cmp_ngt_f32_e32 vcc_lo, 0xc2ce8ed0, v104
	s_delay_alu instid0(VALU_DEP_2) | instskip(SKIP_1) | instid1(VALU_DEP_2)
	v_rndne_f32_e32 v9, v8
	v_fma_f32 v10, 0x3fb8aa3b, v104, -v8
	v_sub_f32_e32 v8, v8, v9
	s_delay_alu instid0(VALU_DEP_2) | instskip(SKIP_1) | instid1(VALU_DEP_2)
	v_fmac_f32_e32 v10, 0x32a5705f, v104
	v_cvt_i32_f32_e32 v9, v9
	v_add_f32_e32 v8, v8, v10
	s_delay_alu instid0(VALU_DEP_1) | instskip(SKIP_2) | instid1(VALU_DEP_1)
	v_exp_f32_e32 v8, v8
	s_waitcnt_depctr 0xfff
	v_ldexp_f32 v8, v8, v9
	v_cndmask_b32_e32 v8, 0, v8, vcc_lo
	v_cmp_nlt_f32_e32 vcc_lo, 0x42b17218, v104
	s_delay_alu instid0(VALU_DEP_2) | instskip(NEXT) | instid1(VALU_DEP_1)
	v_cndmask_b32_e32 v10, 0x7f800000, v8, vcc_lo
	v_add_f32_e32 v12, 1.0, v10
	s_delay_alu instid0(VALU_DEP_1) | instskip(NEXT) | instid1(VALU_DEP_1)
	v_cvt_f64_f32_e32 v[8:9], v12
	v_frexp_exp_i32_f64_e32 v8, v[8:9]
	v_frexp_mant_f32_e32 v9, v12
	s_delay_alu instid0(VALU_DEP_1) | instskip(SKIP_1) | instid1(VALU_DEP_1)
	v_cmp_gt_f32_e32 vcc_lo, 0x3f2aaaab, v9
	v_add_f32_e32 v9, -1.0, v12
	v_dual_sub_f32 v14, v9, v12 :: v_dual_sub_f32 v9, v10, v9
	v_subrev_co_ci_u32_e32 v8, vcc_lo, 0, v8, vcc_lo
	s_delay_alu instid0(VALU_DEP_1) | instskip(SKIP_1) | instid1(VALU_DEP_2)
	v_sub_nc_u32_e32 v13, 0, v8
	v_cvt_f32_i32_e32 v8, v8
	v_ldexp_f32 v12, v12, v13
	s_delay_alu instid0(VALU_DEP_1) | instskip(NEXT) | instid1(VALU_DEP_1)
	v_dual_add_f32 v14, 1.0, v14 :: v_dual_add_f32 v15, 1.0, v12
	v_add_f32_e32 v9, v9, v14
	s_delay_alu instid0(VALU_DEP_1) | instskip(NEXT) | instid1(VALU_DEP_3)
	v_ldexp_f32 v9, v9, v13
	v_dual_add_f32 v13, -1.0, v12 :: v_dual_add_f32 v14, -1.0, v15
	s_delay_alu instid0(VALU_DEP_1) | instskip(NEXT) | instid1(VALU_DEP_1)
	v_dual_add_f32 v17, 1.0, v13 :: v_dual_sub_f32 v14, v12, v14
	v_sub_f32_e32 v12, v12, v17
	s_delay_alu instid0(VALU_DEP_2) | instskip(NEXT) | instid1(VALU_DEP_2)
	v_add_f32_e32 v14, v9, v14
	v_add_f32_e32 v9, v9, v12
	s_delay_alu instid0(VALU_DEP_2) | instskip(SKIP_2) | instid1(VALU_DEP_4)
	v_add_f32_e32 v17, v15, v14
	v_cmp_eq_f32_e32 vcc_lo, 0x7f800000, v10
	v_cmp_gt_f32_e64 s29, 0x33800000, v10
	v_add_f32_e32 v104, v13, v9
	s_delay_alu instid0(VALU_DEP_4) | instskip(SKIP_1) | instid1(VALU_DEP_3)
	v_rcp_f32_e32 v12, v17
	v_sub_f32_e32 v15, v15, v17
	s_or_b32 vcc_lo, s29, vcc_lo
	s_delay_alu instid0(VALU_DEP_2) | instskip(NEXT) | instid1(VALU_DEP_1)
	v_sub_f32_e32 v13, v13, v104
	v_add_f32_e32 v9, v9, v13
	s_waitcnt_depctr 0xfff
	v_dual_mul_f32 v105, v104, v12 :: v_dual_add_f32 v14, v14, v15
	s_delay_alu instid0(VALU_DEP_1) | instskip(NEXT) | instid1(VALU_DEP_1)
	v_mul_f32_e32 v106, v17, v105
	v_fma_f32 v15, v105, v17, -v106
	s_delay_alu instid0(VALU_DEP_1) | instskip(NEXT) | instid1(VALU_DEP_1)
	v_fmac_f32_e32 v15, v105, v14
	v_add_f32_e32 v107, v106, v15
	s_delay_alu instid0(VALU_DEP_1) | instskip(NEXT) | instid1(VALU_DEP_1)
	v_dual_sub_f32 v13, v107, v106 :: v_dual_sub_f32 v108, v104, v107
	v_dual_sub_f32 v13, v13, v15 :: v_dual_sub_f32 v104, v104, v108
	s_delay_alu instid0(VALU_DEP_1) | instskip(NEXT) | instid1(VALU_DEP_1)
	v_sub_f32_e32 v104, v104, v107
	v_add_f32_e32 v9, v9, v104
	s_delay_alu instid0(VALU_DEP_1) | instskip(NEXT) | instid1(VALU_DEP_1)
	v_add_f32_e32 v9, v13, v9
	v_add_f32_e32 v13, v108, v9
	s_delay_alu instid0(VALU_DEP_1) | instskip(NEXT) | instid1(VALU_DEP_1)
	v_mul_f32_e32 v15, v12, v13
	v_mul_f32_e32 v104, v17, v15
	s_delay_alu instid0(VALU_DEP_1) | instskip(NEXT) | instid1(VALU_DEP_1)
	v_fma_f32 v17, v15, v17, -v104
	v_fmac_f32_e32 v17, v15, v14
	s_delay_alu instid0(VALU_DEP_1) | instskip(NEXT) | instid1(VALU_DEP_1)
	v_add_f32_e32 v14, v104, v17
	v_dual_sub_f32 v107, v108, v13 :: v_dual_sub_f32 v106, v13, v14
	s_delay_alu instid0(VALU_DEP_1) | instskip(NEXT) | instid1(VALU_DEP_2)
	v_dual_sub_f32 v13, v13, v106 :: v_dual_sub_f32 v104, v14, v104
	v_add_f32_e32 v9, v9, v107
	s_delay_alu instid0(VALU_DEP_2) | instskip(NEXT) | instid1(VALU_DEP_1)
	v_dual_sub_f32 v13, v13, v14 :: v_dual_sub_f32 v14, v104, v17
	v_add_f32_e32 v9, v9, v13
	v_add_f32_e32 v13, v105, v15
	s_delay_alu instid0(VALU_DEP_2) | instskip(NEXT) | instid1(VALU_DEP_2)
	v_add_f32_e32 v9, v14, v9
	v_sub_f32_e32 v14, v13, v105
	s_delay_alu instid0(VALU_DEP_1) | instskip(NEXT) | instid1(VALU_DEP_1)
	v_dual_add_f32 v9, v106, v9 :: v_dual_sub_f32 v14, v15, v14
	v_mul_f32_e32 v9, v12, v9
	s_delay_alu instid0(VALU_DEP_1) | instskip(NEXT) | instid1(VALU_DEP_1)
	v_add_f32_e32 v9, v14, v9
	v_add_f32_e32 v12, v13, v9
	s_delay_alu instid0(VALU_DEP_1) | instskip(NEXT) | instid1(VALU_DEP_1)
	v_mul_f32_e32 v14, v12, v12
	v_fmaak_f32 v15, s84, v14, 0x3ecc95a3
	s_delay_alu instid0(VALU_DEP_1) | instskip(SKIP_1) | instid1(VALU_DEP_2)
	v_dual_mul_f32 v17, v12, v14 :: v_dual_fmaak_f32 v14, v14, v15, 0x3f2aaada
	v_ldexp_f32 v15, v12, 1
	v_mul_f32_e32 v14, v17, v14
	v_dual_sub_f32 v12, v12, v13 :: v_dual_mul_f32 v17, 0x3f317218, v8
	s_delay_alu instid0(VALU_DEP_2) | instskip(NEXT) | instid1(VALU_DEP_2)
	v_add_f32_e32 v13, v15, v14
	v_sub_f32_e32 v9, v9, v12
	s_delay_alu instid0(VALU_DEP_2) | instskip(NEXT) | instid1(VALU_DEP_4)
	v_sub_f32_e32 v12, v13, v15
	v_fma_f32 v15, 0x3f317218, v8, -v17
	s_delay_alu instid0(VALU_DEP_3) | instskip(NEXT) | instid1(VALU_DEP_3)
	v_ldexp_f32 v9, v9, 1
	v_sub_f32_e32 v12, v14, v12
	s_delay_alu instid0(VALU_DEP_3) | instskip(NEXT) | instid1(VALU_DEP_2)
	v_fmac_f32_e32 v15, 0xb102e308, v8
	v_add_f32_e32 v8, v9, v12
	s_delay_alu instid0(VALU_DEP_1) | instskip(NEXT) | instid1(VALU_DEP_3)
	v_add_f32_e32 v12, v13, v8
	v_add_f32_e32 v9, v17, v15
	s_delay_alu instid0(VALU_DEP_1) | instskip(NEXT) | instid1(VALU_DEP_1)
	v_dual_sub_f32 v13, v12, v13 :: v_dual_add_f32 v14, v9, v12
	v_sub_f32_e32 v8, v8, v13
	s_delay_alu instid0(VALU_DEP_2) | instskip(NEXT) | instid1(VALU_DEP_1)
	v_sub_f32_e32 v104, v14, v9
	v_dual_sub_f32 v12, v12, v104 :: v_dual_sub_f32 v17, v9, v17
	s_delay_alu instid0(VALU_DEP_1) | instskip(NEXT) | instid1(VALU_DEP_1)
	v_sub_f32_e32 v15, v15, v17
	v_add_f32_e32 v13, v15, v8
	v_sub_f32_e32 v105, v14, v104
	s_delay_alu instid0(VALU_DEP_1) | instskip(NEXT) | instid1(VALU_DEP_1)
	v_sub_f32_e32 v9, v9, v105
	v_dual_add_f32 v9, v12, v9 :: v_dual_sub_f32 v12, v13, v15
	s_delay_alu instid0(VALU_DEP_1) | instskip(NEXT) | instid1(VALU_DEP_2)
	v_add_f32_e32 v9, v13, v9
	v_sub_f32_e32 v13, v13, v12
	s_delay_alu instid0(VALU_DEP_2) | instskip(NEXT) | instid1(VALU_DEP_1)
	v_dual_sub_f32 v8, v8, v12 :: v_dual_add_f32 v17, v14, v9
	v_dual_sub_f32 v12, v17, v14 :: v_dual_sub_f32 v13, v15, v13
	s_delay_alu instid0(VALU_DEP_1) | instskip(NEXT) | instid1(VALU_DEP_1)
	v_dual_sub_f32 v9, v9, v12 :: v_dual_add_f32 v8, v8, v13
	v_add_f32_e32 v8, v8, v9
	s_delay_alu instid0(VALU_DEP_1) | instskip(NEXT) | instid1(VALU_DEP_1)
	v_add_f32_e32 v8, v17, v8
	v_cndmask_b32_e32 v104, v8, v10, vcc_lo
.LBB95_104:                             ;   in Loop: Header=BB95_12 Depth=1
	s_or_b32 exec_lo, exec_lo, s30
	v_lshrrev_b32_e32 v8, 16, v11
	s_delay_alu instid0(VALU_DEP_1) | instskip(NEXT) | instid1(VALU_DEP_1)
	v_cvt_f32_f16_e32 v8, v8
	v_add_f32_e32 v111, s69, v8
	s_delay_alu instid0(VALU_DEP_1) | instskip(SKIP_1) | instid1(SALU_CYCLE_1)
	v_cmp_ge_f32_e32 vcc_lo, 0x41a00000, v111
	s_and_b32 s29, s80, vcc_lo
	s_and_saveexec_b32 s30, s29
	s_cbranch_execz .LBB95_106
; %bb.105:                              ;   in Loop: Header=BB95_12 Depth=1
	v_mul_f32_e32 v8, 0x3fb8aa3b, v111
	v_cmp_ngt_f32_e32 vcc_lo, 0xc2ce8ed0, v111
	s_delay_alu instid0(VALU_DEP_2) | instskip(SKIP_1) | instid1(VALU_DEP_2)
	v_rndne_f32_e32 v9, v8
	v_fma_f32 v10, 0x3fb8aa3b, v111, -v8
	v_sub_f32_e32 v8, v8, v9
	s_delay_alu instid0(VALU_DEP_2) | instskip(SKIP_1) | instid1(VALU_DEP_2)
	v_fmac_f32_e32 v10, 0x32a5705f, v111
	v_cvt_i32_f32_e32 v9, v9
	v_add_f32_e32 v8, v8, v10
	s_delay_alu instid0(VALU_DEP_1) | instskip(SKIP_2) | instid1(VALU_DEP_1)
	v_exp_f32_e32 v8, v8
	s_waitcnt_depctr 0xfff
	v_ldexp_f32 v8, v8, v9
	v_cndmask_b32_e32 v8, 0, v8, vcc_lo
	v_cmp_nlt_f32_e32 vcc_lo, 0x42b17218, v111
	s_delay_alu instid0(VALU_DEP_2) | instskip(NEXT) | instid1(VALU_DEP_1)
	v_cndmask_b32_e32 v10, 0x7f800000, v8, vcc_lo
	v_add_f32_e32 v11, 1.0, v10
	s_delay_alu instid0(VALU_DEP_1) | instskip(NEXT) | instid1(VALU_DEP_1)
	v_cvt_f64_f32_e32 v[8:9], v11
	v_frexp_exp_i32_f64_e32 v8, v[8:9]
	v_frexp_mant_f32_e32 v9, v11
	s_delay_alu instid0(VALU_DEP_1) | instskip(SKIP_1) | instid1(VALU_DEP_1)
	v_cmp_gt_f32_e32 vcc_lo, 0x3f2aaaab, v9
	v_add_f32_e32 v9, -1.0, v11
	v_sub_f32_e32 v13, v9, v11
	v_sub_f32_e32 v9, v10, v9
	s_delay_alu instid0(VALU_DEP_2) | instskip(NEXT) | instid1(VALU_DEP_1)
	v_add_f32_e32 v13, 1.0, v13
	v_add_f32_e32 v9, v9, v13
	v_cmp_gt_f32_e64 s29, 0x33800000, v10
	v_subrev_co_ci_u32_e32 v8, vcc_lo, 0, v8, vcc_lo
	v_cmp_eq_f32_e32 vcc_lo, 0x7f800000, v10
	s_delay_alu instid0(VALU_DEP_2) | instskip(SKIP_2) | instid1(VALU_DEP_2)
	v_sub_nc_u32_e32 v12, 0, v8
	v_cvt_f32_i32_e32 v8, v8
	s_or_b32 vcc_lo, s29, vcc_lo
	v_ldexp_f32 v11, v11, v12
	v_ldexp_f32 v9, v9, v12
	s_delay_alu instid0(VALU_DEP_2) | instskip(NEXT) | instid1(VALU_DEP_1)
	v_add_f32_e32 v14, 1.0, v11
	v_dual_add_f32 v12, -1.0, v11 :: v_dual_add_f32 v13, -1.0, v14
	s_delay_alu instid0(VALU_DEP_1) | instskip(NEXT) | instid1(VALU_DEP_2)
	v_add_f32_e32 v15, 1.0, v12
	v_sub_f32_e32 v13, v11, v13
	s_delay_alu instid0(VALU_DEP_2) | instskip(NEXT) | instid1(VALU_DEP_2)
	v_sub_f32_e32 v11, v11, v15
	v_add_f32_e32 v13, v9, v13
	s_delay_alu instid0(VALU_DEP_2) | instskip(NEXT) | instid1(VALU_DEP_1)
	v_add_f32_e32 v9, v9, v11
	v_add_f32_e32 v17, v12, v9
	s_delay_alu instid0(VALU_DEP_3) | instskip(NEXT) | instid1(VALU_DEP_2)
	v_add_f32_e32 v15, v14, v13
	v_sub_f32_e32 v12, v12, v17
	s_delay_alu instid0(VALU_DEP_2) | instskip(SKIP_1) | instid1(VALU_DEP_1)
	v_rcp_f32_e32 v11, v15
	v_sub_f32_e32 v14, v14, v15
	v_add_f32_e32 v13, v13, v14
	s_waitcnt_depctr 0xfff
	v_mul_f32_e32 v105, v17, v11
	s_delay_alu instid0(VALU_DEP_1) | instskip(NEXT) | instid1(VALU_DEP_1)
	v_dual_mul_f32 v106, v15, v105 :: v_dual_add_f32 v9, v9, v12
	v_fma_f32 v14, v105, v15, -v106
	s_delay_alu instid0(VALU_DEP_1) | instskip(NEXT) | instid1(VALU_DEP_1)
	v_fmac_f32_e32 v14, v105, v13
	v_add_f32_e32 v107, v106, v14
	s_delay_alu instid0(VALU_DEP_1) | instskip(SKIP_1) | instid1(VALU_DEP_1)
	v_sub_f32_e32 v12, v107, v106
	v_sub_f32_e32 v108, v17, v107
	v_dual_sub_f32 v12, v12, v14 :: v_dual_sub_f32 v17, v17, v108
	s_delay_alu instid0(VALU_DEP_1) | instskip(NEXT) | instid1(VALU_DEP_1)
	v_sub_f32_e32 v17, v17, v107
	v_add_f32_e32 v9, v9, v17
	s_delay_alu instid0(VALU_DEP_1) | instskip(NEXT) | instid1(VALU_DEP_1)
	v_add_f32_e32 v9, v12, v9
	v_add_f32_e32 v12, v108, v9
	s_delay_alu instid0(VALU_DEP_1) | instskip(SKIP_1) | instid1(VALU_DEP_2)
	v_mul_f32_e32 v14, v11, v12
	v_sub_f32_e32 v107, v108, v12
	v_mul_f32_e32 v17, v15, v14
	s_delay_alu instid0(VALU_DEP_2) | instskip(NEXT) | instid1(VALU_DEP_2)
	v_add_f32_e32 v9, v9, v107
	v_fma_f32 v15, v14, v15, -v17
	s_delay_alu instid0(VALU_DEP_1) | instskip(NEXT) | instid1(VALU_DEP_1)
	v_fmac_f32_e32 v15, v14, v13
	v_add_f32_e32 v13, v17, v15
	s_delay_alu instid0(VALU_DEP_1) | instskip(NEXT) | instid1(VALU_DEP_1)
	v_sub_f32_e32 v106, v12, v13
	v_dual_sub_f32 v17, v13, v17 :: v_dual_sub_f32 v12, v12, v106
	s_delay_alu instid0(VALU_DEP_1) | instskip(NEXT) | instid1(VALU_DEP_1)
	v_dual_sub_f32 v12, v12, v13 :: v_dual_sub_f32 v13, v17, v15
	v_add_f32_e32 v9, v9, v12
	v_add_f32_e32 v12, v105, v14
	s_delay_alu instid0(VALU_DEP_2) | instskip(NEXT) | instid1(VALU_DEP_2)
	v_add_f32_e32 v9, v13, v9
	v_sub_f32_e32 v13, v12, v105
	s_delay_alu instid0(VALU_DEP_2) | instskip(NEXT) | instid1(VALU_DEP_2)
	v_add_f32_e32 v9, v106, v9
	v_sub_f32_e32 v13, v14, v13
	s_delay_alu instid0(VALU_DEP_2) | instskip(NEXT) | instid1(VALU_DEP_1)
	v_mul_f32_e32 v9, v11, v9
	v_add_f32_e32 v9, v13, v9
	s_delay_alu instid0(VALU_DEP_1) | instskip(NEXT) | instid1(VALU_DEP_1)
	v_add_f32_e32 v11, v12, v9
	v_mul_f32_e32 v13, v11, v11
	s_delay_alu instid0(VALU_DEP_1) | instskip(SKIP_1) | instid1(VALU_DEP_2)
	v_fmaak_f32 v14, s84, v13, 0x3ecc95a3
	v_mul_f32_e32 v15, v11, v13
	v_fmaak_f32 v13, v13, v14, 0x3f2aaada
	v_ldexp_f32 v14, v11, 1
	v_sub_f32_e32 v11, v11, v12
	s_delay_alu instid0(VALU_DEP_3) | instskip(SKIP_1) | instid1(VALU_DEP_2)
	v_mul_f32_e32 v13, v15, v13
	v_mul_f32_e32 v15, 0x3f317218, v8
	v_dual_sub_f32 v9, v9, v11 :: v_dual_add_f32 v12, v14, v13
	s_delay_alu instid0(VALU_DEP_1) | instskip(NEXT) | instid1(VALU_DEP_2)
	v_ldexp_f32 v9, v9, 1
	v_sub_f32_e32 v11, v12, v14
	s_delay_alu instid0(VALU_DEP_4) | instskip(NEXT) | instid1(VALU_DEP_1)
	v_fma_f32 v14, 0x3f317218, v8, -v15
	v_dual_sub_f32 v11, v13, v11 :: v_dual_fmac_f32 v14, 0xb102e308, v8
	s_delay_alu instid0(VALU_DEP_1) | instskip(NEXT) | instid1(VALU_DEP_1)
	v_dual_add_f32 v8, v9, v11 :: v_dual_add_f32 v9, v15, v14
	v_add_f32_e32 v11, v12, v8
	s_delay_alu instid0(VALU_DEP_2) | instskip(NEXT) | instid1(VALU_DEP_2)
	v_sub_f32_e32 v15, v9, v15
	v_dual_add_f32 v13, v9, v11 :: v_dual_sub_f32 v12, v11, v12
	s_delay_alu instid0(VALU_DEP_1) | instskip(NEXT) | instid1(VALU_DEP_1)
	v_dual_sub_f32 v14, v14, v15 :: v_dual_sub_f32 v17, v13, v9
	v_dual_sub_f32 v8, v8, v12 :: v_dual_sub_f32 v105, v13, v17
	s_delay_alu instid0(VALU_DEP_1) | instskip(NEXT) | instid1(VALU_DEP_2)
	v_dual_sub_f32 v11, v11, v17 :: v_dual_add_f32 v12, v14, v8
	v_sub_f32_e32 v9, v9, v105
	s_delay_alu instid0(VALU_DEP_1) | instskip(NEXT) | instid1(VALU_DEP_3)
	v_add_f32_e32 v9, v11, v9
	v_sub_f32_e32 v11, v12, v14
	s_delay_alu instid0(VALU_DEP_2) | instskip(NEXT) | instid1(VALU_DEP_2)
	v_add_f32_e32 v9, v12, v9
	v_sub_f32_e32 v12, v12, v11
	s_delay_alu instid0(VALU_DEP_2) | instskip(NEXT) | instid1(VALU_DEP_1)
	v_dual_sub_f32 v8, v8, v11 :: v_dual_add_f32 v15, v13, v9
	v_dual_sub_f32 v12, v14, v12 :: v_dual_sub_f32 v11, v15, v13
	s_delay_alu instid0(VALU_DEP_1) | instskip(NEXT) | instid1(VALU_DEP_1)
	v_dual_add_f32 v8, v8, v12 :: v_dual_sub_f32 v9, v9, v11
	v_add_f32_e32 v8, v8, v9
	s_delay_alu instid0(VALU_DEP_1) | instskip(NEXT) | instid1(VALU_DEP_1)
	v_add_f32_e32 v8, v15, v8
	v_cndmask_b32_e32 v111, v8, v10, vcc_lo
.LBB95_106:                             ;   in Loop: Header=BB95_12 Depth=1
	s_or_b32 exec_lo, exec_lo, s30
	v_lshrrev_b32_e32 v9, 16, v6
	v_lshrrev_b32_e32 v10, 16, v7
	;; [unrolled: 1-line block ×6, first 2 shown]
	v_cvt_f32_f16_e32 v8, v7
	v_cvt_f32_f16_e32 v7, v9
	;; [unrolled: 1-line block ×7, first 2 shown]
	v_lshrrev_b32_e32 v14, 16, v1
	v_lshrrev_b32_e32 v15, 16, v0
	v_cvt_f32_f16_e32 v6, v6
	v_cvt_f32_f16_e32 v5, v5
	;; [unrolled: 1-line block ×9, first 2 shown]
	v_dual_mul_f32 v105, s70, v8 :: v_dual_mul_f32 v106, s70, v7
	v_dual_mul_f32 v107, s70, v6 :: v_dual_mul_f32 v108, s70, v9
	;; [unrolled: 1-line block ×8, first 2 shown]
	s_and_b32 vcc_lo, exec_lo, s81
	s_barrier
	buffer_gl0_inv
	s_cbranch_vccz .LBB95_204
; %bb.107:                              ;   in Loop: Header=BB95_12 Depth=1
	v_dual_mul_f32 v122, v111, v11 :: v_dual_mul_f32 v127, v104, v8
	v_add_co_u32 v11, s29, s53, v16
	s_delay_alu instid0(VALU_DEP_1) | instskip(SKIP_1) | instid1(VALU_DEP_1)
	v_add_co_ci_u32_e64 v17, null, s75, 0, s29
	v_add_co_u32 v16, s29, s57, v16
	v_add_co_ci_u32_e64 v126, null, s76, 0, s29
	s_delay_alu instid0(VALU_DEP_4) | instskip(NEXT) | instid1(VALU_DEP_4)
	v_add_co_u32 v123, vcc_lo, v11, v89
	v_add_co_ci_u32_e32 v124, vcc_lo, 0, v17, vcc_lo
	s_delay_alu instid0(VALU_DEP_4) | instskip(NEXT) | instid1(VALU_DEP_4)
	v_add_co_u32 v125, vcc_lo, v16, v89
	v_add_co_ci_u32_e32 v126, vcc_lo, 0, v126, vcc_lo
	v_cmp_gt_u32_e32 vcc_lo, s41, v18
	s_cmp_lg_u32 s86, 0
	v_cmp_gt_u32_e64 s31, s41, v75
	s_cselect_b32 s51, -1, 0
	s_cmp_eq_u32 s86, s83
	v_cmp_gt_u32_e64 s33, s41, v76
	s_cselect_b32 s87, -1, 0
	s_or_b32 s29, s82, vcc_lo
	v_cmp_gt_u32_e32 vcc_lo, s41, v74
	v_cmp_gt_u32_e64 s34, s41, v77
	v_cmp_gt_u32_e64 s35, s41, v78
	;; [unrolled: 1-line block ×4, first 2 shown]
	s_or_b32 s30, s82, vcc_lo
	v_cmp_gt_u32_e32 vcc_lo, s41, v79
	v_cmp_gt_u32_e64 s39, s41, v82
	v_cmp_gt_u32_e64 s40, s41, v83
	;; [unrolled: 1-line block ×4, first 2 shown]
	s_or_b32 s36, s82, vcc_lo
	v_cmp_gt_u32_e32 vcc_lo, s41, v84
	v_cmp_gt_u32_e64 s44, s41, v87
	v_cmp_gt_u32_e64 s45, s41, v88
	v_dual_mul_f32 v128, v103, v7 :: v_dual_mul_f32 v129, v102, v6
	v_dual_mul_f32 v130, v101, v9 :: v_dual_mul_f32 v133, v98, v4
	;; [unrolled: 1-line block ×7, first 2 shown]
	s_mov_b32 s66, 0
	s_or_b32 s31, s82, s31
	s_or_b32 s33, s82, s33
	;; [unrolled: 1-line block ×8, first 2 shown]
	s_or_b32 s41, s82, vcc_lo
	s_or_b32 s42, s82, s42
	s_or_b32 s43, s82, s43
	;; [unrolled: 1-line block ×4, first 2 shown]
	s_mov_b32 s54, s66
	s_mov_b32 s58, s66
	;; [unrolled: 1-line block ×5, first 2 shown]
	s_branch .LBB95_109
.LBB95_108:                             ;   in Loop: Header=BB95_109 Depth=2
	s_or_b32 exec_lo, exec_lo, s46
	v_cndmask_b32_e64 v9, v171, v11, s12
	v_cndmask_b32_e64 v10, v170, v10, s12
	s_add_i32 s88, s88, -1
	s_add_i32 s89, s89, 8
	s_add_i32 s60, s60, s62
	v_fma_f32 v9, v9, v142, v15
	v_mul_f32_e32 v10, v10, v142
	s_add_i32 s58, s58, s56
	s_add_i32 s54, s54, s52
	;; [unrolled: 1-line block ×3, first 2 shown]
	v_cndmask_b32_e64 v9, v9, v15, s11
	v_cndmask_b32_e64 v10, v10, v142, s11
	s_cmp_eq_u32 s88, 0
	s_waitcnt lgkmcnt(0)
	s_delay_alu instid0(VALU_DEP_1) | instskip(NEXT) | instid1(VALU_DEP_1)
	v_fmac_f32_e32 v9, v8, v10
	v_fmac_f32_e32 v12, v9, v144
	s_delay_alu instid0(VALU_DEP_1) | instskip(NEXT) | instid1(VALU_DEP_1)
	v_fmac_f32_e32 v13, v12, v146
	v_fmac_f32_e32 v14, v13, v148
	v_fma_mix_f32 v121, v9, v4, v121 op_sel_hi:[0,1,0]
	s_delay_alu instid0(VALU_DEP_2) | instskip(SKIP_2) | instid1(VALU_DEP_3)
	v_fmac_f32_e32 v143, v14, v150
	v_fma_mix_f32 v120, v12, v4, v120 op_sel:[0,1,0] op_sel_hi:[0,1,0]
	v_fma_mix_f32 v118, v14, v5, v118 op_sel:[0,1,0] op_sel_hi:[0,1,0]
	v_fmac_f32_e32 v145, v143, v151
	v_fma_mix_f32 v117, v143, v6, v117 op_sel_hi:[0,1,0]
	s_delay_alu instid0(VALU_DEP_2) | instskip(SKIP_1) | instid1(VALU_DEP_2)
	v_fmac_f32_e32 v147, v145, v153
	v_fma_mix_f32 v115, v145, v6, v115 op_sel:[0,1,0] op_sel_hi:[0,1,0]
	v_fmac_f32_e32 v149, v147, v156
	s_delay_alu instid0(VALU_DEP_1) | instskip(SKIP_1) | instid1(VALU_DEP_2)
	v_fmac_f32_e32 v152, v149, v157
	v_fma_mix_f32 v119, v13, v5, v119 op_sel_hi:[0,1,0]
	v_fmac_f32_e32 v154, v152, v158
	v_fma_mix_f32 v114, v147, v7, v114 op_sel_hi:[0,1,0]
	v_fma_mix_f32 v112, v152, v0, v112 op_sel_hi:[0,1,0]
	s_delay_alu instid0(VALU_DEP_3) | instskip(SKIP_1) | instid1(VALU_DEP_2)
	v_fmac_f32_e32 v155, v154, v159
	v_fma_mix_f32 v110, v154, v0, v110 op_sel:[0,1,0] op_sel_hi:[0,1,0]
	v_fmac_f32_e32 v160, v155, v166
	v_fma_mix_f32 v109, v155, v1, v109 op_sel_hi:[0,1,0]
	s_delay_alu instid0(VALU_DEP_2) | instskip(NEXT) | instid1(VALU_DEP_1)
	v_fmac_f32_e32 v161, v160, v163
	v_fmac_f32_e32 v162, v161, v165
	v_fma_mix_f32 v113, v149, v7, v113 op_sel:[0,1,0] op_sel_hi:[0,1,0]
	s_delay_alu instid0(VALU_DEP_2) | instskip(SKIP_2) | instid1(VALU_DEP_3)
	v_fmac_f32_e32 v164, v162, v168
	v_fma_mix_f32 v107, v161, v2, v107 op_sel_hi:[0,1,0]
	v_fma_mix_f32 v106, v162, v2, v106 op_sel:[0,1,0] op_sel_hi:[0,1,0]
	v_fmac_f32_e32 v167, v164, v169
	v_fma_mix_f32 v108, v160, v1, v108 op_sel:[0,1,0] op_sel_hi:[0,1,0]
	v_fma_mix_f32 v105, v164, v3, v105 op_sel_hi:[0,1,0]
	s_delay_alu instid0(VALU_DEP_3)
	v_fma_mix_f32 v116, v167, v3, v116 op_sel:[0,1,0] op_sel_hi:[0,1,0]
	s_cbranch_scc1 .LBB95_204
.LBB95_109:                             ;   Parent Loop BB95_12 Depth=1
                                        ; =>  This Inner Loop Header: Depth=2
	s_lshl_b64 s[46:47], s[66:67], 2
	s_mov_b32 s55, s67
	s_add_u32 s46, s74, s46
	s_addc_u32 s47, s63, s47
	v_dual_mov_b32 v2, 0 :: v_dual_mov_b32 v3, 0
	global_load_b32 v142, v21, s[46:47]
	s_lshl_b64 s[46:47], s[54:55], 1
	s_delay_alu instid0(SALU_CYCLE_1)
	v_add_co_u32 v0, vcc_lo, v123, s46
	v_add_co_ci_u32_e32 v1, vcc_lo, s47, v124, vcc_lo
	s_and_saveexec_b32 s46, s13
	s_cbranch_execnz .LBB95_145
; %bb.110:                              ;   in Loop: Header=BB95_109 Depth=2
	s_or_b32 exec_lo, exec_lo, s46
	s_and_saveexec_b32 s46, s14
	s_cbranch_execnz .LBB95_146
.LBB95_111:                             ;   in Loop: Header=BB95_109 Depth=2
	s_or_b32 exec_lo, exec_lo, s46
	v_mov_b32_e32 v4, 0
	s_and_saveexec_b32 s46, s15
	s_cbranch_execnz .LBB95_147
.LBB95_112:                             ;   in Loop: Header=BB95_109 Depth=2
	s_or_b32 exec_lo, exec_lo, s46
	s_and_saveexec_b32 s46, s16
	s_cbranch_execnz .LBB95_148
.LBB95_113:                             ;   in Loop: Header=BB95_109 Depth=2
	s_or_b32 exec_lo, exec_lo, s46
	v_mov_b32_e32 v5, 0
	s_and_saveexec_b32 s46, s17
	s_cbranch_execnz .LBB95_149
.LBB95_114:                             ;   in Loop: Header=BB95_109 Depth=2
	s_or_b32 exec_lo, exec_lo, s46
	s_and_saveexec_b32 s46, s18
	s_cbranch_execnz .LBB95_150
.LBB95_115:                             ;   in Loop: Header=BB95_109 Depth=2
	s_or_b32 exec_lo, exec_lo, s46
	v_mov_b32_e32 v6, 0
	s_and_saveexec_b32 s46, s19
	s_cbranch_execnz .LBB95_151
.LBB95_116:                             ;   in Loop: Header=BB95_109 Depth=2
	s_or_b32 exec_lo, exec_lo, s46
	s_and_saveexec_b32 s46, s20
	s_cbranch_execnz .LBB95_152
.LBB95_117:                             ;   in Loop: Header=BB95_109 Depth=2
	s_or_b32 exec_lo, exec_lo, s46
	v_mov_b32_e32 v7, 0
	s_and_saveexec_b32 s46, s21
	s_cbranch_execnz .LBB95_153
.LBB95_118:                             ;   in Loop: Header=BB95_109 Depth=2
	s_or_b32 exec_lo, exec_lo, s46
	s_and_saveexec_b32 s46, s22
	s_cbranch_execnz .LBB95_154
.LBB95_119:                             ;   in Loop: Header=BB95_109 Depth=2
	s_or_b32 exec_lo, exec_lo, s46
	v_mov_b32_e32 v8, 0
	s_and_saveexec_b32 s46, s23
	s_cbranch_execnz .LBB95_155
.LBB95_120:                             ;   in Loop: Header=BB95_109 Depth=2
	s_or_b32 exec_lo, exec_lo, s46
	s_and_saveexec_b32 s46, s24
	s_cbranch_execnz .LBB95_156
.LBB95_121:                             ;   in Loop: Header=BB95_109 Depth=2
	s_or_b32 exec_lo, exec_lo, s46
	v_mov_b32_e32 v9, 0
	s_and_saveexec_b32 s46, s25
	s_cbranch_execnz .LBB95_157
.LBB95_122:                             ;   in Loop: Header=BB95_109 Depth=2
	s_or_b32 exec_lo, exec_lo, s46
	s_and_saveexec_b32 s46, s26
	s_cbranch_execnz .LBB95_158
.LBB95_123:                             ;   in Loop: Header=BB95_109 Depth=2
	s_or_b32 exec_lo, exec_lo, s46
	v_mov_b32_e32 v10, 0
	s_and_saveexec_b32 s46, s27
	s_cbranch_execnz .LBB95_159
.LBB95_124:                             ;   in Loop: Header=BB95_109 Depth=2
	s_or_b32 exec_lo, exec_lo, s46
	s_and_saveexec_b32 s46, s28
	s_cbranch_execz .LBB95_126
.LBB95_125:                             ;   in Loop: Header=BB95_109 Depth=2
	global_load_u16 v0, v[0:1], off offset:960
	s_waitcnt vmcnt(0)
	v_lshl_or_b32 v10, v0, 16, v10
.LBB95_126:                             ;   in Loop: Header=BB95_109 Depth=2
	s_or_b32 exec_lo, exec_lo, s46
	s_waitcnt vmcnt(0)
	ds_store_b16 v37, v3
	ds_store_b16 v37, v2 offset:64
	ds_store_b16 v38, v4 offset:128
	ds_store_b16_d16_hi v39, v4 offset:192
	ds_store_b16 v40, v5 offset:256
	ds_store_b16_d16_hi v41, v5 offset:320
	;; [unrolled: 2-line block ×7, first 2 shown]
	; wave barrier
	ds_load_b128 v[12:15], v52
	ds_load_b128 v[8:11], v52 offset:16
	s_mov_b32 s59, s67
	v_dual_mov_b32 v2, 0 :: v_dual_mov_b32 v3, 0
	s_lshl_b64 s[46:47], s[58:59], 1
	s_delay_alu instid0(SALU_CYCLE_1)
	v_add_co_u32 v0, vcc_lo, v125, s46
	v_add_co_ci_u32_e32 v1, vcc_lo, s47, v126, vcc_lo
	s_and_saveexec_b32 s46, s13
	s_cbranch_execnz .LBB95_160
; %bb.127:                              ;   in Loop: Header=BB95_109 Depth=2
	s_or_b32 exec_lo, exec_lo, s46
	s_and_saveexec_b32 s46, s14
	s_cbranch_execnz .LBB95_161
.LBB95_128:                             ;   in Loop: Header=BB95_109 Depth=2
	s_or_b32 exec_lo, exec_lo, s46
	v_mov_b32_e32 v4, 0
	s_and_saveexec_b32 s46, s15
	s_cbranch_execnz .LBB95_162
.LBB95_129:                             ;   in Loop: Header=BB95_109 Depth=2
	s_or_b32 exec_lo, exec_lo, s46
	s_and_saveexec_b32 s46, s16
	s_cbranch_execnz .LBB95_163
.LBB95_130:                             ;   in Loop: Header=BB95_109 Depth=2
	s_or_b32 exec_lo, exec_lo, s46
	v_mov_b32_e32 v5, 0
	s_and_saveexec_b32 s46, s17
	s_cbranch_execnz .LBB95_164
.LBB95_131:                             ;   in Loop: Header=BB95_109 Depth=2
	s_or_b32 exec_lo, exec_lo, s46
	s_and_saveexec_b32 s46, s18
	s_cbranch_execnz .LBB95_165
.LBB95_132:                             ;   in Loop: Header=BB95_109 Depth=2
	s_or_b32 exec_lo, exec_lo, s46
	v_mov_b32_e32 v6, 0
	s_and_saveexec_b32 s46, s19
	s_cbranch_execnz .LBB95_166
.LBB95_133:                             ;   in Loop: Header=BB95_109 Depth=2
	s_or_b32 exec_lo, exec_lo, s46
	s_and_saveexec_b32 s46, s20
	s_cbranch_execnz .LBB95_167
.LBB95_134:                             ;   in Loop: Header=BB95_109 Depth=2
	s_or_b32 exec_lo, exec_lo, s46
	v_mov_b32_e32 v7, 0
	s_and_saveexec_b32 s46, s21
	s_cbranch_execnz .LBB95_168
.LBB95_135:                             ;   in Loop: Header=BB95_109 Depth=2
	s_or_b32 exec_lo, exec_lo, s46
	s_and_saveexec_b32 s46, s22
	s_cbranch_execnz .LBB95_169
.LBB95_136:                             ;   in Loop: Header=BB95_109 Depth=2
	s_or_b32 exec_lo, exec_lo, s46
	v_mov_b32_e32 v16, 0
	s_and_saveexec_b32 s46, s23
	s_cbranch_execnz .LBB95_170
.LBB95_137:                             ;   in Loop: Header=BB95_109 Depth=2
	s_or_b32 exec_lo, exec_lo, s46
	s_and_saveexec_b32 s46, s24
	s_cbranch_execnz .LBB95_171
.LBB95_138:                             ;   in Loop: Header=BB95_109 Depth=2
	s_or_b32 exec_lo, exec_lo, s46
	v_mov_b32_e32 v17, 0
	s_and_saveexec_b32 s46, s25
	s_cbranch_execnz .LBB95_172
.LBB95_139:                             ;   in Loop: Header=BB95_109 Depth=2
	s_or_b32 exec_lo, exec_lo, s46
	s_and_saveexec_b32 s46, s26
	s_cbranch_execnz .LBB95_173
.LBB95_140:                             ;   in Loop: Header=BB95_109 Depth=2
	s_or_b32 exec_lo, exec_lo, s46
	v_mov_b32_e32 v143, 0
	s_and_saveexec_b32 s46, s27
	s_cbranch_execnz .LBB95_174
.LBB95_141:                             ;   in Loop: Header=BB95_109 Depth=2
	s_or_b32 exec_lo, exec_lo, s46
	s_and_saveexec_b32 s46, s28
	s_cbranch_execz .LBB95_143
.LBB95_142:                             ;   in Loop: Header=BB95_109 Depth=2
	global_load_u16 v0, v[0:1], off offset:960
	s_waitcnt vmcnt(0)
	v_lshl_or_b32 v143, v0, 16, v143
.LBB95_143:                             ;   in Loop: Header=BB95_109 Depth=2
	s_or_b32 exec_lo, exec_lo, s46
	s_waitcnt vmcnt(0)
	ds_store_b16 v37, v3 offset:4224
	ds_store_b16 v53, v2 offset:64
	;; [unrolled: 1-line block ×3, first 2 shown]
	ds_store_b16_d16_hi v55, v4 offset:192
	ds_store_b16 v56, v5 offset:256
	ds_store_b16_d16_hi v57, v5 offset:320
	ds_store_b16 v58, v6 offset:384
	;; [unrolled: 2-line block ×6, first 2 shown]
	ds_store_b16_d16_hi v67, v143 offset:960
	; wave barrier
	ds_load_b128 v[4:7], v52 offset:4224
	ds_load_b128 v[0:3], v68 offset:16
	s_and_not1_b32 vcc_lo, exec_lo, s51
	s_cbranch_vccnz .LBB95_175
; %bb.144:                              ;   in Loop: Header=BB95_109 Depth=2
	v_mov_b32_e32 v16, s89
	ds_load_b64 v[16:17], v16
	s_cbranch_execz .LBB95_176
	s_branch .LBB95_179
.LBB95_145:                             ;   in Loop: Header=BB95_109 Depth=2
	global_load_u16 v3, v[0:1], off
	s_or_b32 exec_lo, exec_lo, s46
	s_and_saveexec_b32 s46, s14
	s_cbranch_execz .LBB95_111
.LBB95_146:                             ;   in Loop: Header=BB95_109 Depth=2
	global_load_u16 v2, v[0:1], off offset:64
	s_or_b32 exec_lo, exec_lo, s46
	v_mov_b32_e32 v4, 0
	s_and_saveexec_b32 s46, s15
	s_cbranch_execz .LBB95_112
.LBB95_147:                             ;   in Loop: Header=BB95_109 Depth=2
	global_load_u16 v4, v[0:1], off offset:128
	s_or_b32 exec_lo, exec_lo, s46
	s_and_saveexec_b32 s46, s16
	s_cbranch_execz .LBB95_113
.LBB95_148:                             ;   in Loop: Header=BB95_109 Depth=2
	global_load_u16 v5, v[0:1], off offset:192
	s_waitcnt vmcnt(0)
	v_lshl_or_b32 v4, v5, 16, v4
	s_or_b32 exec_lo, exec_lo, s46
	v_mov_b32_e32 v5, 0
	s_and_saveexec_b32 s46, s17
	s_cbranch_execz .LBB95_114
.LBB95_149:                             ;   in Loop: Header=BB95_109 Depth=2
	global_load_u16 v5, v[0:1], off offset:256
	s_or_b32 exec_lo, exec_lo, s46
	s_and_saveexec_b32 s46, s18
	s_cbranch_execz .LBB95_115
.LBB95_150:                             ;   in Loop: Header=BB95_109 Depth=2
	global_load_u16 v6, v[0:1], off offset:320
	s_waitcnt vmcnt(0)
	v_lshl_or_b32 v5, v6, 16, v5
	s_or_b32 exec_lo, exec_lo, s46
	v_mov_b32_e32 v6, 0
	s_and_saveexec_b32 s46, s19
	s_cbranch_execz .LBB95_116
.LBB95_151:                             ;   in Loop: Header=BB95_109 Depth=2
	global_load_u16 v6, v[0:1], off offset:384
	s_or_b32 exec_lo, exec_lo, s46
	s_and_saveexec_b32 s46, s20
	s_cbranch_execz .LBB95_117
.LBB95_152:                             ;   in Loop: Header=BB95_109 Depth=2
	global_load_u16 v7, v[0:1], off offset:448
	s_waitcnt vmcnt(0)
	v_lshl_or_b32 v6, v7, 16, v6
	s_or_b32 exec_lo, exec_lo, s46
	v_mov_b32_e32 v7, 0
	s_and_saveexec_b32 s46, s21
	s_cbranch_execz .LBB95_118
.LBB95_153:                             ;   in Loop: Header=BB95_109 Depth=2
	global_load_u16 v7, v[0:1], off offset:512
	s_or_b32 exec_lo, exec_lo, s46
	s_and_saveexec_b32 s46, s22
	s_cbranch_execz .LBB95_119
.LBB95_154:                             ;   in Loop: Header=BB95_109 Depth=2
	global_load_u16 v8, v[0:1], off offset:576
	s_waitcnt vmcnt(0)
	v_lshl_or_b32 v7, v8, 16, v7
	s_or_b32 exec_lo, exec_lo, s46
	v_mov_b32_e32 v8, 0
	s_and_saveexec_b32 s46, s23
	s_cbranch_execz .LBB95_120
.LBB95_155:                             ;   in Loop: Header=BB95_109 Depth=2
	global_load_u16 v8, v[0:1], off offset:640
	s_or_b32 exec_lo, exec_lo, s46
	s_and_saveexec_b32 s46, s24
	s_cbranch_execz .LBB95_121
.LBB95_156:                             ;   in Loop: Header=BB95_109 Depth=2
	global_load_u16 v9, v[0:1], off offset:704
	s_waitcnt vmcnt(0)
	v_lshl_or_b32 v8, v9, 16, v8
	s_or_b32 exec_lo, exec_lo, s46
	v_mov_b32_e32 v9, 0
	s_and_saveexec_b32 s46, s25
	s_cbranch_execz .LBB95_122
.LBB95_157:                             ;   in Loop: Header=BB95_109 Depth=2
	global_load_u16 v9, v[0:1], off offset:768
	s_or_b32 exec_lo, exec_lo, s46
	s_and_saveexec_b32 s46, s26
	s_cbranch_execz .LBB95_123
.LBB95_158:                             ;   in Loop: Header=BB95_109 Depth=2
	global_load_u16 v10, v[0:1], off offset:832
	s_waitcnt vmcnt(0)
	v_lshl_or_b32 v9, v10, 16, v9
	s_or_b32 exec_lo, exec_lo, s46
	v_mov_b32_e32 v10, 0
	s_and_saveexec_b32 s46, s27
	s_cbranch_execz .LBB95_124
.LBB95_159:                             ;   in Loop: Header=BB95_109 Depth=2
	global_load_u16 v10, v[0:1], off offset:896
	s_or_b32 exec_lo, exec_lo, s46
	s_and_saveexec_b32 s46, s28
	s_cbranch_execnz .LBB95_125
	s_branch .LBB95_126
.LBB95_160:                             ;   in Loop: Header=BB95_109 Depth=2
	global_load_u16 v3, v[0:1], off
	s_or_b32 exec_lo, exec_lo, s46
	s_and_saveexec_b32 s46, s14
	s_cbranch_execz .LBB95_128
.LBB95_161:                             ;   in Loop: Header=BB95_109 Depth=2
	global_load_u16 v2, v[0:1], off offset:64
	s_or_b32 exec_lo, exec_lo, s46
	v_mov_b32_e32 v4, 0
	s_and_saveexec_b32 s46, s15
	s_cbranch_execz .LBB95_129
.LBB95_162:                             ;   in Loop: Header=BB95_109 Depth=2
	global_load_u16 v4, v[0:1], off offset:128
	s_or_b32 exec_lo, exec_lo, s46
	s_and_saveexec_b32 s46, s16
	s_cbranch_execz .LBB95_130
.LBB95_163:                             ;   in Loop: Header=BB95_109 Depth=2
	global_load_u16 v5, v[0:1], off offset:192
	s_waitcnt vmcnt(0)
	v_lshl_or_b32 v4, v5, 16, v4
	s_or_b32 exec_lo, exec_lo, s46
	v_mov_b32_e32 v5, 0
	s_and_saveexec_b32 s46, s17
	s_cbranch_execz .LBB95_131
.LBB95_164:                             ;   in Loop: Header=BB95_109 Depth=2
	global_load_u16 v5, v[0:1], off offset:256
	s_or_b32 exec_lo, exec_lo, s46
	s_and_saveexec_b32 s46, s18
	s_cbranch_execz .LBB95_132
.LBB95_165:                             ;   in Loop: Header=BB95_109 Depth=2
	global_load_u16 v6, v[0:1], off offset:320
	s_waitcnt vmcnt(0)
	v_lshl_or_b32 v5, v6, 16, v5
	s_or_b32 exec_lo, exec_lo, s46
	v_mov_b32_e32 v6, 0
	s_and_saveexec_b32 s46, s19
	s_cbranch_execz .LBB95_133
.LBB95_166:                             ;   in Loop: Header=BB95_109 Depth=2
	global_load_u16 v6, v[0:1], off offset:384
	s_or_b32 exec_lo, exec_lo, s46
	s_and_saveexec_b32 s46, s20
	s_cbranch_execz .LBB95_134
.LBB95_167:                             ;   in Loop: Header=BB95_109 Depth=2
	global_load_u16 v7, v[0:1], off offset:448
	s_waitcnt vmcnt(0)
	v_lshl_or_b32 v6, v7, 16, v6
	s_or_b32 exec_lo, exec_lo, s46
	v_mov_b32_e32 v7, 0
	s_and_saveexec_b32 s46, s21
	s_cbranch_execz .LBB95_135
.LBB95_168:                             ;   in Loop: Header=BB95_109 Depth=2
	global_load_u16 v7, v[0:1], off offset:512
	s_or_b32 exec_lo, exec_lo, s46
	s_and_saveexec_b32 s46, s22
	s_cbranch_execz .LBB95_136
.LBB95_169:                             ;   in Loop: Header=BB95_109 Depth=2
	global_load_u16 v16, v[0:1], off offset:576
	s_waitcnt vmcnt(0)
	v_lshl_or_b32 v7, v16, 16, v7
	s_or_b32 exec_lo, exec_lo, s46
	v_mov_b32_e32 v16, 0
	s_and_saveexec_b32 s46, s23
	s_cbranch_execz .LBB95_137
.LBB95_170:                             ;   in Loop: Header=BB95_109 Depth=2
	global_load_u16 v16, v[0:1], off offset:640
	s_or_b32 exec_lo, exec_lo, s46
	s_and_saveexec_b32 s46, s24
	s_cbranch_execz .LBB95_138
.LBB95_171:                             ;   in Loop: Header=BB95_109 Depth=2
	global_load_u16 v17, v[0:1], off offset:704
	s_waitcnt vmcnt(0)
	v_lshl_or_b32 v16, v17, 16, v16
	s_or_b32 exec_lo, exec_lo, s46
	v_mov_b32_e32 v17, 0
	s_and_saveexec_b32 s46, s25
	s_cbranch_execz .LBB95_139
.LBB95_172:                             ;   in Loop: Header=BB95_109 Depth=2
	global_load_u16 v17, v[0:1], off offset:768
	s_or_b32 exec_lo, exec_lo, s46
	s_and_saveexec_b32 s46, s26
	s_cbranch_execz .LBB95_140
.LBB95_173:                             ;   in Loop: Header=BB95_109 Depth=2
	global_load_u16 v143, v[0:1], off offset:832
	s_waitcnt vmcnt(0)
	v_lshl_or_b32 v17, v143, 16, v17
	s_or_b32 exec_lo, exec_lo, s46
	v_mov_b32_e32 v143, 0
	s_and_saveexec_b32 s46, s27
	s_cbranch_execz .LBB95_141
.LBB95_174:                             ;   in Loop: Header=BB95_109 Depth=2
	global_load_u16 v143, v[0:1], off offset:896
	s_or_b32 exec_lo, exec_lo, s46
	s_and_saveexec_b32 s46, s28
	s_cbranch_execnz .LBB95_142
	s_branch .LBB95_143
.LBB95_175:                             ;   in Loop: Header=BB95_109 Depth=2
                                        ; implicit-def: $vgpr16
.LBB95_176:                             ;   in Loop: Header=BB95_109 Depth=2
	s_waitcnt lgkmcnt(0)
	v_mov_b32_e32 v17, 0
	s_and_not1_b32 vcc_lo, exec_lo, s68
	s_cbranch_vccnz .LBB95_178
; %bb.177:                              ;   in Loop: Header=BB95_109 Depth=2
	s_mov_b32 s61, s67
	s_delay_alu instid0(SALU_CYCLE_1) | instskip(NEXT) | instid1(SALU_CYCLE_1)
	s_lshl_b64 s[46:47], s[60:61], 1
	s_add_u32 s46, s77, s46
	s_addc_u32 s47, s78, s47
	global_load_u16 v16, v21, s[46:47]
	s_waitcnt vmcnt(0)
	v_cvt_f32_f16_e32 v17, v16
.LBB95_178:                             ;   in Loop: Header=BB95_109 Depth=2
	v_mov_b32_e32 v16, 1.0
.LBB95_179:                             ;   in Loop: Header=BB95_109 Depth=2
	v_mul_f32_e32 v164, 0x3fb8aa3b, v142
	s_waitcnt lgkmcnt(19)
	v_lshrrev_b32_e32 v144, 16, v13
	v_lshrrev_b32_e32 v145, 16, v14
	v_cvt_f32_f16_e32 v13, v13
	v_cvt_f32_f16_e64 v152, v14
	v_mul_f32_e32 v14, v164, v90
	v_lshrrev_b32_e32 v143, 16, v12
	v_lshrrev_b32_e32 v146, 16, v15
	v_mul_f32_e32 v13, v139, v13
	v_cvt_f32_f16_e32 v12, v12
	v_cmp_gt_f32_e32 vcc_lo, 0xc2fc0000, v14
	v_cvt_f32_f16_e64 v153, v15
	v_mul_f32_e32 v15, v164, v91
	v_cvt_f32_f16_e64 v151, v144
	v_mul_f32_e32 v12, v141, v12
	v_cndmask_b32_e64 v14, 0, 0x42800000, vcc_lo
	v_mul_f32_e32 v142, v164, v92
	v_cmp_gt_f32_e64 s46, 0xc2fc0000, v15
	v_cndmask_b32_e64 v144, 1.0, 0x1f800000, vcc_lo
	s_waitcnt lgkmcnt(18)
	v_lshrrev_b32_e32 v147, 16, v8
	v_fmac_f32_e32 v14, v164, v90
	v_cvt_f32_f16_e64 v143, v143
	v_cndmask_b32_e64 v15, 0, 0x42800000, s46
	v_cvt_f32_f16_e64 v154, v146
	v_cmp_gt_f32_e32 vcc_lo, 0xc2fc0000, v142
	v_exp_f32_e32 v14, v14
	v_mul_f32_e32 v142, v164, v93
	v_fmac_f32_e32 v15, v164, v91
	v_cvt_f32_f16_e64 v155, v147
	v_cndmask_b32_e64 v147, 0, 0x42800000, vcc_lo
	v_lshrrev_b32_e32 v148, 16, v9
	v_lshrrev_b32_e32 v149, 16, v10
	;; [unrolled: 1-line block ×3, first 2 shown]
	v_cvt_f32_f16_e32 v9, v9
	v_cvt_f32_f16_e32 v8, v8
	v_mul_f32_e32 v14, v14, v144
	v_exp_f32_e32 v146, v15
	v_cndmask_b32_e64 v15, 0, v12, s29
	v_cndmask_b32_e64 v12, 1.0, 0x1f800000, s46
	v_cmp_gt_f32_e64 s46, 0xc2fc0000, v142
	v_cndmask_b32_e64 v142, 1.0, v14, s29
	v_mul_f32_e32 v14, v140, v143
	v_cvt_f32_f16_e64 v160, v148
	v_cvt_f32_f16_e64 v162, v149
	v_cndmask_b32_e64 v144, 0, 0x42800000, s46
	v_cvt_f32_f16_e64 v167, v150
	v_mul_f32_e32 v143, v146, v12
	v_cndmask_b32_e64 v12, 0, v14, s30
	v_cndmask_b32_e64 v14, 1.0, 0x1f800000, vcc_lo
	v_fmac_f32_e32 v147, v164, v92
	v_fmac_f32_e32 v144, v164, v93
	v_dual_mul_f32 v149, v164, v95 :: v_dual_mul_f32 v154, v134, v154
	v_dual_mul_f32 v150, v164, v96 :: v_dual_mul_f32 v9, v131, v9
	s_delay_alu instid0(VALU_DEP_4)
	v_exp_f32_e32 v146, v147
	v_mul_f32_e32 v147, v164, v94
	v_exp_f32_e32 v148, v144
	v_cndmask_b32_e64 v144, 1.0, v143, s30
	v_cndmask_b32_e64 v143, 1.0, 0x1f800000, s46
	v_cmp_gt_f32_e64 s46, 0xc2fc0000, v149
	v_cvt_f32_f16_e32 v10, v10
	v_cvt_f32_f16_e32 v11, v11
	v_mul_f32_e32 v165, v164, v102
	s_delay_alu instid0(TRANS32_DEP_2) | instskip(SKIP_1) | instid1(TRANS32_DEP_1)
	v_dual_mul_f32 v155, v132, v155 :: v_dual_mul_f32 v14, v146, v14
	v_cndmask_b32_e64 v149, 0, 0x42800000, s46
	v_dual_mul_f32 v143, v148, v143 :: v_dual_mul_f32 v10, v129, v10
	v_cndmask_b32_e64 v13, 0, v13, s31
	s_delay_alu instid0(VALU_DEP_4)
	v_cndmask_b32_e64 v146, 1.0, v14, s31
	v_mul_f32_e32 v14, v138, v151
	v_cmp_gt_f32_e32 vcc_lo, 0xc2fc0000, v147
	v_cndmask_b32_e64 v148, 1.0, v143, s33
	v_dual_fmac_f32 v149, v164, v95 :: v_dual_mul_f32 v8, v133, v8
	v_mul_f32_e32 v151, v164, v97
	v_cndmask_b32_e64 v147, 0, 0x42800000, vcc_lo
	v_cndmask_b32_e64 v143, 1.0, 0x1f800000, vcc_lo
	v_cmp_gt_f32_e32 vcc_lo, 0xc2fc0000, v150
	v_exp_f32_e32 v149, v149
	v_cmp_gt_f32_e64 s47, 0xc2fc0000, v151
	v_fmac_f32_e32 v147, v164, v94
	v_mul_f32_e32 v158, v164, v99
	v_cndmask_b32_e64 v150, 0, 0x42800000, vcc_lo
	v_cvt_f32_f16_e64 v145, v145
	v_cndmask_b32_e64 v151, 0, 0x42800000, s47
	v_exp_f32_e32 v147, v147
	v_cndmask_b32_e64 v14, 0, v14, s33
	v_dual_fmac_f32 v150, v164, v96 :: v_dual_mul_f32 v11, v127, v11
	s_delay_alu instid0(VALU_DEP_3) | instskip(SKIP_2) | instid1(VALU_DEP_4)
	v_fmac_f32_e32 v151, v164, v97
	v_mul_f32_e32 v166, v164, v103
	v_mul_f32_e32 v162, v128, v162
	v_exp_f32_e32 v156, v150
	s_delay_alu instid0(TRANS32_DEP_2)
	v_mul_f32_e32 v147, v147, v143
	v_mul_f32_e32 v143, v137, v152
	v_cndmask_b32_e64 v152, 1.0, 0x1f800000, s46
	v_cmp_gt_f32_e64 s46, 0xc2fc0000, v158
	v_mul_f32_e32 v158, v164, v101
	v_cndmask_b32_e64 v150, 1.0, v147, s34
	v_cndmask_b32_e64 v143, 0, v143, s34
	v_mul_f32_e32 v147, v149, v152
	v_cndmask_b32_e64 v149, 1.0, 0x1f800000, vcc_lo
	v_exp_f32_e32 v152, v151
	v_cndmask_b32_e64 v162, 0, v162, s43
	s_delay_alu instid0(VALU_DEP_3) | instskip(NEXT) | instid1(VALU_DEP_3)
	v_cndmask_b32_e64 v151, 1.0, v147, s35
	v_mul_f32_e32 v149, v156, v149
	v_mul_f32_e32 v147, v135, v153
	v_cndmask_b32_e64 v156, 1.0, 0x1f800000, s47
	s_delay_alu instid0(VALU_DEP_3)
	v_cndmask_b32_e64 v153, 1.0, v149, s36
	v_mul_f32_e32 v157, v164, v98
	v_cndmask_b32_e64 v149, 0, v154, s37
	v_mul_f32_e32 v154, v164, v100
	v_mul_f32_e32 v152, v152, v156
	v_cndmask_b32_e64 v147, 0, v147, s36
	v_cmp_gt_f32_e32 vcc_lo, 0xc2fc0000, v157
	s_delay_alu instid0(VALU_DEP_4) | instskip(NEXT) | instid1(VALU_DEP_4)
	v_cmp_gt_f32_e64 s47, 0xc2fc0000, v154
	v_cndmask_b32_e64 v156, 1.0, v152, s37
	v_cndmask_b32_e64 v157, 0, 0x42800000, vcc_lo
	v_cndmask_b32_e64 v159, 1.0, 0x1f800000, vcc_lo
	s_delay_alu instid0(VALU_DEP_4) | instskip(SKIP_1) | instid1(VALU_DEP_4)
	v_cndmask_b32_e64 v154, 0, 0x42800000, s47
	v_cmp_gt_f32_e32 vcc_lo, 0xc2fc0000, v158
	v_fmac_f32_e32 v157, v164, v98
	s_delay_alu instid0(VALU_DEP_3) | instskip(SKIP_1) | instid1(VALU_DEP_3)
	v_fmac_f32_e32 v154, v164, v100
	v_cndmask_b32_e64 v158, 0, 0x42800000, vcc_lo
	v_exp_f32_e32 v152, v157
	v_cndmask_b32_e64 v157, 0, 0x42800000, s46
	s_delay_alu instid0(VALU_DEP_2) | instskip(NEXT) | instid1(VALU_DEP_2)
	v_fmac_f32_e32 v158, v164, v101
	v_fmac_f32_e32 v157, v164, v99
	s_delay_alu instid0(VALU_DEP_2) | instskip(NEXT) | instid1(VALU_DEP_1)
	v_exp_f32_e32 v163, v158
	v_exp_f32_e32 v161, v157
	s_delay_alu instid0(TRANS32_DEP_3)
	v_mul_f32_e32 v157, v152, v159
	v_cndmask_b32_e64 v152, 0, v8, s38
	v_exp_f32_e32 v8, v154
	v_cndmask_b32_e64 v154, 1.0, 0x1f800000, s46
	v_cndmask_b32_e64 v159, 1.0, 0x1f800000, s47
	v_cmp_gt_f32_e64 s46, 0xc2fc0000, v166
	v_cndmask_b32_e64 v157, 1.0, v157, s38
	s_delay_alu instid0(TRANS32_DEP_2) | instid1(VALU_DEP_4)
	v_mul_f32_e32 v158, v161, v154
	v_cndmask_b32_e64 v161, 1.0, 0x1f800000, vcc_lo
	v_cmp_gt_f32_e32 vcc_lo, 0xc2fc0000, v165
	s_delay_alu instid0(TRANS32_DEP_1)
	v_mul_f32_e32 v8, v8, v159
	v_cndmask_b32_e64 v154, 0, v155, s39
	v_cndmask_b32_e64 v155, 0, v9, s40
	v_mul_f32_e32 v9, v130, v160
	v_fma_f32 v165, v144, v15, v12
	v_cndmask_b32_e64 v159, 1.0, v8, s40
	v_mul_f32_e32 v8, v163, v161
	v_cndmask_b32_e64 v161, 0, 0x42800000, vcc_lo
	v_mul_f32_e32 v163, v144, v142
	v_cndmask_b32_e64 v160, 0, v9, s41
	v_cndmask_b32_e64 v158, 1.0, v158, s39
	v_cndmask_b32_e64 v166, 1.0, v8, s41
	v_fmac_f32_e32 v161, v164, v102
	v_mul_f32_e32 v9, v163, v146
	v_fma_f32 v163, v165, v146, v13
	v_cndmask_b32_e64 v8, 1.0, 0x1f800000, vcc_lo
	v_cndmask_b32_e64 v165, 0, 0x42800000, s46
	v_exp_f32_e32 v161, v161
	v_mul_f32_e32 v145, v136, v145
	v_mul_f32_e32 v9, v9, v148
	v_fma_f32 v163, v163, v148, v14
	v_fmac_f32_e32 v165, v164, v103
	s_delay_alu instid0(VALU_DEP_3) | instskip(NEXT) | instid1(VALU_DEP_3)
	v_mul_f32_e32 v9, v9, v150
	v_fma_f32 v163, v163, v150, v143
	s_delay_alu instid0(VALU_DEP_3) | instskip(NEXT) | instid1(TRANS32_DEP_2)
	v_exp_f32_e32 v165, v165
	v_mul_f32_e32 v8, v161, v8
	v_cndmask_b32_e64 v145, 0, v145, s35
	v_mul_f32_e32 v9, v9, v151
	v_cndmask_b32_e64 v161, 0, v10, s42
	v_cndmask_b32_e64 v10, 1.0, 0x1f800000, s46
	s_delay_alu instid0(VALU_DEP_4)
	v_fma_f32 v168, v163, v151, v145
	v_cndmask_b32_e64 v163, 1.0, v8, s42
	v_mul_f32_e32 v8, v9, v153
	s_delay_alu instid0(TRANS32_DEP_1) | instid1(VALU_DEP_4)
	v_mul_f32_e32 v10, v165, v10
	s_delay_alu instid0(VALU_DEP_4) | instskip(SKIP_1) | instid1(VALU_DEP_4)
	v_fma_f32 v9, v168, v153, v147
	v_mul_f32_e32 v168, v164, v104
	v_mul_f32_e32 v8, v8, v156
	s_delay_alu instid0(VALU_DEP_3) | instskip(NEXT) | instid1(VALU_DEP_3)
	v_fma_f32 v9, v9, v156, v149
	v_cmp_gt_f32_e32 vcc_lo, 0xc2fc0000, v168
	v_mul_f32_e32 v168, v164, v111
	s_delay_alu instid0(VALU_DEP_4) | instskip(NEXT) | instid1(VALU_DEP_4)
	v_mul_f32_e32 v8, v8, v157
	v_fma_f32 v9, v9, v157, v152
	v_cndmask_b32_e64 v165, 0, 0x42800000, vcc_lo
	s_delay_alu instid0(VALU_DEP_4) | instskip(NEXT) | instid1(VALU_DEP_4)
	v_cmp_gt_f32_e64 s46, 0xc2fc0000, v168
	v_mul_f32_e32 v8, v8, v158
	s_delay_alu instid0(VALU_DEP_4) | instskip(NEXT) | instid1(VALU_DEP_4)
	v_fma_f32 v9, v9, v158, v154
	v_fmac_f32_e32 v165, v164, v104
	s_delay_alu instid0(VALU_DEP_4) | instskip(NEXT) | instid1(VALU_DEP_4)
	v_cndmask_b32_e64 v168, 0, 0x42800000, s46
	v_mul_f32_e32 v8, v8, v159
	s_delay_alu instid0(VALU_DEP_4) | instskip(NEXT) | instid1(VALU_DEP_4)
	v_fma_f32 v9, v9, v159, v155
	v_exp_f32_e32 v169, v165
	s_delay_alu instid0(VALU_DEP_3)
	v_fmac_f32_e32 v168, v164, v111
	v_cndmask_b32_e64 v165, 1.0, v10, s43
	v_cndmask_b32_e64 v10, 1.0, 0x1f800000, vcc_lo
	v_mul_f32_e32 v8, v8, v166
	v_fma_f32 v9, v9, v166, v160
	v_exp_f32_e32 v170, v168
	v_cndmask_b32_e64 v164, 0, v11, s44
	v_cndmask_b32_e64 v11, 1.0, 0x1f800000, s46
	v_mul_f32_e32 v8, v8, v163
	v_mul_f32_e32 v10, v169, v10
	v_fma_f32 v9, v9, v163, v161
	s_delay_alu instid0(VALU_DEP_3) | instskip(NEXT) | instid1(VALU_DEP_3)
	v_mul_f32_e32 v8, v8, v165
	v_cndmask_b32_e64 v168, 1.0, v10, s44
	v_mul_f32_e32 v10, v122, v167
	s_delay_alu instid0(TRANS32_DEP_1) | instskip(SKIP_1) | instid1(VALU_DEP_4)
	v_mul_f32_e32 v11, v170, v11
	v_fma_f32 v9, v9, v165, v162
	v_mul_f32_e32 v8, v8, v168
	s_delay_alu instid0(VALU_DEP_4) | instskip(NEXT) | instid1(VALU_DEP_4)
	v_cndmask_b32_e64 v167, 0, v10, s45
	v_cndmask_b32_e64 v169, 1.0, v11, s45
	s_delay_alu instid0(VALU_DEP_4) | instskip(NEXT) | instid1(VALU_DEP_2)
	v_fma_f32 v9, v9, v168, v164
	v_mul_f32_e32 v8, v8, v169
	s_delay_alu instid0(VALU_DEP_2) | instskip(NEXT) | instid1(VALU_DEP_2)
	v_fma_f32 v9, v9, v169, v167
	v_mov_b32_dpp v11, v8 row_shr:1 row_mask:0xf bank_mask:0xf
	s_delay_alu instid0(VALU_DEP_2)
	v_mov_b32_dpp v10, v9 row_shr:1 row_mask:0xf bank_mask:0xf
	s_and_saveexec_b32 s46, s0
; %bb.180:                              ;   in Loop: Header=BB95_109 Depth=2
	s_delay_alu instid0(VALU_DEP_2) | instskip(NEXT) | instid1(VALU_DEP_1)
	v_mul_f32_e32 v11, v8, v11
	v_dual_fmac_f32 v9, v8, v10 :: v_dual_mov_b32 v8, v11
; %bb.181:                              ;   in Loop: Header=BB95_109 Depth=2
	s_or_b32 exec_lo, exec_lo, s46
	s_delay_alu instid0(VALU_DEP_1) | instskip(NEXT) | instid1(VALU_DEP_2)
	v_mov_b32_dpp v10, v8 row_shr:2 row_mask:0xf bank_mask:0xf
	v_mov_b32_dpp v11, v9 row_shr:2 row_mask:0xf bank_mask:0xf
	s_and_saveexec_b32 s46, s1
; %bb.182:                              ;   in Loop: Header=BB95_109 Depth=2
	s_delay_alu instid0(VALU_DEP_1) | instskip(NEXT) | instid1(VALU_DEP_3)
	v_fmac_f32_e32 v9, v8, v11
	v_mul_f32_e32 v8, v8, v10
; %bb.183:                              ;   in Loop: Header=BB95_109 Depth=2
	s_or_b32 exec_lo, exec_lo, s46
	s_delay_alu instid0(VALU_DEP_1) | instskip(NEXT) | instid1(VALU_DEP_3)
	v_mov_b32_dpp v10, v8 row_shr:4 row_mask:0xf bank_mask:0xf
	v_mov_b32_dpp v11, v9 row_shr:4 row_mask:0xf bank_mask:0xf
	s_and_saveexec_b32 s46, s2
; %bb.184:                              ;   in Loop: Header=BB95_109 Depth=2
	s_delay_alu instid0(VALU_DEP_1) | instskip(NEXT) | instid1(VALU_DEP_3)
	v_fmac_f32_e32 v9, v8, v11
	v_mul_f32_e32 v8, v8, v10
; %bb.185:                              ;   in Loop: Header=BB95_109 Depth=2
	s_or_b32 exec_lo, exec_lo, s46
	s_delay_alu instid0(VALU_DEP_1) | instskip(NEXT) | instid1(VALU_DEP_3)
	v_mov_b32_dpp v10, v8 row_shr:8 row_mask:0xf bank_mask:0xf
	v_mov_b32_dpp v11, v9 row_shr:8 row_mask:0xf bank_mask:0xf
	s_and_saveexec_b32 s46, s3
; %bb.186:                              ;   in Loop: Header=BB95_109 Depth=2
	s_delay_alu instid0(VALU_DEP_1) | instskip(NEXT) | instid1(VALU_DEP_3)
	v_fmac_f32_e32 v9, v8, v11
	v_mul_f32_e32 v8, v8, v10
; %bb.187:                              ;   in Loop: Header=BB95_109 Depth=2
	s_or_b32 exec_lo, exec_lo, s46
	ds_swizzle_b32 v11, v8 offset:swizzle(BROADCAST,32,15)
	ds_swizzle_b32 v10, v9 offset:swizzle(BROADCAST,32,15)
	s_and_saveexec_b32 s46, s4
	s_cbranch_execz .LBB95_189
; %bb.188:                              ;   in Loop: Header=BB95_109 Depth=2
	s_waitcnt lgkmcnt(1)
	v_mul_f32_e32 v11, v8, v11
	s_waitcnt lgkmcnt(0)
	s_delay_alu instid0(VALU_DEP_1)
	v_dual_fmac_f32 v9, v8, v10 :: v_dual_mov_b32 v8, v11
.LBB95_189:                             ;   in Loop: Header=BB95_109 Depth=2
	s_or_b32 exec_lo, exec_lo, s46
	s_and_saveexec_b32 s46, s5
	s_cbranch_execz .LBB95_191
; %bb.190:                              ;   in Loop: Header=BB95_109 Depth=2
	ds_store_b64 v69, v[8:9] offset:8448
.LBB95_191:                             ;   in Loop: Header=BB95_109 Depth=2
	s_or_b32 exec_lo, exec_lo, s46
	s_waitcnt lgkmcnt(0)
	s_waitcnt_vscnt null, 0x0
	s_barrier
	buffer_gl0_inv
	s_and_saveexec_b32 s46, s6
	s_cbranch_execz .LBB95_195
; %bb.192:                              ;   in Loop: Header=BB95_109 Depth=2
	ds_load_b64 v[10:11], v70 offset:8448
	s_waitcnt lgkmcnt(0)
	v_mov_b32_dpp v172, v10 row_shr:1 row_mask:0xf bank_mask:0xf
	v_mov_b32_dpp v171, v11 row_shr:1 row_mask:0xf bank_mask:0xf
	v_mov_b32_e32 v170, v10
	s_and_saveexec_b32 s47, s7
; %bb.193:                              ;   in Loop: Header=BB95_109 Depth=2
	s_delay_alu instid0(VALU_DEP_3) | instskip(NEXT) | instid1(VALU_DEP_3)
	v_mul_f32_e32 v170, v10, v172
	v_fmac_f32_e32 v11, v10, v171
	s_delay_alu instid0(VALU_DEP_2)
	v_mov_b32_e32 v10, v170
; %bb.194:                              ;   in Loop: Header=BB95_109 Depth=2
	s_or_b32 exec_lo, exec_lo, s47
	v_mov_b32_dpp v170, v170 row_shr:2 row_mask:0xf bank_mask:0xf
	s_delay_alu instid0(VALU_DEP_3) | instskip(NEXT) | instid1(VALU_DEP_2)
	v_mov_b32_dpp v171, v11 row_shr:2 row_mask:0xf bank_mask:0xf
	v_mul_f32_e32 v170, v10, v170
	s_delay_alu instid0(VALU_DEP_2) | instskip(NEXT) | instid1(VALU_DEP_2)
	v_fma_f32 v171, v10, v171, v11
	v_cndmask_b32_e64 v10, v10, v170, s8
	s_delay_alu instid0(VALU_DEP_2)
	v_cndmask_b32_e64 v11, v11, v171, s8
	ds_store_b64 v70, v[10:11] offset:8448
.LBB95_195:                             ;   in Loop: Header=BB95_109 Depth=2
	s_or_b32 exec_lo, exec_lo, s46
	s_waitcnt lgkmcnt(0)
	s_barrier
	buffer_gl0_inv
                                        ; implicit-def: $vgpr11
	s_and_saveexec_b32 s46, s10
	s_cbranch_execz .LBB95_197
; %bb.196:                              ;   in Loop: Header=BB95_109 Depth=2
	ds_load_b64 v[10:11], v69 offset:8440
	s_waitcnt lgkmcnt(0)
	v_mul_f32_e32 v170, v8, v10
	s_delay_alu instid0(VALU_DEP_1)
	v_dual_fmac_f32 v9, v8, v11 :: v_dual_mov_b32 v8, v170
.LBB95_197:                             ;   in Loop: Header=BB95_109 Depth=2
	s_or_b32 exec_lo, exec_lo, s46
	ds_bpermute_b32 v170, v71, v8
	ds_bpermute_b32 v171, v71, v9
	s_and_saveexec_b32 s46, s9
	s_cbranch_execz .LBB95_201
; %bb.198:                              ;   in Loop: Header=BB95_109 Depth=2
	ds_load_b64 v[8:9], v21 offset:8472
	s_and_saveexec_b32 s47, s11
	s_cbranch_execz .LBB95_200
; %bb.199:                              ;   in Loop: Header=BB95_109 Depth=2
	ds_store_b64 v21, v[16:17] offset:8472
.LBB95_200:                             ;   in Loop: Header=BB95_109 Depth=2
	s_or_b32 exec_lo, exec_lo, s47
	s_waitcnt lgkmcnt(0)
	v_fmac_f32_e32 v9, v17, v8
	s_delay_alu instid0(VALU_DEP_1)
	v_dual_mul_f32 v16, v16, v8 :: v_dual_mov_b32 v17, v9
.LBB95_201:                             ;   in Loop: Header=BB95_109 Depth=2
	s_or_b32 exec_lo, exec_lo, s46
	s_waitcnt lgkmcnt(0)
	s_barrier
	buffer_gl0_inv
	ds_load_b32 v8, v21 offset:8476
	s_and_saveexec_b32 s46, s11
	s_cbranch_execz .LBB95_108
; %bb.202:                              ;   in Loop: Header=BB95_109 Depth=2
	v_mov_b32_e32 v9, s89
	s_and_not1_b32 vcc_lo, exec_lo, s87
	ds_store_b64 v9, v[16:17]
	s_cbranch_vccnz .LBB95_108
; %bb.203:                              ;   in Loop: Header=BB95_109 Depth=2
	s_mov_b32 s61, s67
	v_cvt_f16_f32_e32 v9, v17
	s_lshl_b64 s[90:91], s[60:61], 1
	s_delay_alu instid0(SALU_CYCLE_1)
	s_add_u32 s90, s77, s90
	s_addc_u32 s91, s78, s91
	global_store_b16 v21, v9, s[90:91]
	s_branch .LBB95_108
.LBB95_204:                             ;   in Loop: Header=BB95_12 Depth=1
	v_cvt_f16_f32_e32 v0, v121
	v_cvt_f16_f32_e32 v4, v120
	;; [unrolled: 1-line block ×16, first 2 shown]
	v_pack_b32_f16 v3, v3, v7
	v_pack_b32_f16 v2, v2, v6
	;; [unrolled: 1-line block ×8, first 2 shown]
	s_waitcnt_vscnt null, 0x0
	s_barrier
	buffer_gl0_inv
	ds_store_b128 v52, v[0:3]
	ds_store_b128 v52, v[4:7] offset:16
	; wave barrier
	ds_load_u16 v16, v37 offset:64
	ds_load_u16 v15, v38 offset:128
	;; [unrolled: 1-line block ×15, first 2 shown]
	s_mov_b32 s51, s67
	s_delay_alu instid0(SALU_CYCLE_1) | instskip(NEXT) | instid1(SALU_CYCLE_1)
	s_lshl_b64 s[30:31], s[50:51], 1
	v_add_co_u32 v0, vcc_lo, v72, s30
	v_add_co_ci_u32_e32 v1, vcc_lo, s31, v73, vcc_lo
	s_and_saveexec_b32 s29, s13
	s_cbranch_execnz .LBB95_222
; %bb.205:                              ;   in Loop: Header=BB95_12 Depth=1
	s_or_b32 exec_lo, exec_lo, s29
	s_and_saveexec_b32 s13, s14
	s_cbranch_execnz .LBB95_223
.LBB95_206:                             ;   in Loop: Header=BB95_12 Depth=1
	s_or_b32 exec_lo, exec_lo, s13
	s_and_saveexec_b32 s13, s15
	s_cbranch_execnz .LBB95_224
.LBB95_207:                             ;   in Loop: Header=BB95_12 Depth=1
	s_or_b32 exec_lo, exec_lo, s13
	s_and_saveexec_b32 s13, s16
	s_cbranch_execnz .LBB95_225
.LBB95_208:                             ;   in Loop: Header=BB95_12 Depth=1
	s_or_b32 exec_lo, exec_lo, s13
	s_and_saveexec_b32 s13, s17
	s_cbranch_execnz .LBB95_226
.LBB95_209:                             ;   in Loop: Header=BB95_12 Depth=1
	s_or_b32 exec_lo, exec_lo, s13
	s_and_saveexec_b32 s13, s18
	s_cbranch_execnz .LBB95_227
.LBB95_210:                             ;   in Loop: Header=BB95_12 Depth=1
	s_or_b32 exec_lo, exec_lo, s13
	s_and_saveexec_b32 s13, s19
	s_cbranch_execnz .LBB95_228
.LBB95_211:                             ;   in Loop: Header=BB95_12 Depth=1
	s_or_b32 exec_lo, exec_lo, s13
	s_and_saveexec_b32 s13, s20
	s_cbranch_execnz .LBB95_229
.LBB95_212:                             ;   in Loop: Header=BB95_12 Depth=1
	s_or_b32 exec_lo, exec_lo, s13
	s_and_saveexec_b32 s13, s21
	s_cbranch_execnz .LBB95_230
.LBB95_213:                             ;   in Loop: Header=BB95_12 Depth=1
	s_or_b32 exec_lo, exec_lo, s13
	s_and_saveexec_b32 s13, s22
	s_cbranch_execnz .LBB95_231
.LBB95_214:                             ;   in Loop: Header=BB95_12 Depth=1
	s_or_b32 exec_lo, exec_lo, s13
	s_and_saveexec_b32 s13, s23
	s_cbranch_execnz .LBB95_232
.LBB95_215:                             ;   in Loop: Header=BB95_12 Depth=1
	s_or_b32 exec_lo, exec_lo, s13
	s_and_saveexec_b32 s13, s24
	s_cbranch_execnz .LBB95_233
.LBB95_216:                             ;   in Loop: Header=BB95_12 Depth=1
	s_or_b32 exec_lo, exec_lo, s13
	s_and_saveexec_b32 s13, s25
	s_cbranch_execnz .LBB95_234
.LBB95_217:                             ;   in Loop: Header=BB95_12 Depth=1
	s_or_b32 exec_lo, exec_lo, s13
	s_and_saveexec_b32 s13, s26
	s_cbranch_execnz .LBB95_235
.LBB95_218:                             ;   in Loop: Header=BB95_12 Depth=1
	s_or_b32 exec_lo, exec_lo, s13
	s_and_saveexec_b32 s13, s27
	s_cbranch_execnz .LBB95_236
.LBB95_219:                             ;   in Loop: Header=BB95_12 Depth=1
	s_or_b32 exec_lo, exec_lo, s13
	s_and_saveexec_b32 s13, s28
	s_cbranch_execz .LBB95_11
	s_branch .LBB95_237
.LBB95_220:                             ;   in Loop: Header=BB95_12 Depth=1
	global_load_u16 v97, v[8:9], off offset:832
	s_or_b32 exec_lo, exec_lo, s29
	s_and_saveexec_b32 s29, s27
	s_cbranch_execz .LBB95_72
.LBB95_221:                             ;   in Loop: Header=BB95_12 Depth=1
	global_load_u16 v96, v[8:9], off offset:896
	s_or_b32 exec_lo, exec_lo, s29
	v_mov_b32_e32 v98, 0
	s_and_saveexec_b32 s29, s28
	s_cbranch_execnz .LBB95_73
	s_branch .LBB95_74
.LBB95_222:                             ;   in Loop: Header=BB95_12 Depth=1
	ds_load_u16 v17, v37
	s_waitcnt lgkmcnt(0)
	global_store_b16 v[0:1], v17, off
	s_or_b32 exec_lo, exec_lo, s29
	s_and_saveexec_b32 s13, s14
	s_cbranch_execz .LBB95_206
.LBB95_223:                             ;   in Loop: Header=BB95_12 Depth=1
	s_waitcnt lgkmcnt(14)
	global_store_b16 v[0:1], v16, off offset:64
	s_or_b32 exec_lo, exec_lo, s13
	s_and_saveexec_b32 s13, s15
	s_cbranch_execz .LBB95_207
.LBB95_224:                             ;   in Loop: Header=BB95_12 Depth=1
	s_waitcnt lgkmcnt(13)
	global_store_b16 v[0:1], v15, off offset:128
	s_or_b32 exec_lo, exec_lo, s13
	s_and_saveexec_b32 s13, s16
	s_cbranch_execz .LBB95_208
.LBB95_225:                             ;   in Loop: Header=BB95_12 Depth=1
	s_waitcnt lgkmcnt(12)
	global_store_b16 v[0:1], v14, off offset:192
	s_or_b32 exec_lo, exec_lo, s13
	s_and_saveexec_b32 s13, s17
	s_cbranch_execz .LBB95_209
.LBB95_226:                             ;   in Loop: Header=BB95_12 Depth=1
	s_waitcnt lgkmcnt(11)
	global_store_b16 v[0:1], v13, off offset:256
	s_or_b32 exec_lo, exec_lo, s13
	s_and_saveexec_b32 s13, s18
	s_cbranch_execz .LBB95_210
.LBB95_227:                             ;   in Loop: Header=BB95_12 Depth=1
	s_waitcnt lgkmcnt(10)
	global_store_b16 v[0:1], v12, off offset:320
	s_or_b32 exec_lo, exec_lo, s13
	s_and_saveexec_b32 s13, s19
	s_cbranch_execz .LBB95_211
.LBB95_228:                             ;   in Loop: Header=BB95_12 Depth=1
	s_waitcnt lgkmcnt(9)
	global_store_b16 v[0:1], v11, off offset:384
	s_or_b32 exec_lo, exec_lo, s13
	s_and_saveexec_b32 s13, s20
	s_cbranch_execz .LBB95_212
.LBB95_229:                             ;   in Loop: Header=BB95_12 Depth=1
	s_waitcnt lgkmcnt(8)
	global_store_b16 v[0:1], v10, off offset:448
	s_or_b32 exec_lo, exec_lo, s13
	s_and_saveexec_b32 s13, s21
	s_cbranch_execz .LBB95_213
.LBB95_230:                             ;   in Loop: Header=BB95_12 Depth=1
	s_waitcnt lgkmcnt(7)
	global_store_b16 v[0:1], v9, off offset:512
	s_or_b32 exec_lo, exec_lo, s13
	s_and_saveexec_b32 s13, s22
	s_cbranch_execz .LBB95_214
.LBB95_231:                             ;   in Loop: Header=BB95_12 Depth=1
	s_waitcnt lgkmcnt(6)
	global_store_b16 v[0:1], v8, off offset:576
	s_or_b32 exec_lo, exec_lo, s13
	s_and_saveexec_b32 s13, s23
	s_cbranch_execz .LBB95_215
.LBB95_232:                             ;   in Loop: Header=BB95_12 Depth=1
	s_waitcnt lgkmcnt(5)
	global_store_b16 v[0:1], v7, off offset:640
	s_or_b32 exec_lo, exec_lo, s13
	s_and_saveexec_b32 s13, s24
	s_cbranch_execz .LBB95_216
.LBB95_233:                             ;   in Loop: Header=BB95_12 Depth=1
	s_waitcnt lgkmcnt(4)
	global_store_b16 v[0:1], v6, off offset:704
	s_or_b32 exec_lo, exec_lo, s13
	s_and_saveexec_b32 s13, s25
	s_cbranch_execz .LBB95_217
.LBB95_234:                             ;   in Loop: Header=BB95_12 Depth=1
	s_waitcnt lgkmcnt(3)
	global_store_b16 v[0:1], v5, off offset:768
	s_or_b32 exec_lo, exec_lo, s13
	s_and_saveexec_b32 s13, s26
	s_cbranch_execz .LBB95_218
.LBB95_235:                             ;   in Loop: Header=BB95_12 Depth=1
	s_waitcnt lgkmcnt(2)
	global_store_b16 v[0:1], v4, off offset:832
	s_or_b32 exec_lo, exec_lo, s13
	s_and_saveexec_b32 s13, s27
	s_cbranch_execz .LBB95_219
.LBB95_236:                             ;   in Loop: Header=BB95_12 Depth=1
	s_waitcnt lgkmcnt(1)
	global_store_b16 v[0:1], v3, off offset:896
	s_or_b32 exec_lo, exec_lo, s13
	s_and_saveexec_b32 s13, s28
	s_cbranch_execz .LBB95_11
.LBB95_237:                             ;   in Loop: Header=BB95_12 Depth=1
	s_waitcnt lgkmcnt(0)
	global_store_b16 v[0:1], v2, off offset:960
	s_branch .LBB95_11
.LBB95_238:
	s_nop 0
	s_sendmsg sendmsg(MSG_DEALLOC_VGPRS)
	s_endpgm
	.section	.rodata,"a",@progbits
	.p2align	6, 0x0
	.amdhsa_kernel _Z25selective_scan_fwd_kernelI32Selective_Scan_fwd_kernel_traitsILi128ELi16ELi1ELb0ELb1ELb1ELb0ELb0EN3c104HalfEfS2_EEv13SSMParamsBase
		.amdhsa_group_segment_fixed_size 0
		.amdhsa_private_segment_fixed_size 0
		.amdhsa_kernarg_size 248
		.amdhsa_user_sgpr_count 14
		.amdhsa_user_sgpr_dispatch_ptr 0
		.amdhsa_user_sgpr_queue_ptr 0
		.amdhsa_user_sgpr_kernarg_segment_ptr 1
		.amdhsa_user_sgpr_dispatch_id 0
		.amdhsa_user_sgpr_private_segment_size 0
		.amdhsa_wavefront_size32 1
		.amdhsa_uses_dynamic_stack 0
		.amdhsa_enable_private_segment 0
		.amdhsa_system_sgpr_workgroup_id_x 1
		.amdhsa_system_sgpr_workgroup_id_y 1
		.amdhsa_system_sgpr_workgroup_id_z 0
		.amdhsa_system_sgpr_workgroup_info 0
		.amdhsa_system_vgpr_workitem_id 0
		.amdhsa_next_free_vgpr 173
		.amdhsa_next_free_sgpr 92
		.amdhsa_reserve_vcc 1
		.amdhsa_float_round_mode_32 0
		.amdhsa_float_round_mode_16_64 0
		.amdhsa_float_denorm_mode_32 3
		.amdhsa_float_denorm_mode_16_64 3
		.amdhsa_dx10_clamp 1
		.amdhsa_ieee_mode 1
		.amdhsa_fp16_overflow 0
		.amdhsa_workgroup_processor_mode 1
		.amdhsa_memory_ordered 1
		.amdhsa_forward_progress 0
		.amdhsa_shared_vgpr_count 0
		.amdhsa_exception_fp_ieee_invalid_op 0
		.amdhsa_exception_fp_denorm_src 0
		.amdhsa_exception_fp_ieee_div_zero 0
		.amdhsa_exception_fp_ieee_overflow 0
		.amdhsa_exception_fp_ieee_underflow 0
		.amdhsa_exception_fp_ieee_inexact 0
		.amdhsa_exception_int_div_zero 0
	.end_amdhsa_kernel
	.section	.text._Z25selective_scan_fwd_kernelI32Selective_Scan_fwd_kernel_traitsILi128ELi16ELi1ELb0ELb1ELb1ELb0ELb0EN3c104HalfEfS2_EEv13SSMParamsBase,"axG",@progbits,_Z25selective_scan_fwd_kernelI32Selective_Scan_fwd_kernel_traitsILi128ELi16ELi1ELb0ELb1ELb1ELb0ELb0EN3c104HalfEfS2_EEv13SSMParamsBase,comdat
.Lfunc_end95:
	.size	_Z25selective_scan_fwd_kernelI32Selective_Scan_fwd_kernel_traitsILi128ELi16ELi1ELb0ELb1ELb1ELb0ELb0EN3c104HalfEfS2_EEv13SSMParamsBase, .Lfunc_end95-_Z25selective_scan_fwd_kernelI32Selective_Scan_fwd_kernel_traitsILi128ELi16ELi1ELb0ELb1ELb1ELb0ELb0EN3c104HalfEfS2_EEv13SSMParamsBase
                                        ; -- End function
	.section	.AMDGPU.csdata,"",@progbits
; Kernel info:
; codeLenInByte = 21496
; NumSgprs: 94
; NumVgprs: 173
; ScratchSize: 0
; MemoryBound: 0
; FloatMode: 240
; IeeeMode: 1
; LDSByteSize: 0 bytes/workgroup (compile time only)
; SGPRBlocks: 11
; VGPRBlocks: 21
; NumSGPRsForWavesPerEU: 94
; NumVGPRsForWavesPerEU: 173
; Occupancy: 8
; WaveLimiterHint : 0
; COMPUTE_PGM_RSRC2:SCRATCH_EN: 0
; COMPUTE_PGM_RSRC2:USER_SGPR: 14
; COMPUTE_PGM_RSRC2:TRAP_HANDLER: 0
; COMPUTE_PGM_RSRC2:TGID_X_EN: 1
; COMPUTE_PGM_RSRC2:TGID_Y_EN: 1
; COMPUTE_PGM_RSRC2:TGID_Z_EN: 0
; COMPUTE_PGM_RSRC2:TIDIG_COMP_CNT: 0
	.section	.text._Z25selective_scan_fwd_kernelI32Selective_Scan_fwd_kernel_traitsILi64ELi4ELi1ELb1ELb1ELb1ELb1ELb1EN3c104HalfEffEEv13SSMParamsBase,"axG",@progbits,_Z25selective_scan_fwd_kernelI32Selective_Scan_fwd_kernel_traitsILi64ELi4ELi1ELb1ELb1ELb1ELb1ELb1EN3c104HalfEffEEv13SSMParamsBase,comdat
	.protected	_Z25selective_scan_fwd_kernelI32Selective_Scan_fwd_kernel_traitsILi64ELi4ELi1ELb1ELb1ELb1ELb1ELb1EN3c104HalfEffEEv13SSMParamsBase ; -- Begin function _Z25selective_scan_fwd_kernelI32Selective_Scan_fwd_kernel_traitsILi64ELi4ELi1ELb1ELb1ELb1ELb1ELb1EN3c104HalfEffEEv13SSMParamsBase
	.globl	_Z25selective_scan_fwd_kernelI32Selective_Scan_fwd_kernel_traitsILi64ELi4ELi1ELb1ELb1ELb1ELb1ELb1EN3c104HalfEffEEv13SSMParamsBase
	.p2align	8
	.type	_Z25selective_scan_fwd_kernelI32Selective_Scan_fwd_kernel_traitsILi64ELi4ELi1ELb1ELb1ELb1ELb1ELb1EN3c104HalfEffEEv13SSMParamsBase,@function
_Z25selective_scan_fwd_kernelI32Selective_Scan_fwd_kernel_traitsILi64ELi4ELi1ELb1ELb1ELb1ELb1ELb1EN3c104HalfEffEEv13SSMParamsBase: ; @_Z25selective_scan_fwd_kernelI32Selective_Scan_fwd_kernel_traitsILi64ELi4ELi1ELb1ELb1ELb1ELb1ELb1EN3c104HalfEffEEv13SSMParamsBase
; %bb.0:
	s_clause 0x2
	s_load_b32 s11, s[0:1], 0x18
	s_load_b256 s[52:59], s[0:1], 0xc8
	s_load_b128 s[4:7], s[0:1], 0xe8
	s_mov_b32 s12, s15
	s_ashr_i32 s15, s14, 31
	s_mov_b32 s33, 0
	s_lshl_b64 s[8:9], s[14:15], 2
	s_waitcnt lgkmcnt(0)
	s_abs_i32 s10, s11
	s_add_u32 s2, s58, s8
	v_cvt_f32_u32_e32 v1, s10
	s_addc_u32 s3, s59, s9
	s_cmp_eq_u64 s[6:7], 0
	s_delay_alu instid0(VALU_DEP_1) | instskip(SKIP_2) | instid1(VALU_DEP_1)
	v_rcp_iflag_f32_e32 v1, v1
	s_waitcnt_depctr 0xfff
	v_mul_f32_e32 v1, 0x4f7ffffe, v1
	v_cvt_u32_f32_e32 v1, v1
	s_delay_alu instid0(VALU_DEP_1)
	v_readfirstlane_b32 s60, v1
	s_cbranch_scc1 .LBB96_2
; %bb.1:
	v_mov_b32_e32 v1, 0
	s_add_u32 s6, s6, s14
	s_addc_u32 s7, s7, s15
	global_load_u8 v1, v1, s[6:7]
	s_waitcnt vmcnt(0)
	v_and_b32_e32 v1, 1, v1
	s_delay_alu instid0(VALU_DEP_1)
	v_cmp_eq_u32_e64 s33, 1, v1
.LBB96_2:
	s_load_b64 s[6:7], s[0:1], 0x20
	s_cmp_eq_u64 s[4:5], 0
	s_cbranch_scc1 .LBB96_4
; %bb.3:
	s_add_u32 s4, s4, s8
	s_addc_u32 s5, s5, s9
	s_load_b32 s14, s[4:5], 0x0
	s_waitcnt lgkmcnt(0)
	s_ashr_i32 s15, s14, 31
.LBB96_4:
	s_waitcnt lgkmcnt(0)
	s_cmp_eq_u64 s[6:7], s[14:15]
	s_cbranch_scc1 .LBB96_108
; %bb.5:
	s_load_b512 s[16:31], s[0:1], 0x88
	s_load_b64 s[34:35], s[2:3], 0x0
	s_mov_b32 s58, 0
	s_mov_b32 s59, 0
	s_waitcnt lgkmcnt(0)
	s_cmp_eq_u64 s[22:23], 0
	s_cbranch_scc1 .LBB96_7
; %bb.6:
	s_ashr_i32 s13, s12, 31
	s_delay_alu instid0(SALU_CYCLE_1) | instskip(NEXT) | instid1(SALU_CYCLE_1)
	s_lshl_b64 s[2:3], s[12:13], 2
	s_add_u32 s2, s22, s2
	s_addc_u32 s3, s23, s3
	s_load_b32 s59, s[2:3], 0x0
.LBB96_7:
	s_cmp_eq_u64 s[28:29], 0
	s_cbranch_scc1 .LBB96_9
; %bb.8:
	s_ashr_i32 s13, s12, 31
	s_delay_alu instid0(SALU_CYCLE_1) | instskip(NEXT) | instid1(SALU_CYCLE_1)
	s_lshl_b64 s[2:3], s[12:13], 2
	s_add_u32 s2, s28, s2
	s_addc_u32 s3, s29, s3
	s_load_b32 s58, s[2:3], 0x0
.LBB96_9:
	s_sub_i32 s23, s35, s34
	s_delay_alu instid0(SALU_CYCLE_1)
	s_cmp_lt_i32 s23, 1
	s_cbranch_scc1 .LBB96_108
; %bb.10:
	s_sub_i32 s2, 0, s10
	s_load_b256 s[36:43], s[0:1], 0x4c
	s_mul_i32 s2, s2, s60
	s_abs_i32 s3, s12
	s_mul_hi_u32 s2, s60, s2
	s_ashr_i32 s5, s11, 31
	s_add_i32 s60, s60, s2
	s_ashr_i32 s2, s12, 31
	s_mul_hi_u32 s4, s3, s60
	s_xor_b32 s5, s2, s5
	s_mul_i32 s6, s4, s10
	s_load_b256 s[44:51], s[0:1], 0x2c
	s_sub_i32 s2, s3, s6
	s_add_i32 s3, s4, 1
	s_sub_i32 s6, s2, s10
	s_cmp_ge_u32 s2, s10
	s_mov_b32 s29, 0
	s_cselect_b32 s3, s3, s4
	s_cselect_b32 s2, s6, s2
	s_add_i32 s4, s3, 1
	s_cmp_ge_u32 s2, s10
	s_waitcnt lgkmcnt(0)
	s_mul_i32 s28, s34, s38
	s_cselect_b32 s4, s4, s3
	s_lshl_b64 s[2:3], s[28:29], 1
	s_xor_b32 s4, s4, s5
	s_mul_i32 s28, s39, s12
	s_sub_i32 s6, s4, s5
	s_add_u32 s4, s24, s2
	s_addc_u32 s5, s25, s3
	s_lshl_b64 s[2:3], s[28:29], 1
	s_mul_i32 s28, s34, s40
	s_add_u32 s38, s4, s2
	s_addc_u32 s39, s5, s3
	s_lshl_b64 s[2:3], s[28:29], 1
	s_mul_i32 s28, s41, s12
	s_add_u32 s4, s26, s2
	s_addc_u32 s5, s27, s3
	s_lshl_b64 s[2:3], s[28:29], 1
	s_mul_i32 s28, s44, s12
	s_add_u32 s40, s4, s2
	s_addc_u32 s41, s5, s3
	s_load_b64 s[4:5], s[0:1], 0x7c
	s_lshl_b64 s[2:3], s[28:29], 2
	v_lshlrev_b32_e32 v8, 2, v0
	s_mul_i32 s28, s34, s46
	s_add_u32 s44, s16, s2
	s_addc_u32 s46, s17, s3
	s_lshl_b64 s[2:3], s[28:29], 1
	s_mul_i32 s28, s6, s49
	s_add_u32 s7, s18, s2
	v_mbcnt_lo_u32_b32 v1, -1, 0
	v_and_b32_e32 v2, 0x80, v8
	v_dual_mov_b32 v12, 0 :: v_dual_and_b32 v3, 32, v0
	s_addc_u32 s8, s19, s3
	s_lshl_b64 s[2:3], s[28:29], 1
	s_mul_i32 s28, s34, s50
	s_add_u32 s47, s7, s2
	s_addc_u32 s49, s8, s3
	s_lshl_b64 s[2:3], s[28:29], 1
	s_mul_i32 s28, s6, s37
	s_clause 0x1
	s_load_b32 s37, s[0:1], 0xc
	s_load_b32 s8, s[0:1], 0x28
	v_or_b32_e32 v9, v1, v2
	v_or_b32_e32 v4, v1, v3
	s_add_u32 s7, s20, s2
	s_load_b128 s[16:19], s[0:1], 0x6c
	s_addc_u32 s6, s21, s3
	v_or_b32_e32 v11, 0x60, v9
	v_lshrrev_b32_e32 v14, 3, v4
	s_lshl_b64 s[2:3], s[28:29], 1
	s_waitcnt lgkmcnt(0)
	s_mul_i32 s28, s14, s4
	s_add_u32 s51, s7, s2
	s_load_b32 s50, s[0:1], 0x84
	s_addc_u32 s60, s6, s3
	s_lshl_b64 s[0:1], s[28:29], 2
	v_or_b32_e32 v10, 64, v9
	v_lshrrev_b32_e32 v7, 5, v11
	v_and_b32_e32 v16, 6, v14
	s_mul_i32 s28, s5, s12
	s_add_u32 s2, s52, s0
	s_addc_u32 s3, s53, s1
	s_lshl_b64 s[0:1], s[28:29], 2
	v_lshrrev_b32_e32 v5, 5, v2
	s_add_u32 s52, s2, s0
	v_lshrrev_b32_e32 v6, 5, v10
	v_and_b32_e32 v7, 6, v7
	v_lshl_add_u32 v4, v4, 2, v16
	s_addc_u32 s53, s3, s1
	s_add_i32 s0, s23, 0x7ff
	v_add_lshl_u32 v5, v5, v9, 1
	s_lshr_b32 s61, s0, 11
	s_bitcmp1_b32 s8, 0
	v_add_lshl_u32 v6, v6, v9, 1
	v_add_lshl_u32 v7, v7, v9, 1
	v_lshl_add_u32 v17, v4, 1, 0
	v_and_b32_e32 v4, 15, v1
	s_cselect_b32 s62, -1, 0
	s_cmp_gt_i32 s37, 0
	s_mul_i32 s28, s34, s16
	s_cselect_b32 s63, -1, 0
	s_add_i32 s0, 0, 0x210
	s_and_b32 s1, s23, 0xff
	v_add_nc_u32_e32 v18, s0, v5
	v_add_nc_u32_e32 v19, s0, v6
	s_cmp_eq_u32 s1, 0
	v_add_nc_u32_e32 v20, s0, v7
	v_cmp_ne_u32_e64 s0, 0, v4
	v_cmp_lt_u32_e64 s1, 1, v4
	v_cmp_lt_u32_e64 s2, 3, v4
	;; [unrolled: 1-line block ×3, first 2 shown]
	v_add_nc_u32_e32 v4, -1, v1
	v_or_b32_e32 v3, 31, v3
	s_cselect_b32 s64, -1, 0
	s_lshl_b64 s[14:15], s[28:29], 1
	s_add_i32 s65, s61, -1
	v_cmp_gt_i32_e32 vcc_lo, 0, v4
	s_mul_i32 s28, s17, s12
	v_add_nc_u32_e32 v14, 0, v5
	v_lshrrev_b32_e32 v5, 2, v0
	s_add_u32 s13, s30, s14
	v_cndmask_b32_e32 v4, v4, v1, vcc_lo
	s_addc_u32 s16, s31, s15
	s_lshl_b64 s[14:15], s[28:29], 1
	v_cmp_eq_u32_e64 s5, v3, v0
	v_and_b32_e32 v3, 1, v1
	v_cmp_gt_u32_e64 s6, 2, v0
	v_lshl_add_u32 v22, v0, 3, 0
	v_cmp_gt_u32_e64 s8, 32, v0
	v_cmp_lt_u32_e64 s9, 31, v0
	v_cmp_eq_u32_e64 s10, 0, v0
	s_mul_i32 s28, s34, s42
	v_lshlrev_b32_e32 v0, 1, v1
	s_add_u32 s13, s13, s14
	s_addc_u32 s16, s16, s15
	s_lshl_b64 s[14:15], s[28:29], 1
	v_and_b32_e32 v5, 8, v5
	s_mul_i32 s28, s43, s12
	s_add_u32 s17, s54, s14
	v_cmp_eq_u32_e64 s7, 0, v3
	s_addc_u32 s20, s55, s15
	s_lshl_b64 s[14:15], s[28:29], 1
	v_add_co_u32 v3, s13, s13, v0
	s_mul_i32 s28, s34, s18
	v_lshlrev_b32_e32 v23, 2, v4
	v_add_co_ci_u32_e64 v4, null, s16, 0, s13
	s_add_u32 s16, s17, s14
	v_add_nc_u32_e32 v21, 0, v5
	s_addc_u32 s17, s20, s15
	s_lshl_b64 s[14:15], s[28:29], 1
	v_lshlrev_b32_e32 v5, 1, v2
	s_mul_i32 s28, s19, s12
	s_add_u32 s14, s56, s14
	s_addc_u32 s15, s57, s15
	s_lshl_b64 s[12:13], s[28:29], 1
	v_add_nc_u32_e32 v15, 0, v6
	v_and_b32_e32 v6, 16, v1
	v_add_co_u32 v24, vcc_lo, v3, v5
	s_add_u32 s12, s14, s12
	v_add_co_u32 v3, s14, s16, v0
	v_add_co_ci_u32_e32 v25, vcc_lo, 0, v4, vcc_lo
	v_add_co_ci_u32_e64 v4, null, s17, 0, s14
	s_addc_u32 s13, s15, s13
	v_add_co_u32 v0, s12, s12, v0
	v_cmp_ne_u32_e64 s4, 0, v6
	v_add_co_ci_u32_e64 v6, null, s13, 0, s12
	v_add_co_u32 v26, vcc_lo, v3, v5
	v_add_co_ci_u32_e32 v27, vcc_lo, 0, v4, vcc_lo
	v_add_co_u32 v28, vcc_lo, v0, v5
	v_or_b32_e32 v13, 32, v9
	v_add_nc_u32_e32 v16, 0, v7
	v_cmp_eq_u32_e64 s11, 0, v1
	v_add_co_ci_u32_e32 v29, vcc_lo, 0, v6, vcc_lo
	v_or_b32_e32 v30, 1, v8
	v_or_b32_e32 v31, 2, v8
	;; [unrolled: 1-line block ×3, first 2 shown]
	v_lshlrev_b32_e32 v33, 1, v1
	v_lshlrev_b32_e32 v34, 1, v2
	s_mov_b32 s42, 0x3e9b6dac
	s_add_i32 s43, 0, 0x430
	s_mov_b32 s54, 0xbfb8aa3b
	s_mov_b32 s55, 0xb2a5705f
	;; [unrolled: 1-line block ×3, first 2 shown]
	s_branch .LBB96_12
.LBB96_11:                              ;   in Loop: Header=BB96_12 Depth=1
	s_or_b32 exec_lo, exec_lo, s12
	s_add_u32 s40, s40, 0x200
	s_addc_u32 s41, s41, 0
	s_add_u32 s38, s38, 0x200
	s_addc_u32 s39, s39, 0
	;; [unrolled: 2-line block ×4, first 2 shown]
	s_add_i32 s56, s56, 1
	s_delay_alu instid0(SALU_CYCLE_1)
	s_cmp_lg_u32 s56, s61
	s_cbranch_scc0 .LBB96_108
.LBB96_12:                              ; =>This Loop Header: Depth=1
                                        ;     Child Loop BB96_37 Depth 2
	v_add_co_u32 v0, s12, s38, v33
	s_delay_alu instid0(VALU_DEP_1) | instskip(SKIP_1) | instid1(VALU_DEP_2)
	v_add_co_ci_u32_e64 v1, null, s39, 0, s12
	s_lshl_b32 s24, s56, 8
	v_add_co_u32 v0, vcc_lo, v0, v34
	s_sub_i32 s19, s23, s24
	s_delay_alu instid0(VALU_DEP_2)
	v_add_co_ci_u32_e32 v1, vcc_lo, 0, v1, vcc_lo
	v_cmp_gt_u32_e64 s12, s19, v9
	s_waitcnt lgkmcnt(0)
	v_mov_b32_e32 v2, 0
	s_waitcnt lgkmcnt(0)
	s_waitcnt_vscnt null, 0x0
	s_barrier
	buffer_gl0_inv
	s_and_saveexec_b32 s13, s12
	s_cbranch_execz .LBB96_14
; %bb.13:                               ;   in Loop: Header=BB96_12 Depth=1
	global_load_u16 v2, v[0:1], off
.LBB96_14:                              ;   in Loop: Header=BB96_12 Depth=1
	s_or_b32 exec_lo, exec_lo, s13
	v_cmp_gt_u32_e64 s13, s19, v13
	v_mov_b32_e32 v3, 0
	v_mov_b32_e32 v5, 0
	s_delay_alu instid0(VALU_DEP_3)
	s_and_saveexec_b32 s14, s13
	s_cbranch_execz .LBB96_16
; %bb.15:                               ;   in Loop: Header=BB96_12 Depth=1
	global_load_u16 v5, v[0:1], off offset:64
.LBB96_16:                              ;   in Loop: Header=BB96_12 Depth=1
	s_or_b32 exec_lo, exec_lo, s14
	v_cmp_gt_u32_e64 s14, s19, v10
	s_delay_alu instid0(VALU_DEP_1)
	s_and_saveexec_b32 s15, s14
	s_cbranch_execz .LBB96_18
; %bb.17:                               ;   in Loop: Header=BB96_12 Depth=1
	global_load_u16 v3, v[0:1], off offset:128
.LBB96_18:                              ;   in Loop: Header=BB96_12 Depth=1
	s_or_b32 exec_lo, exec_lo, s15
	v_cmp_gt_u32_e64 s15, s19, v11
	v_mov_b32_e32 v4, 0
	v_mov_b32_e32 v6, 0
	s_delay_alu instid0(VALU_DEP_3)
	s_and_saveexec_b32 s16, s15
	s_cbranch_execz .LBB96_20
; %bb.19:                               ;   in Loop: Header=BB96_12 Depth=1
	global_load_u16 v6, v[0:1], off offset:192
.LBB96_20:                              ;   in Loop: Header=BB96_12 Depth=1
	s_or_b32 exec_lo, exec_lo, s16
	s_waitcnt vmcnt(0)
	ds_store_b16 v14, v2
	ds_store_b16 v14, v5 offset:64
	ds_store_b16 v15, v3 offset:128
	;; [unrolled: 1-line block ×3, first 2 shown]
	; wave barrier
	ds_load_b64 v[0:1], v17
	v_add_co_u32 v2, s16, s40, v33
	s_delay_alu instid0(VALU_DEP_1) | instskip(SKIP_1) | instid1(VALU_DEP_2)
	v_add_co_ci_u32_e64 v3, null, s41, 0, s16
	s_waitcnt lgkmcnt(0)
	v_add_co_u32 v2, vcc_lo, v2, v34
	s_delay_alu instid0(VALU_DEP_2)
	v_add_co_ci_u32_e32 v3, vcc_lo, 0, v3, vcc_lo
	s_barrier
	buffer_gl0_inv
	s_and_saveexec_b32 s16, s12
	s_cbranch_execz .LBB96_22
; %bb.21:                               ;   in Loop: Header=BB96_12 Depth=1
	global_load_u16 v4, v[2:3], off
.LBB96_22:                              ;   in Loop: Header=BB96_12 Depth=1
	s_or_b32 exec_lo, exec_lo, s16
	v_dual_mov_b32 v5, 0 :: v_dual_mov_b32 v6, 0
	s_and_saveexec_b32 s16, s13
	s_cbranch_execnz .LBB96_99
; %bb.23:                               ;   in Loop: Header=BB96_12 Depth=1
	s_or_b32 exec_lo, exec_lo, s16
	s_and_saveexec_b32 s16, s14
	s_cbranch_execnz .LBB96_100
.LBB96_24:                              ;   in Loop: Header=BB96_12 Depth=1
	s_or_b32 exec_lo, exec_lo, s16
	v_mov_b32_e32 v7, 0
	s_and_saveexec_b32 s16, s15
	s_cbranch_execz .LBB96_26
.LBB96_25:                              ;   in Loop: Header=BB96_12 Depth=1
	global_load_u16 v7, v[2:3], off offset:192
.LBB96_26:                              ;   in Loop: Header=BB96_12 Depth=1
	s_or_b32 exec_lo, exec_lo, s16
	s_waitcnt vmcnt(0)
	ds_store_b16 v14, v4
	ds_store_b16 v14, v6 offset:64
	ds_store_b16 v15, v5 offset:128
	;; [unrolled: 1-line block ×3, first 2 shown]
	; wave barrier
	ds_load_b64 v[2:3], v17
	s_waitcnt lgkmcnt(0)
	v_cvt_f32_f16_e32 v4, v2
	s_delay_alu instid0(VALU_DEP_1) | instskip(NEXT) | instid1(VALU_DEP_1)
	v_add_f32_e32 v35, s58, v4
	v_cmp_ge_f32_e32 vcc_lo, 0x41a00000, v35
	s_and_b32 s16, s62, vcc_lo
	s_delay_alu instid0(SALU_CYCLE_1)
	s_and_saveexec_b32 s17, s16
	s_cbranch_execz .LBB96_28
; %bb.27:                               ;   in Loop: Header=BB96_12 Depth=1
	v_mul_f32_e32 v4, 0x3fb8aa3b, v35
	v_cmp_ngt_f32_e32 vcc_lo, 0xc2ce8ed0, v35
	s_delay_alu instid0(VALU_DEP_2) | instskip(SKIP_1) | instid1(VALU_DEP_2)
	v_rndne_f32_e32 v5, v4
	v_fma_f32 v6, 0x3fb8aa3b, v35, -v4
	v_sub_f32_e32 v4, v4, v5
	s_delay_alu instid0(VALU_DEP_2) | instskip(SKIP_1) | instid1(VALU_DEP_2)
	v_fmac_f32_e32 v6, 0x32a5705f, v35
	v_cvt_i32_f32_e32 v5, v5
	v_add_f32_e32 v4, v4, v6
	s_delay_alu instid0(VALU_DEP_1) | instskip(SKIP_2) | instid1(VALU_DEP_1)
	v_exp_f32_e32 v4, v4
	s_waitcnt_depctr 0xfff
	v_ldexp_f32 v4, v4, v5
	v_cndmask_b32_e32 v4, 0, v4, vcc_lo
	v_cmp_nlt_f32_e32 vcc_lo, 0x42b17218, v35
	s_delay_alu instid0(VALU_DEP_2) | instskip(NEXT) | instid1(VALU_DEP_1)
	v_cndmask_b32_e32 v6, 0x7f800000, v4, vcc_lo
	v_add_f32_e32 v7, 1.0, v6
	s_delay_alu instid0(VALU_DEP_1) | instskip(NEXT) | instid1(VALU_DEP_1)
	v_cvt_f64_f32_e32 v[4:5], v7
	v_frexp_exp_i32_f64_e32 v4, v[4:5]
	v_frexp_mant_f32_e32 v5, v7
	s_delay_alu instid0(VALU_DEP_1) | instskip(SKIP_1) | instid1(VALU_DEP_1)
	v_cmp_gt_f32_e32 vcc_lo, 0x3f2aaaab, v5
	v_add_f32_e32 v5, -1.0, v7
	v_dual_sub_f32 v36, v5, v7 :: v_dual_sub_f32 v5, v6, v5
	s_delay_alu instid0(VALU_DEP_1) | instskip(NEXT) | instid1(VALU_DEP_1)
	v_add_f32_e32 v36, 1.0, v36
	v_add_f32_e32 v5, v5, v36
	v_subrev_co_ci_u32_e32 v4, vcc_lo, 0, v4, vcc_lo
	s_delay_alu instid0(VALU_DEP_1) | instskip(SKIP_1) | instid1(VALU_DEP_2)
	v_sub_nc_u32_e32 v35, 0, v4
	v_cvt_f32_i32_e32 v4, v4
	v_ldexp_f32 v7, v7, v35
	v_ldexp_f32 v5, v5, v35
	s_delay_alu instid0(VALU_DEP_2) | instskip(SKIP_3) | instid1(VALU_DEP_4)
	v_add_f32_e32 v37, 1.0, v7
	v_add_f32_e32 v35, -1.0, v7
	v_cmp_eq_f32_e32 vcc_lo, 0x7f800000, v6
	v_cmp_gt_f32_e64 s16, 0x33800000, v6
	v_add_f32_e32 v36, -1.0, v37
	s_delay_alu instid0(VALU_DEP_4) | instskip(NEXT) | instid1(VALU_DEP_3)
	v_add_f32_e32 v38, 1.0, v35
	s_or_b32 vcc_lo, s16, vcc_lo
	s_delay_alu instid0(VALU_DEP_2) | instskip(NEXT) | instid1(VALU_DEP_1)
	v_sub_f32_e32 v36, v7, v36
	v_dual_sub_f32 v7, v7, v38 :: v_dual_add_f32 v36, v5, v36
	s_delay_alu instid0(VALU_DEP_1) | instskip(NEXT) | instid1(VALU_DEP_1)
	v_add_f32_e32 v5, v5, v7
	v_dual_add_f32 v39, v35, v5 :: v_dual_add_f32 v38, v37, v36
	s_delay_alu instid0(VALU_DEP_1) | instskip(NEXT) | instid1(VALU_DEP_2)
	v_sub_f32_e32 v35, v35, v39
	v_rcp_f32_e32 v7, v38
	v_sub_f32_e32 v37, v37, v38
	s_delay_alu instid0(VALU_DEP_1) | instskip(SKIP_2) | instid1(VALU_DEP_1)
	v_dual_add_f32 v5, v5, v35 :: v_dual_add_f32 v36, v36, v37
	s_waitcnt_depctr 0xfff
	v_mul_f32_e32 v40, v39, v7
	v_mul_f32_e32 v41, v38, v40
	s_delay_alu instid0(VALU_DEP_1) | instskip(NEXT) | instid1(VALU_DEP_1)
	v_fma_f32 v37, v40, v38, -v41
	v_fmac_f32_e32 v37, v40, v36
	s_delay_alu instid0(VALU_DEP_1) | instskip(NEXT) | instid1(VALU_DEP_1)
	v_add_f32_e32 v42, v41, v37
	v_sub_f32_e32 v43, v39, v42
	s_delay_alu instid0(VALU_DEP_1) | instskip(SKIP_1) | instid1(VALU_DEP_2)
	v_sub_f32_e32 v39, v39, v43
	v_sub_f32_e32 v35, v42, v41
	;; [unrolled: 1-line block ×3, first 2 shown]
	s_delay_alu instid0(VALU_DEP_2) | instskip(NEXT) | instid1(VALU_DEP_2)
	v_sub_f32_e32 v35, v35, v37
	v_add_f32_e32 v5, v5, v39
	s_delay_alu instid0(VALU_DEP_1) | instskip(NEXT) | instid1(VALU_DEP_1)
	v_add_f32_e32 v5, v35, v5
	v_add_f32_e32 v35, v43, v5
	s_delay_alu instid0(VALU_DEP_1) | instskip(NEXT) | instid1(VALU_DEP_1)
	v_mul_f32_e32 v37, v7, v35
	v_dual_sub_f32 v42, v43, v35 :: v_dual_mul_f32 v39, v38, v37
	s_delay_alu instid0(VALU_DEP_1) | instskip(NEXT) | instid1(VALU_DEP_2)
	v_add_f32_e32 v5, v5, v42
	v_fma_f32 v38, v37, v38, -v39
	s_delay_alu instid0(VALU_DEP_1) | instskip(NEXT) | instid1(VALU_DEP_1)
	v_fmac_f32_e32 v38, v37, v36
	v_add_f32_e32 v36, v39, v38
	s_delay_alu instid0(VALU_DEP_1) | instskip(SKIP_1) | instid1(VALU_DEP_2)
	v_sub_f32_e32 v41, v35, v36
	v_sub_f32_e32 v39, v36, v39
	;; [unrolled: 1-line block ×3, first 2 shown]
	s_delay_alu instid0(VALU_DEP_1) | instskip(NEXT) | instid1(VALU_DEP_1)
	v_sub_f32_e32 v35, v35, v36
	v_dual_sub_f32 v36, v39, v38 :: v_dual_add_f32 v5, v5, v35
	v_add_f32_e32 v35, v40, v37
	s_delay_alu instid0(VALU_DEP_1) | instskip(NEXT) | instid1(VALU_DEP_1)
	v_dual_add_f32 v5, v36, v5 :: v_dual_sub_f32 v36, v35, v40
	v_add_f32_e32 v5, v41, v5
	s_delay_alu instid0(VALU_DEP_1) | instskip(NEXT) | instid1(VALU_DEP_1)
	v_dual_sub_f32 v36, v37, v36 :: v_dual_mul_f32 v5, v7, v5
	v_add_f32_e32 v5, v36, v5
	s_delay_alu instid0(VALU_DEP_1) | instskip(NEXT) | instid1(VALU_DEP_1)
	v_add_f32_e32 v7, v35, v5
	v_mul_f32_e32 v36, v7, v7
	s_delay_alu instid0(VALU_DEP_1) | instskip(SKIP_1) | instid1(VALU_DEP_2)
	v_fmaak_f32 v37, s42, v36, 0x3ecc95a3
	v_mul_f32_e32 v38, v7, v36
	v_fmaak_f32 v36, v36, v37, 0x3f2aaada
	v_ldexp_f32 v37, v7, 1
	s_delay_alu instid0(VALU_DEP_2) | instskip(NEXT) | instid1(VALU_DEP_1)
	v_dual_sub_f32 v7, v7, v35 :: v_dual_mul_f32 v36, v38, v36
	v_dual_mul_f32 v38, 0x3f317218, v4 :: v_dual_sub_f32 v5, v5, v7
	s_delay_alu instid0(VALU_DEP_2) | instskip(NEXT) | instid1(VALU_DEP_2)
	v_add_f32_e32 v35, v37, v36
	v_ldexp_f32 v5, v5, 1
	s_delay_alu instid0(VALU_DEP_2) | instskip(NEXT) | instid1(VALU_DEP_4)
	v_sub_f32_e32 v7, v35, v37
	v_fma_f32 v37, 0x3f317218, v4, -v38
	s_delay_alu instid0(VALU_DEP_2) | instskip(NEXT) | instid1(VALU_DEP_1)
	v_sub_f32_e32 v7, v36, v7
	v_dual_fmac_f32 v37, 0xb102e308, v4 :: v_dual_add_f32 v4, v5, v7
	s_delay_alu instid0(VALU_DEP_1) | instskip(NEXT) | instid1(VALU_DEP_1)
	v_add_f32_e32 v5, v38, v37
	v_dual_add_f32 v7, v35, v4 :: v_dual_sub_f32 v38, v5, v38
	s_delay_alu instid0(VALU_DEP_1) | instskip(SKIP_1) | instid1(VALU_DEP_3)
	v_add_f32_e32 v36, v5, v7
	v_sub_f32_e32 v35, v7, v35
	v_sub_f32_e32 v37, v37, v38
	s_delay_alu instid0(VALU_DEP_3) | instskip(NEXT) | instid1(VALU_DEP_3)
	v_sub_f32_e32 v39, v36, v5
	v_sub_f32_e32 v4, v4, v35
	s_delay_alu instid0(VALU_DEP_2) | instskip(SKIP_1) | instid1(VALU_DEP_3)
	v_sub_f32_e32 v40, v36, v39
	v_sub_f32_e32 v7, v7, v39
	v_add_f32_e32 v35, v37, v4
	s_delay_alu instid0(VALU_DEP_3) | instskip(NEXT) | instid1(VALU_DEP_1)
	v_sub_f32_e32 v5, v5, v40
	v_add_f32_e32 v5, v7, v5
	s_delay_alu instid0(VALU_DEP_3) | instskip(NEXT) | instid1(VALU_DEP_1)
	v_sub_f32_e32 v7, v35, v37
	v_dual_add_f32 v5, v35, v5 :: v_dual_sub_f32 v4, v4, v7
	s_delay_alu instid0(VALU_DEP_1) | instskip(NEXT) | instid1(VALU_DEP_1)
	v_dual_sub_f32 v35, v35, v7 :: v_dual_add_f32 v38, v36, v5
	v_sub_f32_e32 v35, v37, v35
	s_delay_alu instid0(VALU_DEP_1) | instskip(NEXT) | instid1(VALU_DEP_1)
	v_dual_sub_f32 v7, v38, v36 :: v_dual_add_f32 v4, v4, v35
	v_sub_f32_e32 v5, v5, v7
	s_delay_alu instid0(VALU_DEP_1) | instskip(NEXT) | instid1(VALU_DEP_1)
	v_add_f32_e32 v4, v4, v5
	v_add_f32_e32 v4, v38, v4
	s_delay_alu instid0(VALU_DEP_1)
	v_cndmask_b32_e32 v35, v4, v6, vcc_lo
.LBB96_28:                              ;   in Loop: Header=BB96_12 Depth=1
	s_or_b32 exec_lo, exec_lo, s17
	v_lshrrev_b32_e32 v2, 16, v2
	s_delay_alu instid0(VALU_DEP_1) | instskip(NEXT) | instid1(VALU_DEP_1)
	v_cvt_f32_f16_e32 v2, v2
	v_add_f32_e32 v36, s58, v2
	s_delay_alu instid0(VALU_DEP_1) | instskip(SKIP_1) | instid1(SALU_CYCLE_1)
	v_cmp_ge_f32_e32 vcc_lo, 0x41a00000, v36
	s_and_b32 s16, s62, vcc_lo
	s_and_saveexec_b32 s17, s16
	s_cbranch_execz .LBB96_30
; %bb.29:                               ;   in Loop: Header=BB96_12 Depth=1
	v_mul_f32_e32 v2, 0x3fb8aa3b, v36
	v_cmp_ngt_f32_e32 vcc_lo, 0xc2ce8ed0, v36
	s_delay_alu instid0(VALU_DEP_2) | instskip(SKIP_1) | instid1(VALU_DEP_2)
	v_rndne_f32_e32 v4, v2
	v_fma_f32 v5, 0x3fb8aa3b, v36, -v2
	v_sub_f32_e32 v2, v2, v4
	s_delay_alu instid0(VALU_DEP_2) | instskip(SKIP_1) | instid1(VALU_DEP_2)
	v_fmac_f32_e32 v5, 0x32a5705f, v36
	v_cvt_i32_f32_e32 v4, v4
	v_add_f32_e32 v2, v2, v5
	s_delay_alu instid0(VALU_DEP_1) | instskip(SKIP_2) | instid1(VALU_DEP_1)
	v_exp_f32_e32 v2, v2
	s_waitcnt_depctr 0xfff
	v_ldexp_f32 v2, v2, v4
	v_cndmask_b32_e32 v2, 0, v2, vcc_lo
	v_cmp_nlt_f32_e32 vcc_lo, 0x42b17218, v36
	s_delay_alu instid0(VALU_DEP_2) | instskip(NEXT) | instid1(VALU_DEP_1)
	v_cndmask_b32_e32 v2, 0x7f800000, v2, vcc_lo
	v_add_f32_e32 v6, 1.0, v2
	s_delay_alu instid0(VALU_DEP_1) | instskip(NEXT) | instid1(VALU_DEP_1)
	v_cvt_f64_f32_e32 v[4:5], v6
	v_frexp_exp_i32_f64_e32 v4, v[4:5]
	v_frexp_mant_f32_e32 v5, v6
	s_delay_alu instid0(VALU_DEP_1) | instskip(SKIP_1) | instid1(VALU_DEP_1)
	v_cmp_gt_f32_e32 vcc_lo, 0x3f2aaaab, v5
	v_add_f32_e32 v5, -1.0, v6
	v_dual_sub_f32 v36, v5, v6 :: v_dual_sub_f32 v5, v2, v5
	v_subrev_co_ci_u32_e32 v4, vcc_lo, 0, v4, vcc_lo
	s_delay_alu instid0(VALU_DEP_1) | instskip(SKIP_1) | instid1(VALU_DEP_2)
	v_sub_nc_u32_e32 v7, 0, v4
	v_cvt_f32_i32_e32 v4, v4
	v_ldexp_f32 v6, v6, v7
	s_delay_alu instid0(VALU_DEP_1) | instskip(NEXT) | instid1(VALU_DEP_1)
	v_dual_add_f32 v36, 1.0, v36 :: v_dual_add_f32 v37, 1.0, v6
	v_add_f32_e32 v5, v5, v36
	s_delay_alu instid0(VALU_DEP_1) | instskip(NEXT) | instid1(VALU_DEP_3)
	v_ldexp_f32 v5, v5, v7
	v_dual_add_f32 v7, -1.0, v6 :: v_dual_add_f32 v36, -1.0, v37
	s_delay_alu instid0(VALU_DEP_1) | instskip(NEXT) | instid1(VALU_DEP_2)
	v_add_f32_e32 v38, 1.0, v7
	v_sub_f32_e32 v36, v6, v36
	s_delay_alu instid0(VALU_DEP_2) | instskip(NEXT) | instid1(VALU_DEP_2)
	v_sub_f32_e32 v6, v6, v38
	v_add_f32_e32 v36, v5, v36
	s_delay_alu instid0(VALU_DEP_2) | instskip(NEXT) | instid1(VALU_DEP_1)
	v_add_f32_e32 v5, v5, v6
	v_dual_add_f32 v39, v7, v5 :: v_dual_add_f32 v38, v37, v36
	v_cmp_eq_f32_e32 vcc_lo, 0x7f800000, v2
	v_cmp_gt_f32_e64 s16, 0x33800000, v2
	s_delay_alu instid0(VALU_DEP_3) | instskip(NEXT) | instid1(VALU_DEP_4)
	v_sub_f32_e32 v7, v7, v39
	v_rcp_f32_e32 v6, v38
	v_sub_f32_e32 v37, v37, v38
	s_delay_alu instid0(VALU_DEP_3) | instskip(NEXT) | instid1(VALU_DEP_1)
	s_or_b32 vcc_lo, s16, vcc_lo
	v_dual_add_f32 v5, v5, v7 :: v_dual_add_f32 v36, v36, v37
	s_waitcnt_depctr 0xfff
	v_mul_f32_e32 v40, v39, v6
	s_delay_alu instid0(VALU_DEP_1) | instskip(NEXT) | instid1(VALU_DEP_1)
	v_mul_f32_e32 v41, v38, v40
	v_fma_f32 v37, v40, v38, -v41
	s_delay_alu instid0(VALU_DEP_1) | instskip(NEXT) | instid1(VALU_DEP_1)
	v_fmac_f32_e32 v37, v40, v36
	v_add_f32_e32 v42, v41, v37
	s_delay_alu instid0(VALU_DEP_1) | instskip(NEXT) | instid1(VALU_DEP_1)
	v_sub_f32_e32 v43, v39, v42
	v_sub_f32_e32 v39, v39, v43
	s_delay_alu instid0(VALU_DEP_1) | instskip(SKIP_1) | instid1(VALU_DEP_2)
	v_sub_f32_e32 v39, v39, v42
	v_sub_f32_e32 v7, v42, v41
	v_add_f32_e32 v5, v5, v39
	s_delay_alu instid0(VALU_DEP_2) | instskip(NEXT) | instid1(VALU_DEP_1)
	v_sub_f32_e32 v7, v7, v37
	v_add_f32_e32 v5, v7, v5
	s_delay_alu instid0(VALU_DEP_1) | instskip(NEXT) | instid1(VALU_DEP_1)
	v_add_f32_e32 v7, v43, v5
	v_mul_f32_e32 v37, v6, v7
	s_delay_alu instid0(VALU_DEP_1) | instskip(NEXT) | instid1(VALU_DEP_1)
	v_dual_sub_f32 v42, v43, v7 :: v_dual_mul_f32 v39, v38, v37
	v_add_f32_e32 v5, v5, v42
	s_delay_alu instid0(VALU_DEP_2) | instskip(NEXT) | instid1(VALU_DEP_1)
	v_fma_f32 v38, v37, v38, -v39
	v_fmac_f32_e32 v38, v37, v36
	s_delay_alu instid0(VALU_DEP_1) | instskip(NEXT) | instid1(VALU_DEP_1)
	v_add_f32_e32 v36, v39, v38
	v_sub_f32_e32 v41, v7, v36
	s_delay_alu instid0(VALU_DEP_1) | instskip(NEXT) | instid1(VALU_DEP_1)
	v_sub_f32_e32 v7, v7, v41
	v_sub_f32_e32 v7, v7, v36
	s_delay_alu instid0(VALU_DEP_1) | instskip(SKIP_2) | instid1(VALU_DEP_1)
	v_add_f32_e32 v5, v5, v7
	v_add_f32_e32 v7, v40, v37
	v_sub_f32_e32 v39, v36, v39
	v_sub_f32_e32 v36, v39, v38
	s_delay_alu instid0(VALU_DEP_1) | instskip(NEXT) | instid1(VALU_DEP_1)
	v_dual_add_f32 v5, v36, v5 :: v_dual_sub_f32 v36, v7, v40
	v_add_f32_e32 v5, v41, v5
	s_delay_alu instid0(VALU_DEP_1) | instskip(NEXT) | instid1(VALU_DEP_1)
	v_dual_sub_f32 v36, v37, v36 :: v_dual_mul_f32 v5, v6, v5
	v_add_f32_e32 v5, v36, v5
	s_delay_alu instid0(VALU_DEP_1) | instskip(NEXT) | instid1(VALU_DEP_1)
	v_add_f32_e32 v6, v7, v5
	v_mul_f32_e32 v36, v6, v6
	s_delay_alu instid0(VALU_DEP_1) | instskip(SKIP_1) | instid1(VALU_DEP_2)
	v_fmaak_f32 v37, s42, v36, 0x3ecc95a3
	v_mul_f32_e32 v38, v6, v36
	v_fmaak_f32 v36, v36, v37, 0x3f2aaada
	v_ldexp_f32 v37, v6, 1
	v_sub_f32_e32 v6, v6, v7
	s_delay_alu instid0(VALU_DEP_3) | instskip(SKIP_1) | instid1(VALU_DEP_2)
	v_mul_f32_e32 v36, v38, v36
	v_mul_f32_e32 v38, 0x3f317218, v4
	v_add_f32_e32 v7, v37, v36
	s_delay_alu instid0(VALU_DEP_1) | instskip(NEXT) | instid1(VALU_DEP_3)
	v_dual_sub_f32 v5, v5, v6 :: v_dual_sub_f32 v6, v7, v37
	v_fma_f32 v37, 0x3f317218, v4, -v38
	s_delay_alu instid0(VALU_DEP_2) | instskip(NEXT) | instid1(VALU_DEP_2)
	v_ldexp_f32 v5, v5, 1
	v_dual_sub_f32 v6, v36, v6 :: v_dual_fmac_f32 v37, 0xb102e308, v4
	s_delay_alu instid0(VALU_DEP_1) | instskip(NEXT) | instid1(VALU_DEP_1)
	v_dual_add_f32 v4, v5, v6 :: v_dual_add_f32 v5, v38, v37
	v_add_f32_e32 v6, v7, v4
	s_delay_alu instid0(VALU_DEP_1) | instskip(NEXT) | instid1(VALU_DEP_1)
	v_add_f32_e32 v36, v5, v6
	v_sub_f32_e32 v39, v36, v5
	s_delay_alu instid0(VALU_DEP_1) | instskip(SKIP_2) | instid1(VALU_DEP_2)
	v_sub_f32_e32 v40, v36, v39
	v_sub_f32_e32 v7, v6, v7
	;; [unrolled: 1-line block ×5, first 2 shown]
	s_delay_alu instid0(VALU_DEP_1) | instskip(NEXT) | instid1(VALU_DEP_1)
	v_sub_f32_e32 v37, v37, v38
	v_add_f32_e32 v7, v37, v4
	v_sub_f32_e32 v5, v5, v40
	s_delay_alu instid0(VALU_DEP_1) | instskip(NEXT) | instid1(VALU_DEP_3)
	v_add_f32_e32 v5, v6, v5
	v_sub_f32_e32 v6, v7, v37
	s_delay_alu instid0(VALU_DEP_1) | instskip(NEXT) | instid1(VALU_DEP_1)
	v_dual_sub_f32 v4, v4, v6 :: v_dual_add_f32 v5, v7, v5
	v_dual_sub_f32 v7, v7, v6 :: v_dual_add_f32 v38, v36, v5
	s_delay_alu instid0(VALU_DEP_1) | instskip(NEXT) | instid1(VALU_DEP_1)
	v_dual_sub_f32 v7, v37, v7 :: v_dual_sub_f32 v6, v38, v36
	v_dual_add_f32 v4, v4, v7 :: v_dual_sub_f32 v5, v5, v6
	s_delay_alu instid0(VALU_DEP_1) | instskip(NEXT) | instid1(VALU_DEP_1)
	v_add_f32_e32 v4, v4, v5
	v_add_f32_e32 v4, v38, v4
	s_delay_alu instid0(VALU_DEP_1)
	v_cndmask_b32_e32 v36, v4, v2, vcc_lo
.LBB96_30:                              ;   in Loop: Header=BB96_12 Depth=1
	s_or_b32 exec_lo, exec_lo, s17
	v_cvt_f32_f16_e32 v2, v3
	s_delay_alu instid0(VALU_DEP_1) | instskip(NEXT) | instid1(VALU_DEP_1)
	v_add_f32_e32 v41, s58, v2
	v_cmp_ge_f32_e32 vcc_lo, 0x41a00000, v41
	s_and_b32 s16, s62, vcc_lo
	s_delay_alu instid0(SALU_CYCLE_1)
	s_and_saveexec_b32 s17, s16
	s_cbranch_execz .LBB96_32
; %bb.31:                               ;   in Loop: Header=BB96_12 Depth=1
	v_mul_f32_e32 v2, 0x3fb8aa3b, v41
	v_cmp_ngt_f32_e32 vcc_lo, 0xc2ce8ed0, v41
	s_delay_alu instid0(VALU_DEP_2) | instskip(SKIP_1) | instid1(VALU_DEP_1)
	v_rndne_f32_e32 v4, v2
	v_fma_f32 v5, 0x3fb8aa3b, v41, -v2
	v_dual_sub_f32 v2, v2, v4 :: v_dual_fmac_f32 v5, 0x32a5705f, v41
	v_cvt_i32_f32_e32 v4, v4
	s_delay_alu instid0(VALU_DEP_2) | instskip(NEXT) | instid1(VALU_DEP_1)
	v_add_f32_e32 v2, v2, v5
	v_exp_f32_e32 v2, v2
	s_waitcnt_depctr 0xfff
	v_ldexp_f32 v2, v2, v4
	s_delay_alu instid0(VALU_DEP_1) | instskip(SKIP_1) | instid1(VALU_DEP_2)
	v_cndmask_b32_e32 v2, 0, v2, vcc_lo
	v_cmp_nlt_f32_e32 vcc_lo, 0x42b17218, v41
	v_cndmask_b32_e32 v2, 0x7f800000, v2, vcc_lo
	s_delay_alu instid0(VALU_DEP_1) | instskip(NEXT) | instid1(VALU_DEP_1)
	v_add_f32_e32 v6, 1.0, v2
	v_cvt_f64_f32_e32 v[4:5], v6
	s_delay_alu instid0(VALU_DEP_1) | instskip(SKIP_1) | instid1(VALU_DEP_1)
	v_frexp_exp_i32_f64_e32 v4, v[4:5]
	v_frexp_mant_f32_e32 v5, v6
	v_cmp_gt_f32_e32 vcc_lo, 0x3f2aaaab, v5
	v_add_f32_e32 v5, -1.0, v6
	s_delay_alu instid0(VALU_DEP_1) | instskip(SKIP_1) | instid1(VALU_DEP_2)
	v_sub_f32_e32 v37, v5, v6
	v_sub_f32_e32 v5, v2, v5
	v_add_f32_e32 v37, 1.0, v37
	s_delay_alu instid0(VALU_DEP_1) | instskip(SKIP_3) | instid1(VALU_DEP_2)
	v_add_f32_e32 v5, v5, v37
	v_cmp_gt_f32_e64 s16, 0x33800000, v2
	v_subrev_co_ci_u32_e32 v4, vcc_lo, 0, v4, vcc_lo
	v_cmp_eq_f32_e32 vcc_lo, 0x7f800000, v2
	v_sub_nc_u32_e32 v7, 0, v4
	v_cvt_f32_i32_e32 v4, v4
	s_or_b32 vcc_lo, s16, vcc_lo
	s_delay_alu instid0(VALU_DEP_2) | instskip(SKIP_1) | instid1(VALU_DEP_2)
	v_ldexp_f32 v6, v6, v7
	v_ldexp_f32 v5, v5, v7
	v_add_f32_e32 v38, 1.0, v6
	v_add_f32_e32 v7, -1.0, v6
	s_delay_alu instid0(VALU_DEP_1) | instskip(NEXT) | instid1(VALU_DEP_3)
	v_add_f32_e32 v39, 1.0, v7
	v_add_f32_e32 v37, -1.0, v38
	s_delay_alu instid0(VALU_DEP_1) | instskip(NEXT) | instid1(VALU_DEP_1)
	v_sub_f32_e32 v37, v6, v37
	v_dual_sub_f32 v6, v6, v39 :: v_dual_add_f32 v37, v5, v37
	s_delay_alu instid0(VALU_DEP_1) | instskip(NEXT) | instid1(VALU_DEP_2)
	v_add_f32_e32 v39, v38, v37
	v_add_f32_e32 v5, v5, v6
	s_delay_alu instid0(VALU_DEP_2) | instskip(SKIP_1) | instid1(VALU_DEP_1)
	v_rcp_f32_e32 v6, v39
	v_sub_f32_e32 v38, v38, v39
	v_dual_add_f32 v40, v7, v5 :: v_dual_add_f32 v37, v37, v38
	s_delay_alu instid0(VALU_DEP_1) | instskip(SKIP_2) | instid1(VALU_DEP_1)
	v_sub_f32_e32 v7, v7, v40
	s_waitcnt_depctr 0xfff
	v_mul_f32_e32 v41, v40, v6
	v_mul_f32_e32 v42, v39, v41
	s_delay_alu instid0(VALU_DEP_1) | instskip(NEXT) | instid1(VALU_DEP_1)
	v_fma_f32 v38, v41, v39, -v42
	v_fmac_f32_e32 v38, v41, v37
	s_delay_alu instid0(VALU_DEP_1) | instskip(NEXT) | instid1(VALU_DEP_1)
	v_add_f32_e32 v43, v42, v38
	v_sub_f32_e32 v44, v40, v43
	s_delay_alu instid0(VALU_DEP_1) | instskip(NEXT) | instid1(VALU_DEP_1)
	v_dual_sub_f32 v40, v40, v44 :: v_dual_add_f32 v5, v5, v7
	v_dual_sub_f32 v7, v43, v42 :: v_dual_sub_f32 v40, v40, v43
	s_delay_alu instid0(VALU_DEP_1) | instskip(NEXT) | instid1(VALU_DEP_2)
	v_sub_f32_e32 v7, v7, v38
	v_add_f32_e32 v5, v5, v40
	s_delay_alu instid0(VALU_DEP_1) | instskip(NEXT) | instid1(VALU_DEP_1)
	v_add_f32_e32 v5, v7, v5
	v_add_f32_e32 v7, v44, v5
	s_delay_alu instid0(VALU_DEP_1) | instskip(NEXT) | instid1(VALU_DEP_1)
	v_mul_f32_e32 v38, v6, v7
	v_dual_sub_f32 v43, v44, v7 :: v_dual_mul_f32 v40, v39, v38
	s_delay_alu instid0(VALU_DEP_1) | instskip(NEXT) | instid1(VALU_DEP_2)
	v_add_f32_e32 v5, v5, v43
	v_fma_f32 v39, v38, v39, -v40
	s_delay_alu instid0(VALU_DEP_1) | instskip(NEXT) | instid1(VALU_DEP_1)
	v_fmac_f32_e32 v39, v38, v37
	v_add_f32_e32 v37, v40, v39
	s_delay_alu instid0(VALU_DEP_1) | instskip(NEXT) | instid1(VALU_DEP_1)
	v_sub_f32_e32 v42, v7, v37
	v_dual_sub_f32 v40, v37, v40 :: v_dual_sub_f32 v7, v7, v42
	s_delay_alu instid0(VALU_DEP_1) | instskip(NEXT) | instid1(VALU_DEP_2)
	v_sub_f32_e32 v7, v7, v37
	v_sub_f32_e32 v37, v40, v39
	s_delay_alu instid0(VALU_DEP_2) | instskip(SKIP_1) | instid1(VALU_DEP_2)
	v_add_f32_e32 v5, v5, v7
	v_add_f32_e32 v7, v41, v38
	;; [unrolled: 1-line block ×3, first 2 shown]
	s_delay_alu instid0(VALU_DEP_2) | instskip(NEXT) | instid1(VALU_DEP_2)
	v_sub_f32_e32 v37, v7, v41
	v_add_f32_e32 v5, v42, v5
	s_delay_alu instid0(VALU_DEP_2) | instskip(NEXT) | instid1(VALU_DEP_2)
	v_sub_f32_e32 v37, v38, v37
	v_mul_f32_e32 v5, v6, v5
	s_delay_alu instid0(VALU_DEP_1) | instskip(NEXT) | instid1(VALU_DEP_1)
	v_add_f32_e32 v5, v37, v5
	v_add_f32_e32 v6, v7, v5
	s_delay_alu instid0(VALU_DEP_1) | instskip(NEXT) | instid1(VALU_DEP_1)
	v_mul_f32_e32 v37, v6, v6
	v_fmaak_f32 v38, s42, v37, 0x3ecc95a3
	v_mul_f32_e32 v39, v6, v37
	s_delay_alu instid0(VALU_DEP_2) | instskip(SKIP_1) | instid1(VALU_DEP_2)
	v_fmaak_f32 v37, v37, v38, 0x3f2aaada
	v_ldexp_f32 v38, v6, 1
	v_dual_sub_f32 v6, v6, v7 :: v_dual_mul_f32 v37, v39, v37
	v_mul_f32_e32 v39, 0x3f317218, v4
	s_delay_alu instid0(VALU_DEP_2) | instskip(NEXT) | instid1(VALU_DEP_3)
	v_sub_f32_e32 v5, v5, v6
	v_add_f32_e32 v7, v38, v37
	s_delay_alu instid0(VALU_DEP_2) | instskip(NEXT) | instid1(VALU_DEP_2)
	v_ldexp_f32 v5, v5, 1
	v_sub_f32_e32 v6, v7, v38
	v_fma_f32 v38, 0x3f317218, v4, -v39
	s_delay_alu instid0(VALU_DEP_2) | instskip(NEXT) | instid1(VALU_DEP_2)
	v_sub_f32_e32 v6, v37, v6
	v_fmac_f32_e32 v38, 0xb102e308, v4
	s_delay_alu instid0(VALU_DEP_2) | instskip(NEXT) | instid1(VALU_DEP_2)
	v_add_f32_e32 v4, v5, v6
	v_add_f32_e32 v5, v39, v38
	s_delay_alu instid0(VALU_DEP_1) | instskip(NEXT) | instid1(VALU_DEP_1)
	v_dual_add_f32 v6, v7, v4 :: v_dual_sub_f32 v39, v5, v39
	v_add_f32_e32 v37, v5, v6
	v_sub_f32_e32 v7, v6, v7
	s_delay_alu instid0(VALU_DEP_3) | instskip(NEXT) | instid1(VALU_DEP_3)
	v_sub_f32_e32 v38, v38, v39
	v_sub_f32_e32 v40, v37, v5
	s_delay_alu instid0(VALU_DEP_1) | instskip(SKIP_1) | instid1(VALU_DEP_2)
	v_dual_sub_f32 v4, v4, v7 :: v_dual_sub_f32 v41, v37, v40
	v_sub_f32_e32 v6, v6, v40
	v_add_f32_e32 v7, v38, v4
	s_delay_alu instid0(VALU_DEP_3) | instskip(NEXT) | instid1(VALU_DEP_1)
	v_sub_f32_e32 v5, v5, v41
	v_dual_add_f32 v5, v6, v5 :: v_dual_sub_f32 v6, v7, v38
	s_delay_alu instid0(VALU_DEP_1) | instskip(NEXT) | instid1(VALU_DEP_2)
	v_add_f32_e32 v5, v7, v5
	v_sub_f32_e32 v7, v7, v6
	s_delay_alu instid0(VALU_DEP_2) | instskip(NEXT) | instid1(VALU_DEP_1)
	v_dual_sub_f32 v4, v4, v6 :: v_dual_add_f32 v39, v37, v5
	v_dual_sub_f32 v7, v38, v7 :: v_dual_sub_f32 v6, v39, v37
	s_delay_alu instid0(VALU_DEP_1) | instskip(NEXT) | instid1(VALU_DEP_1)
	v_dual_add_f32 v4, v4, v7 :: v_dual_sub_f32 v5, v5, v6
	v_add_f32_e32 v4, v4, v5
	s_delay_alu instid0(VALU_DEP_1) | instskip(NEXT) | instid1(VALU_DEP_1)
	v_add_f32_e32 v4, v39, v4
	v_cndmask_b32_e32 v41, v4, v2, vcc_lo
.LBB96_32:                              ;   in Loop: Header=BB96_12 Depth=1
	s_or_b32 exec_lo, exec_lo, s17
	v_lshrrev_b32_e32 v2, 16, v3
	s_delay_alu instid0(VALU_DEP_1) | instskip(NEXT) | instid1(VALU_DEP_1)
	v_cvt_f32_f16_e32 v2, v2
	v_add_f32_e32 v42, s58, v2
	s_delay_alu instid0(VALU_DEP_1) | instskip(SKIP_1) | instid1(SALU_CYCLE_1)
	v_cmp_ge_f32_e32 vcc_lo, 0x41a00000, v42
	s_and_b32 s16, s62, vcc_lo
	s_and_saveexec_b32 s17, s16
	s_cbranch_execz .LBB96_34
; %bb.33:                               ;   in Loop: Header=BB96_12 Depth=1
	v_mul_f32_e32 v2, 0x3fb8aa3b, v42
	v_cmp_ngt_f32_e32 vcc_lo, 0xc2ce8ed0, v42
	s_delay_alu instid0(VALU_DEP_2) | instskip(SKIP_1) | instid1(VALU_DEP_2)
	v_rndne_f32_e32 v3, v2
	v_fma_f32 v4, 0x3fb8aa3b, v42, -v2
	v_sub_f32_e32 v2, v2, v3
	s_delay_alu instid0(VALU_DEP_2) | instskip(SKIP_1) | instid1(VALU_DEP_2)
	v_fmac_f32_e32 v4, 0x32a5705f, v42
	v_cvt_i32_f32_e32 v3, v3
	v_add_f32_e32 v2, v2, v4
	s_delay_alu instid0(VALU_DEP_1) | instskip(SKIP_2) | instid1(VALU_DEP_1)
	v_exp_f32_e32 v2, v2
	s_waitcnt_depctr 0xfff
	v_ldexp_f32 v2, v2, v3
	v_cndmask_b32_e32 v2, 0, v2, vcc_lo
	v_cmp_nlt_f32_e32 vcc_lo, 0x42b17218, v42
	s_delay_alu instid0(VALU_DEP_2) | instskip(NEXT) | instid1(VALU_DEP_1)
	v_cndmask_b32_e32 v4, 0x7f800000, v2, vcc_lo
	v_add_f32_e32 v5, 1.0, v4
	s_delay_alu instid0(VALU_DEP_1) | instskip(NEXT) | instid1(VALU_DEP_1)
	v_cvt_f64_f32_e32 v[2:3], v5
	v_frexp_exp_i32_f64_e32 v2, v[2:3]
	v_frexp_mant_f32_e32 v3, v5
	s_delay_alu instid0(VALU_DEP_1) | instskip(SKIP_1) | instid1(VALU_DEP_1)
	v_cmp_gt_f32_e32 vcc_lo, 0x3f2aaaab, v3
	v_add_f32_e32 v3, -1.0, v5
	v_sub_f32_e32 v7, v3, v5
	s_delay_alu instid0(VALU_DEP_1) | instskip(SKIP_1) | instid1(VALU_DEP_1)
	v_add_f32_e32 v7, 1.0, v7
	v_subrev_co_ci_u32_e32 v2, vcc_lo, 0, v2, vcc_lo
	v_sub_nc_u32_e32 v6, 0, v2
	v_cvt_f32_i32_e32 v2, v2
	s_delay_alu instid0(VALU_DEP_2) | instskip(NEXT) | instid1(VALU_DEP_1)
	v_ldexp_f32 v5, v5, v6
	v_add_f32_e32 v37, 1.0, v5
	v_sub_f32_e32 v3, v4, v3
	v_cmp_eq_f32_e32 vcc_lo, 0x7f800000, v4
	v_cmp_gt_f32_e64 s16, 0x33800000, v4
	s_delay_alu instid0(VALU_DEP_3) | instskip(NEXT) | instid1(VALU_DEP_2)
	v_add_f32_e32 v3, v3, v7
	s_or_b32 vcc_lo, s16, vcc_lo
	s_delay_alu instid0(VALU_DEP_1) | instskip(SKIP_1) | instid1(VALU_DEP_1)
	v_ldexp_f32 v3, v3, v6
	v_add_f32_e32 v6, -1.0, v5
	v_dual_add_f32 v7, -1.0, v37 :: v_dual_add_f32 v38, 1.0, v6
	s_delay_alu instid0(VALU_DEP_1) | instskip(NEXT) | instid1(VALU_DEP_2)
	v_sub_f32_e32 v7, v5, v7
	v_sub_f32_e32 v5, v5, v38
	s_delay_alu instid0(VALU_DEP_2) | instskip(NEXT) | instid1(VALU_DEP_1)
	v_add_f32_e32 v7, v3, v7
	v_dual_add_f32 v3, v3, v5 :: v_dual_add_f32 v38, v37, v7
	s_delay_alu instid0(VALU_DEP_1) | instskip(NEXT) | instid1(VALU_DEP_2)
	v_add_f32_e32 v39, v6, v3
	v_rcp_f32_e32 v5, v38
	s_delay_alu instid0(VALU_DEP_1) | instskip(NEXT) | instid1(VALU_DEP_1)
	v_dual_sub_f32 v37, v37, v38 :: v_dual_sub_f32 v6, v6, v39
	v_add_f32_e32 v3, v3, v6
	s_waitcnt_depctr 0xfff
	v_mul_f32_e32 v40, v39, v5
	s_delay_alu instid0(VALU_DEP_1) | instskip(NEXT) | instid1(VALU_DEP_1)
	v_dual_mul_f32 v42, v38, v40 :: v_dual_add_f32 v7, v7, v37
	v_fma_f32 v37, v40, v38, -v42
	s_delay_alu instid0(VALU_DEP_1) | instskip(NEXT) | instid1(VALU_DEP_1)
	v_fmac_f32_e32 v37, v40, v7
	v_add_f32_e32 v43, v42, v37
	s_delay_alu instid0(VALU_DEP_1) | instskip(SKIP_1) | instid1(VALU_DEP_1)
	v_sub_f32_e32 v6, v43, v42
	v_sub_f32_e32 v44, v39, v43
	v_dual_sub_f32 v6, v6, v37 :: v_dual_sub_f32 v39, v39, v44
	s_delay_alu instid0(VALU_DEP_1) | instskip(NEXT) | instid1(VALU_DEP_1)
	v_sub_f32_e32 v39, v39, v43
	v_add_f32_e32 v3, v3, v39
	s_delay_alu instid0(VALU_DEP_1) | instskip(NEXT) | instid1(VALU_DEP_1)
	v_add_f32_e32 v3, v6, v3
	v_add_f32_e32 v6, v44, v3
	s_delay_alu instid0(VALU_DEP_1) | instskip(SKIP_1) | instid1(VALU_DEP_2)
	v_mul_f32_e32 v37, v5, v6
	v_sub_f32_e32 v43, v44, v6
	v_mul_f32_e32 v39, v38, v37
	s_delay_alu instid0(VALU_DEP_2) | instskip(NEXT) | instid1(VALU_DEP_2)
	v_add_f32_e32 v3, v3, v43
	v_fma_f32 v38, v37, v38, -v39
	s_delay_alu instid0(VALU_DEP_1) | instskip(NEXT) | instid1(VALU_DEP_1)
	v_fmac_f32_e32 v38, v37, v7
	v_add_f32_e32 v7, v39, v38
	s_delay_alu instid0(VALU_DEP_1) | instskip(NEXT) | instid1(VALU_DEP_1)
	v_sub_f32_e32 v42, v6, v7
	v_dual_sub_f32 v39, v7, v39 :: v_dual_sub_f32 v6, v6, v42
	s_delay_alu instid0(VALU_DEP_1) | instskip(NEXT) | instid1(VALU_DEP_1)
	v_dual_sub_f32 v6, v6, v7 :: v_dual_sub_f32 v7, v39, v38
	v_dual_add_f32 v3, v3, v6 :: v_dual_add_f32 v6, v40, v37
	s_delay_alu instid0(VALU_DEP_1) | instskip(NEXT) | instid1(VALU_DEP_2)
	v_add_f32_e32 v3, v7, v3
	v_sub_f32_e32 v7, v6, v40
	s_delay_alu instid0(VALU_DEP_2) | instskip(NEXT) | instid1(VALU_DEP_2)
	v_add_f32_e32 v3, v42, v3
	v_sub_f32_e32 v7, v37, v7
	s_delay_alu instid0(VALU_DEP_2) | instskip(NEXT) | instid1(VALU_DEP_1)
	v_mul_f32_e32 v3, v5, v3
	v_add_f32_e32 v3, v7, v3
	s_delay_alu instid0(VALU_DEP_1) | instskip(NEXT) | instid1(VALU_DEP_1)
	v_add_f32_e32 v5, v6, v3
	v_mul_f32_e32 v7, v5, v5
	s_delay_alu instid0(VALU_DEP_1) | instskip(NEXT) | instid1(VALU_DEP_1)
	v_fmaak_f32 v37, s42, v7, 0x3ecc95a3
	v_dual_mul_f32 v38, v5, v7 :: v_dual_fmaak_f32 v7, v7, v37, 0x3f2aaada
	v_ldexp_f32 v37, v5, 1
	v_sub_f32_e32 v5, v5, v6
	s_delay_alu instid0(VALU_DEP_3) | instskip(NEXT) | instid1(VALU_DEP_1)
	v_dual_mul_f32 v7, v38, v7 :: v_dual_mul_f32 v38, 0x3f317218, v2
	v_dual_sub_f32 v3, v3, v5 :: v_dual_add_f32 v6, v37, v7
	s_delay_alu instid0(VALU_DEP_1) | instskip(NEXT) | instid1(VALU_DEP_2)
	v_ldexp_f32 v3, v3, 1
	v_sub_f32_e32 v5, v6, v37
	s_delay_alu instid0(VALU_DEP_4) | instskip(NEXT) | instid1(VALU_DEP_2)
	v_fma_f32 v37, 0x3f317218, v2, -v38
	v_sub_f32_e32 v5, v7, v5
	s_delay_alu instid0(VALU_DEP_1) | instskip(NEXT) | instid1(VALU_DEP_1)
	v_dual_fmac_f32 v37, 0xb102e308, v2 :: v_dual_add_f32 v2, v3, v5
	v_add_f32_e32 v3, v38, v37
	s_delay_alu instid0(VALU_DEP_2) | instskip(NEXT) | instid1(VALU_DEP_2)
	v_add_f32_e32 v5, v6, v2
	v_sub_f32_e32 v38, v3, v38
	s_delay_alu instid0(VALU_DEP_2) | instskip(NEXT) | instid1(VALU_DEP_2)
	v_dual_add_f32 v7, v3, v5 :: v_dual_sub_f32 v6, v5, v6
	v_sub_f32_e32 v37, v37, v38
	s_delay_alu instid0(VALU_DEP_2) | instskip(NEXT) | instid1(VALU_DEP_1)
	v_dual_sub_f32 v39, v7, v3 :: v_dual_sub_f32 v2, v2, v6
	v_sub_f32_e32 v40, v7, v39
	v_sub_f32_e32 v5, v5, v39
	s_delay_alu instid0(VALU_DEP_2) | instskip(NEXT) | instid1(VALU_DEP_1)
	v_dual_add_f32 v6, v37, v2 :: v_dual_sub_f32 v3, v3, v40
	v_add_f32_e32 v3, v5, v3
	s_delay_alu instid0(VALU_DEP_2) | instskip(NEXT) | instid1(VALU_DEP_2)
	v_sub_f32_e32 v5, v6, v37
	v_add_f32_e32 v3, v6, v3
	s_delay_alu instid0(VALU_DEP_2) | instskip(SKIP_1) | instid1(VALU_DEP_3)
	v_sub_f32_e32 v6, v6, v5
	v_sub_f32_e32 v2, v2, v5
	v_add_f32_e32 v38, v7, v3
	s_delay_alu instid0(VALU_DEP_1) | instskip(NEXT) | instid1(VALU_DEP_1)
	v_dual_sub_f32 v6, v37, v6 :: v_dual_sub_f32 v5, v38, v7
	v_dual_add_f32 v2, v2, v6 :: v_dual_sub_f32 v3, v3, v5
	s_delay_alu instid0(VALU_DEP_1) | instskip(NEXT) | instid1(VALU_DEP_1)
	v_add_f32_e32 v2, v2, v3
	v_add_f32_e32 v2, v38, v2
	s_delay_alu instid0(VALU_DEP_1)
	v_cndmask_b32_e32 v42, v2, v4, vcc_lo
.LBB96_34:                              ;   in Loop: Header=BB96_12 Depth=1
	s_or_b32 exec_lo, exec_lo, s17
	v_lshrrev_b32_e32 v2, 16, v0
	v_lshrrev_b32_e32 v3, 16, v1
	v_cvt_f32_f16_e32 v1, v1
	v_cvt_f32_f16_e32 v0, v0
	s_and_b32 vcc_lo, exec_lo, s63
	v_cvt_f32_f16_e32 v2, v2
	v_cvt_f32_f16_e32 v3, v3
	v_mul_f32_e32 v38, s59, v1
	v_mul_f32_e32 v40, s59, v0
	s_delay_alu instid0(VALU_DEP_4) | instskip(NEXT) | instid1(VALU_DEP_4)
	v_mul_f32_e32 v37, s59, v2
	v_mul_f32_e32 v39, s59, v3
	s_barrier
	buffer_gl0_inv
	s_cbranch_vccz .LBB96_82
; %bb.35:                               ;   in Loop: Header=BB96_12 Depth=1
	v_dual_mul_f32 v43, v42, v3 :: v_dual_mul_f32 v48, v41, v1
	v_add_co_u32 v3, s16, s47, v33
	s_delay_alu instid0(VALU_DEP_1) | instskip(SKIP_1) | instid1(VALU_DEP_1)
	v_add_co_ci_u32_e64 v4, null, s49, 0, s16
	v_add_co_u32 v5, s16, s51, v33
	v_add_co_ci_u32_e64 v6, null, s60, 0, s16
	s_delay_alu instid0(VALU_DEP_4) | instskip(NEXT) | instid1(VALU_DEP_4)
	v_add_co_u32 v44, vcc_lo, v3, v34
	v_add_co_ci_u32_e32 v45, vcc_lo, 0, v4, vcc_lo
	s_delay_alu instid0(VALU_DEP_4) | instskip(NEXT) | instid1(VALU_DEP_4)
	v_add_co_u32 v46, vcc_lo, v5, v34
	v_add_co_ci_u32_e32 v47, vcc_lo, 0, v6, vcc_lo
	v_cmp_gt_u32_e32 vcc_lo, s19, v8
	v_cmp_gt_u32_e64 s17, s19, v30
	v_cmp_gt_u32_e64 s18, s19, v31
	;; [unrolled: 1-line block ×3, first 2 shown]
	s_cmp_lg_u32 s56, 0
	v_dual_mul_f32 v49, v36, v2 :: v_dual_mul_f32 v50, v35, v0
	s_mov_b32 s28, 0
	s_cselect_b32 s25, -1, 0
	s_cmp_eq_u32 s56, s65
	s_mov_b32 s26, s28
	s_cselect_b32 s57, -1, 0
	s_or_b32 s16, s64, vcc_lo
	s_or_b32 s17, s64, s17
	s_or_b32 s18, s64, s18
	;; [unrolled: 1-line block ×3, first 2 shown]
	s_mov_b32 s30, s28
	s_mov_b32 s34, s28
	;; [unrolled: 1-line block ×4, first 2 shown]
	s_branch .LBB96_37
.LBB96_36:                              ;   in Loop: Header=BB96_37 Depth=2
	s_or_b32 exec_lo, exec_lo, s20
	v_cndmask_b32_e64 v2, v60, v7, s11
	v_cndmask_b32_e64 v3, v59, v6, s11
	s_add_i32 s66, s66, -1
	s_add_i32 s67, s67, 8
	s_add_i32 s34, s34, s50
	v_fma_f32 v2, v2, v56, v53
	v_mul_f32_e32 v3, v3, v56
	s_add_i32 s30, s30, s36
	s_add_i32 s26, s26, s48
	;; [unrolled: 1-line block ×3, first 2 shown]
	v_cndmask_b32_e64 v2, v2, v53, s10
	v_cndmask_b32_e64 v3, v3, v56, s10
	s_cmp_eq_u32 s66, 0
	s_waitcnt lgkmcnt(0)
	s_delay_alu instid0(VALU_DEP_1) | instskip(NEXT) | instid1(VALU_DEP_1)
	v_fmac_f32_e32 v2, v4, v3
	v_fmac_f32_e32 v51, v2, v57
	v_fma_mix_f32 v40, v2, v0, v40 op_sel_hi:[0,1,0]
	s_delay_alu instid0(VALU_DEP_2) | instskip(SKIP_1) | instid1(VALU_DEP_2)
	v_fmac_f32_e32 v52, v51, v58
	v_fma_mix_f32 v37, v51, v0, v37 op_sel:[0,1,0] op_sel_hi:[0,1,0]
	v_fmac_f32_e32 v54, v52, v55
	v_fma_mix_f32 v38, v52, v1, v38 op_sel_hi:[0,1,0]
	s_delay_alu instid0(VALU_DEP_2)
	v_fma_mix_f32 v39, v54, v1, v39 op_sel:[0,1,0] op_sel_hi:[0,1,0]
	s_cbranch_scc1 .LBB96_82
.LBB96_37:                              ;   Parent Loop BB96_12 Depth=1
                                        ; =>  This Inner Loop Header: Depth=2
	s_lshl_b64 s[20:21], s[28:29], 2
	s_mov_b32 s27, s29
	s_add_u32 s20, s44, s20
	s_addc_u32 s21, s46, s21
	v_dual_mov_b32 v2, 0 :: v_dual_mov_b32 v3, 0
	global_load_b32 v6, v12, s[20:21]
	s_lshl_b64 s[20:21], s[26:27], 1
	s_delay_alu instid0(SALU_CYCLE_1)
	v_add_co_u32 v0, vcc_lo, v44, s20
	v_add_co_ci_u32_e32 v1, vcc_lo, s21, v45, vcc_lo
	s_and_saveexec_b32 s20, s12
	s_cbranch_execnz .LBB96_49
; %bb.38:                               ;   in Loop: Header=BB96_37 Depth=2
	s_or_b32 exec_lo, exec_lo, s20
	s_and_saveexec_b32 s20, s13
	s_cbranch_execnz .LBB96_50
.LBB96_39:                              ;   in Loop: Header=BB96_37 Depth=2
	s_or_b32 exec_lo, exec_lo, s20
	v_mov_b32_e32 v4, 0
	s_and_saveexec_b32 s20, s14
	s_cbranch_execnz .LBB96_51
.LBB96_40:                              ;   in Loop: Header=BB96_37 Depth=2
	s_or_b32 exec_lo, exec_lo, s20
	s_and_saveexec_b32 s20, s15
	s_cbranch_execz .LBB96_42
.LBB96_41:                              ;   in Loop: Header=BB96_37 Depth=2
	global_load_u16 v0, v[0:1], off offset:192
	s_waitcnt vmcnt(0)
	v_lshl_or_b32 v4, v0, 16, v4
.LBB96_42:                              ;   in Loop: Header=BB96_37 Depth=2
	s_or_b32 exec_lo, exec_lo, s20
	s_waitcnt vmcnt(0)
	ds_store_b16 v14, v3
	ds_store_b16 v14, v2 offset:64
	ds_store_b16 v15, v4 offset:128
	ds_store_b16_d16_hi v16, v4 offset:192
	; wave barrier
	ds_load_b64 v[4:5], v17
	s_mov_b32 s31, s29
	v_dual_mov_b32 v2, 0 :: v_dual_mov_b32 v3, 0
	s_lshl_b64 s[20:21], s[30:31], 1
	s_delay_alu instid0(SALU_CYCLE_1)
	v_add_co_u32 v0, vcc_lo, v46, s20
	v_add_co_ci_u32_e32 v1, vcc_lo, s21, v47, vcc_lo
	s_and_saveexec_b32 s20, s12
	s_cbranch_execnz .LBB96_52
; %bb.43:                               ;   in Loop: Header=BB96_37 Depth=2
	s_or_b32 exec_lo, exec_lo, s20
	s_and_saveexec_b32 s20, s13
	s_cbranch_execnz .LBB96_53
.LBB96_44:                              ;   in Loop: Header=BB96_37 Depth=2
	s_or_b32 exec_lo, exec_lo, s20
	v_mov_b32_e32 v7, 0
	s_and_saveexec_b32 s20, s14
	s_cbranch_execnz .LBB96_54
.LBB96_45:                              ;   in Loop: Header=BB96_37 Depth=2
	s_or_b32 exec_lo, exec_lo, s20
	s_and_saveexec_b32 s20, s15
	s_cbranch_execz .LBB96_47
.LBB96_46:                              ;   in Loop: Header=BB96_37 Depth=2
	global_load_u16 v0, v[0:1], off offset:192
	s_waitcnt vmcnt(0)
	v_lshl_or_b32 v7, v0, 16, v7
.LBB96_47:                              ;   in Loop: Header=BB96_37 Depth=2
	s_or_b32 exec_lo, exec_lo, s20
	s_waitcnt vmcnt(0)
	ds_store_b16 v14, v3 offset:528
	ds_store_b16 v18, v2 offset:64
	;; [unrolled: 1-line block ×3, first 2 shown]
	ds_store_b16_d16_hi v20, v7 offset:192
	; wave barrier
	ds_load_b64 v[0:1], v17 offset:528
	s_and_not1_b32 vcc_lo, exec_lo, s25
	s_cbranch_vccnz .LBB96_55
; %bb.48:                               ;   in Loop: Header=BB96_37 Depth=2
	v_mov_b32_e32 v2, s67
	ds_load_b64 v[2:3], v2
	s_cbranch_execz .LBB96_56
	s_branch .LBB96_59
.LBB96_49:                              ;   in Loop: Header=BB96_37 Depth=2
	global_load_u16 v3, v[0:1], off
	s_or_b32 exec_lo, exec_lo, s20
	s_and_saveexec_b32 s20, s13
	s_cbranch_execz .LBB96_39
.LBB96_50:                              ;   in Loop: Header=BB96_37 Depth=2
	global_load_u16 v2, v[0:1], off offset:64
	s_or_b32 exec_lo, exec_lo, s20
	v_mov_b32_e32 v4, 0
	s_and_saveexec_b32 s20, s14
	s_cbranch_execz .LBB96_40
.LBB96_51:                              ;   in Loop: Header=BB96_37 Depth=2
	global_load_u16 v4, v[0:1], off offset:128
	s_or_b32 exec_lo, exec_lo, s20
	s_and_saveexec_b32 s20, s15
	s_cbranch_execnz .LBB96_41
	s_branch .LBB96_42
.LBB96_52:                              ;   in Loop: Header=BB96_37 Depth=2
	global_load_u16 v3, v[0:1], off
	s_or_b32 exec_lo, exec_lo, s20
	s_and_saveexec_b32 s20, s13
	s_cbranch_execz .LBB96_44
.LBB96_53:                              ;   in Loop: Header=BB96_37 Depth=2
	global_load_u16 v2, v[0:1], off offset:64
	s_or_b32 exec_lo, exec_lo, s20
	v_mov_b32_e32 v7, 0
	s_and_saveexec_b32 s20, s14
	s_cbranch_execz .LBB96_45
.LBB96_54:                              ;   in Loop: Header=BB96_37 Depth=2
	global_load_u16 v7, v[0:1], off offset:128
	s_or_b32 exec_lo, exec_lo, s20
	s_and_saveexec_b32 s20, s15
	s_cbranch_execnz .LBB96_46
	s_branch .LBB96_47
.LBB96_55:                              ;   in Loop: Header=BB96_37 Depth=2
                                        ; implicit-def: $vgpr2
.LBB96_56:                              ;   in Loop: Header=BB96_37 Depth=2
	s_waitcnt lgkmcnt(0)
	v_mov_b32_e32 v3, 0
	s_and_not1_b32 vcc_lo, exec_lo, s33
	s_cbranch_vccnz .LBB96_58
; %bb.57:                               ;   in Loop: Header=BB96_37 Depth=2
	s_mov_b32 s35, s29
	s_delay_alu instid0(SALU_CYCLE_1) | instskip(NEXT) | instid1(SALU_CYCLE_1)
	s_lshl_b64 s[20:21], s[34:35], 2
	s_add_u32 s20, s52, s20
	s_addc_u32 s21, s53, s21
	global_load_b32 v3, v12, s[20:21]
.LBB96_58:                              ;   in Loop: Header=BB96_37 Depth=2
	v_mov_b32_e32 v2, 1.0
.LBB96_59:                              ;   in Loop: Header=BB96_37 Depth=2
	s_waitcnt lgkmcnt(5)
	v_lshrrev_b32_e32 v7, 16, v4
	v_lshrrev_b32_e32 v51, 16, v5
	v_cvt_f32_f16_e32 v5, v5
	v_cvt_f32_f16_e32 v4, v4
	s_delay_alu instid0(VALU_DEP_4) | instskip(SKIP_2) | instid1(VALU_DEP_4)
	v_cvt_f32_f16_e32 v7, v7
	v_mul_f32_e32 v6, 0x3fb8aa3b, v6
	v_cvt_f32_f16_e32 v55, v51
	v_dual_mul_f32 v4, v50, v4 :: v_dual_mul_f32 v5, v48, v5
	s_delay_alu instid0(VALU_DEP_4) | instskip(NEXT) | instid1(VALU_DEP_4)
	v_mul_f32_e32 v7, v49, v7
	v_mul_f32_e32 v52, v6, v35
	s_delay_alu instid0(VALU_DEP_1) | instskip(SKIP_2) | instid1(VALU_DEP_2)
	v_cmp_gt_f32_e32 vcc_lo, 0xc2fc0000, v52
	v_cndmask_b32_e64 v52, 0, 0x42800000, vcc_lo
	v_cndmask_b32_e64 v57, 1.0, 0x1f800000, vcc_lo
	v_fmac_f32_e32 v52, v6, v35
	s_delay_alu instid0(VALU_DEP_1) | instskip(SKIP_2) | instid1(VALU_DEP_1)
	v_exp_f32_e32 v52, v52
	s_waitcnt_depctr 0xfff
	v_dual_mul_f32 v53, v6, v36 :: v_dual_mul_f32 v52, v52, v57
	v_cmp_gt_f32_e64 s20, 0xc2fc0000, v53
	v_mul_f32_e32 v53, v6, v42
	s_delay_alu instid0(VALU_DEP_2) | instskip(NEXT) | instid1(VALU_DEP_2)
	v_cndmask_b32_e64 v51, 0, 0x42800000, s20
	v_cmp_gt_f32_e64 s22, 0xc2fc0000, v53
	v_cndmask_b32_e64 v53, 0, v4, s16
	s_delay_alu instid0(VALU_DEP_2) | instskip(NEXT) | instid1(VALU_DEP_1)
	v_cndmask_b32_e64 v56, 0, 0x42800000, s22
	v_fmac_f32_e32 v56, v6, v42
	s_delay_alu instid0(VALU_DEP_1) | instskip(SKIP_3) | instid1(VALU_DEP_3)
	v_exp_f32_e32 v59, v56
	v_mul_f32_e32 v54, v6, v41
	v_cndmask_b32_e64 v56, 1.0, v52, s16
	v_cndmask_b32_e64 v52, 0, v5, s18
	v_cmp_gt_f32_e64 s21, 0xc2fc0000, v54
	s_delay_alu instid0(VALU_DEP_1) | instskip(NEXT) | instid1(VALU_DEP_1)
	v_cndmask_b32_e64 v54, 0, 0x42800000, s21
	v_fmac_f32_e32 v54, v6, v41
	s_delay_alu instid0(VALU_DEP_1)
	v_exp_f32_e32 v4, v54
	v_cndmask_b32_e64 v54, 1.0, 0x1f800000, s21
	v_fmac_f32_e32 v51, v6, v36
	v_cndmask_b32_e64 v6, 1.0, 0x1f800000, s20
	s_waitcnt_depctr 0xfff
	v_mul_f32_e32 v4, v4, v54
	v_exp_f32_e32 v51, v51
	s_delay_alu instid0(VALU_DEP_1)
	v_cndmask_b32_e64 v58, 1.0, v4, s18
	v_mul_f32_e32 v4, v43, v55
	s_waitcnt_depctr 0xfff
	v_mul_f32_e32 v6, v51, v6
	v_cndmask_b32_e64 v51, 0, v7, s17
	v_cndmask_b32_e64 v7, 1.0, 0x1f800000, s22
	v_cndmask_b32_e64 v54, 0, v4, s19
	s_delay_alu instid0(VALU_DEP_4) | instskip(NEXT) | instid1(VALU_DEP_1)
	v_cndmask_b32_e64 v57, 1.0, v6, s17
	v_dual_mul_f32 v5, v59, v7 :: v_dual_mul_f32 v6, v57, v56
	v_fma_f32 v7, v57, v53, v51
	s_delay_alu instid0(VALU_DEP_2) | instskip(NEXT) | instid1(VALU_DEP_3)
	v_cndmask_b32_e64 v55, 1.0, v5, s19
	v_mul_f32_e32 v4, v6, v58
	s_delay_alu instid0(VALU_DEP_3) | instskip(NEXT) | instid1(VALU_DEP_2)
	v_fma_f32 v5, v7, v58, v52
	v_mul_f32_e32 v4, v4, v55
	s_delay_alu instid0(VALU_DEP_2) | instskip(NEXT) | instid1(VALU_DEP_2)
	v_fma_f32 v5, v5, v55, v54
	v_mov_b32_dpp v7, v4 row_shr:1 row_mask:0xf bank_mask:0xf
	s_delay_alu instid0(VALU_DEP_2)
	v_mov_b32_dpp v6, v5 row_shr:1 row_mask:0xf bank_mask:0xf
	s_and_saveexec_b32 s20, s0
; %bb.60:                               ;   in Loop: Header=BB96_37 Depth=2
	s_delay_alu instid0(VALU_DEP_2) | instskip(NEXT) | instid1(VALU_DEP_1)
	v_mul_f32_e32 v7, v4, v7
	v_dual_fmac_f32 v5, v4, v6 :: v_dual_mov_b32 v4, v7
; %bb.61:                               ;   in Loop: Header=BB96_37 Depth=2
	s_or_b32 exec_lo, exec_lo, s20
	s_delay_alu instid0(VALU_DEP_1) | instskip(NEXT) | instid1(VALU_DEP_2)
	v_mov_b32_dpp v6, v4 row_shr:2 row_mask:0xf bank_mask:0xf
	v_mov_b32_dpp v7, v5 row_shr:2 row_mask:0xf bank_mask:0xf
	s_and_saveexec_b32 s20, s1
; %bb.62:                               ;   in Loop: Header=BB96_37 Depth=2
	s_delay_alu instid0(VALU_DEP_1) | instskip(NEXT) | instid1(VALU_DEP_3)
	v_fmac_f32_e32 v5, v4, v7
	v_mul_f32_e32 v4, v4, v6
; %bb.63:                               ;   in Loop: Header=BB96_37 Depth=2
	s_or_b32 exec_lo, exec_lo, s20
	s_delay_alu instid0(VALU_DEP_1) | instskip(NEXT) | instid1(VALU_DEP_3)
	v_mov_b32_dpp v6, v4 row_shr:4 row_mask:0xf bank_mask:0xf
	v_mov_b32_dpp v7, v5 row_shr:4 row_mask:0xf bank_mask:0xf
	s_and_saveexec_b32 s20, s2
; %bb.64:                               ;   in Loop: Header=BB96_37 Depth=2
	s_delay_alu instid0(VALU_DEP_1) | instskip(NEXT) | instid1(VALU_DEP_3)
	v_fmac_f32_e32 v5, v4, v7
	v_mul_f32_e32 v4, v4, v6
; %bb.65:                               ;   in Loop: Header=BB96_37 Depth=2
	s_or_b32 exec_lo, exec_lo, s20
	s_delay_alu instid0(VALU_DEP_1) | instskip(NEXT) | instid1(VALU_DEP_3)
	v_mov_b32_dpp v6, v4 row_shr:8 row_mask:0xf bank_mask:0xf
	v_mov_b32_dpp v7, v5 row_shr:8 row_mask:0xf bank_mask:0xf
	s_and_saveexec_b32 s20, s3
; %bb.66:                               ;   in Loop: Header=BB96_37 Depth=2
	s_delay_alu instid0(VALU_DEP_1) | instskip(NEXT) | instid1(VALU_DEP_3)
	v_fmac_f32_e32 v5, v4, v7
	v_mul_f32_e32 v4, v4, v6
; %bb.67:                               ;   in Loop: Header=BB96_37 Depth=2
	s_or_b32 exec_lo, exec_lo, s20
	ds_swizzle_b32 v7, v4 offset:swizzle(BROADCAST,32,15)
	ds_swizzle_b32 v6, v5 offset:swizzle(BROADCAST,32,15)
	s_and_saveexec_b32 s20, s4
	s_cbranch_execz .LBB96_69
; %bb.68:                               ;   in Loop: Header=BB96_37 Depth=2
	s_waitcnt lgkmcnt(1)
	v_mul_f32_e32 v7, v4, v7
	s_waitcnt lgkmcnt(0)
	s_delay_alu instid0(VALU_DEP_1)
	v_dual_fmac_f32 v5, v4, v6 :: v_dual_mov_b32 v4, v7
.LBB96_69:                              ;   in Loop: Header=BB96_37 Depth=2
	s_or_b32 exec_lo, exec_lo, s20
	s_and_saveexec_b32 s20, s5
	s_cbranch_execz .LBB96_71
; %bb.70:                               ;   in Loop: Header=BB96_37 Depth=2
	ds_store_b64 v21, v[4:5] offset:1056
.LBB96_71:                              ;   in Loop: Header=BB96_37 Depth=2
	s_or_b32 exec_lo, exec_lo, s20
	s_waitcnt vmcnt(0) lgkmcnt(0)
	s_waitcnt_vscnt null, 0x0
	s_barrier
	buffer_gl0_inv
	s_and_saveexec_b32 s20, s6
	s_cbranch_execz .LBB96_73
; %bb.72:                               ;   in Loop: Header=BB96_37 Depth=2
	ds_load_b64 v[6:7], v22 offset:1056
	s_waitcnt lgkmcnt(0)
	v_mov_b32_dpp v59, v6 row_shr:1 row_mask:0xf bank_mask:0xf
	v_mov_b32_dpp v60, v7 row_shr:1 row_mask:0xf bank_mask:0xf
	s_delay_alu instid0(VALU_DEP_2) | instskip(NEXT) | instid1(VALU_DEP_2)
	v_mul_f32_e32 v59, v6, v59
	v_fma_f32 v60, v6, v60, v7
	s_delay_alu instid0(VALU_DEP_2) | instskip(NEXT) | instid1(VALU_DEP_2)
	v_cndmask_b32_e64 v6, v59, v6, s7
	v_cndmask_b32_e64 v7, v60, v7, s7
	ds_store_b64 v22, v[6:7] offset:1056
.LBB96_73:                              ;   in Loop: Header=BB96_37 Depth=2
	s_or_b32 exec_lo, exec_lo, s20
	s_waitcnt lgkmcnt(0)
	s_barrier
	buffer_gl0_inv
                                        ; implicit-def: $vgpr7
	s_and_saveexec_b32 s20, s9
	s_cbranch_execz .LBB96_75
; %bb.74:                               ;   in Loop: Header=BB96_37 Depth=2
	ds_load_b64 v[6:7], v21 offset:1048
	s_waitcnt lgkmcnt(0)
	v_mul_f32_e32 v59, v4, v6
	s_delay_alu instid0(VALU_DEP_1)
	v_dual_fmac_f32 v5, v4, v7 :: v_dual_mov_b32 v4, v59
.LBB96_75:                              ;   in Loop: Header=BB96_37 Depth=2
	s_or_b32 exec_lo, exec_lo, s20
	ds_bpermute_b32 v59, v23, v4
	ds_bpermute_b32 v60, v23, v5
	s_and_saveexec_b32 s20, s8
	s_cbranch_execz .LBB96_79
; %bb.76:                               ;   in Loop: Header=BB96_37 Depth=2
	ds_load_b64 v[4:5], v12 offset:1064
	s_and_saveexec_b32 s21, s10
	s_cbranch_execz .LBB96_78
; %bb.77:                               ;   in Loop: Header=BB96_37 Depth=2
	ds_store_b64 v12, v[2:3] offset:1064
.LBB96_78:                              ;   in Loop: Header=BB96_37 Depth=2
	s_or_b32 exec_lo, exec_lo, s21
	s_waitcnt lgkmcnt(0)
	v_fmac_f32_e32 v5, v3, v4
	s_delay_alu instid0(VALU_DEP_1)
	v_dual_mul_f32 v2, v2, v4 :: v_dual_mov_b32 v3, v5
.LBB96_79:                              ;   in Loop: Header=BB96_37 Depth=2
	s_or_b32 exec_lo, exec_lo, s20
	s_waitcnt lgkmcnt(0)
	s_barrier
	buffer_gl0_inv
	ds_load_b32 v4, v12 offset:1068
	s_and_saveexec_b32 s20, s10
	s_cbranch_execz .LBB96_36
; %bb.80:                               ;   in Loop: Header=BB96_37 Depth=2
	v_mov_b32_e32 v5, s67
	s_and_not1_b32 vcc_lo, exec_lo, s57
	ds_store_b64 v5, v[2:3]
	s_cbranch_vccnz .LBB96_36
; %bb.81:                               ;   in Loop: Header=BB96_37 Depth=2
	s_mov_b32 s35, s29
	s_delay_alu instid0(SALU_CYCLE_1) | instskip(NEXT) | instid1(SALU_CYCLE_1)
	s_lshl_b64 s[68:69], s[34:35], 2
	s_add_u32 s68, s52, s68
	s_addc_u32 s69, s53, s69
	global_store_b32 v12, v3, s[68:69]
	s_branch .LBB96_36
.LBB96_82:                              ;   in Loop: Header=BB96_12 Depth=1
	v_cvt_f16_f32_e32 v0, v40
	s_delay_alu instid0(VALU_DEP_3) | instskip(NEXT) | instid1(VALU_DEP_3)
	v_cvt_f16_f32_e32 v1, v38
	v_cvt_f16_f32_e32 v2, v39
	;; [unrolled: 1-line block ×3, first 2 shown]
	s_waitcnt_vscnt null, 0x0
	s_barrier
	buffer_gl0_inv
	v_pack_b32_f16 v1, v1, v2
	v_pack_b32_f16 v0, v0, v3
	s_mov_b32 s25, s29
	s_delay_alu instid0(SALU_CYCLE_1)
	s_lshl_b64 s[20:21], s[24:25], 1
	ds_store_b64 v17, v[0:1]
	; wave barrier
	ds_load_u16 v4, v14 offset:64
	ds_load_u16 v3, v15 offset:128
	;; [unrolled: 1-line block ×3, first 2 shown]
	v_add_co_u32 v0, vcc_lo, v24, s20
	v_add_co_ci_u32_e32 v1, vcc_lo, s21, v25, vcc_lo
	s_and_saveexec_b32 s16, s12
	s_cbranch_execnz .LBB96_101
; %bb.83:                               ;   in Loop: Header=BB96_12 Depth=1
	s_or_b32 exec_lo, exec_lo, s16
	s_and_saveexec_b32 s16, s13
	s_cbranch_execnz .LBB96_102
.LBB96_84:                              ;   in Loop: Header=BB96_12 Depth=1
	s_or_b32 exec_lo, exec_lo, s16
	s_and_saveexec_b32 s16, s14
	s_cbranch_execnz .LBB96_103
.LBB96_85:                              ;   in Loop: Header=BB96_12 Depth=1
	s_or_b32 exec_lo, exec_lo, s16
	s_and_saveexec_b32 s16, s15
	s_cbranch_execz .LBB96_87
.LBB96_86:                              ;   in Loop: Header=BB96_12 Depth=1
	s_waitcnt lgkmcnt(0)
	global_store_b16 v[0:1], v2, off offset:192
.LBB96_87:                              ;   in Loop: Header=BB96_12 Depth=1
	s_or_b32 exec_lo, exec_lo, s16
	v_add_co_u32 v0, vcc_lo, v26, s20
	v_add_co_ci_u32_e32 v1, vcc_lo, s21, v27, vcc_lo
	s_waitcnt lgkmcnt(0)
	v_dual_mov_b32 v2, 0 :: v_dual_mov_b32 v3, 0
	s_waitcnt_vscnt null, 0x0
	s_barrier
	buffer_gl0_inv
	s_and_saveexec_b32 s16, s12
	s_cbranch_execz .LBB96_89
; %bb.88:                               ;   in Loop: Header=BB96_12 Depth=1
	global_load_u16 v3, v[0:1], off
.LBB96_89:                              ;   in Loop: Header=BB96_12 Depth=1
	s_or_b32 exec_lo, exec_lo, s16
	s_and_saveexec_b32 s16, s13
	s_cbranch_execz .LBB96_91
; %bb.90:                               ;   in Loop: Header=BB96_12 Depth=1
	global_load_u16 v2, v[0:1], off offset:64
.LBB96_91:                              ;   in Loop: Header=BB96_12 Depth=1
	s_or_b32 exec_lo, exec_lo, s16
	v_dual_mov_b32 v4, 0 :: v_dual_mov_b32 v5, 0
	s_and_saveexec_b32 s16, s14
	s_cbranch_execz .LBB96_93
; %bb.92:                               ;   in Loop: Header=BB96_12 Depth=1
	global_load_u16 v5, v[0:1], off offset:128
.LBB96_93:                              ;   in Loop: Header=BB96_12 Depth=1
	s_or_b32 exec_lo, exec_lo, s16
	s_and_saveexec_b32 s16, s15
	s_cbranch_execz .LBB96_95
; %bb.94:                               ;   in Loop: Header=BB96_12 Depth=1
	global_load_u16 v4, v[0:1], off offset:192
.LBB96_95:                              ;   in Loop: Header=BB96_12 Depth=1
	s_or_b32 exec_lo, exec_lo, s16
	s_waitcnt vmcnt(0)
	ds_store_b16 v14, v3
	ds_store_b16 v14, v2 offset:64
	ds_store_b16 v15, v5 offset:128
	ds_store_b16 v16, v4 offset:192
	; wave barrier
	ds_load_b64 v[0:1], v17
	s_waitcnt lgkmcnt(0)
	s_barrier
	buffer_gl0_inv
	v_cvt_f32_f16_e32 v3, v0
	v_lshrrev_b32_e32 v2, 16, v0
	v_cvt_f32_f16_e32 v5, v1
	v_lshrrev_b32_e32 v4, 16, v1
	s_delay_alu instid0(VALU_DEP_4) | instskip(NEXT) | instid1(VALU_DEP_4)
	v_mul_f32_e32 v6, 0xbfb8aa3b, v3
	v_cvt_f32_f16_e32 v2, v2
	s_delay_alu instid0(VALU_DEP_4) | instskip(NEXT) | instid1(VALU_DEP_4)
	v_mul_f32_e32 v7, 0xbfb8aa3b, v5
	v_cvt_f32_f16_e32 v4, v4
	v_cmp_nlt_f32_e32 vcc_lo, 0x42ce8ed0, v3
	v_rndne_f32_e32 v36, v6
	v_fma_mix_f32 v41, v0, s54, -v6 op_sel_hi:[1,0,0]
	s_delay_alu instid0(VALU_DEP_4)
	v_dual_mul_f32 v35, 0xbfb8aa3b, v2 :: v_dual_mul_f32 v42, 0xbfb8aa3b, v4
	v_rndne_f32_e32 v43, v7
	v_fma_mix_f32 v44, v1, s54, -v7 op_sel_hi:[1,0,0]
	v_sub_f32_e32 v6, v6, v36
	v_fma_mix_f32 v41, v0, s55, v41 op_sel_hi:[1,0,0]
	v_rndne_f32_e32 v45, v35
	v_sub_f32_e32 v7, v7, v43
	v_fma_mix_f32 v46, v0, s54, -v35 op_sel:[1,0,0] op_sel_hi:[1,0,0]
	v_fma_mix_f32 v44, v1, s55, v44 op_sel_hi:[1,0,0]
	v_add_f32_e32 v6, v6, v41
	v_rndne_f32_e32 v47, v42
	v_sub_f32_e32 v35, v35, v45
	v_fma_mix_f32 v0, v0, s55, v46 op_sel:[1,0,0] op_sel_hi:[1,0,0]
	v_add_f32_e32 v7, v7, v44
	v_exp_f32_e32 v6, v6
	v_sub_f32_e32 v41, v42, v47
	v_fma_mix_f32 v48, v1, s54, -v42 op_sel:[1,0,0] op_sel_hi:[1,0,0]
	v_add_f32_e32 v0, v35, v0
	v_exp_f32_e32 v7, v7
	v_cvt_i32_f32_e32 v35, v36
	v_cvt_i32_f32_e32 v36, v43
	v_fma_mix_f32 v1, v1, s55, v48 op_sel:[1,0,0] op_sel_hi:[1,0,0]
	v_exp_f32_e32 v0, v0
	s_delay_alu instid0(TRANS32_DEP_3) | instid1(VALU_DEP_3)
	v_ldexp_f32 v6, v6, v35
	v_cvt_i32_f32_e32 v35, v47
	s_delay_alu instid0(TRANS32_DEP_2) | instskip(NEXT) | instid1(VALU_DEP_3)
	v_ldexp_f32 v7, v7, v36
	v_cndmask_b32_e32 v6, 0, v6, vcc_lo
	v_cmp_nlt_f32_e32 vcc_lo, 0x42ce8ed0, v5
	s_delay_alu instid0(VALU_DEP_3) | instskip(SKIP_3) | instid1(VALU_DEP_1)
	v_cndmask_b32_e32 v7, 0, v7, vcc_lo
	v_cmp_nlt_f32_e32 vcc_lo, 0x42ce8ed0, v2
	v_add_f32_e32 v1, v41, v1
	v_cvt_i32_f32_e32 v41, v45
	v_ldexp_f32 v0, v0, v41
	s_delay_alu instid0(VALU_DEP_1) | instskip(NEXT) | instid1(VALU_DEP_4)
	v_cndmask_b32_e32 v0, 0, v0, vcc_lo
	v_exp_f32_e32 v1, v1
	v_cmp_nlt_f32_e32 vcc_lo, 0x42ce8ed0, v4
	s_waitcnt_depctr 0xfff
	v_ldexp_f32 v1, v1, v35
	s_delay_alu instid0(VALU_DEP_1) | instskip(SKIP_3) | instid1(VALU_DEP_2)
	v_cndmask_b32_e32 v1, 0, v1, vcc_lo
	v_cmp_ngt_f32_e32 vcc_lo, 0xc2b17218, v3
	v_cndmask_b32_e32 v6, 0x7f800000, v6, vcc_lo
	v_cmp_ngt_f32_e32 vcc_lo, 0xc2b17218, v5
	v_dual_add_f32 v6, 1.0, v6 :: v_dual_cndmask_b32 v7, 0x7f800000, v7
	v_cmp_ngt_f32_e32 vcc_lo, 0xc2b17218, v4
	s_delay_alu instid0(VALU_DEP_2) | instskip(SKIP_3) | instid1(VALU_DEP_4)
	v_div_scale_f32 v35, null, v6, v6, v3
	v_cndmask_b32_e32 v1, 0x7f800000, v1, vcc_lo
	v_cmp_ngt_f32_e32 vcc_lo, 0xc2b17218, v2
	v_add_f32_e32 v7, 1.0, v7
	v_rcp_f32_e32 v43, v35
	v_div_scale_f32 v47, s16, v3, v6, v3
	v_dual_cndmask_b32 v0, 0x7f800000, v0 :: v_dual_add_f32 v1, 1.0, v1
	s_delay_alu instid0(VALU_DEP_3) | instskip(SKIP_1) | instid1(VALU_DEP_3)
	v_div_scale_f32 v36, null, v7, v7, v5
	v_div_scale_f32 v48, s17, v5, v7, v5
	v_add_f32_e32 v0, 1.0, v0
	s_delay_alu instid0(VALU_DEP_3) | instskip(SKIP_1) | instid1(TRANS32_DEP_2)
	v_rcp_f32_e32 v44, v36
	v_div_scale_f32 v42, null, v1, v1, v4
	v_fma_f32 v50, -v35, v43, 1.0
	s_delay_alu instid0(VALU_DEP_3) | instskip(NEXT) | instid1(VALU_DEP_3)
	v_div_scale_f32 v41, null, v0, v0, v2
	v_rcp_f32_e32 v46, v42
	v_div_scale_f32 v49, vcc_lo, v2, v0, v2
	s_delay_alu instid0(VALU_DEP_2) | instskip(NEXT) | instid1(TRANS32_DEP_3)
	v_rcp_f32_e32 v45, v41
	v_fma_f32 v51, -v36, v44, 1.0
	v_div_scale_f32 v54, s18, v4, v1, v4
	s_delay_alu instid0(VALU_DEP_2) | instskip(SKIP_3) | instid1(VALU_DEP_1)
	v_dual_fmac_f32 v44, v51, v44 :: v_dual_fmac_f32 v43, v50, v43
	s_waitcnt_depctr 0xfff
	v_fma_f32 v53, -v42, v46, 1.0
	v_fma_f32 v52, -v41, v45, 1.0
	v_dual_fmac_f32 v46, v53, v46 :: v_dual_fmac_f32 v45, v52, v45
	v_mul_f32_e32 v52, v48, v44
	v_mul_f32_e32 v50, v47, v43
	s_delay_alu instid0(VALU_DEP_2) | instskip(NEXT) | instid1(VALU_DEP_2)
	v_fma_f32 v57, -v36, v52, v48
	v_fma_f32 v55, -v35, v50, v47
	v_mul_f32_e32 v51, v49, v45
	s_delay_alu instid0(VALU_DEP_3) | instskip(NEXT) | instid1(VALU_DEP_3)
	v_dual_mul_f32 v53, v54, v46 :: v_dual_fmac_f32 v52, v57, v44
	v_fmac_f32_e32 v50, v55, v43
	s_delay_alu instid0(VALU_DEP_3) | instskip(NEXT) | instid1(VALU_DEP_3)
	v_fma_f32 v56, -v41, v51, v49
	v_fma_f32 v58, -v42, v53, v54
	s_delay_alu instid0(VALU_DEP_4) | instskip(NEXT) | instid1(VALU_DEP_4)
	v_fma_f32 v36, -v36, v52, v48
	v_fma_f32 v35, -v35, v50, v47
	s_delay_alu instid0(VALU_DEP_4) | instskip(NEXT) | instid1(VALU_DEP_4)
	v_fmac_f32_e32 v51, v56, v45
	v_fmac_f32_e32 v53, v58, v46
	s_delay_alu instid0(VALU_DEP_2) | instskip(NEXT) | instid1(VALU_DEP_2)
	v_fma_f32 v41, -v41, v51, v49
	v_fma_f32 v42, -v42, v53, v54
	s_delay_alu instid0(VALU_DEP_2) | instskip(SKIP_3) | instid1(VALU_DEP_2)
	v_div_fmas_f32 v41, v41, v45, v51
	s_mov_b32 vcc_lo, s16
	v_div_fmas_f32 v35, v35, v43, v50
	s_mov_b32 vcc_lo, s18
	v_div_fixup_f32 v2, v41, v0, v2
	v_div_fmas_f32 v42, v42, v46, v53
	s_mov_b32 vcc_lo, s17
	v_div_fixup_f32 v3, v35, v6, v3
	v_div_fmas_f32 v36, v36, v44, v52
	s_delay_alu instid0(VALU_DEP_3) | instskip(NEXT) | instid1(VALU_DEP_3)
	v_div_fixup_f32 v4, v42, v1, v4
	v_fma_mixlo_f16 v0, v40, v3, 0
	s_delay_alu instid0(VALU_DEP_3) | instskip(NEXT) | instid1(VALU_DEP_2)
	v_div_fixup_f32 v5, v36, v7, v5
	v_fma_mixhi_f16 v0, v37, v2, 0
	s_delay_alu instid0(VALU_DEP_2) | instskip(NEXT) | instid1(VALU_DEP_1)
	v_fma_mixlo_f16 v1, v38, v5, 0
	v_fma_mixhi_f16 v1, v39, v4, 0
	ds_store_b64 v17, v[0:1]
	; wave barrier
	ds_load_u16 v4, v14 offset:64
	ds_load_u16 v3, v15 offset:128
	;; [unrolled: 1-line block ×3, first 2 shown]
	v_add_co_u32 v0, vcc_lo, v28, s20
	v_add_co_ci_u32_e32 v1, vcc_lo, s21, v29, vcc_lo
	s_and_saveexec_b32 s16, s12
	s_cbranch_execnz .LBB96_104
; %bb.96:                               ;   in Loop: Header=BB96_12 Depth=1
	s_or_b32 exec_lo, exec_lo, s16
	s_and_saveexec_b32 s12, s13
	s_cbranch_execnz .LBB96_105
.LBB96_97:                              ;   in Loop: Header=BB96_12 Depth=1
	s_or_b32 exec_lo, exec_lo, s12
	s_and_saveexec_b32 s12, s14
	s_cbranch_execnz .LBB96_106
.LBB96_98:                              ;   in Loop: Header=BB96_12 Depth=1
	s_or_b32 exec_lo, exec_lo, s12
	s_and_saveexec_b32 s12, s15
	s_cbranch_execz .LBB96_11
	s_branch .LBB96_107
.LBB96_99:                              ;   in Loop: Header=BB96_12 Depth=1
	global_load_u16 v6, v[2:3], off offset:64
	s_or_b32 exec_lo, exec_lo, s16
	s_and_saveexec_b32 s16, s14
	s_cbranch_execz .LBB96_24
.LBB96_100:                             ;   in Loop: Header=BB96_12 Depth=1
	global_load_u16 v5, v[2:3], off offset:128
	s_or_b32 exec_lo, exec_lo, s16
	v_mov_b32_e32 v7, 0
	s_and_saveexec_b32 s16, s15
	s_cbranch_execnz .LBB96_25
	s_branch .LBB96_26
.LBB96_101:                             ;   in Loop: Header=BB96_12 Depth=1
	ds_load_u16 v5, v14
	s_waitcnt lgkmcnt(0)
	global_store_b16 v[0:1], v5, off
	s_or_b32 exec_lo, exec_lo, s16
	s_and_saveexec_b32 s16, s13
	s_cbranch_execz .LBB96_84
.LBB96_102:                             ;   in Loop: Header=BB96_12 Depth=1
	s_waitcnt lgkmcnt(2)
	global_store_b16 v[0:1], v4, off offset:64
	s_or_b32 exec_lo, exec_lo, s16
	s_and_saveexec_b32 s16, s14
	s_cbranch_execz .LBB96_85
.LBB96_103:                             ;   in Loop: Header=BB96_12 Depth=1
	s_waitcnt lgkmcnt(1)
	global_store_b16 v[0:1], v3, off offset:128
	s_or_b32 exec_lo, exec_lo, s16
	s_and_saveexec_b32 s16, s15
	s_cbranch_execnz .LBB96_86
	s_branch .LBB96_87
.LBB96_104:                             ;   in Loop: Header=BB96_12 Depth=1
	ds_load_u16 v5, v14
	s_waitcnt lgkmcnt(0)
	global_store_b16 v[0:1], v5, off
	s_or_b32 exec_lo, exec_lo, s16
	s_and_saveexec_b32 s12, s13
	s_cbranch_execz .LBB96_97
.LBB96_105:                             ;   in Loop: Header=BB96_12 Depth=1
	s_waitcnt lgkmcnt(2)
	global_store_b16 v[0:1], v4, off offset:64
	s_or_b32 exec_lo, exec_lo, s12
	s_and_saveexec_b32 s12, s14
	s_cbranch_execz .LBB96_98
.LBB96_106:                             ;   in Loop: Header=BB96_12 Depth=1
	s_waitcnt lgkmcnt(1)
	global_store_b16 v[0:1], v3, off offset:128
	s_or_b32 exec_lo, exec_lo, s12
	s_and_saveexec_b32 s12, s15
	s_cbranch_execz .LBB96_11
.LBB96_107:                             ;   in Loop: Header=BB96_12 Depth=1
	s_waitcnt lgkmcnt(0)
	global_store_b16 v[0:1], v2, off offset:192
	s_branch .LBB96_11
.LBB96_108:
	s_nop 0
	s_sendmsg sendmsg(MSG_DEALLOC_VGPRS)
	s_endpgm
	.section	.rodata,"a",@progbits
	.p2align	6, 0x0
	.amdhsa_kernel _Z25selective_scan_fwd_kernelI32Selective_Scan_fwd_kernel_traitsILi64ELi4ELi1ELb1ELb1ELb1ELb1ELb1EN3c104HalfEffEEv13SSMParamsBase
		.amdhsa_group_segment_fixed_size 0
		.amdhsa_private_segment_fixed_size 0
		.amdhsa_kernarg_size 248
		.amdhsa_user_sgpr_count 14
		.amdhsa_user_sgpr_dispatch_ptr 0
		.amdhsa_user_sgpr_queue_ptr 0
		.amdhsa_user_sgpr_kernarg_segment_ptr 1
		.amdhsa_user_sgpr_dispatch_id 0
		.amdhsa_user_sgpr_private_segment_size 0
		.amdhsa_wavefront_size32 1
		.amdhsa_uses_dynamic_stack 0
		.amdhsa_enable_private_segment 0
		.amdhsa_system_sgpr_workgroup_id_x 1
		.amdhsa_system_sgpr_workgroup_id_y 1
		.amdhsa_system_sgpr_workgroup_id_z 0
		.amdhsa_system_sgpr_workgroup_info 0
		.amdhsa_system_vgpr_workitem_id 0
		.amdhsa_next_free_vgpr 61
		.amdhsa_next_free_sgpr 70
		.amdhsa_reserve_vcc 1
		.amdhsa_float_round_mode_32 0
		.amdhsa_float_round_mode_16_64 0
		.amdhsa_float_denorm_mode_32 3
		.amdhsa_float_denorm_mode_16_64 3
		.amdhsa_dx10_clamp 1
		.amdhsa_ieee_mode 1
		.amdhsa_fp16_overflow 0
		.amdhsa_workgroup_processor_mode 1
		.amdhsa_memory_ordered 1
		.amdhsa_forward_progress 0
		.amdhsa_shared_vgpr_count 0
		.amdhsa_exception_fp_ieee_invalid_op 0
		.amdhsa_exception_fp_denorm_src 0
		.amdhsa_exception_fp_ieee_div_zero 0
		.amdhsa_exception_fp_ieee_overflow 0
		.amdhsa_exception_fp_ieee_underflow 0
		.amdhsa_exception_fp_ieee_inexact 0
		.amdhsa_exception_int_div_zero 0
	.end_amdhsa_kernel
	.section	.text._Z25selective_scan_fwd_kernelI32Selective_Scan_fwd_kernel_traitsILi64ELi4ELi1ELb1ELb1ELb1ELb1ELb1EN3c104HalfEffEEv13SSMParamsBase,"axG",@progbits,_Z25selective_scan_fwd_kernelI32Selective_Scan_fwd_kernel_traitsILi64ELi4ELi1ELb1ELb1ELb1ELb1ELb1EN3c104HalfEffEEv13SSMParamsBase,comdat
.Lfunc_end96:
	.size	_Z25selective_scan_fwd_kernelI32Selective_Scan_fwd_kernel_traitsILi64ELi4ELi1ELb1ELb1ELb1ELb1ELb1EN3c104HalfEffEEv13SSMParamsBase, .Lfunc_end96-_Z25selective_scan_fwd_kernelI32Selective_Scan_fwd_kernel_traitsILi64ELi4ELi1ELb1ELb1ELb1ELb1ELb1EN3c104HalfEffEEv13SSMParamsBase
                                        ; -- End function
	.section	.AMDGPU.csdata,"",@progbits
; Kernel info:
; codeLenInByte = 8288
; NumSgprs: 72
; NumVgprs: 61
; ScratchSize: 0
; MemoryBound: 0
; FloatMode: 240
; IeeeMode: 1
; LDSByteSize: 0 bytes/workgroup (compile time only)
; SGPRBlocks: 8
; VGPRBlocks: 7
; NumSGPRsForWavesPerEU: 72
; NumVGPRsForWavesPerEU: 61
; Occupancy: 16
; WaveLimiterHint : 1
; COMPUTE_PGM_RSRC2:SCRATCH_EN: 0
; COMPUTE_PGM_RSRC2:USER_SGPR: 14
; COMPUTE_PGM_RSRC2:TRAP_HANDLER: 0
; COMPUTE_PGM_RSRC2:TGID_X_EN: 1
; COMPUTE_PGM_RSRC2:TGID_Y_EN: 1
; COMPUTE_PGM_RSRC2:TGID_Z_EN: 0
; COMPUTE_PGM_RSRC2:TIDIG_COMP_CNT: 0
	.section	.text._Z25selective_scan_fwd_kernelI32Selective_Scan_fwd_kernel_traitsILi64ELi4ELi1ELb1ELb1ELb1ELb1ELb0EN3c104HalfEffEEv13SSMParamsBase,"axG",@progbits,_Z25selective_scan_fwd_kernelI32Selective_Scan_fwd_kernel_traitsILi64ELi4ELi1ELb1ELb1ELb1ELb1ELb0EN3c104HalfEffEEv13SSMParamsBase,comdat
	.protected	_Z25selective_scan_fwd_kernelI32Selective_Scan_fwd_kernel_traitsILi64ELi4ELi1ELb1ELb1ELb1ELb1ELb0EN3c104HalfEffEEv13SSMParamsBase ; -- Begin function _Z25selective_scan_fwd_kernelI32Selective_Scan_fwd_kernel_traitsILi64ELi4ELi1ELb1ELb1ELb1ELb1ELb0EN3c104HalfEffEEv13SSMParamsBase
	.globl	_Z25selective_scan_fwd_kernelI32Selective_Scan_fwd_kernel_traitsILi64ELi4ELi1ELb1ELb1ELb1ELb1ELb0EN3c104HalfEffEEv13SSMParamsBase
	.p2align	8
	.type	_Z25selective_scan_fwd_kernelI32Selective_Scan_fwd_kernel_traitsILi64ELi4ELi1ELb1ELb1ELb1ELb1ELb0EN3c104HalfEffEEv13SSMParamsBase,@function
_Z25selective_scan_fwd_kernelI32Selective_Scan_fwd_kernel_traitsILi64ELi4ELi1ELb1ELb1ELb1ELb1ELb0EN3c104HalfEffEEv13SSMParamsBase: ; @_Z25selective_scan_fwd_kernelI32Selective_Scan_fwd_kernel_traitsILi64ELi4ELi1ELb1ELb1ELb1ELb1ELb0EN3c104HalfEffEEv13SSMParamsBase
; %bb.0:
	s_clause 0x1
	s_load_b32 s9, s[0:1], 0x18
	s_load_b128 s[4:7], s[0:1], 0xe8
	s_mov_b32 s12, s15
	s_mov_b32 s33, 0
	s_waitcnt lgkmcnt(0)
	s_abs_i32 s8, s9
	s_cmp_eq_u64 s[6:7], 0
	v_cvt_f32_u32_e32 v1, s8
	s_delay_alu instid0(VALU_DEP_1) | instskip(SKIP_2) | instid1(VALU_DEP_1)
	v_rcp_iflag_f32_e32 v1, v1
	s_waitcnt_depctr 0xfff
	v_mul_f32_e32 v1, 0x4f7ffffe, v1
	v_cvt_u32_f32_e32 v1, v1
	s_delay_alu instid0(VALU_DEP_1)
	v_readfirstlane_b32 s10, v1
	s_cbranch_scc1 .LBB97_2
; %bb.1:
	v_mov_b32_e32 v1, 0
	s_ashr_i32 s3, s14, 31
	s_add_u32 s2, s6, s14
	s_addc_u32 s3, s7, s3
	global_load_u8 v1, v1, s[2:3]
	s_waitcnt vmcnt(0)
	v_and_b32_e32 v1, 1, v1
	s_delay_alu instid0(VALU_DEP_1)
	v_cmp_eq_u32_e64 s33, 1, v1
.LBB97_2:
	s_load_b64 s[6:7], s[0:1], 0x20
	s_cmp_eq_u64 s[4:5], 0
	s_cbranch_scc1 .LBB97_4
; %bb.3:
	s_ashr_i32 s15, s14, 31
	s_delay_alu instid0(SALU_CYCLE_1) | instskip(NEXT) | instid1(SALU_CYCLE_1)
	s_lshl_b64 s[2:3], s[14:15], 2
	s_add_u32 s2, s4, s2
	s_addc_u32 s3, s5, s3
	s_load_b32 s2, s[2:3], 0x0
	s_waitcnt lgkmcnt(0)
	s_ashr_i32 s3, s2, 31
	s_delay_alu instid0(SALU_CYCLE_1)
	s_cmp_eq_u64 s[6:7], s[2:3]
	s_cbranch_scc0 .LBB97_5
	s_branch .LBB97_56
.LBB97_4:
	s_mov_b32 s2, s14
	s_delay_alu instid0(SALU_CYCLE_1)
	s_ashr_i32 s3, s2, 31
	s_waitcnt lgkmcnt(0)
	s_cmp_eq_u64 s[6:7], s[2:3]
	s_cbranch_scc1 .LBB97_56
.LBB97_5:
	s_clause 0x1
	s_load_b512 s[16:31], s[0:1], 0x88
	s_load_b64 s[34:35], s[0:1], 0x8
	s_mov_b32 s52, 0
	s_mov_b32 s53, 0
	s_waitcnt lgkmcnt(0)
	s_cmp_eq_u64 s[22:23], 0
	s_cbranch_scc1 .LBB97_7
; %bb.6:
	s_ashr_i32 s13, s12, 31
	s_delay_alu instid0(SALU_CYCLE_1) | instskip(NEXT) | instid1(SALU_CYCLE_1)
	s_lshl_b64 s[4:5], s[12:13], 2
	s_add_u32 s4, s22, s4
	s_addc_u32 s5, s23, s5
	s_load_b32 s53, s[4:5], 0x0
.LBB97_7:
	s_cmp_eq_u64 s[28:29], 0
	s_cbranch_scc1 .LBB97_9
; %bb.8:
	s_ashr_i32 s13, s12, 31
	s_delay_alu instid0(SALU_CYCLE_1) | instskip(NEXT) | instid1(SALU_CYCLE_1)
	s_lshl_b64 s[4:5], s[12:13], 2
	s_add_u32 s4, s28, s4
	s_addc_u32 s5, s29, s5
	s_load_b32 s52, s[4:5], 0x0
.LBB97_9:
	s_cmp_lt_i32 s34, 1
	s_cbranch_scc1 .LBB97_56
; %bb.10:
	s_sub_i32 s3, 0, s8
	s_load_b256 s[36:43], s[0:1], 0x4c
	s_mul_i32 s3, s3, s10
	s_abs_i32 s4, s12
	s_mul_hi_u32 s3, s10, s3
	s_ashr_i32 s6, s9, 31
	s_add_i32 s10, s10, s3
	s_ashr_i32 s3, s12, 31
	s_mul_hi_u32 s5, s4, s10
	s_xor_b32 s3, s3, s6
	s_mul_i32 s7, s5, s8
	s_add_i32 s6, s5, 1
	s_sub_i32 s4, s4, s7
	s_load_b256 s[44:51], s[0:1], 0x2c
	s_sub_i32 s7, s4, s8
	s_cmp_ge_u32 s4, s8
	s_mov_b32 s23, 0
	s_cselect_b32 s5, s6, s5
	s_cselect_b32 s4, s7, s4
	s_add_i32 s6, s5, 1
	s_cmp_ge_u32 s4, s8
	s_waitcnt lgkmcnt(0)
	s_mul_i32 s22, s38, s14
	s_cselect_b32 s6, s6, s5
	s_lshl_b64 s[4:5], s[22:23], 1
	s_xor_b32 s6, s6, s3
	s_mul_i32 s22, s39, s12
	s_sub_i32 s3, s6, s3
	s_add_u32 s6, s24, s4
	s_addc_u32 s7, s25, s5
	s_lshl_b64 s[4:5], s[22:23], 1
	s_mul_i32 s22, s40, s14
	s_add_u32 s24, s6, s4
	s_addc_u32 s25, s7, s5
	s_lshl_b64 s[4:5], s[22:23], 1
	s_mul_i32 s22, s41, s12
	s_add_u32 s6, s26, s4
	s_addc_u32 s7, s27, s5
	s_lshl_b64 s[4:5], s[22:23], 1
	s_mul_i32 s22, s44, s12
	s_add_u32 s26, s6, s4
	s_load_b64 s[28:29], s[0:1], 0x7c
	s_addc_u32 s27, s7, s5
	s_lshl_b64 s[4:5], s[22:23], 2
	s_mul_i32 s22, s46, s14
	s_add_u32 s40, s16, s4
	s_addc_u32 s41, s17, s5
	s_load_b128 s[4:7], s[0:1], 0xc8
	s_lshl_b64 s[8:9], s[22:23], 1
	s_mul_i32 s22, s3, s49
	s_load_b32 s49, s[0:1], 0x84
	s_add_u32 s10, s18, s8
	s_addc_u32 s11, s19, s9
	s_lshl_b64 s[8:9], s[22:23], 1
	s_load_b32 s13, s[0:1], 0x28
	s_mul_i32 s22, s50, s14
	s_add_u32 s44, s10, s8
	s_addc_u32 s46, s11, s9
	s_lshl_b64 s[8:9], s[22:23], 1
	s_mul_i32 s22, s3, s37
	s_add_u32 s15, s20, s8
	s_addc_u32 s3, s21, s9
	s_load_b128 s[8:11], s[0:1], 0x6c
	s_lshl_b64 s[16:17], s[22:23], 1
	s_waitcnt lgkmcnt(0)
	s_mul_i32 s22, s2, s28
	s_add_u32 s37, s15, s16
	s_addc_u32 s47, s3, s17
	s_lshl_b64 s[2:3], s[22:23], 2
	s_mul_i32 s22, s29, s12
	s_add_u32 s4, s4, s2
	s_addc_u32 s5, s5, s3
	s_lshl_b64 s[2:3], s[22:23], 2
	v_lshrrev_b32_e32 v1, 2, v0
	s_add_u32 s50, s4, s2
	s_addc_u32 s51, s5, s3
	s_load_b64 s[4:5], s[0:1], 0xd8
	s_add_i32 s2, s34, 0x7ff
	v_dual_mov_b32 v14, 0 :: v_dual_and_b32 v1, 8, v1
	s_lshr_b32 s54, s2, 11
	s_bitcmp1_b32 s13, 0
	v_or_b32_e32 v2, 31, v0
	s_cselect_b32 s55, -1, 0
	s_cmp_gt_i32 s35, 0
	s_mul_i32 s22, s8, s14
	s_cselect_b32 s56, -1, 0
	s_and_b32 s1, s34, 0xff
	v_add_nc_u32_e32 v16, 0, v1
	s_cmp_eq_u32 s1, 0
	v_lshlrev_b32_e32 v1, 3, v0
	s_cselect_b32 s57, -1, 0
	s_lshl_b64 s[16:17], s[22:23], 1
	s_add_i32 s58, s54, -1
	s_mul_i32 s22, s9, s12
	s_add_u32 s3, s30, s16
	s_addc_u32 s13, s31, s17
	s_lshl_b64 s[8:9], s[22:23], 1
	s_mul_i32 s22, s10, s14
	s_add_u32 s15, s3, s8
	s_addc_u32 s10, s13, s9
	s_lshl_b64 s[8:9], s[22:23], 1
	s_mul_i32 s22, s11, s12
	s_waitcnt lgkmcnt(0)
	s_add_u32 s13, s4, s8
	s_addc_u32 s5, s5, s9
	s_lshl_b64 s[8:9], s[22:23], 1
	s_mul_i32 s22, s42, s14
	s_add_u32 s11, s13, s8
	s_addc_u32 s13, s5, s9
	s_lshl_b64 s[8:9], s[22:23], 1
	s_mul_i32 s22, s43, s12
	s_add_u32 s8, s6, s8
	s_addc_u32 s9, s7, s9
	s_lshl_b64 s[6:7], s[22:23], 1
	v_lshlrev_b32_e32 v15, 2, v0
	s_add_u32 s6, s8, s6
	s_addc_u32 s7, s9, s7
	v_add_co_u32 v20, s6, s6, v1
	v_add_co_u32 v18, s12, s15, v1
	v_add_co_ci_u32_e64 v21, null, s7, 0, s6
	v_add_co_u32 v22, s6, s11, v1
	v_cmp_gt_u32_e64 s0, 64, v0
	v_cmp_eq_u32_e64 s1, v2, v0
	v_cmp_gt_u32_e64 s2, 2, v0
	v_add_nc_u32_e32 v17, 0, v1
	v_cmp_gt_u32_e64 s3, 32, v0
	v_cmp_lt_u32_e64 s4, 31, v0
	v_cmp_eq_u32_e64 s5, 0, v0
	v_add_co_ci_u32_e64 v19, null, s10, 0, s12
	v_add_co_ci_u32_e64 v23, null, s13, 0, s6
	v_or_b32_e32 v24, 1, v15
	v_or_b32_e32 v25, 2, v15
	;; [unrolled: 1-line block ×3, first 2 shown]
	v_lshlrev_b32_e32 v27, 3, v0
	v_mbcnt_lo_u32_b32 v28, -1, 0
	s_mov_b32 s42, 0x3e9b6dac
	s_add_i32 s43, 0, 0x430
	s_mov_b32 s59, 0xbfb8aa3b
	s_mov_b32 s60, 0xb2a5705f
	;; [unrolled: 1-line block ×3, first 2 shown]
                                        ; implicit-def: $vgpr31
                                        ; implicit-def: $vgpr3
                                        ; implicit-def: $vgpr30
                                        ; implicit-def: $vgpr0
                                        ; implicit-def: $vgpr29
                                        ; implicit-def: $vgpr32
                                        ; implicit-def: $vgpr4
	s_branch .LBB97_12
.LBB97_11:                              ;   in Loop: Header=BB97_12 Depth=1
	s_or_b32 exec_lo, exec_lo, s6
	s_waitcnt vmcnt(0)
	v_lshrrev_b32_e32 v6, 16, v4
	v_cvt_f32_f16_e32 v7, v4
	v_lshrrev_b32_e32 v8, 16, v5
	v_cvt_f32_f16_e32 v9, v5
	s_add_u32 s26, s26, 0x200
	v_cvt_f32_f16_e32 v6, v6
	v_mul_f32_e32 v10, 0xbfb8aa3b, v7
	v_cvt_f32_f16_e32 v8, v8
	v_mul_f32_e32 v11, 0xbfb8aa3b, v9
	v_cmp_nlt_f32_e32 vcc_lo, 0x42ce8ed0, v7
	s_addc_u32 s27, s27, 0
	v_rndne_f32_e32 v13, v10
	v_fma_mix_f32 v33, v4, s59, -v10 op_sel_hi:[1,0,0]
	v_mul_f32_e32 v34, 0xbfb8aa3b, v8
	v_rndne_f32_e32 v39, v11
	v_mul_f32_e32 v12, 0xbfb8aa3b, v6
	v_fma_mix_f32 v40, v5, s59, -v11 op_sel_hi:[1,0,0]
	v_fma_mix_f32 v33, v4, s60, v33 op_sel_hi:[1,0,0]
	v_rndne_f32_e32 v43, v34
	v_sub_f32_e32 v11, v11, v39
	v_rndne_f32_e32 v41, v12
	v_fma_mix_f32 v44, v5, s59, -v34 op_sel:[1,0,0] op_sel_hi:[1,0,0]
	v_fma_mix_f32 v40, v5, s60, v40 op_sel_hi:[1,0,0]
	v_sub_f32_e32 v10, v10, v13
	v_fma_mix_f32 v42, v4, s59, -v12 op_sel:[1,0,0] op_sel_hi:[1,0,0]
	v_sub_f32_e32 v12, v12, v41
	v_cvt_i32_f32_e32 v13, v13
	s_delay_alu instid0(VALU_DEP_4) | instskip(SKIP_3) | instid1(VALU_DEP_4)
	v_dual_add_f32 v11, v11, v40 :: v_dual_add_f32 v10, v10, v33
	v_sub_f32_e32 v33, v34, v43
	v_fma_mix_f32 v34, v5, s60, v44 op_sel:[1,0,0] op_sel_hi:[1,0,0]
	v_fma_mix_f32 v42, v4, s60, v42 op_sel:[1,0,0] op_sel_hi:[1,0,0]
	v_exp_f32_e32 v11, v11
	s_add_u32 s24, s24, 0x200
	s_addc_u32 s25, s25, 0
	v_add_f32_e32 v33, v33, v34
	v_exp_f32_e32 v10, v10
	v_cvt_i32_f32_e32 v34, v39
	v_cvt_i32_f32_e32 v39, v41
	s_add_u32 s44, s44, 0x200
	v_exp_f32_e32 v33, v33
	s_addc_u32 s46, s46, 0
	v_ldexp_f32 v11, v11, v34
	s_add_u32 s37, s37, 0x200
	s_addc_u32 s47, s47, 0
	s_add_i32 s61, s61, 1
	s_waitcnt_depctr 0xfff
	v_ldexp_f32 v10, v10, v13
	v_cvt_i32_f32_e32 v13, v43
	s_cmp_eq_u32 s61, s54
	s_barrier
	s_delay_alu instid0(VALU_DEP_2) | instskip(NEXT) | instid1(VALU_DEP_2)
	v_cndmask_b32_e32 v10, 0, v10, vcc_lo
	v_ldexp_f32 v13, v33, v13
	v_add_f32_e32 v12, v12, v42
	v_cmp_nlt_f32_e32 vcc_lo, 0x42ce8ed0, v6
	buffer_gl0_inv
	v_exp_f32_e32 v12, v12
	s_waitcnt_depctr 0xfff
	v_ldexp_f32 v12, v12, v39
	s_delay_alu instid0(VALU_DEP_1) | instskip(SKIP_3) | instid1(VALU_DEP_2)
	v_cndmask_b32_e32 v12, 0, v12, vcc_lo
	v_cmp_ngt_f32_e32 vcc_lo, 0xc2b17218, v7
	v_cndmask_b32_e32 v10, 0x7f800000, v10, vcc_lo
	v_cmp_ngt_f32_e32 vcc_lo, 0xc2b17218, v6
	v_add_f32_e32 v10, 1.0, v10
	s_delay_alu instid0(VALU_DEP_1) | instskip(NEXT) | instid1(VALU_DEP_1)
	v_div_scale_f32 v33, null, v10, v10, v7
	v_rcp_f32_e32 v39, v33
	s_waitcnt_depctr 0xfff
	v_fma_f32 v44, -v33, v39, 1.0
	s_delay_alu instid0(VALU_DEP_1) | instskip(SKIP_3) | instid1(VALU_DEP_3)
	v_fmac_f32_e32 v39, v44, v39
	v_div_scale_f32 v44, s6, v7, v10, v7
	v_cndmask_b32_e32 v12, 0x7f800000, v12, vcc_lo
	v_cmp_nlt_f32_e32 vcc_lo, 0x42ce8ed0, v9
	v_mul_f32_e32 v49, v44, v39
	v_cndmask_b32_e32 v11, 0, v11, vcc_lo
	v_cmp_nlt_f32_e32 vcc_lo, 0x42ce8ed0, v8
	v_cndmask_b32_e32 v13, 0, v13, vcc_lo
	v_cmp_ngt_f32_e32 vcc_lo, 0xc2b17218, v9
	s_delay_alu instid0(VALU_DEP_4) | instskip(SKIP_1) | instid1(VALU_DEP_2)
	v_cndmask_b32_e32 v11, 0x7f800000, v11, vcc_lo
	v_cmp_ngt_f32_e32 vcc_lo, 0xc2b17218, v8
	v_dual_add_f32 v12, 1.0, v12 :: v_dual_add_f32 v11, 1.0, v11
	v_cndmask_b32_e32 v13, 0x7f800000, v13, vcc_lo
	s_delay_alu instid0(VALU_DEP_2) | instskip(SKIP_1) | instid1(VALU_DEP_3)
	v_div_scale_f32 v34, null, v12, v12, v6
	v_div_scale_f32 v47, vcc_lo, v6, v12, v6
	v_add_f32_e32 v13, 1.0, v13
	s_delay_alu instid0(VALU_DEP_3) | instskip(SKIP_1) | instid1(VALU_DEP_2)
	v_rcp_f32_e32 v40, v34
	v_div_scale_f32 v41, null, v11, v11, v9
	v_div_scale_f32 v42, null, v13, v13, v8
	s_delay_alu instid0(VALU_DEP_2) | instskip(SKIP_1) | instid1(VALU_DEP_2)
	v_rcp_f32_e32 v43, v41
	v_div_scale_f32 v51, s7, v8, v13, v8
	v_rcp_f32_e32 v45, v42
	s_delay_alu instid0(TRANS32_DEP_3) | instskip(SKIP_4) | instid1(VALU_DEP_2)
	v_fma_f32 v46, -v34, v40, 1.0
	s_waitcnt_depctr 0xfff
	v_fma_f32 v48, -v42, v45, 1.0
	v_fmac_f32_e32 v40, v46, v40
	v_fma_f32 v46, -v41, v43, 1.0
	v_dual_fmac_f32 v45, v48, v45 :: v_dual_mul_f32 v50, v47, v40
	s_delay_alu instid0(VALU_DEP_2) | instskip(SKIP_2) | instid1(VALU_DEP_4)
	v_fmac_f32_e32 v43, v46, v43
	v_fma_f32 v48, -v33, v49, v44
	v_div_scale_f32 v46, s8, v9, v11, v9
	v_fma_f32 v52, -v34, v50, v47
	v_mul_f32_e32 v53, v51, v45
	s_delay_alu instid0(VALU_DEP_4) | instskip(NEXT) | instid1(VALU_DEP_3)
	v_fmac_f32_e32 v49, v48, v39
	v_fmac_f32_e32 v50, v52, v40
	s_delay_alu instid0(VALU_DEP_3) | instskip(SKIP_1) | instid1(VALU_DEP_4)
	v_fma_f32 v52, -v42, v53, v51
	v_mul_f32_e32 v48, v46, v43
	v_fma_f32 v33, -v33, v49, v44
	s_delay_alu instid0(VALU_DEP_4) | instskip(NEXT) | instid1(VALU_DEP_4)
	v_fma_f32 v34, -v34, v50, v47
	v_fmac_f32_e32 v53, v52, v45
	s_delay_alu instid0(VALU_DEP_4) | instskip(NEXT) | instid1(VALU_DEP_3)
	v_fma_f32 v44, -v41, v48, v46
	v_div_fmas_f32 v34, v34, v40, v50
	s_delay_alu instid0(VALU_DEP_3) | instskip(NEXT) | instid1(VALU_DEP_3)
	v_fma_f32 v40, -v42, v53, v51
	v_fmac_f32_e32 v48, v44, v43
	s_mov_b32 vcc_lo, s6
	v_div_fmas_f32 v33, v33, v39, v49
	s_mov_b32 vcc_lo, s7
	s_delay_alu instid0(VALU_DEP_2)
	v_fma_f32 v39, -v41, v48, v46
	v_div_fmas_f32 v40, v40, v45, v53
	s_mov_b32 vcc_lo, s8
	v_div_fixup_f32 v7, v33, v10, v7
	v_div_fixup_f32 v10, v34, v12, v6
	v_div_fmas_f32 v39, v39, v43, v48
	s_delay_alu instid0(VALU_DEP_3) | instskip(NEXT) | instid1(VALU_DEP_2)
	v_fma_mixlo_f16 v6, v38, v7, 0
	v_div_fixup_f32 v9, v39, v11, v9
	v_div_fixup_f32 v11, v40, v13, v8
	v_add_co_u32 v8, vcc_lo, v22, s10
	s_delay_alu instid0(VALU_DEP_4) | instskip(NEXT) | instid1(VALU_DEP_4)
	v_fma_mixhi_f16 v6, v35, v10, 0
	v_fma_mixlo_f16 v7, v36, v9, 0
	v_add_co_ci_u32_e32 v9, vcc_lo, s11, v23, vcc_lo
	s_delay_alu instid0(VALU_DEP_2)
	v_fma_mixhi_f16 v7, v37, v11, 0
	global_store_b64 v[8:9], v[6:7], off
	s_cbranch_scc1 .LBB97_56
.LBB97_12:                              ; =>This Loop Header: Depth=1
                                        ;     Child Loop BB97_25 Depth 2
	s_waitcnt_vscnt null, 0x0
	s_barrier
	buffer_gl0_inv
	s_and_saveexec_b32 s6, s0
	s_cbranch_execz .LBB97_14
; %bb.13:                               ;   in Loop: Header=BB97_12 Depth=1
	s_clause 0x1
	global_load_b64 v[0:1], v27, s[24:25]
	global_load_b64 v[2:3], v27, s[26:27]
	s_waitcnt vmcnt(1)
	v_lshrrev_b32_e32 v29, 16, v0
	v_lshrrev_b32_e32 v32, 16, v1
	s_waitcnt vmcnt(0)
	v_lshrrev_b32_e32 v30, 16, v2
	v_lshrrev_b32_e32 v31, 16, v3
.LBB97_14:                              ;   in Loop: Header=BB97_12 Depth=1
	s_or_b32 exec_lo, exec_lo, s6
	v_cvt_f32_f16_e32 v6, v2
	s_delay_alu instid0(VALU_DEP_1) | instskip(NEXT) | instid1(VALU_DEP_1)
	v_add_f32_e32 v33, s52, v6
	v_cmp_ge_f32_e32 vcc_lo, 0x41a00000, v33
	s_and_b32 s6, s55, vcc_lo
	s_delay_alu instid0(SALU_CYCLE_1)
	s_and_saveexec_b32 s7, s6
	s_cbranch_execz .LBB97_16
; %bb.15:                               ;   in Loop: Header=BB97_12 Depth=1
	v_mul_f32_e32 v6, 0x3fb8aa3b, v33
	v_cmp_ngt_f32_e32 vcc_lo, 0xc2ce8ed0, v33
	s_delay_alu instid0(VALU_DEP_2) | instskip(SKIP_1) | instid1(VALU_DEP_2)
	v_rndne_f32_e32 v7, v6
	v_fma_f32 v8, 0x3fb8aa3b, v33, -v6
	v_sub_f32_e32 v6, v6, v7
	s_delay_alu instid0(VALU_DEP_2) | instskip(SKIP_1) | instid1(VALU_DEP_2)
	v_fmac_f32_e32 v8, 0x32a5705f, v33
	v_cvt_i32_f32_e32 v7, v7
	v_add_f32_e32 v6, v6, v8
	s_delay_alu instid0(VALU_DEP_1) | instskip(SKIP_2) | instid1(VALU_DEP_1)
	v_exp_f32_e32 v6, v6
	s_waitcnt_depctr 0xfff
	v_ldexp_f32 v6, v6, v7
	v_cndmask_b32_e32 v6, 0, v6, vcc_lo
	v_cmp_nlt_f32_e32 vcc_lo, 0x42b17218, v33
	s_delay_alu instid0(VALU_DEP_2) | instskip(NEXT) | instid1(VALU_DEP_1)
	v_cndmask_b32_e32 v8, 0x7f800000, v6, vcc_lo
	v_add_f32_e32 v9, 1.0, v8
	s_delay_alu instid0(VALU_DEP_1) | instskip(NEXT) | instid1(VALU_DEP_1)
	v_cvt_f64_f32_e32 v[6:7], v9
	v_frexp_exp_i32_f64_e32 v6, v[6:7]
	v_frexp_mant_f32_e32 v7, v9
	s_delay_alu instid0(VALU_DEP_1) | instskip(SKIP_1) | instid1(VALU_DEP_1)
	v_cmp_gt_f32_e32 vcc_lo, 0x3f2aaaab, v7
	v_add_f32_e32 v7, -1.0, v9
	v_sub_f32_e32 v11, v7, v9
	v_sub_f32_e32 v7, v8, v7
	s_delay_alu instid0(VALU_DEP_2) | instskip(NEXT) | instid1(VALU_DEP_1)
	v_add_f32_e32 v11, 1.0, v11
	v_add_f32_e32 v7, v7, v11
	v_cmp_gt_f32_e64 s6, 0x33800000, v8
	v_subrev_co_ci_u32_e32 v6, vcc_lo, 0, v6, vcc_lo
	v_cmp_eq_f32_e32 vcc_lo, 0x7f800000, v8
	s_delay_alu instid0(VALU_DEP_2) | instskip(SKIP_2) | instid1(VALU_DEP_2)
	v_sub_nc_u32_e32 v10, 0, v6
	v_cvt_f32_i32_e32 v6, v6
	s_or_b32 vcc_lo, s6, vcc_lo
	v_ldexp_f32 v9, v9, v10
	v_ldexp_f32 v7, v7, v10
	s_delay_alu instid0(VALU_DEP_2) | instskip(NEXT) | instid1(VALU_DEP_1)
	v_add_f32_e32 v12, 1.0, v9
	v_dual_add_f32 v10, -1.0, v9 :: v_dual_add_f32 v11, -1.0, v12
	s_delay_alu instid0(VALU_DEP_1) | instskip(NEXT) | instid1(VALU_DEP_2)
	v_add_f32_e32 v13, 1.0, v10
	v_sub_f32_e32 v11, v9, v11
	s_delay_alu instid0(VALU_DEP_2) | instskip(NEXT) | instid1(VALU_DEP_2)
	v_sub_f32_e32 v9, v9, v13
	v_add_f32_e32 v11, v7, v11
	s_delay_alu instid0(VALU_DEP_2) | instskip(NEXT) | instid1(VALU_DEP_2)
	v_add_f32_e32 v7, v7, v9
	v_add_f32_e32 v13, v12, v11
	s_delay_alu instid0(VALU_DEP_1) | instskip(NEXT) | instid1(VALU_DEP_2)
	v_rcp_f32_e32 v9, v13
	v_dual_add_f32 v33, v10, v7 :: v_dual_sub_f32 v12, v12, v13
	s_delay_alu instid0(VALU_DEP_1) | instskip(SKIP_2) | instid1(VALU_DEP_1)
	v_dual_sub_f32 v10, v10, v33 :: v_dual_add_f32 v11, v11, v12
	s_waitcnt_depctr 0xfff
	v_dual_mul_f32 v34, v33, v9 :: v_dual_add_f32 v7, v7, v10
	v_mul_f32_e32 v35, v13, v34
	s_delay_alu instid0(VALU_DEP_1) | instskip(NEXT) | instid1(VALU_DEP_1)
	v_fma_f32 v12, v34, v13, -v35
	v_fmac_f32_e32 v12, v34, v11
	s_delay_alu instid0(VALU_DEP_1) | instskip(NEXT) | instid1(VALU_DEP_1)
	v_add_f32_e32 v36, v35, v12
	v_dual_sub_f32 v37, v33, v36 :: v_dual_sub_f32 v10, v36, v35
	s_delay_alu instid0(VALU_DEP_1) | instskip(NEXT) | instid1(VALU_DEP_1)
	v_dual_sub_f32 v33, v33, v37 :: v_dual_sub_f32 v10, v10, v12
	v_sub_f32_e32 v33, v33, v36
	s_delay_alu instid0(VALU_DEP_1) | instskip(NEXT) | instid1(VALU_DEP_1)
	v_add_f32_e32 v7, v7, v33
	v_add_f32_e32 v7, v10, v7
	s_delay_alu instid0(VALU_DEP_1) | instskip(NEXT) | instid1(VALU_DEP_1)
	v_add_f32_e32 v10, v37, v7
	v_mul_f32_e32 v12, v9, v10
	v_sub_f32_e32 v36, v37, v10
	s_delay_alu instid0(VALU_DEP_2) | instskip(NEXT) | instid1(VALU_DEP_2)
	v_mul_f32_e32 v33, v13, v12
	v_add_f32_e32 v7, v7, v36
	s_delay_alu instid0(VALU_DEP_2) | instskip(NEXT) | instid1(VALU_DEP_1)
	v_fma_f32 v13, v12, v13, -v33
	v_fmac_f32_e32 v13, v12, v11
	s_delay_alu instid0(VALU_DEP_1) | instskip(NEXT) | instid1(VALU_DEP_1)
	v_add_f32_e32 v11, v33, v13
	v_sub_f32_e32 v35, v10, v11
	s_delay_alu instid0(VALU_DEP_1) | instskip(NEXT) | instid1(VALU_DEP_1)
	v_dual_sub_f32 v33, v11, v33 :: v_dual_sub_f32 v10, v10, v35
	v_sub_f32_e32 v10, v10, v11
	s_delay_alu instid0(VALU_DEP_1) | instskip(NEXT) | instid1(VALU_DEP_3)
	v_dual_add_f32 v7, v7, v10 :: v_dual_add_f32 v10, v34, v12
	v_sub_f32_e32 v11, v33, v13
	s_delay_alu instid0(VALU_DEP_1) | instskip(NEXT) | instid1(VALU_DEP_3)
	v_add_f32_e32 v7, v11, v7
	v_sub_f32_e32 v11, v10, v34
	s_delay_alu instid0(VALU_DEP_2) | instskip(NEXT) | instid1(VALU_DEP_2)
	v_add_f32_e32 v7, v35, v7
	v_sub_f32_e32 v11, v12, v11
	s_delay_alu instid0(VALU_DEP_2) | instskip(NEXT) | instid1(VALU_DEP_1)
	v_mul_f32_e32 v7, v9, v7
	v_add_f32_e32 v7, v11, v7
	s_delay_alu instid0(VALU_DEP_1) | instskip(NEXT) | instid1(VALU_DEP_1)
	v_add_f32_e32 v9, v10, v7
	v_mul_f32_e32 v11, v9, v9
	s_delay_alu instid0(VALU_DEP_1) | instskip(SKIP_1) | instid1(VALU_DEP_2)
	v_fmaak_f32 v12, s42, v11, 0x3ecc95a3
	v_mul_f32_e32 v13, v9, v11
	v_fmaak_f32 v11, v11, v12, 0x3f2aaada
	v_ldexp_f32 v12, v9, 1
	v_sub_f32_e32 v9, v9, v10
	s_delay_alu instid0(VALU_DEP_3) | instskip(SKIP_1) | instid1(VALU_DEP_2)
	v_mul_f32_e32 v11, v13, v11
	v_mul_f32_e32 v13, 0x3f317218, v6
	v_dual_sub_f32 v7, v7, v9 :: v_dual_add_f32 v10, v12, v11
	s_delay_alu instid0(VALU_DEP_1) | instskip(NEXT) | instid1(VALU_DEP_2)
	v_ldexp_f32 v7, v7, 1
	v_sub_f32_e32 v9, v10, v12
	s_delay_alu instid0(VALU_DEP_4) | instskip(NEXT) | instid1(VALU_DEP_1)
	v_fma_f32 v12, 0x3f317218, v6, -v13
	v_dual_sub_f32 v9, v11, v9 :: v_dual_fmac_f32 v12, 0xb102e308, v6
	s_delay_alu instid0(VALU_DEP_1) | instskip(NEXT) | instid1(VALU_DEP_1)
	v_dual_add_f32 v6, v7, v9 :: v_dual_add_f32 v7, v13, v12
	v_add_f32_e32 v9, v10, v6
	s_delay_alu instid0(VALU_DEP_2) | instskip(NEXT) | instid1(VALU_DEP_2)
	v_sub_f32_e32 v13, v7, v13
	v_dual_add_f32 v11, v7, v9 :: v_dual_sub_f32 v10, v9, v10
	s_delay_alu instid0(VALU_DEP_1) | instskip(NEXT) | instid1(VALU_DEP_2)
	v_dual_sub_f32 v12, v12, v13 :: v_dual_sub_f32 v33, v11, v7
	v_sub_f32_e32 v6, v6, v10
	s_delay_alu instid0(VALU_DEP_2) | instskip(NEXT) | instid1(VALU_DEP_2)
	v_sub_f32_e32 v34, v11, v33
	v_dual_sub_f32 v9, v9, v33 :: v_dual_add_f32 v10, v12, v6
	s_delay_alu instid0(VALU_DEP_2) | instskip(NEXT) | instid1(VALU_DEP_1)
	v_sub_f32_e32 v7, v7, v34
	v_add_f32_e32 v7, v9, v7
	s_delay_alu instid0(VALU_DEP_3) | instskip(NEXT) | instid1(VALU_DEP_2)
	v_sub_f32_e32 v9, v10, v12
	v_add_f32_e32 v7, v10, v7
	s_delay_alu instid0(VALU_DEP_2) | instskip(NEXT) | instid1(VALU_DEP_2)
	v_sub_f32_e32 v10, v10, v9
	v_dual_sub_f32 v6, v6, v9 :: v_dual_add_f32 v13, v11, v7
	s_delay_alu instid0(VALU_DEP_1) | instskip(NEXT) | instid1(VALU_DEP_1)
	v_dual_sub_f32 v10, v12, v10 :: v_dual_sub_f32 v9, v13, v11
	v_dual_add_f32 v6, v6, v10 :: v_dual_sub_f32 v7, v7, v9
	s_delay_alu instid0(VALU_DEP_1) | instskip(NEXT) | instid1(VALU_DEP_1)
	v_add_f32_e32 v6, v6, v7
	v_add_f32_e32 v6, v13, v6
	s_delay_alu instid0(VALU_DEP_1)
	v_cndmask_b32_e32 v33, v6, v8, vcc_lo
.LBB97_16:                              ;   in Loop: Header=BB97_12 Depth=1
	s_or_b32 exec_lo, exec_lo, s7
	v_cvt_f32_f16_e32 v6, v30
	s_delay_alu instid0(VALU_DEP_1) | instskip(NEXT) | instid1(VALU_DEP_1)
	v_add_f32_e32 v34, s52, v6
	v_cmp_ge_f32_e32 vcc_lo, 0x41a00000, v34
	s_and_b32 s6, s55, vcc_lo
	s_delay_alu instid0(SALU_CYCLE_1)
	s_and_saveexec_b32 s7, s6
	s_cbranch_execz .LBB97_18
; %bb.17:                               ;   in Loop: Header=BB97_12 Depth=1
	v_mul_f32_e32 v6, 0x3fb8aa3b, v34
	v_cmp_ngt_f32_e32 vcc_lo, 0xc2ce8ed0, v34
	s_delay_alu instid0(VALU_DEP_2) | instskip(SKIP_1) | instid1(VALU_DEP_2)
	v_rndne_f32_e32 v7, v6
	v_fma_f32 v8, 0x3fb8aa3b, v34, -v6
	v_sub_f32_e32 v6, v6, v7
	s_delay_alu instid0(VALU_DEP_2) | instskip(SKIP_1) | instid1(VALU_DEP_2)
	v_fmac_f32_e32 v8, 0x32a5705f, v34
	v_cvt_i32_f32_e32 v7, v7
	v_add_f32_e32 v6, v6, v8
	s_delay_alu instid0(VALU_DEP_1) | instskip(SKIP_2) | instid1(VALU_DEP_1)
	v_exp_f32_e32 v6, v6
	s_waitcnt_depctr 0xfff
	v_ldexp_f32 v6, v6, v7
	v_cndmask_b32_e32 v6, 0, v6, vcc_lo
	v_cmp_nlt_f32_e32 vcc_lo, 0x42b17218, v34
	s_delay_alu instid0(VALU_DEP_2) | instskip(NEXT) | instid1(VALU_DEP_1)
	v_cndmask_b32_e32 v8, 0x7f800000, v6, vcc_lo
	v_add_f32_e32 v9, 1.0, v8
	s_delay_alu instid0(VALU_DEP_1) | instskip(NEXT) | instid1(VALU_DEP_1)
	v_cvt_f64_f32_e32 v[6:7], v9
	v_frexp_exp_i32_f64_e32 v6, v[6:7]
	v_frexp_mant_f32_e32 v7, v9
	s_delay_alu instid0(VALU_DEP_1) | instskip(SKIP_1) | instid1(VALU_DEP_1)
	v_cmp_gt_f32_e32 vcc_lo, 0x3f2aaaab, v7
	v_add_f32_e32 v7, -1.0, v9
	v_sub_f32_e32 v11, v7, v9
	v_sub_f32_e32 v7, v8, v7
	s_delay_alu instid0(VALU_DEP_2) | instskip(NEXT) | instid1(VALU_DEP_1)
	v_add_f32_e32 v11, 1.0, v11
	v_add_f32_e32 v7, v7, v11
	v_cmp_gt_f32_e64 s6, 0x33800000, v8
	v_subrev_co_ci_u32_e32 v6, vcc_lo, 0, v6, vcc_lo
	v_cmp_eq_f32_e32 vcc_lo, 0x7f800000, v8
	s_delay_alu instid0(VALU_DEP_2) | instskip(SKIP_2) | instid1(VALU_DEP_2)
	v_sub_nc_u32_e32 v10, 0, v6
	v_cvt_f32_i32_e32 v6, v6
	s_or_b32 vcc_lo, s6, vcc_lo
	v_ldexp_f32 v9, v9, v10
	v_ldexp_f32 v7, v7, v10
	s_delay_alu instid0(VALU_DEP_2) | instskip(NEXT) | instid1(VALU_DEP_1)
	v_add_f32_e32 v12, 1.0, v9
	v_dual_add_f32 v10, -1.0, v9 :: v_dual_add_f32 v11, -1.0, v12
	s_delay_alu instid0(VALU_DEP_1) | instskip(NEXT) | instid1(VALU_DEP_2)
	v_add_f32_e32 v13, 1.0, v10
	v_sub_f32_e32 v11, v9, v11
	s_delay_alu instid0(VALU_DEP_2) | instskip(NEXT) | instid1(VALU_DEP_2)
	v_sub_f32_e32 v9, v9, v13
	v_add_f32_e32 v11, v7, v11
	s_delay_alu instid0(VALU_DEP_2) | instskip(NEXT) | instid1(VALU_DEP_1)
	v_add_f32_e32 v7, v7, v9
	v_add_f32_e32 v34, v10, v7
	s_delay_alu instid0(VALU_DEP_1) | instskip(NEXT) | instid1(VALU_DEP_1)
	v_dual_add_f32 v13, v12, v11 :: v_dual_sub_f32 v10, v10, v34
	v_rcp_f32_e32 v9, v13
	v_sub_f32_e32 v12, v12, v13
	s_delay_alu instid0(VALU_DEP_1) | instskip(SKIP_2) | instid1(VALU_DEP_1)
	v_add_f32_e32 v11, v11, v12
	s_waitcnt_depctr 0xfff
	v_mul_f32_e32 v35, v34, v9
	v_mul_f32_e32 v36, v13, v35
	s_delay_alu instid0(VALU_DEP_1) | instskip(NEXT) | instid1(VALU_DEP_1)
	v_fma_f32 v12, v35, v13, -v36
	v_fmac_f32_e32 v12, v35, v11
	s_delay_alu instid0(VALU_DEP_1) | instskip(NEXT) | instid1(VALU_DEP_1)
	v_add_f32_e32 v37, v36, v12
	v_sub_f32_e32 v38, v34, v37
	s_delay_alu instid0(VALU_DEP_1) | instskip(SKIP_1) | instid1(VALU_DEP_2)
	v_sub_f32_e32 v34, v34, v38
	v_dual_add_f32 v7, v7, v10 :: v_dual_sub_f32 v10, v37, v36
	v_sub_f32_e32 v34, v34, v37
	s_delay_alu instid0(VALU_DEP_1) | instskip(NEXT) | instid1(VALU_DEP_1)
	v_dual_sub_f32 v10, v10, v12 :: v_dual_add_f32 v7, v7, v34
	v_add_f32_e32 v7, v10, v7
	s_delay_alu instid0(VALU_DEP_1) | instskip(NEXT) | instid1(VALU_DEP_1)
	v_add_f32_e32 v10, v38, v7
	v_mul_f32_e32 v12, v9, v10
	s_delay_alu instid0(VALU_DEP_1) | instskip(NEXT) | instid1(VALU_DEP_1)
	v_dual_sub_f32 v37, v38, v10 :: v_dual_mul_f32 v34, v13, v12
	v_add_f32_e32 v7, v7, v37
	s_delay_alu instid0(VALU_DEP_2) | instskip(NEXT) | instid1(VALU_DEP_1)
	v_fma_f32 v13, v12, v13, -v34
	v_fmac_f32_e32 v13, v12, v11
	s_delay_alu instid0(VALU_DEP_1) | instskip(NEXT) | instid1(VALU_DEP_1)
	v_add_f32_e32 v11, v34, v13
	v_sub_f32_e32 v36, v10, v11
	s_delay_alu instid0(VALU_DEP_1) | instskip(NEXT) | instid1(VALU_DEP_1)
	v_sub_f32_e32 v10, v10, v36
	v_sub_f32_e32 v10, v10, v11
	s_delay_alu instid0(VALU_DEP_1) | instskip(SKIP_2) | instid1(VALU_DEP_1)
	v_add_f32_e32 v7, v7, v10
	v_add_f32_e32 v10, v35, v12
	v_sub_f32_e32 v34, v11, v34
	v_sub_f32_e32 v11, v34, v13
	s_delay_alu instid0(VALU_DEP_1) | instskip(NEXT) | instid1(VALU_DEP_4)
	v_add_f32_e32 v7, v11, v7
	v_sub_f32_e32 v11, v10, v35
	s_delay_alu instid0(VALU_DEP_2) | instskip(NEXT) | instid1(VALU_DEP_2)
	v_add_f32_e32 v7, v36, v7
	v_sub_f32_e32 v11, v12, v11
	s_delay_alu instid0(VALU_DEP_2) | instskip(NEXT) | instid1(VALU_DEP_1)
	v_mul_f32_e32 v7, v9, v7
	v_add_f32_e32 v7, v11, v7
	s_delay_alu instid0(VALU_DEP_1) | instskip(NEXT) | instid1(VALU_DEP_1)
	v_add_f32_e32 v9, v10, v7
	v_mul_f32_e32 v11, v9, v9
	s_delay_alu instid0(VALU_DEP_1) | instskip(SKIP_1) | instid1(VALU_DEP_2)
	v_fmaak_f32 v12, s42, v11, 0x3ecc95a3
	v_mul_f32_e32 v13, v9, v11
	v_fmaak_f32 v11, v11, v12, 0x3f2aaada
	v_ldexp_f32 v12, v9, 1
	s_delay_alu instid0(VALU_DEP_2) | instskip(SKIP_1) | instid1(VALU_DEP_2)
	v_mul_f32_e32 v11, v13, v11
	v_sub_f32_e32 v9, v9, v10
	v_dual_mul_f32 v13, 0x3f317218, v6 :: v_dual_add_f32 v10, v12, v11
	s_delay_alu instid0(VALU_DEP_2) | instskip(NEXT) | instid1(VALU_DEP_2)
	v_sub_f32_e32 v7, v7, v9
	v_sub_f32_e32 v9, v10, v12
	s_delay_alu instid0(VALU_DEP_3) | instskip(NEXT) | instid1(VALU_DEP_3)
	v_fma_f32 v12, 0x3f317218, v6, -v13
	v_ldexp_f32 v7, v7, 1
	s_delay_alu instid0(VALU_DEP_2) | instskip(NEXT) | instid1(VALU_DEP_1)
	v_dual_sub_f32 v9, v11, v9 :: v_dual_fmac_f32 v12, 0xb102e308, v6
	v_dual_add_f32 v6, v7, v9 :: v_dual_add_f32 v7, v13, v12
	s_delay_alu instid0(VALU_DEP_1) | instskip(NEXT) | instid1(VALU_DEP_1)
	v_add_f32_e32 v9, v10, v6
	v_dual_add_f32 v11, v7, v9 :: v_dual_sub_f32 v10, v9, v10
	s_delay_alu instid0(VALU_DEP_1) | instskip(NEXT) | instid1(VALU_DEP_2)
	v_sub_f32_e32 v34, v11, v7
	v_dual_sub_f32 v13, v7, v13 :: v_dual_sub_f32 v6, v6, v10
	s_delay_alu instid0(VALU_DEP_1) | instskip(SKIP_1) | instid1(VALU_DEP_2)
	v_dual_sub_f32 v35, v11, v34 :: v_dual_sub_f32 v12, v12, v13
	v_sub_f32_e32 v9, v9, v34
	v_dual_sub_f32 v7, v7, v35 :: v_dual_add_f32 v10, v12, v6
	s_delay_alu instid0(VALU_DEP_1) | instskip(NEXT) | instid1(VALU_DEP_2)
	v_add_f32_e32 v7, v9, v7
	v_sub_f32_e32 v9, v10, v12
	s_delay_alu instid0(VALU_DEP_2) | instskip(NEXT) | instid1(VALU_DEP_2)
	v_add_f32_e32 v7, v10, v7
	v_sub_f32_e32 v10, v10, v9
	s_delay_alu instid0(VALU_DEP_2) | instskip(NEXT) | instid1(VALU_DEP_1)
	v_dual_sub_f32 v6, v6, v9 :: v_dual_add_f32 v13, v11, v7
	v_dual_sub_f32 v10, v12, v10 :: v_dual_sub_f32 v9, v13, v11
	s_delay_alu instid0(VALU_DEP_1) | instskip(NEXT) | instid1(VALU_DEP_1)
	v_dual_add_f32 v6, v6, v10 :: v_dual_sub_f32 v7, v7, v9
	v_add_f32_e32 v6, v6, v7
	s_delay_alu instid0(VALU_DEP_1) | instskip(NEXT) | instid1(VALU_DEP_1)
	v_add_f32_e32 v6, v13, v6
	v_cndmask_b32_e32 v34, v6, v8, vcc_lo
.LBB97_18:                              ;   in Loop: Header=BB97_12 Depth=1
	s_or_b32 exec_lo, exec_lo, s7
	v_cvt_f32_f16_e32 v6, v3
	s_delay_alu instid0(VALU_DEP_1) | instskip(NEXT) | instid1(VALU_DEP_1)
	v_add_f32_e32 v39, s52, v6
	v_cmp_ge_f32_e32 vcc_lo, 0x41a00000, v39
	s_and_b32 s6, s55, vcc_lo
	s_delay_alu instid0(SALU_CYCLE_1)
	s_and_saveexec_b32 s7, s6
	s_cbranch_execz .LBB97_20
; %bb.19:                               ;   in Loop: Header=BB97_12 Depth=1
	v_mul_f32_e32 v6, 0x3fb8aa3b, v39
	v_cmp_ngt_f32_e32 vcc_lo, 0xc2ce8ed0, v39
	s_delay_alu instid0(VALU_DEP_2) | instskip(SKIP_1) | instid1(VALU_DEP_2)
	v_rndne_f32_e32 v7, v6
	v_fma_f32 v8, 0x3fb8aa3b, v39, -v6
	v_sub_f32_e32 v6, v6, v7
	s_delay_alu instid0(VALU_DEP_2) | instskip(SKIP_1) | instid1(VALU_DEP_2)
	v_fmac_f32_e32 v8, 0x32a5705f, v39
	v_cvt_i32_f32_e32 v7, v7
	v_add_f32_e32 v6, v6, v8
	s_delay_alu instid0(VALU_DEP_1) | instskip(SKIP_2) | instid1(VALU_DEP_1)
	v_exp_f32_e32 v6, v6
	s_waitcnt_depctr 0xfff
	v_ldexp_f32 v6, v6, v7
	v_cndmask_b32_e32 v6, 0, v6, vcc_lo
	v_cmp_nlt_f32_e32 vcc_lo, 0x42b17218, v39
	s_delay_alu instid0(VALU_DEP_2) | instskip(NEXT) | instid1(VALU_DEP_1)
	v_cndmask_b32_e32 v8, 0x7f800000, v6, vcc_lo
	v_add_f32_e32 v9, 1.0, v8
	s_delay_alu instid0(VALU_DEP_1) | instskip(NEXT) | instid1(VALU_DEP_1)
	v_cvt_f64_f32_e32 v[6:7], v9
	v_frexp_exp_i32_f64_e32 v6, v[6:7]
	v_frexp_mant_f32_e32 v7, v9
	s_delay_alu instid0(VALU_DEP_1) | instskip(SKIP_1) | instid1(VALU_DEP_1)
	v_cmp_gt_f32_e32 vcc_lo, 0x3f2aaaab, v7
	v_add_f32_e32 v7, -1.0, v9
	v_sub_f32_e32 v11, v7, v9
	v_sub_f32_e32 v7, v8, v7
	s_delay_alu instid0(VALU_DEP_2) | instskip(NEXT) | instid1(VALU_DEP_1)
	v_add_f32_e32 v11, 1.0, v11
	v_add_f32_e32 v7, v7, v11
	v_cmp_gt_f32_e64 s6, 0x33800000, v8
	v_subrev_co_ci_u32_e32 v6, vcc_lo, 0, v6, vcc_lo
	v_cmp_eq_f32_e32 vcc_lo, 0x7f800000, v8
	s_delay_alu instid0(VALU_DEP_2) | instskip(SKIP_2) | instid1(VALU_DEP_2)
	v_sub_nc_u32_e32 v10, 0, v6
	v_cvt_f32_i32_e32 v6, v6
	s_or_b32 vcc_lo, s6, vcc_lo
	v_ldexp_f32 v9, v9, v10
	v_ldexp_f32 v7, v7, v10
	s_delay_alu instid0(VALU_DEP_2) | instskip(NEXT) | instid1(VALU_DEP_1)
	v_add_f32_e32 v12, 1.0, v9
	v_dual_add_f32 v10, -1.0, v9 :: v_dual_add_f32 v11, -1.0, v12
	s_delay_alu instid0(VALU_DEP_1) | instskip(NEXT) | instid1(VALU_DEP_2)
	v_add_f32_e32 v13, 1.0, v10
	v_sub_f32_e32 v11, v9, v11
	s_delay_alu instid0(VALU_DEP_2) | instskip(NEXT) | instid1(VALU_DEP_2)
	v_sub_f32_e32 v9, v9, v13
	v_add_f32_e32 v11, v7, v11
	s_delay_alu instid0(VALU_DEP_2) | instskip(NEXT) | instid1(VALU_DEP_2)
	v_add_f32_e32 v7, v7, v9
	v_add_f32_e32 v13, v12, v11
	s_delay_alu instid0(VALU_DEP_1) | instskip(NEXT) | instid1(VALU_DEP_2)
	v_rcp_f32_e32 v9, v13
	v_dual_add_f32 v35, v10, v7 :: v_dual_sub_f32 v12, v12, v13
	s_delay_alu instid0(VALU_DEP_1) | instskip(SKIP_3) | instid1(VALU_DEP_2)
	v_sub_f32_e32 v10, v10, v35
	s_waitcnt_depctr 0xfff
	v_mul_f32_e32 v36, v35, v9
	v_add_f32_e32 v7, v7, v10
	v_mul_f32_e32 v37, v13, v36
	v_add_f32_e32 v11, v11, v12
	s_delay_alu instid0(VALU_DEP_2) | instskip(NEXT) | instid1(VALU_DEP_1)
	v_fma_f32 v12, v36, v13, -v37
	v_fmac_f32_e32 v12, v36, v11
	s_delay_alu instid0(VALU_DEP_1) | instskip(NEXT) | instid1(VALU_DEP_1)
	v_add_f32_e32 v38, v37, v12
	v_dual_sub_f32 v10, v38, v37 :: v_dual_sub_f32 v39, v35, v38
	s_delay_alu instid0(VALU_DEP_1) | instskip(NEXT) | instid1(VALU_DEP_1)
	v_dual_sub_f32 v10, v10, v12 :: v_dual_sub_f32 v35, v35, v39
	v_sub_f32_e32 v35, v35, v38
	s_delay_alu instid0(VALU_DEP_1) | instskip(NEXT) | instid1(VALU_DEP_1)
	v_add_f32_e32 v7, v7, v35
	v_add_f32_e32 v7, v10, v7
	s_delay_alu instid0(VALU_DEP_1) | instskip(NEXT) | instid1(VALU_DEP_1)
	v_add_f32_e32 v10, v39, v7
	v_sub_f32_e32 v38, v39, v10
	v_mul_f32_e32 v12, v9, v10
	s_delay_alu instid0(VALU_DEP_2) | instskip(NEXT) | instid1(VALU_DEP_2)
	v_add_f32_e32 v7, v7, v38
	v_mul_f32_e32 v35, v13, v12
	s_delay_alu instid0(VALU_DEP_1) | instskip(NEXT) | instid1(VALU_DEP_1)
	v_fma_f32 v13, v12, v13, -v35
	v_fmac_f32_e32 v13, v12, v11
	s_delay_alu instid0(VALU_DEP_1) | instskip(NEXT) | instid1(VALU_DEP_1)
	v_add_f32_e32 v11, v35, v13
	v_sub_f32_e32 v37, v10, v11
	s_delay_alu instid0(VALU_DEP_1) | instskip(NEXT) | instid1(VALU_DEP_1)
	v_dual_sub_f32 v35, v11, v35 :: v_dual_sub_f32 v10, v10, v37
	v_dual_sub_f32 v10, v10, v11 :: v_dual_sub_f32 v11, v35, v13
	s_delay_alu instid0(VALU_DEP_1) | instskip(NEXT) | instid1(VALU_DEP_1)
	v_dual_add_f32 v7, v7, v10 :: v_dual_add_f32 v10, v36, v12
	v_add_f32_e32 v7, v11, v7
	s_delay_alu instid0(VALU_DEP_2) | instskip(NEXT) | instid1(VALU_DEP_2)
	v_sub_f32_e32 v11, v10, v36
	v_add_f32_e32 v7, v37, v7
	s_delay_alu instid0(VALU_DEP_2) | instskip(NEXT) | instid1(VALU_DEP_2)
	v_sub_f32_e32 v11, v12, v11
	v_mul_f32_e32 v7, v9, v7
	s_delay_alu instid0(VALU_DEP_1) | instskip(NEXT) | instid1(VALU_DEP_1)
	v_add_f32_e32 v7, v11, v7
	v_add_f32_e32 v9, v10, v7
	s_delay_alu instid0(VALU_DEP_1) | instskip(NEXT) | instid1(VALU_DEP_1)
	v_mul_f32_e32 v11, v9, v9
	v_fmaak_f32 v12, s42, v11, 0x3ecc95a3
	v_mul_f32_e32 v13, v9, v11
	s_delay_alu instid0(VALU_DEP_2) | instskip(SKIP_2) | instid1(VALU_DEP_3)
	v_fmaak_f32 v11, v11, v12, 0x3f2aaada
	v_ldexp_f32 v12, v9, 1
	v_sub_f32_e32 v9, v9, v10
	v_mul_f32_e32 v11, v13, v11
	v_mul_f32_e32 v13, 0x3f317218, v6
	s_delay_alu instid0(VALU_DEP_2) | instskip(NEXT) | instid1(VALU_DEP_1)
	v_dual_sub_f32 v7, v7, v9 :: v_dual_add_f32 v10, v12, v11
	v_ldexp_f32 v7, v7, 1
	s_delay_alu instid0(VALU_DEP_2) | instskip(NEXT) | instid1(VALU_DEP_4)
	v_sub_f32_e32 v9, v10, v12
	v_fma_f32 v12, 0x3f317218, v6, -v13
	s_delay_alu instid0(VALU_DEP_1) | instskip(NEXT) | instid1(VALU_DEP_1)
	v_dual_sub_f32 v9, v11, v9 :: v_dual_fmac_f32 v12, 0xb102e308, v6
	v_dual_add_f32 v6, v7, v9 :: v_dual_add_f32 v7, v13, v12
	s_delay_alu instid0(VALU_DEP_1) | instskip(NEXT) | instid1(VALU_DEP_2)
	v_add_f32_e32 v9, v10, v6
	v_sub_f32_e32 v13, v7, v13
	s_delay_alu instid0(VALU_DEP_2) | instskip(NEXT) | instid1(VALU_DEP_1)
	v_dual_add_f32 v11, v7, v9 :: v_dual_sub_f32 v10, v9, v10
	v_dual_sub_f32 v12, v12, v13 :: v_dual_sub_f32 v35, v11, v7
	s_delay_alu instid0(VALU_DEP_2) | instskip(NEXT) | instid1(VALU_DEP_2)
	v_sub_f32_e32 v6, v6, v10
	v_sub_f32_e32 v36, v11, v35
	s_delay_alu instid0(VALU_DEP_2) | instskip(NEXT) | instid1(VALU_DEP_2)
	v_dual_sub_f32 v9, v9, v35 :: v_dual_add_f32 v10, v12, v6
	v_sub_f32_e32 v7, v7, v36
	s_delay_alu instid0(VALU_DEP_1) | instskip(NEXT) | instid1(VALU_DEP_3)
	v_add_f32_e32 v7, v9, v7
	v_sub_f32_e32 v9, v10, v12
	s_delay_alu instid0(VALU_DEP_2) | instskip(NEXT) | instid1(VALU_DEP_2)
	v_add_f32_e32 v7, v10, v7
	v_sub_f32_e32 v10, v10, v9
	s_delay_alu instid0(VALU_DEP_2) | instskip(NEXT) | instid1(VALU_DEP_1)
	v_dual_sub_f32 v6, v6, v9 :: v_dual_add_f32 v13, v11, v7
	v_dual_sub_f32 v10, v12, v10 :: v_dual_sub_f32 v9, v13, v11
	s_delay_alu instid0(VALU_DEP_1) | instskip(NEXT) | instid1(VALU_DEP_1)
	v_dual_add_f32 v6, v6, v10 :: v_dual_sub_f32 v7, v7, v9
	v_add_f32_e32 v6, v6, v7
	s_delay_alu instid0(VALU_DEP_1) | instskip(NEXT) | instid1(VALU_DEP_1)
	v_add_f32_e32 v6, v13, v6
	v_cndmask_b32_e32 v39, v6, v8, vcc_lo
.LBB97_20:                              ;   in Loop: Header=BB97_12 Depth=1
	s_or_b32 exec_lo, exec_lo, s7
	v_cvt_f32_f16_e32 v6, v31
	s_delay_alu instid0(VALU_DEP_1) | instskip(NEXT) | instid1(VALU_DEP_1)
	v_add_f32_e32 v40, s52, v6
	v_cmp_ge_f32_e32 vcc_lo, 0x41a00000, v40
	s_and_b32 s6, s55, vcc_lo
	s_delay_alu instid0(SALU_CYCLE_1)
	s_and_saveexec_b32 s7, s6
	s_cbranch_execz .LBB97_22
; %bb.21:                               ;   in Loop: Header=BB97_12 Depth=1
	v_mul_f32_e32 v6, 0x3fb8aa3b, v40
	v_cmp_ngt_f32_e32 vcc_lo, 0xc2ce8ed0, v40
	s_delay_alu instid0(VALU_DEP_2) | instskip(SKIP_1) | instid1(VALU_DEP_2)
	v_rndne_f32_e32 v7, v6
	v_fma_f32 v8, 0x3fb8aa3b, v40, -v6
	v_sub_f32_e32 v6, v6, v7
	s_delay_alu instid0(VALU_DEP_2) | instskip(SKIP_1) | instid1(VALU_DEP_2)
	v_fmac_f32_e32 v8, 0x32a5705f, v40
	v_cvt_i32_f32_e32 v7, v7
	v_add_f32_e32 v6, v6, v8
	s_delay_alu instid0(VALU_DEP_1) | instskip(SKIP_2) | instid1(VALU_DEP_1)
	v_exp_f32_e32 v6, v6
	s_waitcnt_depctr 0xfff
	v_ldexp_f32 v6, v6, v7
	v_cndmask_b32_e32 v6, 0, v6, vcc_lo
	v_cmp_nlt_f32_e32 vcc_lo, 0x42b17218, v40
	s_delay_alu instid0(VALU_DEP_2) | instskip(NEXT) | instid1(VALU_DEP_1)
	v_cndmask_b32_e32 v8, 0x7f800000, v6, vcc_lo
	v_add_f32_e32 v9, 1.0, v8
	s_delay_alu instid0(VALU_DEP_1) | instskip(NEXT) | instid1(VALU_DEP_1)
	v_cvt_f64_f32_e32 v[6:7], v9
	v_frexp_exp_i32_f64_e32 v6, v[6:7]
	v_frexp_mant_f32_e32 v7, v9
	s_delay_alu instid0(VALU_DEP_1) | instskip(SKIP_1) | instid1(VALU_DEP_1)
	v_cmp_gt_f32_e32 vcc_lo, 0x3f2aaaab, v7
	v_add_f32_e32 v7, -1.0, v9
	v_sub_f32_e32 v11, v7, v9
	v_sub_f32_e32 v7, v8, v7
	s_delay_alu instid0(VALU_DEP_2) | instskip(NEXT) | instid1(VALU_DEP_1)
	v_add_f32_e32 v11, 1.0, v11
	v_add_f32_e32 v7, v7, v11
	v_cmp_gt_f32_e64 s6, 0x33800000, v8
	v_subrev_co_ci_u32_e32 v6, vcc_lo, 0, v6, vcc_lo
	v_cmp_eq_f32_e32 vcc_lo, 0x7f800000, v8
	s_delay_alu instid0(VALU_DEP_2) | instskip(SKIP_2) | instid1(VALU_DEP_2)
	v_sub_nc_u32_e32 v10, 0, v6
	v_cvt_f32_i32_e32 v6, v6
	s_or_b32 vcc_lo, s6, vcc_lo
	v_ldexp_f32 v9, v9, v10
	v_ldexp_f32 v7, v7, v10
	s_delay_alu instid0(VALU_DEP_2) | instskip(NEXT) | instid1(VALU_DEP_1)
	v_add_f32_e32 v12, 1.0, v9
	v_dual_add_f32 v10, -1.0, v9 :: v_dual_add_f32 v11, -1.0, v12
	s_delay_alu instid0(VALU_DEP_1) | instskip(NEXT) | instid1(VALU_DEP_2)
	v_add_f32_e32 v13, 1.0, v10
	v_sub_f32_e32 v11, v9, v11
	s_delay_alu instid0(VALU_DEP_2) | instskip(NEXT) | instid1(VALU_DEP_2)
	v_sub_f32_e32 v9, v9, v13
	v_add_f32_e32 v11, v7, v11
	s_delay_alu instid0(VALU_DEP_2) | instskip(NEXT) | instid1(VALU_DEP_2)
	v_add_f32_e32 v7, v7, v9
	v_add_f32_e32 v13, v12, v11
	s_delay_alu instid0(VALU_DEP_1) | instskip(NEXT) | instid1(VALU_DEP_2)
	v_rcp_f32_e32 v9, v13
	v_dual_add_f32 v35, v10, v7 :: v_dual_sub_f32 v12, v12, v13
	s_delay_alu instid0(VALU_DEP_1) | instskip(SKIP_2) | instid1(VALU_DEP_1)
	v_sub_f32_e32 v10, v10, v35
	s_waitcnt_depctr 0xfff
	v_mul_f32_e32 v36, v35, v9
	v_mul_f32_e32 v37, v13, v36
	v_add_f32_e32 v11, v11, v12
	s_delay_alu instid0(VALU_DEP_2) | instskip(NEXT) | instid1(VALU_DEP_1)
	v_fma_f32 v12, v36, v13, -v37
	v_dual_fmac_f32 v12, v36, v11 :: v_dual_add_f32 v7, v7, v10
	s_delay_alu instid0(VALU_DEP_1) | instskip(NEXT) | instid1(VALU_DEP_1)
	v_add_f32_e32 v38, v37, v12
	v_sub_f32_e32 v40, v35, v38
	s_delay_alu instid0(VALU_DEP_1) | instskip(NEXT) | instid1(VALU_DEP_1)
	v_dual_sub_f32 v10, v38, v37 :: v_dual_sub_f32 v35, v35, v40
	v_dual_sub_f32 v10, v10, v12 :: v_dual_sub_f32 v35, v35, v38
	s_delay_alu instid0(VALU_DEP_1) | instskip(NEXT) | instid1(VALU_DEP_1)
	v_add_f32_e32 v7, v7, v35
	v_add_f32_e32 v7, v10, v7
	s_delay_alu instid0(VALU_DEP_1) | instskip(NEXT) | instid1(VALU_DEP_1)
	v_add_f32_e32 v10, v40, v7
	v_mul_f32_e32 v12, v9, v10
	s_delay_alu instid0(VALU_DEP_1) | instskip(NEXT) | instid1(VALU_DEP_1)
	v_dual_sub_f32 v38, v40, v10 :: v_dual_mul_f32 v35, v13, v12
	v_add_f32_e32 v7, v7, v38
	s_delay_alu instid0(VALU_DEP_2) | instskip(NEXT) | instid1(VALU_DEP_1)
	v_fma_f32 v13, v12, v13, -v35
	v_fmac_f32_e32 v13, v12, v11
	s_delay_alu instid0(VALU_DEP_1) | instskip(NEXT) | instid1(VALU_DEP_1)
	v_add_f32_e32 v11, v35, v13
	v_sub_f32_e32 v37, v10, v11
	s_delay_alu instid0(VALU_DEP_1) | instskip(NEXT) | instid1(VALU_DEP_1)
	v_sub_f32_e32 v10, v10, v37
	v_sub_f32_e32 v10, v10, v11
	;; [unrolled: 1-line block ×3, first 2 shown]
	s_delay_alu instid0(VALU_DEP_2) | instskip(NEXT) | instid1(VALU_DEP_2)
	v_add_f32_e32 v7, v7, v10
	v_dual_sub_f32 v11, v35, v13 :: v_dual_add_f32 v10, v36, v12
	s_delay_alu instid0(VALU_DEP_1) | instskip(NEXT) | instid1(VALU_DEP_2)
	v_add_f32_e32 v7, v11, v7
	v_sub_f32_e32 v11, v10, v36
	s_delay_alu instid0(VALU_DEP_2) | instskip(NEXT) | instid1(VALU_DEP_2)
	v_add_f32_e32 v7, v37, v7
	v_sub_f32_e32 v11, v12, v11
	s_delay_alu instid0(VALU_DEP_2) | instskip(NEXT) | instid1(VALU_DEP_1)
	v_mul_f32_e32 v7, v9, v7
	v_add_f32_e32 v7, v11, v7
	s_delay_alu instid0(VALU_DEP_1) | instskip(NEXT) | instid1(VALU_DEP_1)
	v_add_f32_e32 v9, v10, v7
	v_mul_f32_e32 v11, v9, v9
	s_delay_alu instid0(VALU_DEP_1) | instskip(SKIP_1) | instid1(VALU_DEP_2)
	v_fmaak_f32 v12, s42, v11, 0x3ecc95a3
	v_mul_f32_e32 v13, v9, v11
	v_fmaak_f32 v11, v11, v12, 0x3f2aaada
	v_ldexp_f32 v12, v9, 1
	v_sub_f32_e32 v9, v9, v10
	s_delay_alu instid0(VALU_DEP_3) | instskip(SKIP_1) | instid1(VALU_DEP_2)
	v_mul_f32_e32 v11, v13, v11
	v_mul_f32_e32 v13, 0x3f317218, v6
	v_dual_sub_f32 v7, v7, v9 :: v_dual_add_f32 v10, v12, v11
	s_delay_alu instid0(VALU_DEP_1) | instskip(NEXT) | instid1(VALU_DEP_2)
	v_ldexp_f32 v7, v7, 1
	v_sub_f32_e32 v9, v10, v12
	s_delay_alu instid0(VALU_DEP_4) | instskip(NEXT) | instid1(VALU_DEP_1)
	v_fma_f32 v12, 0x3f317218, v6, -v13
	v_dual_sub_f32 v9, v11, v9 :: v_dual_fmac_f32 v12, 0xb102e308, v6
	s_delay_alu instid0(VALU_DEP_1) | instskip(NEXT) | instid1(VALU_DEP_1)
	v_dual_add_f32 v6, v7, v9 :: v_dual_add_f32 v7, v13, v12
	v_add_f32_e32 v9, v10, v6
	s_delay_alu instid0(VALU_DEP_2) | instskip(NEXT) | instid1(VALU_DEP_2)
	v_sub_f32_e32 v13, v7, v13
	v_dual_add_f32 v11, v7, v9 :: v_dual_sub_f32 v10, v9, v10
	s_delay_alu instid0(VALU_DEP_1) | instskip(NEXT) | instid1(VALU_DEP_2)
	v_dual_sub_f32 v12, v12, v13 :: v_dual_sub_f32 v35, v11, v7
	v_sub_f32_e32 v6, v6, v10
	s_delay_alu instid0(VALU_DEP_2) | instskip(NEXT) | instid1(VALU_DEP_2)
	v_sub_f32_e32 v36, v11, v35
	v_dual_sub_f32 v9, v9, v35 :: v_dual_add_f32 v10, v12, v6
	s_delay_alu instid0(VALU_DEP_2) | instskip(NEXT) | instid1(VALU_DEP_1)
	v_sub_f32_e32 v7, v7, v36
	v_add_f32_e32 v7, v9, v7
	s_delay_alu instid0(VALU_DEP_3) | instskip(NEXT) | instid1(VALU_DEP_2)
	v_sub_f32_e32 v9, v10, v12
	v_add_f32_e32 v7, v10, v7
	s_delay_alu instid0(VALU_DEP_2) | instskip(NEXT) | instid1(VALU_DEP_2)
	v_sub_f32_e32 v10, v10, v9
	v_dual_sub_f32 v6, v6, v9 :: v_dual_add_f32 v13, v11, v7
	s_delay_alu instid0(VALU_DEP_1) | instskip(NEXT) | instid1(VALU_DEP_1)
	v_dual_sub_f32 v10, v12, v10 :: v_dual_sub_f32 v9, v13, v11
	v_dual_add_f32 v6, v6, v10 :: v_dual_sub_f32 v7, v7, v9
	s_delay_alu instid0(VALU_DEP_1) | instskip(NEXT) | instid1(VALU_DEP_1)
	v_add_f32_e32 v6, v6, v7
	v_add_f32_e32 v6, v13, v6
	s_delay_alu instid0(VALU_DEP_1)
	v_cndmask_b32_e32 v40, v6, v8, vcc_lo
.LBB97_22:                              ;   in Loop: Header=BB97_12 Depth=1
	s_or_b32 exec_lo, exec_lo, s7
	v_cvt_f32_f16_e32 v6, v1
	v_cvt_f32_f16_e32 v7, v29
	;; [unrolled: 1-line block ×4, first 2 shown]
	s_lshl_b32 s20, s61, 8
	s_delay_alu instid0(VALU_DEP_3) | instskip(NEXT) | instid1(VALU_DEP_2)
	v_dual_mul_f32 v36, s53, v6 :: v_dual_mul_f32 v35, s53, v7
	v_dual_mul_f32 v38, s53, v8 :: v_dual_mul_f32 v37, s53, v9
	s_and_b32 vcc_lo, exec_lo, s56
	s_barrier
	buffer_gl0_inv
	s_cbranch_vccz .LBB97_54
; %bb.23:                               ;   in Loop: Header=BB97_12 Depth=1
	v_dual_mul_f32 v43, v34, v7 :: v_dual_mul_f32 v44, v33, v8
	v_add_nc_u32_e32 v7, -1, v28
	v_dual_mul_f32 v41, v40, v9 :: v_dual_mul_f32 v42, v39, v6
	v_and_b32_e32 v6, 15, v28
	v_and_b32_e32 v8, 16, v28
	s_delay_alu instid0(VALU_DEP_4)
	v_cmp_gt_i32_e32 vcc_lo, 0, v7
	v_and_b32_e32 v9, 1, v28
	s_sub_i32 s13, s34, s20
	v_add_co_u32 v45, s6, s44, v27
	v_cndmask_b32_e32 v7, v7, v28, vcc_lo
	v_add_co_ci_u32_e64 v46, null, s46, 0, s6
	v_add_co_u32 v47, s6, s37, v27
	v_cmp_gt_u32_e32 vcc_lo, s13, v15
	v_cmp_gt_u32_e64 s14, s13, v24
	v_cmp_gt_u32_e64 s15, s13, v25
	;; [unrolled: 1-line block ×3, first 2 shown]
	s_cmp_lg_u32 s61, 0
	v_add_co_ci_u32_e64 v48, null, s47, 0, s6
	v_cmp_ne_u32_e64 s6, 0, v6
	v_cmp_lt_u32_e64 s7, 1, v6
	v_cmp_lt_u32_e64 s8, 3, v6
	v_cmp_lt_u32_e64 s9, 7, v6
	v_cmp_ne_u32_e64 s10, 0, v8
	v_cmp_eq_u32_e64 s11, 0, v9
	v_lshlrev_b32_e32 v49, 2, v7
	v_cmp_eq_u32_e64 s12, 0, v28
	s_mov_b32 s22, 0
	s_cselect_b32 s21, -1, 0
	s_cmp_eq_u32 s61, s58
	s_mov_b32 s28, s22
	s_cselect_b32 s62, -1, 0
	s_or_b32 s13, s57, vcc_lo
	s_or_b32 s14, s57, s14
	s_or_b32 s15, s57, s15
	s_or_b32 s16, s57, s16
	s_mov_b32 s30, s22
	s_mov_b32 s38, s22
	;; [unrolled: 1-line block ×4, first 2 shown]
	s_branch .LBB97_25
.LBB97_24:                              ;   in Loop: Header=BB97_25 Depth=2
	s_or_b32 exec_lo, exec_lo, s17
	v_cndmask_b32_e64 v8, v59, v13, s12
	v_cndmask_b32_e64 v9, v58, v12, s12
	s_add_i32 s63, s63, -1
	s_add_i32 s64, s64, 8
	s_add_i32 s38, s38, s49
	v_fma_f32 v8, v8, v55, v52
	v_mul_f32_e32 v9, v9, v55
	s_add_i32 s30, s30, s36
	s_add_i32 s28, s28, s48
	;; [unrolled: 1-line block ×3, first 2 shown]
	v_cndmask_b32_e64 v8, v8, v52, s5
	v_cndmask_b32_e64 v9, v9, v55, s5
	s_cmp_eq_u32 s63, 0
	s_waitcnt lgkmcnt(0)
	s_delay_alu instid0(VALU_DEP_1) | instskip(NEXT) | instid1(VALU_DEP_1)
	v_fmac_f32_e32 v8, v10, v9
	v_fmac_f32_e32 v50, v8, v56
	s_delay_alu instid0(VALU_DEP_1) | instskip(SKIP_1) | instid1(VALU_DEP_2)
	v_fmac_f32_e32 v51, v50, v57
	v_fma_mix_f32 v35, v50, v6, v35 op_sel:[0,1,0] op_sel_hi:[0,1,0]
	v_fmac_f32_e32 v53, v51, v54
	v_fma_mix_f32 v38, v8, v6, v38 op_sel_hi:[0,1,0]
	v_fma_mix_f32 v36, v51, v7, v36 op_sel_hi:[0,1,0]
	s_delay_alu instid0(VALU_DEP_3)
	v_fma_mix_f32 v37, v53, v7, v37 op_sel:[0,1,0] op_sel_hi:[0,1,0]
	s_cbranch_scc1 .LBB97_54
.LBB97_25:                              ;   Parent Loop BB97_12 Depth=1
                                        ; =>  This Inner Loop Header: Depth=2
	s_lshl_b64 s[18:19], s[22:23], 2
	s_mov_b32 s29, s23
	s_add_u32 s18, s40, s18
	s_addc_u32 s19, s41, s19
	s_lshl_b64 s[66:67], s[28:29], 1
	s_mov_b32 s31, s23
	v_add_co_u32 v6, vcc_lo, v45, s66
	v_add_co_ci_u32_e32 v7, vcc_lo, s67, v46, vcc_lo
	s_lshl_b64 s[66:67], s[30:31], 1
	s_delay_alu instid0(SALU_CYCLE_1)
	v_add_co_u32 v8, vcc_lo, v47, s66
	v_add_co_ci_u32_e32 v9, vcc_lo, s67, v48, vcc_lo
	global_load_b32 v12, v14, s[18:19]
	global_load_b64 v[10:11], v[6:7], off
	global_load_b64 v[6:7], v[8:9], off
	s_and_not1_b32 vcc_lo, exec_lo, s21
	s_cbranch_vccnz .LBB97_27
; %bb.26:                               ;   in Loop: Header=BB97_25 Depth=2
	v_mov_b32_e32 v8, s64
	ds_load_b64 v[8:9], v8
	s_cbranch_execz .LBB97_28
	s_branch .LBB97_31
.LBB97_27:                              ;   in Loop: Header=BB97_25 Depth=2
                                        ; implicit-def: $vgpr8
.LBB97_28:                              ;   in Loop: Header=BB97_25 Depth=2
	s_waitcnt lgkmcnt(0)
	v_mov_b32_e32 v9, 0
	s_and_not1_b32 vcc_lo, exec_lo, s33
	s_cbranch_vccnz .LBB97_30
; %bb.29:                               ;   in Loop: Header=BB97_25 Depth=2
	s_mov_b32 s39, s23
	s_delay_alu instid0(SALU_CYCLE_1) | instskip(NEXT) | instid1(SALU_CYCLE_1)
	s_lshl_b64 s[18:19], s[38:39], 2
	s_add_u32 s18, s50, s18
	s_addc_u32 s19, s51, s19
	global_load_b32 v9, v14, s[18:19]
.LBB97_30:                              ;   in Loop: Header=BB97_25 Depth=2
	v_mov_b32_e32 v8, 1.0
.LBB97_31:                              ;   in Loop: Header=BB97_25 Depth=2
	s_waitcnt vmcnt(1)
	v_lshrrev_b32_e32 v13, 16, v10
	v_cvt_f32_f16_e32 v51, v11
	v_cvt_f32_f16_e32 v10, v10
	v_lshrrev_b32_e32 v11, 16, v11
	s_delay_alu instid0(VALU_DEP_4) | instskip(SKIP_1) | instid1(VALU_DEP_4)
	v_cvt_f32_f16_e32 v13, v13
	v_mul_f32_e32 v12, 0x3fb8aa3b, v12
	v_mul_f32_e32 v10, v44, v10
	s_delay_alu instid0(VALU_DEP_4) | instskip(SKIP_1) | instid1(VALU_DEP_4)
	v_cvt_f32_f16_e32 v11, v11
	v_mul_f32_e32 v51, v42, v51
	v_dual_mul_f32 v13, v43, v13 :: v_dual_mul_f32 v54, v12, v40
	v_mul_f32_e32 v50, v12, v33
	s_delay_alu instid0(VALU_DEP_3) | instskip(NEXT) | instid1(VALU_DEP_3)
	v_cndmask_b32_e64 v51, 0, v51, s15
	v_cmp_gt_f32_e64 s19, 0xc2fc0000, v54
	s_delay_alu instid0(VALU_DEP_3) | instskip(NEXT) | instid1(VALU_DEP_2)
	v_cmp_gt_f32_e32 vcc_lo, 0xc2fc0000, v50
	v_cndmask_b32_e64 v54, 0, 0x42800000, s19
	v_cndmask_b32_e64 v50, 0, 0x42800000, vcc_lo
	v_cndmask_b32_e64 v56, 1.0, 0x1f800000, vcc_lo
	s_delay_alu instid0(VALU_DEP_3) | instskip(NEXT) | instid1(VALU_DEP_3)
	v_fmac_f32_e32 v54, v12, v40
	v_fmac_f32_e32 v50, v12, v33
	s_delay_alu instid0(VALU_DEP_2) | instskip(SKIP_1) | instid1(VALU_DEP_2)
	v_exp_f32_e32 v54, v54
	v_mul_f32_e32 v52, v12, v34
	v_exp_f32_e32 v50, v50
	v_mul_f32_e32 v53, v12, v39
	s_delay_alu instid0(VALU_DEP_2) | instskip(NEXT) | instid1(VALU_DEP_1)
	v_cmp_gt_f32_e64 s17, 0xc2fc0000, v52
	v_cndmask_b32_e64 v52, 0, 0x42800000, s17
	s_waitcnt_depctr 0xfff
	v_mul_f32_e32 v50, v50, v56
	v_cmp_gt_f32_e64 s18, 0xc2fc0000, v53
	v_fmac_f32_e32 v52, v12, v34
	s_delay_alu instid0(VALU_DEP_2) | instskip(NEXT) | instid1(VALU_DEP_2)
	v_cndmask_b32_e64 v53, 0, 0x42800000, s18
	v_exp_f32_e32 v55, v52
	v_cndmask_b32_e64 v52, 0, v10, s13
	s_delay_alu instid0(VALU_DEP_2)
	v_fmac_f32_e32 v53, v12, v39
	v_cndmask_b32_e64 v12, 1.0, 0x1f800000, s17
	s_waitcnt_depctr 0xfff
	v_mul_f32_e32 v12, v55, v12
	v_exp_f32_e32 v10, v53
	v_cndmask_b32_e64 v53, 1.0, 0x1f800000, s18
	v_cndmask_b32_e64 v55, 1.0, v50, s13
	v_cndmask_b32_e64 v50, 0, v13, s14
	v_cndmask_b32_e64 v13, 1.0, 0x1f800000, s19
	v_cndmask_b32_e64 v56, 1.0, v12, s14
	s_waitcnt_depctr 0xfff
	v_mul_f32_e32 v10, v10, v53
	v_mul_f32_e32 v12, v56, v55
	s_delay_alu instid0(VALU_DEP_2) | instskip(SKIP_2) | instid1(VALU_DEP_2)
	v_cndmask_b32_e64 v57, 1.0, v10, s15
	v_dual_mul_f32 v10, v41, v11 :: v_dual_mul_f32 v11, v54, v13
	v_fma_f32 v13, v56, v52, v50
	v_cndmask_b32_e64 v53, 0, v10, s16
	s_delay_alu instid0(VALU_DEP_3) | instskip(SKIP_1) | instid1(VALU_DEP_4)
	v_cndmask_b32_e64 v54, 1.0, v11, s16
	v_mul_f32_e32 v10, v12, v57
	v_fma_f32 v11, v13, v57, v51
	s_delay_alu instid0(VALU_DEP_2) | instskip(NEXT) | instid1(VALU_DEP_2)
	v_mul_f32_e32 v10, v10, v54
	v_fma_f32 v11, v11, v54, v53
	s_delay_alu instid0(VALU_DEP_2) | instskip(NEXT) | instid1(VALU_DEP_2)
	v_mov_b32_dpp v13, v10 row_shr:1 row_mask:0xf bank_mask:0xf
	v_mov_b32_dpp v12, v11 row_shr:1 row_mask:0xf bank_mask:0xf
	s_and_saveexec_b32 s17, s6
; %bb.32:                               ;   in Loop: Header=BB97_25 Depth=2
	s_delay_alu instid0(VALU_DEP_2) | instskip(NEXT) | instid1(VALU_DEP_1)
	v_mul_f32_e32 v13, v10, v13
	v_dual_fmac_f32 v11, v10, v12 :: v_dual_mov_b32 v10, v13
; %bb.33:                               ;   in Loop: Header=BB97_25 Depth=2
	s_or_b32 exec_lo, exec_lo, s17
	s_delay_alu instid0(VALU_DEP_1) | instskip(NEXT) | instid1(VALU_DEP_2)
	v_mov_b32_dpp v12, v10 row_shr:2 row_mask:0xf bank_mask:0xf
	v_mov_b32_dpp v13, v11 row_shr:2 row_mask:0xf bank_mask:0xf
	s_and_saveexec_b32 s17, s7
; %bb.34:                               ;   in Loop: Header=BB97_25 Depth=2
	s_delay_alu instid0(VALU_DEP_1) | instskip(NEXT) | instid1(VALU_DEP_3)
	v_fmac_f32_e32 v11, v10, v13
	v_mul_f32_e32 v10, v10, v12
; %bb.35:                               ;   in Loop: Header=BB97_25 Depth=2
	s_or_b32 exec_lo, exec_lo, s17
	s_delay_alu instid0(VALU_DEP_1) | instskip(NEXT) | instid1(VALU_DEP_3)
	v_mov_b32_dpp v12, v10 row_shr:4 row_mask:0xf bank_mask:0xf
	v_mov_b32_dpp v13, v11 row_shr:4 row_mask:0xf bank_mask:0xf
	s_and_saveexec_b32 s17, s8
; %bb.36:                               ;   in Loop: Header=BB97_25 Depth=2
	s_delay_alu instid0(VALU_DEP_1) | instskip(NEXT) | instid1(VALU_DEP_3)
	v_fmac_f32_e32 v11, v10, v13
	v_mul_f32_e32 v10, v10, v12
; %bb.37:                               ;   in Loop: Header=BB97_25 Depth=2
	s_or_b32 exec_lo, exec_lo, s17
	s_delay_alu instid0(VALU_DEP_1) | instskip(NEXT) | instid1(VALU_DEP_3)
	v_mov_b32_dpp v12, v10 row_shr:8 row_mask:0xf bank_mask:0xf
	v_mov_b32_dpp v13, v11 row_shr:8 row_mask:0xf bank_mask:0xf
	s_and_saveexec_b32 s17, s9
; %bb.38:                               ;   in Loop: Header=BB97_25 Depth=2
	s_delay_alu instid0(VALU_DEP_1) | instskip(NEXT) | instid1(VALU_DEP_3)
	v_fmac_f32_e32 v11, v10, v13
	v_mul_f32_e32 v10, v10, v12
; %bb.39:                               ;   in Loop: Header=BB97_25 Depth=2
	s_or_b32 exec_lo, exec_lo, s17
	ds_swizzle_b32 v13, v10 offset:swizzle(BROADCAST,32,15)
	ds_swizzle_b32 v12, v11 offset:swizzle(BROADCAST,32,15)
	s_and_saveexec_b32 s17, s10
	s_cbranch_execz .LBB97_41
; %bb.40:                               ;   in Loop: Header=BB97_25 Depth=2
	s_waitcnt lgkmcnt(1)
	v_mul_f32_e32 v13, v10, v13
	s_waitcnt lgkmcnt(0)
	s_delay_alu instid0(VALU_DEP_1)
	v_dual_fmac_f32 v11, v10, v12 :: v_dual_mov_b32 v10, v13
.LBB97_41:                              ;   in Loop: Header=BB97_25 Depth=2
	s_or_b32 exec_lo, exec_lo, s17
	s_and_saveexec_b32 s17, s1
	s_cbranch_execz .LBB97_43
; %bb.42:                               ;   in Loop: Header=BB97_25 Depth=2
	ds_store_b64 v16, v[10:11] offset:1056
.LBB97_43:                              ;   in Loop: Header=BB97_25 Depth=2
	s_or_b32 exec_lo, exec_lo, s17
	s_waitcnt vmcnt(0) lgkmcnt(0)
	s_waitcnt_vscnt null, 0x0
	s_barrier
	buffer_gl0_inv
	s_and_saveexec_b32 s17, s2
	s_cbranch_execz .LBB97_45
; %bb.44:                               ;   in Loop: Header=BB97_25 Depth=2
	ds_load_b64 v[12:13], v17 offset:1056
	s_waitcnt lgkmcnt(0)
	v_mov_b32_dpp v58, v12 row_shr:1 row_mask:0xf bank_mask:0xf
	v_mov_b32_dpp v59, v13 row_shr:1 row_mask:0xf bank_mask:0xf
	s_delay_alu instid0(VALU_DEP_2) | instskip(NEXT) | instid1(VALU_DEP_2)
	v_mul_f32_e32 v58, v12, v58
	v_fma_f32 v59, v12, v59, v13
	s_delay_alu instid0(VALU_DEP_2) | instskip(NEXT) | instid1(VALU_DEP_2)
	v_cndmask_b32_e64 v12, v58, v12, s11
	v_cndmask_b32_e64 v13, v59, v13, s11
	ds_store_b64 v17, v[12:13] offset:1056
.LBB97_45:                              ;   in Loop: Header=BB97_25 Depth=2
	s_or_b32 exec_lo, exec_lo, s17
	s_waitcnt lgkmcnt(0)
	s_barrier
	buffer_gl0_inv
                                        ; implicit-def: $vgpr13
	s_and_saveexec_b32 s17, s4
	s_cbranch_execz .LBB97_47
; %bb.46:                               ;   in Loop: Header=BB97_25 Depth=2
	ds_load_b64 v[12:13], v16 offset:1048
	s_waitcnt lgkmcnt(0)
	v_mul_f32_e32 v58, v10, v12
	v_fmac_f32_e32 v11, v10, v13
	s_delay_alu instid0(VALU_DEP_2)
	v_mov_b32_e32 v10, v58
.LBB97_47:                              ;   in Loop: Header=BB97_25 Depth=2
	s_or_b32 exec_lo, exec_lo, s17
	ds_bpermute_b32 v58, v49, v10
	ds_bpermute_b32 v59, v49, v11
	s_and_saveexec_b32 s17, s3
	s_cbranch_execz .LBB97_51
; %bb.48:                               ;   in Loop: Header=BB97_25 Depth=2
	ds_load_b64 v[10:11], v14 offset:1064
	s_and_saveexec_b32 s18, s5
	s_cbranch_execz .LBB97_50
; %bb.49:                               ;   in Loop: Header=BB97_25 Depth=2
	ds_store_b64 v14, v[8:9] offset:1064
.LBB97_50:                              ;   in Loop: Header=BB97_25 Depth=2
	s_or_b32 exec_lo, exec_lo, s18
	s_waitcnt lgkmcnt(0)
	v_fmac_f32_e32 v11, v9, v10
	s_delay_alu instid0(VALU_DEP_1)
	v_dual_mul_f32 v8, v8, v10 :: v_dual_mov_b32 v9, v11
.LBB97_51:                              ;   in Loop: Header=BB97_25 Depth=2
	s_or_b32 exec_lo, exec_lo, s17
	s_waitcnt lgkmcnt(0)
	s_barrier
	buffer_gl0_inv
	ds_load_b32 v10, v14 offset:1068
	s_and_saveexec_b32 s17, s5
	s_cbranch_execz .LBB97_24
; %bb.52:                               ;   in Loop: Header=BB97_25 Depth=2
	v_mov_b32_e32 v11, s64
	s_and_not1_b32 vcc_lo, exec_lo, s62
	ds_store_b64 v11, v[8:9]
	s_cbranch_vccnz .LBB97_24
; %bb.53:                               ;   in Loop: Header=BB97_25 Depth=2
	s_mov_b32 s39, s23
	s_delay_alu instid0(SALU_CYCLE_1) | instskip(NEXT) | instid1(SALU_CYCLE_1)
	s_lshl_b64 s[18:19], s[38:39], 2
	s_add_u32 s18, s50, s18
	s_addc_u32 s19, s51, s19
	global_store_b32 v14, v9, s[18:19]
	s_branch .LBB97_24
.LBB97_54:                              ;   in Loop: Header=BB97_12 Depth=1
	s_mov_b32 s21, s23
	v_cvt_f16_f32_e32 v8, v38
	v_cvt_f16_f32_e32 v10, v35
	;; [unrolled: 1-line block ×4, first 2 shown]
	s_lshl_b64 s[10:11], s[20:21], 1
	s_waitcnt_vscnt null, 0x0
	v_add_co_u32 v6, vcc_lo, v18, s10
	v_add_co_ci_u32_e32 v7, vcc_lo, s11, v19, vcc_lo
	v_pack_b32_f16 v9, v9, v11
	v_pack_b32_f16 v8, v8, v10
	s_barrier
	buffer_gl0_inv
	global_store_b64 v[6:7], v[8:9], off
	s_waitcnt_vscnt null, 0x0
	s_barrier
	buffer_gl0_inv
	s_and_saveexec_b32 s6, s0
	s_cbranch_execz .LBB97_11
; %bb.55:                               ;   in Loop: Header=BB97_12 Depth=1
	v_add_co_u32 v4, vcc_lo, v20, s10
	v_add_co_ci_u32_e32 v5, vcc_lo, s11, v21, vcc_lo
	global_load_b64 v[4:5], v[4:5], off
	s_branch .LBB97_11
.LBB97_56:
	s_nop 0
	s_sendmsg sendmsg(MSG_DEALLOC_VGPRS)
	s_endpgm
	.section	.rodata,"a",@progbits
	.p2align	6, 0x0
	.amdhsa_kernel _Z25selective_scan_fwd_kernelI32Selective_Scan_fwd_kernel_traitsILi64ELi4ELi1ELb1ELb1ELb1ELb1ELb0EN3c104HalfEffEEv13SSMParamsBase
		.amdhsa_group_segment_fixed_size 0
		.amdhsa_private_segment_fixed_size 0
		.amdhsa_kernarg_size 248
		.amdhsa_user_sgpr_count 14
		.amdhsa_user_sgpr_dispatch_ptr 0
		.amdhsa_user_sgpr_queue_ptr 0
		.amdhsa_user_sgpr_kernarg_segment_ptr 1
		.amdhsa_user_sgpr_dispatch_id 0
		.amdhsa_user_sgpr_private_segment_size 0
		.amdhsa_wavefront_size32 1
		.amdhsa_uses_dynamic_stack 0
		.amdhsa_enable_private_segment 0
		.amdhsa_system_sgpr_workgroup_id_x 1
		.amdhsa_system_sgpr_workgroup_id_y 1
		.amdhsa_system_sgpr_workgroup_id_z 0
		.amdhsa_system_sgpr_workgroup_info 0
		.amdhsa_system_vgpr_workitem_id 0
		.amdhsa_next_free_vgpr 60
		.amdhsa_next_free_sgpr 68
		.amdhsa_reserve_vcc 1
		.amdhsa_float_round_mode_32 0
		.amdhsa_float_round_mode_16_64 0
		.amdhsa_float_denorm_mode_32 3
		.amdhsa_float_denorm_mode_16_64 3
		.amdhsa_dx10_clamp 1
		.amdhsa_ieee_mode 1
		.amdhsa_fp16_overflow 0
		.amdhsa_workgroup_processor_mode 1
		.amdhsa_memory_ordered 1
		.amdhsa_forward_progress 0
		.amdhsa_shared_vgpr_count 0
		.amdhsa_exception_fp_ieee_invalid_op 0
		.amdhsa_exception_fp_denorm_src 0
		.amdhsa_exception_fp_ieee_div_zero 0
		.amdhsa_exception_fp_ieee_overflow 0
		.amdhsa_exception_fp_ieee_underflow 0
		.amdhsa_exception_fp_ieee_inexact 0
		.amdhsa_exception_int_div_zero 0
	.end_amdhsa_kernel
	.section	.text._Z25selective_scan_fwd_kernelI32Selective_Scan_fwd_kernel_traitsILi64ELi4ELi1ELb1ELb1ELb1ELb1ELb0EN3c104HalfEffEEv13SSMParamsBase,"axG",@progbits,_Z25selective_scan_fwd_kernelI32Selective_Scan_fwd_kernel_traitsILi64ELi4ELi1ELb1ELb1ELb1ELb1ELb0EN3c104HalfEffEEv13SSMParamsBase,comdat
.Lfunc_end97:
	.size	_Z25selective_scan_fwd_kernelI32Selective_Scan_fwd_kernel_traitsILi64ELi4ELi1ELb1ELb1ELb1ELb1ELb0EN3c104HalfEffEEv13SSMParamsBase, .Lfunc_end97-_Z25selective_scan_fwd_kernelI32Selective_Scan_fwd_kernel_traitsILi64ELi4ELi1ELb1ELb1ELb1ELb1ELb0EN3c104HalfEffEEv13SSMParamsBase
                                        ; -- End function
	.section	.AMDGPU.csdata,"",@progbits
; Kernel info:
; codeLenInByte = 6836
; NumSgprs: 70
; NumVgprs: 60
; ScratchSize: 0
; MemoryBound: 0
; FloatMode: 240
; IeeeMode: 1
; LDSByteSize: 0 bytes/workgroup (compile time only)
; SGPRBlocks: 8
; VGPRBlocks: 7
; NumSGPRsForWavesPerEU: 70
; NumVGPRsForWavesPerEU: 60
; Occupancy: 16
; WaveLimiterHint : 0
; COMPUTE_PGM_RSRC2:SCRATCH_EN: 0
; COMPUTE_PGM_RSRC2:USER_SGPR: 14
; COMPUTE_PGM_RSRC2:TRAP_HANDLER: 0
; COMPUTE_PGM_RSRC2:TGID_X_EN: 1
; COMPUTE_PGM_RSRC2:TGID_Y_EN: 1
; COMPUTE_PGM_RSRC2:TGID_Z_EN: 0
; COMPUTE_PGM_RSRC2:TIDIG_COMP_CNT: 0
	.section	.text._Z25selective_scan_fwd_kernelI32Selective_Scan_fwd_kernel_traitsILi64ELi4ELi1ELb1ELb1ELb1ELb0ELb1EN3c104HalfEffEEv13SSMParamsBase,"axG",@progbits,_Z25selective_scan_fwd_kernelI32Selective_Scan_fwd_kernel_traitsILi64ELi4ELi1ELb1ELb1ELb1ELb0ELb1EN3c104HalfEffEEv13SSMParamsBase,comdat
	.protected	_Z25selective_scan_fwd_kernelI32Selective_Scan_fwd_kernel_traitsILi64ELi4ELi1ELb1ELb1ELb1ELb0ELb1EN3c104HalfEffEEv13SSMParamsBase ; -- Begin function _Z25selective_scan_fwd_kernelI32Selective_Scan_fwd_kernel_traitsILi64ELi4ELi1ELb1ELb1ELb1ELb0ELb1EN3c104HalfEffEEv13SSMParamsBase
	.globl	_Z25selective_scan_fwd_kernelI32Selective_Scan_fwd_kernel_traitsILi64ELi4ELi1ELb1ELb1ELb1ELb0ELb1EN3c104HalfEffEEv13SSMParamsBase
	.p2align	8
	.type	_Z25selective_scan_fwd_kernelI32Selective_Scan_fwd_kernel_traitsILi64ELi4ELi1ELb1ELb1ELb1ELb0ELb1EN3c104HalfEffEEv13SSMParamsBase,@function
_Z25selective_scan_fwd_kernelI32Selective_Scan_fwd_kernel_traitsILi64ELi4ELi1ELb1ELb1ELb1ELb0ELb1EN3c104HalfEffEEv13SSMParamsBase: ; @_Z25selective_scan_fwd_kernelI32Selective_Scan_fwd_kernel_traitsILi64ELi4ELi1ELb1ELb1ELb1ELb0ELb1EN3c104HalfEffEEv13SSMParamsBase
; %bb.0:
	s_clause 0x2
	s_load_b32 s35, s[0:1], 0x18
	s_load_b128 s[4:7], s[0:1], 0xe0
	s_load_b64 s[10:11], s[0:1], 0xf0
	s_mov_b32 s12, s15
	s_ashr_i32 s15, s14, 31
	s_mov_b32 s33, 0
	s_lshl_b64 s[8:9], s[14:15], 2
	s_waitcnt lgkmcnt(0)
	s_abs_i32 s34, s35
	s_add_u32 s2, s4, s8
	v_cvt_f32_u32_e32 v1, s34
	s_addc_u32 s3, s5, s9
	s_cmp_eq_u64 s[10:11], 0
	s_delay_alu instid0(VALU_DEP_1) | instskip(SKIP_2) | instid1(VALU_DEP_1)
	v_rcp_iflag_f32_e32 v1, v1
	s_waitcnt_depctr 0xfff
	v_mul_f32_e32 v1, 0x4f7ffffe, v1
	v_cvt_u32_f32_e32 v1, v1
	s_delay_alu instid0(VALU_DEP_1)
	v_readfirstlane_b32 s36, v1
	s_cbranch_scc1 .LBB98_2
; %bb.1:
	v_mov_b32_e32 v1, 0
	s_add_u32 s4, s10, s14
	s_addc_u32 s5, s11, s15
	global_load_u8 v1, v1, s[4:5]
	s_waitcnt vmcnt(0)
	v_and_b32_e32 v1, 1, v1
	s_delay_alu instid0(VALU_DEP_1)
	v_cmp_eq_u32_e64 s33, 1, v1
.LBB98_2:
	s_load_b64 s[4:5], s[0:1], 0x20
	s_cmp_eq_u64 s[6:7], 0
	s_cbranch_scc1 .LBB98_4
; %bb.3:
	s_add_u32 s6, s6, s8
	s_addc_u32 s7, s7, s9
	s_load_b32 s14, s[6:7], 0x0
	s_waitcnt lgkmcnt(0)
	s_ashr_i32 s15, s14, 31
.LBB98_4:
	s_waitcnt lgkmcnt(0)
	s_cmp_eq_u64 s[4:5], s[14:15]
	s_cbranch_scc1 .LBB98_92
; %bb.5:
	s_load_b512 s[16:31], s[0:1], 0x88
	s_load_b64 s[10:11], s[2:3], 0x0
	s_mov_b32 s48, 0
	s_mov_b32 s49, 0
	s_waitcnt lgkmcnt(0)
	s_cmp_eq_u64 s[22:23], 0
	s_cbranch_scc1 .LBB98_7
; %bb.6:
	s_ashr_i32 s13, s12, 31
	s_delay_alu instid0(SALU_CYCLE_1) | instskip(NEXT) | instid1(SALU_CYCLE_1)
	s_lshl_b64 s[2:3], s[12:13], 2
	s_add_u32 s2, s22, s2
	s_addc_u32 s3, s23, s3
	s_load_b32 s49, s[2:3], 0x0
.LBB98_7:
	s_cmp_eq_u64 s[28:29], 0
	s_cbranch_scc1 .LBB98_9
; %bb.8:
	s_ashr_i32 s13, s12, 31
	s_delay_alu instid0(SALU_CYCLE_1) | instskip(NEXT) | instid1(SALU_CYCLE_1)
	s_lshl_b64 s[2:3], s[12:13], 2
	s_add_u32 s2, s28, s2
	s_addc_u32 s3, s29, s3
	s_load_b32 s48, s[2:3], 0x0
.LBB98_9:
	s_sub_i32 s23, s11, s10
	s_delay_alu instid0(SALU_CYCLE_1)
	s_cmp_lt_i32 s23, 1
	s_cbranch_scc1 .LBB98_92
; %bb.10:
	s_sub_i32 s2, 0, s34
	s_abs_i32 s5, s12
	s_mul_i32 s4, s2, s36
	s_clause 0x1
	s_load_b64 s[2:3], s[0:1], 0x5c
	s_load_b128 s[44:47], s[0:1], 0x4c
	s_mul_hi_u32 s4, s36, s4
	s_ashr_i32 s7, s35, 31
	s_add_i32 s36, s36, s4
	s_ashr_i32 s4, s12, 31
	s_mul_hi_u32 s6, s5, s36
	s_xor_b32 s7, s4, s7
	s_mul_i32 s8, s6, s34
	s_load_b256 s[36:43], s[0:1], 0x2c
	s_sub_i32 s4, s5, s8
	s_add_i32 s5, s6, 1
	s_sub_i32 s8, s4, s34
	s_cmp_ge_u32 s4, s34
	s_mov_b32 s29, 0
	s_cselect_b32 s5, s5, s6
	s_cselect_b32 s4, s8, s4
	s_add_i32 s6, s5, 1
	s_cmp_ge_u32 s4, s34
	v_lshlrev_b32_e32 v8, 2, v0
	s_cselect_b32 s4, s6, s5
	s_waitcnt lgkmcnt(0)
	s_mul_i32 s28, s10, s46
	s_xor_b32 s6, s4, s7
	s_lshl_b64 s[4:5], s[28:29], 1
	s_sub_i32 s6, s6, s7
	s_mul_i32 s28, s47, s12
	s_add_u32 s7, s24, s4
	s_addc_u32 s8, s25, s5
	s_lshl_b64 s[4:5], s[28:29], 1
	s_mul_i32 s28, s10, s2
	s_add_u32 s43, s7, s4
	s_addc_u32 s46, s8, s5
	s_lshl_b64 s[4:5], s[28:29], 1
	;; [unrolled: 4-line block ×3, first 2 shown]
	s_mul_i32 s28, s36, s12
	s_add_u32 s47, s4, s2
	s_addc_u32 s36, s5, s3
	s_clause 0x1
	s_load_b128 s[24:27], s[0:1], 0x7c
	s_load_b64 s[4:5], s[0:1], 0xc8
	s_lshl_b64 s[2:3], s[28:29], 2
	s_mul_i32 s28, s10, s38
	s_add_u32 s50, s16, s2
	s_addc_u32 s51, s17, s3
	s_lshl_b64 s[2:3], s[28:29], 1
	s_mul_i32 s28, s6, s41
	s_add_u32 s7, s18, s2
	v_mbcnt_lo_u32_b32 v1, -1, 0
	v_and_b32_e32 v2, 0x80, v8
	v_dual_mov_b32 v12, 0 :: v_dual_and_b32 v3, 32, v0
	s_addc_u32 s8, s19, s3
	s_lshl_b64 s[2:3], s[28:29], 1
	s_mul_i32 s28, s10, s42
	s_waitcnt lgkmcnt(0)
	s_add_u32 s27, s7, s2
	s_addc_u32 s41, s8, s3
	s_clause 0x1
	s_load_b32 s42, s[0:1], 0xc
	s_load_b32 s8, s[0:1], 0x28
	v_or_b32_e32 v9, v1, v2
	v_or_b32_e32 v4, v1, v3
	s_lshl_b64 s[2:3], s[28:29], 1
	s_mul_i32 s28, s6, s45
	s_add_u32 s7, s20, s2
	v_or_b32_e32 v11, 0x60, v9
	v_lshrrev_b32_e32 v14, 3, v4
	s_addc_u32 s6, s21, s3
	s_lshl_b64 s[2:3], s[28:29], 1
	s_mul_i32 s28, s14, s24
	s_load_b64 s[16:17], s[0:1], 0x6c
	s_add_u32 s45, s7, s2
	s_addc_u32 s52, s6, s3
	s_lshl_b64 s[0:1], s[28:29], 2
	v_or_b32_e32 v10, 64, v9
	v_lshrrev_b32_e32 v7, 5, v11
	v_and_b32_e32 v16, 6, v14
	s_mul_i32 s28, s25, s12
	s_add_u32 s2, s4, s0
	s_addc_u32 s3, s5, s1
	s_lshl_b64 s[0:1], s[28:29], 2
	v_lshrrev_b32_e32 v5, 5, v2
	s_add_u32 s53, s2, s0
	v_lshrrev_b32_e32 v6, 5, v10
	v_and_b32_e32 v7, 6, v7
	v_lshl_add_u32 v4, v4, 2, v16
	s_addc_u32 s54, s3, s1
	s_add_i32 s0, s23, 0x7ff
	v_add_lshl_u32 v5, v5, v9, 1
	s_lshr_b32 s55, s0, 11
	s_waitcnt lgkmcnt(0)
	s_bitcmp1_b32 s8, 0
	v_add_lshl_u32 v6, v6, v9, 1
	v_add_lshl_u32 v7, v7, v9, 1
	v_lshl_add_u32 v17, v4, 1, 0
	v_and_b32_e32 v4, 15, v1
	s_cselect_b32 s56, -1, 0
	s_cmp_gt_i32 s42, 0
	v_or_b32_e32 v3, 31, v3
	s_cselect_b32 s57, -1, 0
	s_add_i32 s0, 0, 0x210
	s_and_b32 s1, s23, 0xff
	v_add_nc_u32_e32 v18, s0, v5
	v_add_nc_u32_e32 v19, s0, v6
	s_cmp_eq_u32 s1, 0
	v_add_nc_u32_e32 v20, s0, v7
	v_cmp_ne_u32_e64 s0, 0, v4
	v_cmp_lt_u32_e64 s1, 1, v4
	v_cmp_lt_u32_e64 s2, 3, v4
	;; [unrolled: 1-line block ×3, first 2 shown]
	v_add_nc_u32_e32 v4, -1, v1
	s_mul_i32 s28, s10, s16
	s_cselect_b32 s58, -1, 0
	s_lshl_b64 s[14:15], s[28:29], 1
	s_add_i32 s59, s55, -1
	v_cmp_gt_i32_e32 vcc_lo, 0, v4
	s_mul_i32 s28, s17, s12
	v_add_nc_u32_e32 v14, 0, v5
	v_lshrrev_b32_e32 v5, 2, v0
	v_cmp_eq_u32_e64 s5, v3, v0
	v_cndmask_b32_e32 v4, v4, v1, vcc_lo
	v_and_b32_e32 v3, 1, v1
	v_cmp_gt_u32_e64 s6, 2, v0
	v_lshl_add_u32 v22, v0, 3, 0
	v_cmp_gt_u32_e64 s8, 32, v0
	v_cmp_lt_u32_e64 s9, 31, v0
	v_cmp_eq_u32_e64 s10, 0, v0
	s_add_u32 s11, s30, s14
	v_lshlrev_b32_e32 v0, 1, v1
	s_addc_u32 s14, s31, s15
	s_lshl_b64 s[12:13], s[28:29], 1
	v_cmp_eq_u32_e64 s7, 0, v3
	s_add_u32 s11, s11, s12
	s_addc_u32 s12, s14, s13
	v_lshlrev_b32_e32 v3, 1, v2
	v_add_co_u32 v0, s11, s11, v0
	v_add_nc_u32_e32 v15, 0, v6
	v_and_b32_e32 v6, 16, v1
	v_and_b32_e32 v5, 8, v5
	v_lshlrev_b32_e32 v23, 2, v4
	v_add_co_ci_u32_e64 v4, null, s12, 0, s11
	v_add_co_u32 v24, vcc_lo, v0, v3
	v_or_b32_e32 v13, 32, v9
	v_add_nc_u32_e32 v16, 0, v7
	v_cmp_ne_u32_e64 s4, 0, v6
	v_add_nc_u32_e32 v21, 0, v5
	v_cmp_eq_u32_e64 s11, 0, v1
	v_add_co_ci_u32_e32 v25, vcc_lo, 0, v4, vcc_lo
	v_or_b32_e32 v26, 1, v8
	v_or_b32_e32 v27, 2, v8
	;; [unrolled: 1-line block ×3, first 2 shown]
	v_lshlrev_b32_e32 v29, 1, v1
	v_lshlrev_b32_e32 v30, 1, v2
	s_mov_b32 s60, 0x3e9b6dac
	s_add_i32 s61, 0, 0x430
	s_mov_b32 s62, 0
	s_branch .LBB98_12
.LBB98_11:                              ;   in Loop: Header=BB98_12 Depth=1
	s_or_b32 exec_lo, exec_lo, s12
	s_add_u32 s47, s47, 0x200
	s_addc_u32 s36, s36, 0
	s_add_u32 s43, s43, 0x200
	s_addc_u32 s46, s46, 0
	;; [unrolled: 2-line block ×4, first 2 shown]
	s_add_i32 s62, s62, 1
	s_delay_alu instid0(SALU_CYCLE_1)
	s_cmp_eq_u32 s62, s55
	s_cbranch_scc1 .LBB98_92
.LBB98_12:                              ; =>This Loop Header: Depth=1
                                        ;     Child Loop BB98_37 Depth 2
	v_add_co_u32 v0, s12, s43, v29
	s_delay_alu instid0(VALU_DEP_1) | instskip(SKIP_1) | instid1(VALU_DEP_2)
	v_add_co_ci_u32_e64 v1, null, s46, 0, s12
	s_lshl_b32 s24, s62, 8
	v_add_co_u32 v0, vcc_lo, v0, v30
	s_sub_i32 s19, s23, s24
	s_delay_alu instid0(VALU_DEP_2)
	v_add_co_ci_u32_e32 v1, vcc_lo, 0, v1, vcc_lo
	v_cmp_gt_u32_e64 s12, s19, v9
	s_waitcnt lgkmcnt(0)
	v_mov_b32_e32 v2, 0
	s_waitcnt_vscnt null, 0x0
	s_barrier
	buffer_gl0_inv
	s_and_saveexec_b32 s13, s12
	s_cbranch_execz .LBB98_14
; %bb.13:                               ;   in Loop: Header=BB98_12 Depth=1
	global_load_u16 v2, v[0:1], off
.LBB98_14:                              ;   in Loop: Header=BB98_12 Depth=1
	s_or_b32 exec_lo, exec_lo, s13
	v_cmp_gt_u32_e64 s13, s19, v13
	v_mov_b32_e32 v3, 0
	v_mov_b32_e32 v5, 0
	s_delay_alu instid0(VALU_DEP_3)
	s_and_saveexec_b32 s14, s13
	s_cbranch_execz .LBB98_16
; %bb.15:                               ;   in Loop: Header=BB98_12 Depth=1
	global_load_u16 v5, v[0:1], off offset:64
.LBB98_16:                              ;   in Loop: Header=BB98_12 Depth=1
	s_or_b32 exec_lo, exec_lo, s14
	v_cmp_gt_u32_e64 s14, s19, v10
	s_delay_alu instid0(VALU_DEP_1)
	s_and_saveexec_b32 s15, s14
	s_cbranch_execz .LBB98_18
; %bb.17:                               ;   in Loop: Header=BB98_12 Depth=1
	global_load_u16 v3, v[0:1], off offset:128
.LBB98_18:                              ;   in Loop: Header=BB98_12 Depth=1
	s_or_b32 exec_lo, exec_lo, s15
	v_cmp_gt_u32_e64 s15, s19, v11
	v_mov_b32_e32 v4, 0
	v_mov_b32_e32 v6, 0
	s_delay_alu instid0(VALU_DEP_3)
	s_and_saveexec_b32 s16, s15
	s_cbranch_execz .LBB98_20
; %bb.19:                               ;   in Loop: Header=BB98_12 Depth=1
	global_load_u16 v6, v[0:1], off offset:192
.LBB98_20:                              ;   in Loop: Header=BB98_12 Depth=1
	s_or_b32 exec_lo, exec_lo, s16
	s_waitcnt vmcnt(0)
	ds_store_b16 v14, v2
	ds_store_b16 v14, v5 offset:64
	ds_store_b16 v15, v3 offset:128
	;; [unrolled: 1-line block ×3, first 2 shown]
	; wave barrier
	ds_load_b64 v[0:1], v17
	v_add_co_u32 v2, s16, s47, v29
	s_delay_alu instid0(VALU_DEP_1) | instskip(SKIP_1) | instid1(VALU_DEP_2)
	v_add_co_ci_u32_e64 v3, null, s36, 0, s16
	s_waitcnt lgkmcnt(0)
	v_add_co_u32 v2, vcc_lo, v2, v30
	s_delay_alu instid0(VALU_DEP_2)
	v_add_co_ci_u32_e32 v3, vcc_lo, 0, v3, vcc_lo
	s_barrier
	buffer_gl0_inv
	s_and_saveexec_b32 s16, s12
	s_cbranch_execz .LBB98_22
; %bb.21:                               ;   in Loop: Header=BB98_12 Depth=1
	global_load_u16 v4, v[2:3], off
.LBB98_22:                              ;   in Loop: Header=BB98_12 Depth=1
	s_or_b32 exec_lo, exec_lo, s16
	v_dual_mov_b32 v5, 0 :: v_dual_mov_b32 v6, 0
	s_and_saveexec_b32 s16, s13
	s_cbranch_execnz .LBB98_86
; %bb.23:                               ;   in Loop: Header=BB98_12 Depth=1
	s_or_b32 exec_lo, exec_lo, s16
	s_and_saveexec_b32 s16, s14
	s_cbranch_execnz .LBB98_87
.LBB98_24:                              ;   in Loop: Header=BB98_12 Depth=1
	s_or_b32 exec_lo, exec_lo, s16
	v_mov_b32_e32 v7, 0
	s_and_saveexec_b32 s16, s15
	s_cbranch_execz .LBB98_26
.LBB98_25:                              ;   in Loop: Header=BB98_12 Depth=1
	global_load_u16 v7, v[2:3], off offset:192
.LBB98_26:                              ;   in Loop: Header=BB98_12 Depth=1
	s_or_b32 exec_lo, exec_lo, s16
	s_waitcnt vmcnt(0)
	ds_store_b16 v14, v4
	ds_store_b16 v14, v6 offset:64
	ds_store_b16 v15, v5 offset:128
	;; [unrolled: 1-line block ×3, first 2 shown]
	; wave barrier
	ds_load_b64 v[2:3], v17
	s_waitcnt lgkmcnt(0)
	v_cvt_f32_f16_e32 v4, v2
	s_delay_alu instid0(VALU_DEP_1) | instskip(NEXT) | instid1(VALU_DEP_1)
	v_add_f32_e32 v31, s48, v4
	v_cmp_ge_f32_e32 vcc_lo, 0x41a00000, v31
	s_and_b32 s16, s56, vcc_lo
	s_delay_alu instid0(SALU_CYCLE_1)
	s_and_saveexec_b32 s17, s16
	s_cbranch_execz .LBB98_28
; %bb.27:                               ;   in Loop: Header=BB98_12 Depth=1
	v_mul_f32_e32 v4, 0x3fb8aa3b, v31
	v_cmp_ngt_f32_e32 vcc_lo, 0xc2ce8ed0, v31
	s_delay_alu instid0(VALU_DEP_2) | instskip(SKIP_1) | instid1(VALU_DEP_2)
	v_rndne_f32_e32 v5, v4
	v_fma_f32 v6, 0x3fb8aa3b, v31, -v4
	v_sub_f32_e32 v4, v4, v5
	s_delay_alu instid0(VALU_DEP_2) | instskip(SKIP_1) | instid1(VALU_DEP_2)
	v_fmac_f32_e32 v6, 0x32a5705f, v31
	v_cvt_i32_f32_e32 v5, v5
	v_add_f32_e32 v4, v4, v6
	s_delay_alu instid0(VALU_DEP_1) | instskip(SKIP_2) | instid1(VALU_DEP_1)
	v_exp_f32_e32 v4, v4
	s_waitcnt_depctr 0xfff
	v_ldexp_f32 v4, v4, v5
	v_cndmask_b32_e32 v4, 0, v4, vcc_lo
	v_cmp_nlt_f32_e32 vcc_lo, 0x42b17218, v31
	s_delay_alu instid0(VALU_DEP_2) | instskip(NEXT) | instid1(VALU_DEP_1)
	v_cndmask_b32_e32 v6, 0x7f800000, v4, vcc_lo
	v_add_f32_e32 v7, 1.0, v6
	s_delay_alu instid0(VALU_DEP_1) | instskip(NEXT) | instid1(VALU_DEP_1)
	v_cvt_f64_f32_e32 v[4:5], v7
	v_frexp_exp_i32_f64_e32 v4, v[4:5]
	v_frexp_mant_f32_e32 v5, v7
	s_delay_alu instid0(VALU_DEP_1) | instskip(SKIP_1) | instid1(VALU_DEP_1)
	v_cmp_gt_f32_e32 vcc_lo, 0x3f2aaaab, v5
	v_add_f32_e32 v5, -1.0, v7
	v_dual_sub_f32 v32, v5, v7 :: v_dual_sub_f32 v5, v6, v5
	s_delay_alu instid0(VALU_DEP_1) | instskip(NEXT) | instid1(VALU_DEP_1)
	v_add_f32_e32 v32, 1.0, v32
	v_add_f32_e32 v5, v5, v32
	v_subrev_co_ci_u32_e32 v4, vcc_lo, 0, v4, vcc_lo
	s_delay_alu instid0(VALU_DEP_1) | instskip(SKIP_1) | instid1(VALU_DEP_2)
	v_sub_nc_u32_e32 v31, 0, v4
	v_cvt_f32_i32_e32 v4, v4
	v_ldexp_f32 v7, v7, v31
	v_ldexp_f32 v5, v5, v31
	s_delay_alu instid0(VALU_DEP_2) | instskip(SKIP_3) | instid1(VALU_DEP_4)
	v_add_f32_e32 v33, 1.0, v7
	v_add_f32_e32 v31, -1.0, v7
	v_cmp_eq_f32_e32 vcc_lo, 0x7f800000, v6
	v_cmp_gt_f32_e64 s16, 0x33800000, v6
	v_add_f32_e32 v32, -1.0, v33
	s_delay_alu instid0(VALU_DEP_4) | instskip(NEXT) | instid1(VALU_DEP_3)
	v_add_f32_e32 v34, 1.0, v31
	s_or_b32 vcc_lo, s16, vcc_lo
	s_delay_alu instid0(VALU_DEP_2) | instskip(NEXT) | instid1(VALU_DEP_1)
	v_sub_f32_e32 v32, v7, v32
	v_dual_sub_f32 v7, v7, v34 :: v_dual_add_f32 v32, v5, v32
	s_delay_alu instid0(VALU_DEP_1) | instskip(NEXT) | instid1(VALU_DEP_1)
	v_add_f32_e32 v5, v5, v7
	v_dual_add_f32 v35, v31, v5 :: v_dual_add_f32 v34, v33, v32
	s_delay_alu instid0(VALU_DEP_1) | instskip(NEXT) | instid1(VALU_DEP_2)
	v_sub_f32_e32 v31, v31, v35
	v_rcp_f32_e32 v7, v34
	v_sub_f32_e32 v33, v33, v34
	s_delay_alu instid0(VALU_DEP_1) | instskip(SKIP_2) | instid1(VALU_DEP_1)
	v_dual_add_f32 v5, v5, v31 :: v_dual_add_f32 v32, v32, v33
	s_waitcnt_depctr 0xfff
	v_mul_f32_e32 v36, v35, v7
	v_mul_f32_e32 v37, v34, v36
	s_delay_alu instid0(VALU_DEP_1) | instskip(NEXT) | instid1(VALU_DEP_1)
	v_fma_f32 v33, v36, v34, -v37
	v_fmac_f32_e32 v33, v36, v32
	s_delay_alu instid0(VALU_DEP_1) | instskip(NEXT) | instid1(VALU_DEP_1)
	v_add_f32_e32 v38, v37, v33
	v_sub_f32_e32 v39, v35, v38
	s_delay_alu instid0(VALU_DEP_1) | instskip(SKIP_1) | instid1(VALU_DEP_2)
	v_sub_f32_e32 v35, v35, v39
	v_sub_f32_e32 v31, v38, v37
	;; [unrolled: 1-line block ×3, first 2 shown]
	s_delay_alu instid0(VALU_DEP_2) | instskip(NEXT) | instid1(VALU_DEP_2)
	v_sub_f32_e32 v31, v31, v33
	v_add_f32_e32 v5, v5, v35
	s_delay_alu instid0(VALU_DEP_1) | instskip(NEXT) | instid1(VALU_DEP_1)
	v_add_f32_e32 v5, v31, v5
	v_add_f32_e32 v31, v39, v5
	s_delay_alu instid0(VALU_DEP_1) | instskip(NEXT) | instid1(VALU_DEP_1)
	v_mul_f32_e32 v33, v7, v31
	v_dual_sub_f32 v38, v39, v31 :: v_dual_mul_f32 v35, v34, v33
	s_delay_alu instid0(VALU_DEP_1) | instskip(NEXT) | instid1(VALU_DEP_2)
	v_add_f32_e32 v5, v5, v38
	v_fma_f32 v34, v33, v34, -v35
	s_delay_alu instid0(VALU_DEP_1) | instskip(NEXT) | instid1(VALU_DEP_1)
	v_fmac_f32_e32 v34, v33, v32
	v_add_f32_e32 v32, v35, v34
	s_delay_alu instid0(VALU_DEP_1) | instskip(SKIP_1) | instid1(VALU_DEP_2)
	v_sub_f32_e32 v37, v31, v32
	v_sub_f32_e32 v35, v32, v35
	;; [unrolled: 1-line block ×3, first 2 shown]
	s_delay_alu instid0(VALU_DEP_1) | instskip(NEXT) | instid1(VALU_DEP_1)
	v_sub_f32_e32 v31, v31, v32
	v_dual_sub_f32 v32, v35, v34 :: v_dual_add_f32 v5, v5, v31
	v_add_f32_e32 v31, v36, v33
	s_delay_alu instid0(VALU_DEP_1) | instskip(NEXT) | instid1(VALU_DEP_1)
	v_dual_add_f32 v5, v32, v5 :: v_dual_sub_f32 v32, v31, v36
	v_add_f32_e32 v5, v37, v5
	s_delay_alu instid0(VALU_DEP_1) | instskip(NEXT) | instid1(VALU_DEP_1)
	v_dual_sub_f32 v32, v33, v32 :: v_dual_mul_f32 v5, v7, v5
	v_add_f32_e32 v5, v32, v5
	s_delay_alu instid0(VALU_DEP_1) | instskip(NEXT) | instid1(VALU_DEP_1)
	v_add_f32_e32 v7, v31, v5
	v_mul_f32_e32 v32, v7, v7
	s_delay_alu instid0(VALU_DEP_1) | instskip(SKIP_1) | instid1(VALU_DEP_2)
	v_fmaak_f32 v33, s60, v32, 0x3ecc95a3
	v_mul_f32_e32 v34, v7, v32
	v_fmaak_f32 v32, v32, v33, 0x3f2aaada
	v_ldexp_f32 v33, v7, 1
	s_delay_alu instid0(VALU_DEP_2) | instskip(NEXT) | instid1(VALU_DEP_1)
	v_dual_sub_f32 v7, v7, v31 :: v_dual_mul_f32 v32, v34, v32
	v_dual_mul_f32 v34, 0x3f317218, v4 :: v_dual_sub_f32 v5, v5, v7
	s_delay_alu instid0(VALU_DEP_2) | instskip(NEXT) | instid1(VALU_DEP_2)
	v_add_f32_e32 v31, v33, v32
	v_ldexp_f32 v5, v5, 1
	s_delay_alu instid0(VALU_DEP_2) | instskip(NEXT) | instid1(VALU_DEP_4)
	v_sub_f32_e32 v7, v31, v33
	v_fma_f32 v33, 0x3f317218, v4, -v34
	s_delay_alu instid0(VALU_DEP_2) | instskip(NEXT) | instid1(VALU_DEP_1)
	v_sub_f32_e32 v7, v32, v7
	v_dual_fmac_f32 v33, 0xb102e308, v4 :: v_dual_add_f32 v4, v5, v7
	s_delay_alu instid0(VALU_DEP_1) | instskip(NEXT) | instid1(VALU_DEP_1)
	v_add_f32_e32 v5, v34, v33
	v_dual_add_f32 v7, v31, v4 :: v_dual_sub_f32 v34, v5, v34
	s_delay_alu instid0(VALU_DEP_1) | instskip(SKIP_1) | instid1(VALU_DEP_3)
	v_add_f32_e32 v32, v5, v7
	v_sub_f32_e32 v31, v7, v31
	v_sub_f32_e32 v33, v33, v34
	s_delay_alu instid0(VALU_DEP_3) | instskip(NEXT) | instid1(VALU_DEP_3)
	v_sub_f32_e32 v35, v32, v5
	v_sub_f32_e32 v4, v4, v31
	s_delay_alu instid0(VALU_DEP_2) | instskip(SKIP_1) | instid1(VALU_DEP_3)
	v_sub_f32_e32 v36, v32, v35
	v_sub_f32_e32 v7, v7, v35
	v_add_f32_e32 v31, v33, v4
	s_delay_alu instid0(VALU_DEP_3) | instskip(NEXT) | instid1(VALU_DEP_1)
	v_sub_f32_e32 v5, v5, v36
	v_add_f32_e32 v5, v7, v5
	s_delay_alu instid0(VALU_DEP_3) | instskip(NEXT) | instid1(VALU_DEP_1)
	v_sub_f32_e32 v7, v31, v33
	v_dual_add_f32 v5, v31, v5 :: v_dual_sub_f32 v4, v4, v7
	s_delay_alu instid0(VALU_DEP_1) | instskip(NEXT) | instid1(VALU_DEP_1)
	v_dual_sub_f32 v31, v31, v7 :: v_dual_add_f32 v34, v32, v5
	v_sub_f32_e32 v31, v33, v31
	s_delay_alu instid0(VALU_DEP_1) | instskip(NEXT) | instid1(VALU_DEP_1)
	v_dual_sub_f32 v7, v34, v32 :: v_dual_add_f32 v4, v4, v31
	v_sub_f32_e32 v5, v5, v7
	s_delay_alu instid0(VALU_DEP_1) | instskip(NEXT) | instid1(VALU_DEP_1)
	v_add_f32_e32 v4, v4, v5
	v_add_f32_e32 v4, v34, v4
	s_delay_alu instid0(VALU_DEP_1)
	v_cndmask_b32_e32 v31, v4, v6, vcc_lo
.LBB98_28:                              ;   in Loop: Header=BB98_12 Depth=1
	s_or_b32 exec_lo, exec_lo, s17
	v_lshrrev_b32_e32 v2, 16, v2
	s_delay_alu instid0(VALU_DEP_1) | instskip(NEXT) | instid1(VALU_DEP_1)
	v_cvt_f32_f16_e32 v2, v2
	v_add_f32_e32 v32, s48, v2
	s_delay_alu instid0(VALU_DEP_1) | instskip(SKIP_1) | instid1(SALU_CYCLE_1)
	v_cmp_ge_f32_e32 vcc_lo, 0x41a00000, v32
	s_and_b32 s16, s56, vcc_lo
	s_and_saveexec_b32 s17, s16
	s_cbranch_execz .LBB98_30
; %bb.29:                               ;   in Loop: Header=BB98_12 Depth=1
	v_mul_f32_e32 v2, 0x3fb8aa3b, v32
	v_cmp_ngt_f32_e32 vcc_lo, 0xc2ce8ed0, v32
	s_delay_alu instid0(VALU_DEP_2) | instskip(SKIP_1) | instid1(VALU_DEP_2)
	v_rndne_f32_e32 v4, v2
	v_fma_f32 v5, 0x3fb8aa3b, v32, -v2
	v_sub_f32_e32 v2, v2, v4
	s_delay_alu instid0(VALU_DEP_2) | instskip(SKIP_1) | instid1(VALU_DEP_2)
	v_fmac_f32_e32 v5, 0x32a5705f, v32
	v_cvt_i32_f32_e32 v4, v4
	v_add_f32_e32 v2, v2, v5
	s_delay_alu instid0(VALU_DEP_1) | instskip(SKIP_2) | instid1(VALU_DEP_1)
	v_exp_f32_e32 v2, v2
	s_waitcnt_depctr 0xfff
	v_ldexp_f32 v2, v2, v4
	v_cndmask_b32_e32 v2, 0, v2, vcc_lo
	v_cmp_nlt_f32_e32 vcc_lo, 0x42b17218, v32
	s_delay_alu instid0(VALU_DEP_2) | instskip(NEXT) | instid1(VALU_DEP_1)
	v_cndmask_b32_e32 v2, 0x7f800000, v2, vcc_lo
	v_add_f32_e32 v6, 1.0, v2
	s_delay_alu instid0(VALU_DEP_1) | instskip(NEXT) | instid1(VALU_DEP_1)
	v_cvt_f64_f32_e32 v[4:5], v6
	v_frexp_exp_i32_f64_e32 v4, v[4:5]
	v_frexp_mant_f32_e32 v5, v6
	s_delay_alu instid0(VALU_DEP_1) | instskip(SKIP_1) | instid1(VALU_DEP_1)
	v_cmp_gt_f32_e32 vcc_lo, 0x3f2aaaab, v5
	v_add_f32_e32 v5, -1.0, v6
	v_dual_sub_f32 v32, v5, v6 :: v_dual_sub_f32 v5, v2, v5
	v_subrev_co_ci_u32_e32 v4, vcc_lo, 0, v4, vcc_lo
	s_delay_alu instid0(VALU_DEP_1) | instskip(SKIP_1) | instid1(VALU_DEP_2)
	v_sub_nc_u32_e32 v7, 0, v4
	v_cvt_f32_i32_e32 v4, v4
	v_ldexp_f32 v6, v6, v7
	s_delay_alu instid0(VALU_DEP_1) | instskip(NEXT) | instid1(VALU_DEP_1)
	v_dual_add_f32 v32, 1.0, v32 :: v_dual_add_f32 v33, 1.0, v6
	v_add_f32_e32 v5, v5, v32
	s_delay_alu instid0(VALU_DEP_1) | instskip(NEXT) | instid1(VALU_DEP_3)
	v_ldexp_f32 v5, v5, v7
	v_dual_add_f32 v7, -1.0, v6 :: v_dual_add_f32 v32, -1.0, v33
	s_delay_alu instid0(VALU_DEP_1) | instskip(NEXT) | instid1(VALU_DEP_2)
	v_add_f32_e32 v34, 1.0, v7
	v_sub_f32_e32 v32, v6, v32
	s_delay_alu instid0(VALU_DEP_2) | instskip(NEXT) | instid1(VALU_DEP_2)
	v_sub_f32_e32 v6, v6, v34
	v_add_f32_e32 v32, v5, v32
	s_delay_alu instid0(VALU_DEP_2) | instskip(NEXT) | instid1(VALU_DEP_1)
	v_add_f32_e32 v5, v5, v6
	v_dual_add_f32 v35, v7, v5 :: v_dual_add_f32 v34, v33, v32
	v_cmp_eq_f32_e32 vcc_lo, 0x7f800000, v2
	v_cmp_gt_f32_e64 s16, 0x33800000, v2
	s_delay_alu instid0(VALU_DEP_3) | instskip(NEXT) | instid1(VALU_DEP_4)
	v_sub_f32_e32 v7, v7, v35
	v_rcp_f32_e32 v6, v34
	v_sub_f32_e32 v33, v33, v34
	s_delay_alu instid0(VALU_DEP_3) | instskip(NEXT) | instid1(VALU_DEP_1)
	s_or_b32 vcc_lo, s16, vcc_lo
	v_dual_add_f32 v5, v5, v7 :: v_dual_add_f32 v32, v32, v33
	s_waitcnt_depctr 0xfff
	v_mul_f32_e32 v36, v35, v6
	s_delay_alu instid0(VALU_DEP_1) | instskip(NEXT) | instid1(VALU_DEP_1)
	v_mul_f32_e32 v37, v34, v36
	v_fma_f32 v33, v36, v34, -v37
	s_delay_alu instid0(VALU_DEP_1) | instskip(NEXT) | instid1(VALU_DEP_1)
	v_fmac_f32_e32 v33, v36, v32
	v_add_f32_e32 v38, v37, v33
	s_delay_alu instid0(VALU_DEP_1) | instskip(NEXT) | instid1(VALU_DEP_1)
	v_sub_f32_e32 v39, v35, v38
	v_sub_f32_e32 v35, v35, v39
	s_delay_alu instid0(VALU_DEP_1) | instskip(SKIP_1) | instid1(VALU_DEP_2)
	v_sub_f32_e32 v35, v35, v38
	v_sub_f32_e32 v7, v38, v37
	v_add_f32_e32 v5, v5, v35
	s_delay_alu instid0(VALU_DEP_2) | instskip(NEXT) | instid1(VALU_DEP_1)
	v_sub_f32_e32 v7, v7, v33
	v_add_f32_e32 v5, v7, v5
	s_delay_alu instid0(VALU_DEP_1) | instskip(NEXT) | instid1(VALU_DEP_1)
	v_add_f32_e32 v7, v39, v5
	v_mul_f32_e32 v33, v6, v7
	s_delay_alu instid0(VALU_DEP_1) | instskip(NEXT) | instid1(VALU_DEP_1)
	v_dual_sub_f32 v38, v39, v7 :: v_dual_mul_f32 v35, v34, v33
	v_add_f32_e32 v5, v5, v38
	s_delay_alu instid0(VALU_DEP_2) | instskip(NEXT) | instid1(VALU_DEP_1)
	v_fma_f32 v34, v33, v34, -v35
	v_fmac_f32_e32 v34, v33, v32
	s_delay_alu instid0(VALU_DEP_1) | instskip(NEXT) | instid1(VALU_DEP_1)
	v_add_f32_e32 v32, v35, v34
	v_sub_f32_e32 v37, v7, v32
	s_delay_alu instid0(VALU_DEP_1) | instskip(NEXT) | instid1(VALU_DEP_1)
	v_sub_f32_e32 v7, v7, v37
	v_sub_f32_e32 v7, v7, v32
	s_delay_alu instid0(VALU_DEP_1) | instskip(SKIP_2) | instid1(VALU_DEP_1)
	v_add_f32_e32 v5, v5, v7
	v_add_f32_e32 v7, v36, v33
	v_sub_f32_e32 v35, v32, v35
	v_sub_f32_e32 v32, v35, v34
	s_delay_alu instid0(VALU_DEP_1) | instskip(NEXT) | instid1(VALU_DEP_1)
	v_dual_add_f32 v5, v32, v5 :: v_dual_sub_f32 v32, v7, v36
	v_add_f32_e32 v5, v37, v5
	s_delay_alu instid0(VALU_DEP_1) | instskip(NEXT) | instid1(VALU_DEP_1)
	v_dual_sub_f32 v32, v33, v32 :: v_dual_mul_f32 v5, v6, v5
	v_add_f32_e32 v5, v32, v5
	s_delay_alu instid0(VALU_DEP_1) | instskip(NEXT) | instid1(VALU_DEP_1)
	v_add_f32_e32 v6, v7, v5
	v_mul_f32_e32 v32, v6, v6
	s_delay_alu instid0(VALU_DEP_1) | instskip(SKIP_1) | instid1(VALU_DEP_2)
	v_fmaak_f32 v33, s60, v32, 0x3ecc95a3
	v_mul_f32_e32 v34, v6, v32
	v_fmaak_f32 v32, v32, v33, 0x3f2aaada
	v_ldexp_f32 v33, v6, 1
	v_sub_f32_e32 v6, v6, v7
	s_delay_alu instid0(VALU_DEP_3) | instskip(SKIP_1) | instid1(VALU_DEP_2)
	v_mul_f32_e32 v32, v34, v32
	v_mul_f32_e32 v34, 0x3f317218, v4
	v_add_f32_e32 v7, v33, v32
	s_delay_alu instid0(VALU_DEP_1) | instskip(NEXT) | instid1(VALU_DEP_3)
	v_dual_sub_f32 v5, v5, v6 :: v_dual_sub_f32 v6, v7, v33
	v_fma_f32 v33, 0x3f317218, v4, -v34
	s_delay_alu instid0(VALU_DEP_2) | instskip(NEXT) | instid1(VALU_DEP_2)
	v_ldexp_f32 v5, v5, 1
	v_dual_sub_f32 v6, v32, v6 :: v_dual_fmac_f32 v33, 0xb102e308, v4
	s_delay_alu instid0(VALU_DEP_1) | instskip(NEXT) | instid1(VALU_DEP_1)
	v_dual_add_f32 v4, v5, v6 :: v_dual_add_f32 v5, v34, v33
	v_add_f32_e32 v6, v7, v4
	s_delay_alu instid0(VALU_DEP_1) | instskip(NEXT) | instid1(VALU_DEP_1)
	v_add_f32_e32 v32, v5, v6
	v_sub_f32_e32 v35, v32, v5
	s_delay_alu instid0(VALU_DEP_1) | instskip(SKIP_2) | instid1(VALU_DEP_2)
	v_sub_f32_e32 v36, v32, v35
	v_sub_f32_e32 v7, v6, v7
	;; [unrolled: 1-line block ×5, first 2 shown]
	s_delay_alu instid0(VALU_DEP_1) | instskip(NEXT) | instid1(VALU_DEP_1)
	v_sub_f32_e32 v33, v33, v34
	v_add_f32_e32 v7, v33, v4
	v_sub_f32_e32 v5, v5, v36
	s_delay_alu instid0(VALU_DEP_1) | instskip(NEXT) | instid1(VALU_DEP_3)
	v_add_f32_e32 v5, v6, v5
	v_sub_f32_e32 v6, v7, v33
	s_delay_alu instid0(VALU_DEP_1) | instskip(NEXT) | instid1(VALU_DEP_1)
	v_dual_sub_f32 v4, v4, v6 :: v_dual_add_f32 v5, v7, v5
	v_dual_sub_f32 v7, v7, v6 :: v_dual_add_f32 v34, v32, v5
	s_delay_alu instid0(VALU_DEP_1) | instskip(NEXT) | instid1(VALU_DEP_1)
	v_dual_sub_f32 v7, v33, v7 :: v_dual_sub_f32 v6, v34, v32
	v_dual_add_f32 v4, v4, v7 :: v_dual_sub_f32 v5, v5, v6
	s_delay_alu instid0(VALU_DEP_1) | instskip(NEXT) | instid1(VALU_DEP_1)
	v_add_f32_e32 v4, v4, v5
	v_add_f32_e32 v4, v34, v4
	s_delay_alu instid0(VALU_DEP_1)
	v_cndmask_b32_e32 v32, v4, v2, vcc_lo
.LBB98_30:                              ;   in Loop: Header=BB98_12 Depth=1
	s_or_b32 exec_lo, exec_lo, s17
	v_cvt_f32_f16_e32 v2, v3
	s_delay_alu instid0(VALU_DEP_1) | instskip(NEXT) | instid1(VALU_DEP_1)
	v_add_f32_e32 v33, s48, v2
	v_cmp_ge_f32_e32 vcc_lo, 0x41a00000, v33
	s_and_b32 s16, s56, vcc_lo
	s_delay_alu instid0(SALU_CYCLE_1)
	s_and_saveexec_b32 s17, s16
	s_cbranch_execz .LBB98_32
; %bb.31:                               ;   in Loop: Header=BB98_12 Depth=1
	v_mul_f32_e32 v2, 0x3fb8aa3b, v33
	v_cmp_ngt_f32_e32 vcc_lo, 0xc2ce8ed0, v33
	s_delay_alu instid0(VALU_DEP_2) | instskip(SKIP_1) | instid1(VALU_DEP_1)
	v_rndne_f32_e32 v4, v2
	v_fma_f32 v5, 0x3fb8aa3b, v33, -v2
	v_dual_sub_f32 v2, v2, v4 :: v_dual_fmac_f32 v5, 0x32a5705f, v33
	v_cvt_i32_f32_e32 v4, v4
	s_delay_alu instid0(VALU_DEP_2) | instskip(NEXT) | instid1(VALU_DEP_1)
	v_add_f32_e32 v2, v2, v5
	v_exp_f32_e32 v2, v2
	s_waitcnt_depctr 0xfff
	v_ldexp_f32 v2, v2, v4
	s_delay_alu instid0(VALU_DEP_1) | instskip(SKIP_1) | instid1(VALU_DEP_2)
	v_cndmask_b32_e32 v2, 0, v2, vcc_lo
	v_cmp_nlt_f32_e32 vcc_lo, 0x42b17218, v33
	v_cndmask_b32_e32 v2, 0x7f800000, v2, vcc_lo
	s_delay_alu instid0(VALU_DEP_1) | instskip(NEXT) | instid1(VALU_DEP_1)
	v_add_f32_e32 v6, 1.0, v2
	v_cvt_f64_f32_e32 v[4:5], v6
	s_delay_alu instid0(VALU_DEP_1) | instskip(SKIP_1) | instid1(VALU_DEP_1)
	v_frexp_exp_i32_f64_e32 v4, v[4:5]
	v_frexp_mant_f32_e32 v5, v6
	v_cmp_gt_f32_e32 vcc_lo, 0x3f2aaaab, v5
	v_add_f32_e32 v5, -1.0, v6
	s_delay_alu instid0(VALU_DEP_1) | instskip(SKIP_1) | instid1(VALU_DEP_2)
	v_sub_f32_e32 v33, v5, v6
	v_sub_f32_e32 v5, v2, v5
	v_add_f32_e32 v33, 1.0, v33
	s_delay_alu instid0(VALU_DEP_1) | instskip(SKIP_3) | instid1(VALU_DEP_2)
	v_add_f32_e32 v5, v5, v33
	v_cmp_gt_f32_e64 s16, 0x33800000, v2
	v_subrev_co_ci_u32_e32 v4, vcc_lo, 0, v4, vcc_lo
	v_cmp_eq_f32_e32 vcc_lo, 0x7f800000, v2
	v_sub_nc_u32_e32 v7, 0, v4
	v_cvt_f32_i32_e32 v4, v4
	s_or_b32 vcc_lo, s16, vcc_lo
	s_delay_alu instid0(VALU_DEP_2) | instskip(SKIP_1) | instid1(VALU_DEP_2)
	v_ldexp_f32 v6, v6, v7
	v_ldexp_f32 v5, v5, v7
	v_add_f32_e32 v34, 1.0, v6
	v_add_f32_e32 v7, -1.0, v6
	s_delay_alu instid0(VALU_DEP_1) | instskip(NEXT) | instid1(VALU_DEP_3)
	v_add_f32_e32 v35, 1.0, v7
	v_add_f32_e32 v33, -1.0, v34
	s_delay_alu instid0(VALU_DEP_1) | instskip(NEXT) | instid1(VALU_DEP_1)
	v_sub_f32_e32 v33, v6, v33
	v_dual_sub_f32 v6, v6, v35 :: v_dual_add_f32 v33, v5, v33
	s_delay_alu instid0(VALU_DEP_1) | instskip(NEXT) | instid1(VALU_DEP_2)
	v_add_f32_e32 v35, v34, v33
	v_add_f32_e32 v5, v5, v6
	s_delay_alu instid0(VALU_DEP_2) | instskip(SKIP_1) | instid1(VALU_DEP_1)
	v_rcp_f32_e32 v6, v35
	v_sub_f32_e32 v34, v34, v35
	v_dual_add_f32 v36, v7, v5 :: v_dual_add_f32 v33, v33, v34
	s_delay_alu instid0(VALU_DEP_1) | instskip(SKIP_2) | instid1(VALU_DEP_1)
	v_sub_f32_e32 v7, v7, v36
	s_waitcnt_depctr 0xfff
	v_mul_f32_e32 v37, v36, v6
	v_mul_f32_e32 v38, v35, v37
	s_delay_alu instid0(VALU_DEP_1) | instskip(NEXT) | instid1(VALU_DEP_1)
	v_fma_f32 v34, v37, v35, -v38
	v_fmac_f32_e32 v34, v37, v33
	s_delay_alu instid0(VALU_DEP_1) | instskip(NEXT) | instid1(VALU_DEP_1)
	v_add_f32_e32 v39, v38, v34
	v_sub_f32_e32 v40, v36, v39
	s_delay_alu instid0(VALU_DEP_1) | instskip(NEXT) | instid1(VALU_DEP_1)
	v_dual_sub_f32 v36, v36, v40 :: v_dual_add_f32 v5, v5, v7
	v_dual_sub_f32 v7, v39, v38 :: v_dual_sub_f32 v36, v36, v39
	s_delay_alu instid0(VALU_DEP_1) | instskip(NEXT) | instid1(VALU_DEP_2)
	v_sub_f32_e32 v7, v7, v34
	v_add_f32_e32 v5, v5, v36
	s_delay_alu instid0(VALU_DEP_1) | instskip(NEXT) | instid1(VALU_DEP_1)
	v_add_f32_e32 v5, v7, v5
	v_add_f32_e32 v7, v40, v5
	s_delay_alu instid0(VALU_DEP_1) | instskip(NEXT) | instid1(VALU_DEP_1)
	v_mul_f32_e32 v34, v6, v7
	v_dual_sub_f32 v39, v40, v7 :: v_dual_mul_f32 v36, v35, v34
	s_delay_alu instid0(VALU_DEP_1) | instskip(NEXT) | instid1(VALU_DEP_2)
	v_add_f32_e32 v5, v5, v39
	v_fma_f32 v35, v34, v35, -v36
	s_delay_alu instid0(VALU_DEP_1) | instskip(NEXT) | instid1(VALU_DEP_1)
	v_fmac_f32_e32 v35, v34, v33
	v_add_f32_e32 v33, v36, v35
	s_delay_alu instid0(VALU_DEP_1) | instskip(NEXT) | instid1(VALU_DEP_1)
	v_sub_f32_e32 v38, v7, v33
	v_dual_sub_f32 v36, v33, v36 :: v_dual_sub_f32 v7, v7, v38
	s_delay_alu instid0(VALU_DEP_1) | instskip(NEXT) | instid1(VALU_DEP_2)
	v_sub_f32_e32 v7, v7, v33
	v_sub_f32_e32 v33, v36, v35
	s_delay_alu instid0(VALU_DEP_2) | instskip(SKIP_1) | instid1(VALU_DEP_2)
	v_add_f32_e32 v5, v5, v7
	v_add_f32_e32 v7, v37, v34
	v_add_f32_e32 v5, v33, v5
	s_delay_alu instid0(VALU_DEP_2) | instskip(NEXT) | instid1(VALU_DEP_2)
	v_sub_f32_e32 v33, v7, v37
	v_add_f32_e32 v5, v38, v5
	s_delay_alu instid0(VALU_DEP_2) | instskip(NEXT) | instid1(VALU_DEP_2)
	v_sub_f32_e32 v33, v34, v33
	v_mul_f32_e32 v5, v6, v5
	s_delay_alu instid0(VALU_DEP_1) | instskip(NEXT) | instid1(VALU_DEP_1)
	v_add_f32_e32 v5, v33, v5
	v_add_f32_e32 v6, v7, v5
	s_delay_alu instid0(VALU_DEP_1) | instskip(NEXT) | instid1(VALU_DEP_1)
	v_mul_f32_e32 v33, v6, v6
	v_fmaak_f32 v34, s60, v33, 0x3ecc95a3
	v_mul_f32_e32 v35, v6, v33
	s_delay_alu instid0(VALU_DEP_2) | instskip(SKIP_1) | instid1(VALU_DEP_2)
	v_fmaak_f32 v33, v33, v34, 0x3f2aaada
	v_ldexp_f32 v34, v6, 1
	v_dual_sub_f32 v6, v6, v7 :: v_dual_mul_f32 v33, v35, v33
	v_mul_f32_e32 v35, 0x3f317218, v4
	s_delay_alu instid0(VALU_DEP_2) | instskip(NEXT) | instid1(VALU_DEP_3)
	v_sub_f32_e32 v5, v5, v6
	v_add_f32_e32 v7, v34, v33
	s_delay_alu instid0(VALU_DEP_2) | instskip(NEXT) | instid1(VALU_DEP_2)
	v_ldexp_f32 v5, v5, 1
	v_sub_f32_e32 v6, v7, v34
	v_fma_f32 v34, 0x3f317218, v4, -v35
	s_delay_alu instid0(VALU_DEP_2) | instskip(NEXT) | instid1(VALU_DEP_2)
	v_sub_f32_e32 v6, v33, v6
	v_fmac_f32_e32 v34, 0xb102e308, v4
	s_delay_alu instid0(VALU_DEP_2) | instskip(NEXT) | instid1(VALU_DEP_2)
	v_add_f32_e32 v4, v5, v6
	v_add_f32_e32 v5, v35, v34
	s_delay_alu instid0(VALU_DEP_1) | instskip(NEXT) | instid1(VALU_DEP_1)
	v_dual_add_f32 v6, v7, v4 :: v_dual_sub_f32 v35, v5, v35
	v_add_f32_e32 v33, v5, v6
	v_sub_f32_e32 v7, v6, v7
	s_delay_alu instid0(VALU_DEP_3) | instskip(NEXT) | instid1(VALU_DEP_3)
	v_sub_f32_e32 v34, v34, v35
	v_sub_f32_e32 v36, v33, v5
	s_delay_alu instid0(VALU_DEP_1) | instskip(SKIP_1) | instid1(VALU_DEP_2)
	v_dual_sub_f32 v4, v4, v7 :: v_dual_sub_f32 v37, v33, v36
	v_sub_f32_e32 v6, v6, v36
	v_add_f32_e32 v7, v34, v4
	s_delay_alu instid0(VALU_DEP_3) | instskip(NEXT) | instid1(VALU_DEP_1)
	v_sub_f32_e32 v5, v5, v37
	v_dual_add_f32 v5, v6, v5 :: v_dual_sub_f32 v6, v7, v34
	s_delay_alu instid0(VALU_DEP_1) | instskip(NEXT) | instid1(VALU_DEP_2)
	v_add_f32_e32 v5, v7, v5
	v_sub_f32_e32 v7, v7, v6
	s_delay_alu instid0(VALU_DEP_2) | instskip(NEXT) | instid1(VALU_DEP_1)
	v_dual_sub_f32 v4, v4, v6 :: v_dual_add_f32 v35, v33, v5
	v_dual_sub_f32 v7, v34, v7 :: v_dual_sub_f32 v6, v35, v33
	s_delay_alu instid0(VALU_DEP_1) | instskip(NEXT) | instid1(VALU_DEP_1)
	v_dual_add_f32 v4, v4, v7 :: v_dual_sub_f32 v5, v5, v6
	v_add_f32_e32 v4, v4, v5
	s_delay_alu instid0(VALU_DEP_1) | instskip(NEXT) | instid1(VALU_DEP_1)
	v_add_f32_e32 v4, v35, v4
	v_cndmask_b32_e32 v33, v4, v2, vcc_lo
.LBB98_32:                              ;   in Loop: Header=BB98_12 Depth=1
	s_or_b32 exec_lo, exec_lo, s17
	v_lshrrev_b32_e32 v2, 16, v3
	s_delay_alu instid0(VALU_DEP_1) | instskip(NEXT) | instid1(VALU_DEP_1)
	v_cvt_f32_f16_e32 v2, v2
	v_add_f32_e32 v34, s48, v2
	s_delay_alu instid0(VALU_DEP_1) | instskip(SKIP_1) | instid1(SALU_CYCLE_1)
	v_cmp_ge_f32_e32 vcc_lo, 0x41a00000, v34
	s_and_b32 s16, s56, vcc_lo
	s_and_saveexec_b32 s17, s16
	s_cbranch_execz .LBB98_34
; %bb.33:                               ;   in Loop: Header=BB98_12 Depth=1
	v_mul_f32_e32 v2, 0x3fb8aa3b, v34
	v_cmp_ngt_f32_e32 vcc_lo, 0xc2ce8ed0, v34
	s_delay_alu instid0(VALU_DEP_2) | instskip(SKIP_1) | instid1(VALU_DEP_2)
	v_rndne_f32_e32 v3, v2
	v_fma_f32 v4, 0x3fb8aa3b, v34, -v2
	v_sub_f32_e32 v2, v2, v3
	s_delay_alu instid0(VALU_DEP_2) | instskip(SKIP_1) | instid1(VALU_DEP_2)
	v_fmac_f32_e32 v4, 0x32a5705f, v34
	v_cvt_i32_f32_e32 v3, v3
	v_add_f32_e32 v2, v2, v4
	s_delay_alu instid0(VALU_DEP_1) | instskip(SKIP_2) | instid1(VALU_DEP_1)
	v_exp_f32_e32 v2, v2
	s_waitcnt_depctr 0xfff
	v_ldexp_f32 v2, v2, v3
	v_cndmask_b32_e32 v2, 0, v2, vcc_lo
	v_cmp_nlt_f32_e32 vcc_lo, 0x42b17218, v34
	s_delay_alu instid0(VALU_DEP_2) | instskip(NEXT) | instid1(VALU_DEP_1)
	v_cndmask_b32_e32 v4, 0x7f800000, v2, vcc_lo
	v_add_f32_e32 v5, 1.0, v4
	s_delay_alu instid0(VALU_DEP_1) | instskip(NEXT) | instid1(VALU_DEP_1)
	v_cvt_f64_f32_e32 v[2:3], v5
	v_frexp_exp_i32_f64_e32 v2, v[2:3]
	v_frexp_mant_f32_e32 v3, v5
	s_delay_alu instid0(VALU_DEP_1) | instskip(SKIP_1) | instid1(VALU_DEP_1)
	v_cmp_gt_f32_e32 vcc_lo, 0x3f2aaaab, v3
	v_add_f32_e32 v3, -1.0, v5
	v_sub_f32_e32 v7, v3, v5
	v_sub_f32_e32 v3, v4, v3
	s_delay_alu instid0(VALU_DEP_2) | instskip(NEXT) | instid1(VALU_DEP_1)
	v_add_f32_e32 v7, 1.0, v7
	v_add_f32_e32 v3, v3, v7
	v_cmp_gt_f32_e64 s16, 0x33800000, v4
	v_subrev_co_ci_u32_e32 v2, vcc_lo, 0, v2, vcc_lo
	v_cmp_eq_f32_e32 vcc_lo, 0x7f800000, v4
	s_delay_alu instid0(VALU_DEP_2) | instskip(SKIP_2) | instid1(VALU_DEP_2)
	v_sub_nc_u32_e32 v6, 0, v2
	v_cvt_f32_i32_e32 v2, v2
	s_or_b32 vcc_lo, s16, vcc_lo
	v_ldexp_f32 v5, v5, v6
	v_ldexp_f32 v3, v3, v6
	s_delay_alu instid0(VALU_DEP_2) | instskip(NEXT) | instid1(VALU_DEP_1)
	v_add_f32_e32 v34, 1.0, v5
	v_dual_add_f32 v6, -1.0, v5 :: v_dual_add_f32 v7, -1.0, v34
	s_delay_alu instid0(VALU_DEP_1) | instskip(NEXT) | instid1(VALU_DEP_2)
	v_add_f32_e32 v35, 1.0, v6
	v_sub_f32_e32 v7, v5, v7
	s_delay_alu instid0(VALU_DEP_2) | instskip(NEXT) | instid1(VALU_DEP_2)
	v_sub_f32_e32 v5, v5, v35
	v_add_f32_e32 v7, v3, v7
	s_delay_alu instid0(VALU_DEP_2) | instskip(NEXT) | instid1(VALU_DEP_1)
	v_add_f32_e32 v3, v3, v5
	v_add_f32_e32 v36, v6, v3
	s_delay_alu instid0(VALU_DEP_1) | instskip(NEXT) | instid1(VALU_DEP_4)
	v_sub_f32_e32 v6, v6, v36
	v_add_f32_e32 v35, v34, v7
	s_delay_alu instid0(VALU_DEP_1) | instskip(NEXT) | instid1(VALU_DEP_2)
	v_rcp_f32_e32 v5, v35
	v_dual_sub_f32 v34, v34, v35 :: v_dual_add_f32 v3, v3, v6
	s_delay_alu instid0(VALU_DEP_1) | instskip(SKIP_2) | instid1(VALU_DEP_1)
	v_add_f32_e32 v7, v7, v34
	s_waitcnt_depctr 0xfff
	v_mul_f32_e32 v37, v36, v5
	v_mul_f32_e32 v38, v35, v37
	s_delay_alu instid0(VALU_DEP_1) | instskip(NEXT) | instid1(VALU_DEP_1)
	v_fma_f32 v34, v37, v35, -v38
	v_fmac_f32_e32 v34, v37, v7
	s_delay_alu instid0(VALU_DEP_1) | instskip(NEXT) | instid1(VALU_DEP_1)
	v_add_f32_e32 v39, v38, v34
	v_sub_f32_e32 v40, v36, v39
	v_sub_f32_e32 v6, v39, v38
	s_delay_alu instid0(VALU_DEP_2) | instskip(NEXT) | instid1(VALU_DEP_1)
	v_sub_f32_e32 v36, v36, v40
	v_sub_f32_e32 v36, v36, v39
	s_delay_alu instid0(VALU_DEP_1) | instskip(NEXT) | instid1(VALU_DEP_1)
	v_dual_sub_f32 v6, v6, v34 :: v_dual_add_f32 v3, v3, v36
	v_add_f32_e32 v3, v6, v3
	s_delay_alu instid0(VALU_DEP_1) | instskip(NEXT) | instid1(VALU_DEP_1)
	v_add_f32_e32 v6, v40, v3
	v_mul_f32_e32 v34, v5, v6
	v_sub_f32_e32 v39, v40, v6
	s_delay_alu instid0(VALU_DEP_2) | instskip(NEXT) | instid1(VALU_DEP_2)
	v_mul_f32_e32 v36, v35, v34
	v_add_f32_e32 v3, v3, v39
	s_delay_alu instid0(VALU_DEP_2) | instskip(NEXT) | instid1(VALU_DEP_1)
	v_fma_f32 v35, v34, v35, -v36
	v_fmac_f32_e32 v35, v34, v7
	s_delay_alu instid0(VALU_DEP_1) | instskip(NEXT) | instid1(VALU_DEP_1)
	v_add_f32_e32 v7, v36, v35
	v_sub_f32_e32 v38, v6, v7
	s_delay_alu instid0(VALU_DEP_1) | instskip(NEXT) | instid1(VALU_DEP_1)
	v_sub_f32_e32 v6, v6, v38
	v_sub_f32_e32 v6, v6, v7
	s_delay_alu instid0(VALU_DEP_1) | instskip(SKIP_2) | instid1(VALU_DEP_1)
	v_add_f32_e32 v3, v3, v6
	v_add_f32_e32 v6, v37, v34
	v_sub_f32_e32 v36, v7, v36
	v_sub_f32_e32 v7, v36, v35
	s_delay_alu instid0(VALU_DEP_1) | instskip(NEXT) | instid1(VALU_DEP_4)
	v_add_f32_e32 v3, v7, v3
	v_sub_f32_e32 v7, v6, v37
	s_delay_alu instid0(VALU_DEP_2) | instskip(NEXT) | instid1(VALU_DEP_2)
	v_add_f32_e32 v3, v38, v3
	v_sub_f32_e32 v7, v34, v7
	s_delay_alu instid0(VALU_DEP_2) | instskip(NEXT) | instid1(VALU_DEP_1)
	v_mul_f32_e32 v3, v5, v3
	v_add_f32_e32 v3, v7, v3
	s_delay_alu instid0(VALU_DEP_1) | instskip(NEXT) | instid1(VALU_DEP_1)
	v_add_f32_e32 v5, v6, v3
	v_mul_f32_e32 v7, v5, v5
	s_delay_alu instid0(VALU_DEP_1) | instskip(SKIP_1) | instid1(VALU_DEP_2)
	v_fmaak_f32 v34, s60, v7, 0x3ecc95a3
	v_mul_f32_e32 v35, v5, v7
	v_fmaak_f32 v7, v7, v34, 0x3f2aaada
	v_ldexp_f32 v34, v5, 1
	v_sub_f32_e32 v5, v5, v6
	s_delay_alu instid0(VALU_DEP_3) | instskip(SKIP_1) | instid1(VALU_DEP_2)
	v_mul_f32_e32 v7, v35, v7
	v_mul_f32_e32 v35, 0x3f317218, v2
	v_dual_sub_f32 v3, v3, v5 :: v_dual_add_f32 v6, v34, v7
	s_delay_alu instid0(VALU_DEP_1) | instskip(NEXT) | instid1(VALU_DEP_2)
	v_ldexp_f32 v3, v3, 1
	v_sub_f32_e32 v5, v6, v34
	s_delay_alu instid0(VALU_DEP_4) | instskip(NEXT) | instid1(VALU_DEP_1)
	v_fma_f32 v34, 0x3f317218, v2, -v35
	v_dual_sub_f32 v5, v7, v5 :: v_dual_fmac_f32 v34, 0xb102e308, v2
	s_delay_alu instid0(VALU_DEP_1) | instskip(NEXT) | instid1(VALU_DEP_1)
	v_add_f32_e32 v2, v3, v5
	v_add_f32_e32 v5, v6, v2
	s_delay_alu instid0(VALU_DEP_1) | instskip(NEXT) | instid1(VALU_DEP_1)
	v_sub_f32_e32 v6, v5, v6
	v_sub_f32_e32 v2, v2, v6
	v_add_f32_e32 v3, v35, v34
	s_delay_alu instid0(VALU_DEP_1) | instskip(SKIP_1) | instid1(VALU_DEP_2)
	v_add_f32_e32 v7, v3, v5
	v_sub_f32_e32 v35, v3, v35
	v_sub_f32_e32 v36, v7, v3
	s_delay_alu instid0(VALU_DEP_1) | instskip(NEXT) | instid1(VALU_DEP_1)
	v_dual_sub_f32 v34, v34, v35 :: v_dual_sub_f32 v37, v7, v36
	v_dual_sub_f32 v5, v5, v36 :: v_dual_add_f32 v6, v34, v2
	s_delay_alu instid0(VALU_DEP_2) | instskip(NEXT) | instid1(VALU_DEP_1)
	v_sub_f32_e32 v3, v3, v37
	v_add_f32_e32 v3, v5, v3
	s_delay_alu instid0(VALU_DEP_3) | instskip(NEXT) | instid1(VALU_DEP_2)
	v_sub_f32_e32 v5, v6, v34
	v_add_f32_e32 v3, v6, v3
	s_delay_alu instid0(VALU_DEP_2) | instskip(NEXT) | instid1(VALU_DEP_2)
	v_sub_f32_e32 v6, v6, v5
	v_dual_sub_f32 v2, v2, v5 :: v_dual_add_f32 v35, v7, v3
	s_delay_alu instid0(VALU_DEP_1) | instskip(NEXT) | instid1(VALU_DEP_1)
	v_dual_sub_f32 v6, v34, v6 :: v_dual_sub_f32 v5, v35, v7
	v_dual_add_f32 v2, v2, v6 :: v_dual_sub_f32 v3, v3, v5
	s_delay_alu instid0(VALU_DEP_1) | instskip(NEXT) | instid1(VALU_DEP_1)
	v_add_f32_e32 v2, v2, v3
	v_add_f32_e32 v2, v35, v2
	s_delay_alu instid0(VALU_DEP_1)
	v_cndmask_b32_e32 v34, v2, v4, vcc_lo
.LBB98_34:                              ;   in Loop: Header=BB98_12 Depth=1
	s_or_b32 exec_lo, exec_lo, s17
	v_lshrrev_b32_e32 v2, 16, v0
	v_lshrrev_b32_e32 v3, 16, v1
	v_cvt_f32_f16_e32 v1, v1
	v_cvt_f32_f16_e32 v0, v0
	s_and_b32 vcc_lo, exec_lo, s57
	v_cvt_f32_f16_e32 v2, v2
	v_cvt_f32_f16_e32 v3, v3
	s_delay_alu instid0(VALU_DEP_3) | instskip(NEXT) | instid1(VALU_DEP_2)
	v_dual_mul_f32 v35, s49, v1 :: v_dual_mul_f32 v38, s49, v0
	v_dual_mul_f32 v36, s49, v2 :: v_dual_mul_f32 v37, s49, v3
	s_barrier
	buffer_gl0_inv
	s_cbranch_vccz .LBB98_82
; %bb.35:                               ;   in Loop: Header=BB98_12 Depth=1
	v_dual_mul_f32 v39, v34, v3 :: v_dual_mul_f32 v44, v33, v1
	v_add_co_u32 v3, s16, s27, v29
	s_delay_alu instid0(VALU_DEP_1) | instskip(SKIP_1) | instid1(VALU_DEP_1)
	v_add_co_ci_u32_e64 v4, null, s41, 0, s16
	v_add_co_u32 v5, s16, s45, v29
	v_add_co_ci_u32_e64 v6, null, s52, 0, s16
	s_delay_alu instid0(VALU_DEP_4) | instskip(NEXT) | instid1(VALU_DEP_4)
	v_add_co_u32 v40, vcc_lo, v3, v30
	v_add_co_ci_u32_e32 v41, vcc_lo, 0, v4, vcc_lo
	s_delay_alu instid0(VALU_DEP_4) | instskip(NEXT) | instid1(VALU_DEP_4)
	v_add_co_u32 v42, vcc_lo, v5, v30
	v_add_co_ci_u32_e32 v43, vcc_lo, 0, v6, vcc_lo
	v_cmp_gt_u32_e32 vcc_lo, s19, v8
	v_cmp_gt_u32_e64 s17, s19, v26
	v_cmp_gt_u32_e64 s18, s19, v27
	;; [unrolled: 1-line block ×3, first 2 shown]
	s_cmp_lg_u32 s62, 0
	v_dual_mul_f32 v45, v32, v2 :: v_dual_mul_f32 v46, v31, v0
	s_mov_b32 s28, 0
	s_cselect_b32 s25, -1, 0
	s_cmp_eq_u32 s62, s59
	s_mov_b32 s30, s28
	s_cselect_b32 s63, -1, 0
	s_or_b32 s16, s58, vcc_lo
	s_or_b32 s17, s58, s17
	s_or_b32 s18, s58, s18
	;; [unrolled: 1-line block ×3, first 2 shown]
	s_mov_b32 s34, s28
	s_mov_b32 s38, s28
	s_mov_b32 s64, s42
	s_mov_b32 s65, s61
	s_branch .LBB98_37
.LBB98_36:                              ;   in Loop: Header=BB98_37 Depth=2
	s_or_b32 exec_lo, exec_lo, s20
	v_cndmask_b32_e64 v2, v56, v7, s11
	v_cndmask_b32_e64 v3, v55, v6, s11
	s_add_i32 s64, s64, -1
	s_add_i32 s65, s65, 8
	s_add_i32 s38, s38, s26
	v_fma_f32 v2, v2, v52, v49
	v_mul_f32_e32 v3, v3, v52
	s_add_i32 s34, s34, s44
	s_add_i32 s30, s30, s40
	;; [unrolled: 1-line block ×3, first 2 shown]
	v_cndmask_b32_e64 v2, v2, v49, s10
	v_cndmask_b32_e64 v3, v3, v52, s10
	s_cmp_eq_u32 s64, 0
	s_waitcnt lgkmcnt(0)
	s_delay_alu instid0(VALU_DEP_1) | instskip(NEXT) | instid1(VALU_DEP_1)
	v_fmac_f32_e32 v2, v4, v3
	v_fmac_f32_e32 v47, v2, v53
	v_fma_mix_f32 v38, v2, v0, v38 op_sel_hi:[0,1,0]
	s_delay_alu instid0(VALU_DEP_2) | instskip(SKIP_1) | instid1(VALU_DEP_2)
	v_fmac_f32_e32 v48, v47, v54
	v_fma_mix_f32 v36, v47, v0, v36 op_sel:[0,1,0] op_sel_hi:[0,1,0]
	v_fmac_f32_e32 v50, v48, v51
	v_fma_mix_f32 v35, v48, v1, v35 op_sel_hi:[0,1,0]
	s_delay_alu instid0(VALU_DEP_2)
	v_fma_mix_f32 v37, v50, v1, v37 op_sel:[0,1,0] op_sel_hi:[0,1,0]
	s_cbranch_scc1 .LBB98_82
.LBB98_37:                              ;   Parent Loop BB98_12 Depth=1
                                        ; =>  This Inner Loop Header: Depth=2
	s_lshl_b64 s[20:21], s[28:29], 2
	s_mov_b32 s31, s29
	s_add_u32 s20, s50, s20
	s_addc_u32 s21, s51, s21
	v_dual_mov_b32 v2, 0 :: v_dual_mov_b32 v3, 0
	global_load_b32 v6, v12, s[20:21]
	s_lshl_b64 s[20:21], s[30:31], 1
	s_delay_alu instid0(SALU_CYCLE_1)
	v_add_co_u32 v0, vcc_lo, v40, s20
	v_add_co_ci_u32_e32 v1, vcc_lo, s21, v41, vcc_lo
	s_and_saveexec_b32 s20, s12
	s_cbranch_execnz .LBB98_49
; %bb.38:                               ;   in Loop: Header=BB98_37 Depth=2
	s_or_b32 exec_lo, exec_lo, s20
	s_and_saveexec_b32 s20, s13
	s_cbranch_execnz .LBB98_50
.LBB98_39:                              ;   in Loop: Header=BB98_37 Depth=2
	s_or_b32 exec_lo, exec_lo, s20
	v_mov_b32_e32 v4, 0
	s_and_saveexec_b32 s20, s14
	s_cbranch_execnz .LBB98_51
.LBB98_40:                              ;   in Loop: Header=BB98_37 Depth=2
	s_or_b32 exec_lo, exec_lo, s20
	s_and_saveexec_b32 s20, s15
	s_cbranch_execz .LBB98_42
.LBB98_41:                              ;   in Loop: Header=BB98_37 Depth=2
	global_load_u16 v0, v[0:1], off offset:192
	s_waitcnt vmcnt(0)
	v_lshl_or_b32 v4, v0, 16, v4
.LBB98_42:                              ;   in Loop: Header=BB98_37 Depth=2
	s_or_b32 exec_lo, exec_lo, s20
	s_waitcnt vmcnt(0)
	ds_store_b16 v14, v3
	ds_store_b16 v14, v2 offset:64
	ds_store_b16 v15, v4 offset:128
	ds_store_b16_d16_hi v16, v4 offset:192
	; wave barrier
	ds_load_b64 v[4:5], v17
	s_mov_b32 s35, s29
	v_dual_mov_b32 v2, 0 :: v_dual_mov_b32 v3, 0
	s_lshl_b64 s[20:21], s[34:35], 1
	s_delay_alu instid0(SALU_CYCLE_1)
	v_add_co_u32 v0, vcc_lo, v42, s20
	v_add_co_ci_u32_e32 v1, vcc_lo, s21, v43, vcc_lo
	s_and_saveexec_b32 s20, s12
	s_cbranch_execnz .LBB98_52
; %bb.43:                               ;   in Loop: Header=BB98_37 Depth=2
	s_or_b32 exec_lo, exec_lo, s20
	s_and_saveexec_b32 s20, s13
	s_cbranch_execnz .LBB98_53
.LBB98_44:                              ;   in Loop: Header=BB98_37 Depth=2
	s_or_b32 exec_lo, exec_lo, s20
	v_mov_b32_e32 v7, 0
	s_and_saveexec_b32 s20, s14
	s_cbranch_execnz .LBB98_54
.LBB98_45:                              ;   in Loop: Header=BB98_37 Depth=2
	s_or_b32 exec_lo, exec_lo, s20
	s_and_saveexec_b32 s20, s15
	s_cbranch_execz .LBB98_47
.LBB98_46:                              ;   in Loop: Header=BB98_37 Depth=2
	global_load_u16 v0, v[0:1], off offset:192
	s_waitcnt vmcnt(0)
	v_lshl_or_b32 v7, v0, 16, v7
.LBB98_47:                              ;   in Loop: Header=BB98_37 Depth=2
	s_or_b32 exec_lo, exec_lo, s20
	s_waitcnt vmcnt(0)
	ds_store_b16 v14, v3 offset:528
	ds_store_b16 v18, v2 offset:64
	;; [unrolled: 1-line block ×3, first 2 shown]
	ds_store_b16_d16_hi v20, v7 offset:192
	; wave barrier
	ds_load_b64 v[0:1], v17 offset:528
	s_and_not1_b32 vcc_lo, exec_lo, s25
	s_cbranch_vccnz .LBB98_55
; %bb.48:                               ;   in Loop: Header=BB98_37 Depth=2
	v_mov_b32_e32 v2, s65
	ds_load_b64 v[2:3], v2
	s_cbranch_execz .LBB98_56
	s_branch .LBB98_59
.LBB98_49:                              ;   in Loop: Header=BB98_37 Depth=2
	global_load_u16 v3, v[0:1], off
	s_or_b32 exec_lo, exec_lo, s20
	s_and_saveexec_b32 s20, s13
	s_cbranch_execz .LBB98_39
.LBB98_50:                              ;   in Loop: Header=BB98_37 Depth=2
	global_load_u16 v2, v[0:1], off offset:64
	s_or_b32 exec_lo, exec_lo, s20
	v_mov_b32_e32 v4, 0
	s_and_saveexec_b32 s20, s14
	s_cbranch_execz .LBB98_40
.LBB98_51:                              ;   in Loop: Header=BB98_37 Depth=2
	global_load_u16 v4, v[0:1], off offset:128
	s_or_b32 exec_lo, exec_lo, s20
	s_and_saveexec_b32 s20, s15
	s_cbranch_execnz .LBB98_41
	s_branch .LBB98_42
.LBB98_52:                              ;   in Loop: Header=BB98_37 Depth=2
	global_load_u16 v3, v[0:1], off
	s_or_b32 exec_lo, exec_lo, s20
	s_and_saveexec_b32 s20, s13
	s_cbranch_execz .LBB98_44
.LBB98_53:                              ;   in Loop: Header=BB98_37 Depth=2
	global_load_u16 v2, v[0:1], off offset:64
	s_or_b32 exec_lo, exec_lo, s20
	v_mov_b32_e32 v7, 0
	s_and_saveexec_b32 s20, s14
	s_cbranch_execz .LBB98_45
.LBB98_54:                              ;   in Loop: Header=BB98_37 Depth=2
	global_load_u16 v7, v[0:1], off offset:128
	s_or_b32 exec_lo, exec_lo, s20
	s_and_saveexec_b32 s20, s15
	s_cbranch_execnz .LBB98_46
	s_branch .LBB98_47
.LBB98_55:                              ;   in Loop: Header=BB98_37 Depth=2
                                        ; implicit-def: $vgpr2
.LBB98_56:                              ;   in Loop: Header=BB98_37 Depth=2
	s_waitcnt lgkmcnt(0)
	v_mov_b32_e32 v3, 0
	s_and_not1_b32 vcc_lo, exec_lo, s33
	s_cbranch_vccnz .LBB98_58
; %bb.57:                               ;   in Loop: Header=BB98_37 Depth=2
	s_mov_b32 s39, s29
	s_delay_alu instid0(SALU_CYCLE_1) | instskip(NEXT) | instid1(SALU_CYCLE_1)
	s_lshl_b64 s[20:21], s[38:39], 2
	s_add_u32 s20, s53, s20
	s_addc_u32 s21, s54, s21
	global_load_b32 v3, v12, s[20:21]
.LBB98_58:                              ;   in Loop: Header=BB98_37 Depth=2
	v_mov_b32_e32 v2, 1.0
.LBB98_59:                              ;   in Loop: Header=BB98_37 Depth=2
	s_waitcnt lgkmcnt(5)
	v_lshrrev_b32_e32 v7, 16, v4
	v_lshrrev_b32_e32 v47, 16, v5
	v_cvt_f32_f16_e32 v5, v5
	v_cvt_f32_f16_e32 v4, v4
	s_delay_alu instid0(VALU_DEP_4) | instskip(SKIP_2) | instid1(VALU_DEP_4)
	v_cvt_f32_f16_e32 v7, v7
	v_mul_f32_e32 v6, 0x3fb8aa3b, v6
	v_cvt_f32_f16_e32 v51, v47
	v_dual_mul_f32 v4, v46, v4 :: v_dual_mul_f32 v5, v44, v5
	s_delay_alu instid0(VALU_DEP_4) | instskip(NEXT) | instid1(VALU_DEP_4)
	v_mul_f32_e32 v7, v45, v7
	v_mul_f32_e32 v48, v6, v31
	s_delay_alu instid0(VALU_DEP_1) | instskip(SKIP_2) | instid1(VALU_DEP_2)
	v_cmp_gt_f32_e32 vcc_lo, 0xc2fc0000, v48
	v_cndmask_b32_e64 v48, 0, 0x42800000, vcc_lo
	v_cndmask_b32_e64 v53, 1.0, 0x1f800000, vcc_lo
	v_fmac_f32_e32 v48, v6, v31
	s_delay_alu instid0(VALU_DEP_1) | instskip(SKIP_2) | instid1(VALU_DEP_1)
	v_exp_f32_e32 v48, v48
	s_waitcnt_depctr 0xfff
	v_dual_mul_f32 v49, v6, v32 :: v_dual_mul_f32 v48, v48, v53
	v_cmp_gt_f32_e64 s20, 0xc2fc0000, v49
	v_mul_f32_e32 v49, v6, v34
	s_delay_alu instid0(VALU_DEP_2) | instskip(NEXT) | instid1(VALU_DEP_2)
	v_cndmask_b32_e64 v47, 0, 0x42800000, s20
	v_cmp_gt_f32_e64 s22, 0xc2fc0000, v49
	v_cndmask_b32_e64 v49, 0, v4, s16
	s_delay_alu instid0(VALU_DEP_2) | instskip(NEXT) | instid1(VALU_DEP_1)
	v_cndmask_b32_e64 v52, 0, 0x42800000, s22
	v_fmac_f32_e32 v52, v6, v34
	s_delay_alu instid0(VALU_DEP_1) | instskip(SKIP_3) | instid1(VALU_DEP_3)
	v_exp_f32_e32 v55, v52
	v_mul_f32_e32 v50, v6, v33
	v_cndmask_b32_e64 v52, 1.0, v48, s16
	v_cndmask_b32_e64 v48, 0, v5, s18
	v_cmp_gt_f32_e64 s21, 0xc2fc0000, v50
	s_delay_alu instid0(VALU_DEP_1) | instskip(NEXT) | instid1(VALU_DEP_1)
	v_cndmask_b32_e64 v50, 0, 0x42800000, s21
	v_fmac_f32_e32 v50, v6, v33
	s_delay_alu instid0(VALU_DEP_1)
	v_exp_f32_e32 v4, v50
	v_cndmask_b32_e64 v50, 1.0, 0x1f800000, s21
	v_fmac_f32_e32 v47, v6, v32
	v_cndmask_b32_e64 v6, 1.0, 0x1f800000, s20
	s_waitcnt_depctr 0xfff
	v_mul_f32_e32 v4, v4, v50
	v_exp_f32_e32 v47, v47
	s_delay_alu instid0(VALU_DEP_1)
	v_cndmask_b32_e64 v54, 1.0, v4, s18
	v_mul_f32_e32 v4, v39, v51
	s_waitcnt_depctr 0xfff
	v_mul_f32_e32 v6, v47, v6
	v_cndmask_b32_e64 v47, 0, v7, s17
	v_cndmask_b32_e64 v7, 1.0, 0x1f800000, s22
	v_cndmask_b32_e64 v50, 0, v4, s19
	s_delay_alu instid0(VALU_DEP_4) | instskip(NEXT) | instid1(VALU_DEP_1)
	v_cndmask_b32_e64 v53, 1.0, v6, s17
	v_dual_mul_f32 v5, v55, v7 :: v_dual_mul_f32 v6, v53, v52
	v_fma_f32 v7, v53, v49, v47
	s_delay_alu instid0(VALU_DEP_2) | instskip(NEXT) | instid1(VALU_DEP_3)
	v_cndmask_b32_e64 v51, 1.0, v5, s19
	v_mul_f32_e32 v4, v6, v54
	s_delay_alu instid0(VALU_DEP_3) | instskip(NEXT) | instid1(VALU_DEP_2)
	v_fma_f32 v5, v7, v54, v48
	v_mul_f32_e32 v4, v4, v51
	s_delay_alu instid0(VALU_DEP_2) | instskip(NEXT) | instid1(VALU_DEP_2)
	v_fma_f32 v5, v5, v51, v50
	v_mov_b32_dpp v7, v4 row_shr:1 row_mask:0xf bank_mask:0xf
	s_delay_alu instid0(VALU_DEP_2)
	v_mov_b32_dpp v6, v5 row_shr:1 row_mask:0xf bank_mask:0xf
	s_and_saveexec_b32 s20, s0
; %bb.60:                               ;   in Loop: Header=BB98_37 Depth=2
	s_delay_alu instid0(VALU_DEP_2) | instskip(NEXT) | instid1(VALU_DEP_1)
	v_mul_f32_e32 v7, v4, v7
	v_dual_fmac_f32 v5, v4, v6 :: v_dual_mov_b32 v4, v7
; %bb.61:                               ;   in Loop: Header=BB98_37 Depth=2
	s_or_b32 exec_lo, exec_lo, s20
	s_delay_alu instid0(VALU_DEP_1) | instskip(NEXT) | instid1(VALU_DEP_2)
	v_mov_b32_dpp v6, v4 row_shr:2 row_mask:0xf bank_mask:0xf
	v_mov_b32_dpp v7, v5 row_shr:2 row_mask:0xf bank_mask:0xf
	s_and_saveexec_b32 s20, s1
; %bb.62:                               ;   in Loop: Header=BB98_37 Depth=2
	s_delay_alu instid0(VALU_DEP_1) | instskip(NEXT) | instid1(VALU_DEP_3)
	v_fmac_f32_e32 v5, v4, v7
	v_mul_f32_e32 v4, v4, v6
; %bb.63:                               ;   in Loop: Header=BB98_37 Depth=2
	s_or_b32 exec_lo, exec_lo, s20
	s_delay_alu instid0(VALU_DEP_1) | instskip(NEXT) | instid1(VALU_DEP_3)
	v_mov_b32_dpp v6, v4 row_shr:4 row_mask:0xf bank_mask:0xf
	v_mov_b32_dpp v7, v5 row_shr:4 row_mask:0xf bank_mask:0xf
	s_and_saveexec_b32 s20, s2
; %bb.64:                               ;   in Loop: Header=BB98_37 Depth=2
	s_delay_alu instid0(VALU_DEP_1) | instskip(NEXT) | instid1(VALU_DEP_3)
	v_fmac_f32_e32 v5, v4, v7
	v_mul_f32_e32 v4, v4, v6
; %bb.65:                               ;   in Loop: Header=BB98_37 Depth=2
	s_or_b32 exec_lo, exec_lo, s20
	s_delay_alu instid0(VALU_DEP_1) | instskip(NEXT) | instid1(VALU_DEP_3)
	v_mov_b32_dpp v6, v4 row_shr:8 row_mask:0xf bank_mask:0xf
	v_mov_b32_dpp v7, v5 row_shr:8 row_mask:0xf bank_mask:0xf
	s_and_saveexec_b32 s20, s3
; %bb.66:                               ;   in Loop: Header=BB98_37 Depth=2
	s_delay_alu instid0(VALU_DEP_1) | instskip(NEXT) | instid1(VALU_DEP_3)
	v_fmac_f32_e32 v5, v4, v7
	v_mul_f32_e32 v4, v4, v6
; %bb.67:                               ;   in Loop: Header=BB98_37 Depth=2
	s_or_b32 exec_lo, exec_lo, s20
	ds_swizzle_b32 v7, v4 offset:swizzle(BROADCAST,32,15)
	ds_swizzle_b32 v6, v5 offset:swizzle(BROADCAST,32,15)
	s_and_saveexec_b32 s20, s4
	s_cbranch_execz .LBB98_69
; %bb.68:                               ;   in Loop: Header=BB98_37 Depth=2
	s_waitcnt lgkmcnt(1)
	v_mul_f32_e32 v7, v4, v7
	s_waitcnt lgkmcnt(0)
	s_delay_alu instid0(VALU_DEP_1)
	v_dual_fmac_f32 v5, v4, v6 :: v_dual_mov_b32 v4, v7
.LBB98_69:                              ;   in Loop: Header=BB98_37 Depth=2
	s_or_b32 exec_lo, exec_lo, s20
	s_and_saveexec_b32 s20, s5
	s_cbranch_execz .LBB98_71
; %bb.70:                               ;   in Loop: Header=BB98_37 Depth=2
	ds_store_b64 v21, v[4:5] offset:1056
.LBB98_71:                              ;   in Loop: Header=BB98_37 Depth=2
	s_or_b32 exec_lo, exec_lo, s20
	s_waitcnt vmcnt(0) lgkmcnt(0)
	s_waitcnt_vscnt null, 0x0
	s_barrier
	buffer_gl0_inv
	s_and_saveexec_b32 s20, s6
	s_cbranch_execz .LBB98_73
; %bb.72:                               ;   in Loop: Header=BB98_37 Depth=2
	ds_load_b64 v[6:7], v22 offset:1056
	s_waitcnt lgkmcnt(0)
	v_mov_b32_dpp v55, v6 row_shr:1 row_mask:0xf bank_mask:0xf
	v_mov_b32_dpp v56, v7 row_shr:1 row_mask:0xf bank_mask:0xf
	s_delay_alu instid0(VALU_DEP_2) | instskip(NEXT) | instid1(VALU_DEP_2)
	v_mul_f32_e32 v55, v6, v55
	v_fma_f32 v56, v6, v56, v7
	s_delay_alu instid0(VALU_DEP_2) | instskip(NEXT) | instid1(VALU_DEP_2)
	v_cndmask_b32_e64 v6, v55, v6, s7
	v_cndmask_b32_e64 v7, v56, v7, s7
	ds_store_b64 v22, v[6:7] offset:1056
.LBB98_73:                              ;   in Loop: Header=BB98_37 Depth=2
	s_or_b32 exec_lo, exec_lo, s20
	s_waitcnt lgkmcnt(0)
	s_barrier
	buffer_gl0_inv
                                        ; implicit-def: $vgpr7
	s_and_saveexec_b32 s20, s9
	s_cbranch_execz .LBB98_75
; %bb.74:                               ;   in Loop: Header=BB98_37 Depth=2
	ds_load_b64 v[6:7], v21 offset:1048
	s_waitcnt lgkmcnt(0)
	v_mul_f32_e32 v55, v4, v6
	s_delay_alu instid0(VALU_DEP_1)
	v_dual_fmac_f32 v5, v4, v7 :: v_dual_mov_b32 v4, v55
.LBB98_75:                              ;   in Loop: Header=BB98_37 Depth=2
	s_or_b32 exec_lo, exec_lo, s20
	ds_bpermute_b32 v55, v23, v4
	ds_bpermute_b32 v56, v23, v5
	s_and_saveexec_b32 s20, s8
	s_cbranch_execz .LBB98_79
; %bb.76:                               ;   in Loop: Header=BB98_37 Depth=2
	ds_load_b64 v[4:5], v12 offset:1064
	s_and_saveexec_b32 s21, s10
	s_cbranch_execz .LBB98_78
; %bb.77:                               ;   in Loop: Header=BB98_37 Depth=2
	ds_store_b64 v12, v[2:3] offset:1064
.LBB98_78:                              ;   in Loop: Header=BB98_37 Depth=2
	s_or_b32 exec_lo, exec_lo, s21
	s_waitcnt lgkmcnt(0)
	v_fmac_f32_e32 v5, v3, v4
	s_delay_alu instid0(VALU_DEP_1)
	v_dual_mul_f32 v2, v2, v4 :: v_dual_mov_b32 v3, v5
.LBB98_79:                              ;   in Loop: Header=BB98_37 Depth=2
	s_or_b32 exec_lo, exec_lo, s20
	s_waitcnt lgkmcnt(0)
	s_barrier
	buffer_gl0_inv
	ds_load_b32 v4, v12 offset:1068
	s_and_saveexec_b32 s20, s10
	s_cbranch_execz .LBB98_36
; %bb.80:                               ;   in Loop: Header=BB98_37 Depth=2
	v_mov_b32_e32 v5, s65
	s_and_not1_b32 vcc_lo, exec_lo, s63
	ds_store_b64 v5, v[2:3]
	s_cbranch_vccnz .LBB98_36
; %bb.81:                               ;   in Loop: Header=BB98_37 Depth=2
	s_mov_b32 s39, s29
	s_delay_alu instid0(SALU_CYCLE_1) | instskip(NEXT) | instid1(SALU_CYCLE_1)
	s_lshl_b64 s[66:67], s[38:39], 2
	s_add_u32 s66, s53, s66
	s_addc_u32 s67, s54, s67
	global_store_b32 v12, v3, s[66:67]
	s_branch .LBB98_36
.LBB98_82:                              ;   in Loop: Header=BB98_12 Depth=1
	v_cvt_f16_f32_e32 v0, v38
	s_delay_alu instid0(VALU_DEP_3) | instskip(NEXT) | instid1(VALU_DEP_3)
	v_cvt_f16_f32_e32 v1, v35
	v_cvt_f16_f32_e32 v2, v37
	;; [unrolled: 1-line block ×3, first 2 shown]
	s_waitcnt_vscnt null, 0x0
	s_barrier
	buffer_gl0_inv
	v_pack_b32_f16 v1, v1, v2
	v_pack_b32_f16 v0, v0, v3
	s_mov_b32 s25, s29
	s_delay_alu instid0(SALU_CYCLE_1)
	s_lshl_b64 s[16:17], s[24:25], 1
	ds_store_b64 v17, v[0:1]
	; wave barrier
	ds_load_u16 v4, v14 offset:64
	ds_load_u16 v3, v15 offset:128
	;; [unrolled: 1-line block ×3, first 2 shown]
	v_add_co_u32 v0, vcc_lo, v24, s16
	v_add_co_ci_u32_e32 v1, vcc_lo, s17, v25, vcc_lo
	s_and_saveexec_b32 s16, s12
	s_cbranch_execnz .LBB98_88
; %bb.83:                               ;   in Loop: Header=BB98_12 Depth=1
	s_or_b32 exec_lo, exec_lo, s16
	s_and_saveexec_b32 s12, s13
	s_cbranch_execnz .LBB98_89
.LBB98_84:                              ;   in Loop: Header=BB98_12 Depth=1
	s_or_b32 exec_lo, exec_lo, s12
	s_and_saveexec_b32 s12, s14
	s_cbranch_execnz .LBB98_90
.LBB98_85:                              ;   in Loop: Header=BB98_12 Depth=1
	s_or_b32 exec_lo, exec_lo, s12
	s_and_saveexec_b32 s12, s15
	s_cbranch_execz .LBB98_11
	s_branch .LBB98_91
.LBB98_86:                              ;   in Loop: Header=BB98_12 Depth=1
	global_load_u16 v6, v[2:3], off offset:64
	s_or_b32 exec_lo, exec_lo, s16
	s_and_saveexec_b32 s16, s14
	s_cbranch_execz .LBB98_24
.LBB98_87:                              ;   in Loop: Header=BB98_12 Depth=1
	global_load_u16 v5, v[2:3], off offset:128
	s_or_b32 exec_lo, exec_lo, s16
	v_mov_b32_e32 v7, 0
	s_and_saveexec_b32 s16, s15
	s_cbranch_execnz .LBB98_25
	s_branch .LBB98_26
.LBB98_88:                              ;   in Loop: Header=BB98_12 Depth=1
	ds_load_u16 v5, v14
	s_waitcnt lgkmcnt(0)
	global_store_b16 v[0:1], v5, off
	s_or_b32 exec_lo, exec_lo, s16
	s_and_saveexec_b32 s12, s13
	s_cbranch_execz .LBB98_84
.LBB98_89:                              ;   in Loop: Header=BB98_12 Depth=1
	s_waitcnt lgkmcnt(2)
	global_store_b16 v[0:1], v4, off offset:64
	s_or_b32 exec_lo, exec_lo, s12
	s_and_saveexec_b32 s12, s14
	s_cbranch_execz .LBB98_85
.LBB98_90:                              ;   in Loop: Header=BB98_12 Depth=1
	s_waitcnt lgkmcnt(1)
	global_store_b16 v[0:1], v3, off offset:128
	s_or_b32 exec_lo, exec_lo, s12
	s_and_saveexec_b32 s12, s15
	s_cbranch_execz .LBB98_11
.LBB98_91:                              ;   in Loop: Header=BB98_12 Depth=1
	s_waitcnt lgkmcnt(0)
	global_store_b16 v[0:1], v2, off offset:192
	s_branch .LBB98_11
.LBB98_92:
	s_nop 0
	s_sendmsg sendmsg(MSG_DEALLOC_VGPRS)
	s_endpgm
	.section	.rodata,"a",@progbits
	.p2align	6, 0x0
	.amdhsa_kernel _Z25selective_scan_fwd_kernelI32Selective_Scan_fwd_kernel_traitsILi64ELi4ELi1ELb1ELb1ELb1ELb0ELb1EN3c104HalfEffEEv13SSMParamsBase
		.amdhsa_group_segment_fixed_size 0
		.amdhsa_private_segment_fixed_size 0
		.amdhsa_kernarg_size 248
		.amdhsa_user_sgpr_count 14
		.amdhsa_user_sgpr_dispatch_ptr 0
		.amdhsa_user_sgpr_queue_ptr 0
		.amdhsa_user_sgpr_kernarg_segment_ptr 1
		.amdhsa_user_sgpr_dispatch_id 0
		.amdhsa_user_sgpr_private_segment_size 0
		.amdhsa_wavefront_size32 1
		.amdhsa_uses_dynamic_stack 0
		.amdhsa_enable_private_segment 0
		.amdhsa_system_sgpr_workgroup_id_x 1
		.amdhsa_system_sgpr_workgroup_id_y 1
		.amdhsa_system_sgpr_workgroup_id_z 0
		.amdhsa_system_sgpr_workgroup_info 0
		.amdhsa_system_vgpr_workitem_id 0
		.amdhsa_next_free_vgpr 57
		.amdhsa_next_free_sgpr 68
		.amdhsa_reserve_vcc 1
		.amdhsa_float_round_mode_32 0
		.amdhsa_float_round_mode_16_64 0
		.amdhsa_float_denorm_mode_32 3
		.amdhsa_float_denorm_mode_16_64 3
		.amdhsa_dx10_clamp 1
		.amdhsa_ieee_mode 1
		.amdhsa_fp16_overflow 0
		.amdhsa_workgroup_processor_mode 1
		.amdhsa_memory_ordered 1
		.amdhsa_forward_progress 0
		.amdhsa_shared_vgpr_count 0
		.amdhsa_exception_fp_ieee_invalid_op 0
		.amdhsa_exception_fp_denorm_src 0
		.amdhsa_exception_fp_ieee_div_zero 0
		.amdhsa_exception_fp_ieee_overflow 0
		.amdhsa_exception_fp_ieee_underflow 0
		.amdhsa_exception_fp_ieee_inexact 0
		.amdhsa_exception_int_div_zero 0
	.end_amdhsa_kernel
	.section	.text._Z25selective_scan_fwd_kernelI32Selective_Scan_fwd_kernel_traitsILi64ELi4ELi1ELb1ELb1ELb1ELb0ELb1EN3c104HalfEffEEv13SSMParamsBase,"axG",@progbits,_Z25selective_scan_fwd_kernelI32Selective_Scan_fwd_kernel_traitsILi64ELi4ELi1ELb1ELb1ELb1ELb0ELb1EN3c104HalfEffEEv13SSMParamsBase,comdat
.Lfunc_end98:
	.size	_Z25selective_scan_fwd_kernelI32Selective_Scan_fwd_kernel_traitsILi64ELi4ELi1ELb1ELb1ELb1ELb0ELb1EN3c104HalfEffEEv13SSMParamsBase, .Lfunc_end98-_Z25selective_scan_fwd_kernelI32Selective_Scan_fwd_kernel_traitsILi64ELi4ELi1ELb1ELb1ELb1ELb0ELb1EN3c104HalfEffEEv13SSMParamsBase
                                        ; -- End function
	.section	.AMDGPU.csdata,"",@progbits
; Kernel info:
; codeLenInByte = 7004
; NumSgprs: 70
; NumVgprs: 57
; ScratchSize: 0
; MemoryBound: 0
; FloatMode: 240
; IeeeMode: 1
; LDSByteSize: 0 bytes/workgroup (compile time only)
; SGPRBlocks: 8
; VGPRBlocks: 7
; NumSGPRsForWavesPerEU: 70
; NumVGPRsForWavesPerEU: 57
; Occupancy: 16
; WaveLimiterHint : 1
; COMPUTE_PGM_RSRC2:SCRATCH_EN: 0
; COMPUTE_PGM_RSRC2:USER_SGPR: 14
; COMPUTE_PGM_RSRC2:TRAP_HANDLER: 0
; COMPUTE_PGM_RSRC2:TGID_X_EN: 1
; COMPUTE_PGM_RSRC2:TGID_Y_EN: 1
; COMPUTE_PGM_RSRC2:TGID_Z_EN: 0
; COMPUTE_PGM_RSRC2:TIDIG_COMP_CNT: 0
	.section	.text._Z25selective_scan_fwd_kernelI32Selective_Scan_fwd_kernel_traitsILi64ELi4ELi1ELb1ELb1ELb1ELb0ELb0EN3c104HalfEffEEv13SSMParamsBase,"axG",@progbits,_Z25selective_scan_fwd_kernelI32Selective_Scan_fwd_kernel_traitsILi64ELi4ELi1ELb1ELb1ELb1ELb0ELb0EN3c104HalfEffEEv13SSMParamsBase,comdat
	.protected	_Z25selective_scan_fwd_kernelI32Selective_Scan_fwd_kernel_traitsILi64ELi4ELi1ELb1ELb1ELb1ELb0ELb0EN3c104HalfEffEEv13SSMParamsBase ; -- Begin function _Z25selective_scan_fwd_kernelI32Selective_Scan_fwd_kernel_traitsILi64ELi4ELi1ELb1ELb1ELb1ELb0ELb0EN3c104HalfEffEEv13SSMParamsBase
	.globl	_Z25selective_scan_fwd_kernelI32Selective_Scan_fwd_kernel_traitsILi64ELi4ELi1ELb1ELb1ELb1ELb0ELb0EN3c104HalfEffEEv13SSMParamsBase
	.p2align	8
	.type	_Z25selective_scan_fwd_kernelI32Selective_Scan_fwd_kernel_traitsILi64ELi4ELi1ELb1ELb1ELb1ELb0ELb0EN3c104HalfEffEEv13SSMParamsBase,@function
_Z25selective_scan_fwd_kernelI32Selective_Scan_fwd_kernel_traitsILi64ELi4ELi1ELb1ELb1ELb1ELb0ELb0EN3c104HalfEffEEv13SSMParamsBase: ; @_Z25selective_scan_fwd_kernelI32Selective_Scan_fwd_kernel_traitsILi64ELi4ELi1ELb1ELb1ELb1ELb0ELb0EN3c104HalfEffEEv13SSMParamsBase
; %bb.0:
	s_clause 0x1
	s_load_b32 s11, s[0:1], 0x18
	s_load_b128 s[4:7], s[0:1], 0xe8
	s_mov_b32 s8, s15
	s_mov_b32 s33, 0
	s_waitcnt lgkmcnt(0)
	s_abs_i32 s10, s11
	s_cmp_eq_u64 s[6:7], 0
	v_cvt_f32_u32_e32 v1, s10
	s_delay_alu instid0(VALU_DEP_1) | instskip(SKIP_2) | instid1(VALU_DEP_1)
	v_rcp_iflag_f32_e32 v1, v1
	s_waitcnt_depctr 0xfff
	v_mul_f32_e32 v1, 0x4f7ffffe, v1
	v_cvt_u32_f32_e32 v1, v1
	s_delay_alu instid0(VALU_DEP_1)
	v_readfirstlane_b32 s12, v1
	s_cbranch_scc1 .LBB99_2
; %bb.1:
	v_mov_b32_e32 v1, 0
	s_ashr_i32 s3, s14, 31
	s_add_u32 s2, s6, s14
	s_addc_u32 s3, s7, s3
	global_load_u8 v1, v1, s[2:3]
	s_waitcnt vmcnt(0)
	v_and_b32_e32 v1, 1, v1
	s_delay_alu instid0(VALU_DEP_1)
	v_cmp_eq_u32_e64 s33, 1, v1
.LBB99_2:
	s_load_b64 s[6:7], s[0:1], 0x20
	s_cmp_eq_u64 s[4:5], 0
	s_cbranch_scc1 .LBB99_4
; %bb.3:
	s_ashr_i32 s15, s14, 31
	s_delay_alu instid0(SALU_CYCLE_1) | instskip(NEXT) | instid1(SALU_CYCLE_1)
	s_lshl_b64 s[2:3], s[14:15], 2
	s_add_u32 s2, s4, s2
	s_addc_u32 s3, s5, s3
	s_load_b32 s2, s[2:3], 0x0
	s_waitcnt lgkmcnt(0)
	s_ashr_i32 s3, s2, 31
	s_delay_alu instid0(SALU_CYCLE_1)
	s_cmp_eq_u64 s[6:7], s[2:3]
	s_cbranch_scc0 .LBB99_5
	s_branch .LBB99_54
.LBB99_4:
	s_mov_b32 s2, s14
	s_delay_alu instid0(SALU_CYCLE_1)
	s_ashr_i32 s3, s2, 31
	s_waitcnt lgkmcnt(0)
	s_cmp_eq_u64 s[6:7], s[2:3]
	s_cbranch_scc1 .LBB99_54
.LBB99_5:
	s_clause 0x1
	s_load_b512 s[16:31], s[0:1], 0x88
	s_load_b64 s[34:35], s[0:1], 0x8
	s_mov_b32 s48, 0
	s_mov_b32 s49, 0
	s_waitcnt lgkmcnt(0)
	s_cmp_eq_u64 s[22:23], 0
	s_cbranch_scc1 .LBB99_7
; %bb.6:
	s_ashr_i32 s9, s8, 31
	s_delay_alu instid0(SALU_CYCLE_1) | instskip(NEXT) | instid1(SALU_CYCLE_1)
	s_lshl_b64 s[4:5], s[8:9], 2
	s_add_u32 s4, s22, s4
	s_addc_u32 s5, s23, s5
	s_load_b32 s49, s[4:5], 0x0
.LBB99_7:
	s_cmp_eq_u64 s[28:29], 0
	s_cbranch_scc1 .LBB99_9
; %bb.8:
	s_ashr_i32 s9, s8, 31
	s_delay_alu instid0(SALU_CYCLE_1) | instskip(NEXT) | instid1(SALU_CYCLE_1)
	s_lshl_b64 s[4:5], s[8:9], 2
	s_add_u32 s4, s28, s4
	s_addc_u32 s5, s29, s5
	s_load_b32 s48, s[4:5], 0x0
.LBB99_9:
	s_cmp_lt_i32 s34, 1
	s_cbranch_scc1 .LBB99_54
; %bb.10:
	s_sub_i32 s3, 0, s10
	s_clause 0x1
	s_load_b64 s[4:5], s[0:1], 0x5c
	s_load_b128 s[44:47], s[0:1], 0x4c
	s_mul_i32 s3, s3, s12
	s_abs_i32 s6, s8
	s_mul_hi_u32 s3, s12, s3
	s_ashr_i32 s9, s11, 31
	s_add_i32 s12, s12, s3
	s_ashr_i32 s3, s8, 31
	s_mul_hi_u32 s7, s6, s12
	s_xor_b32 s3, s3, s9
	s_mul_i32 s11, s7, s10
	s_add_i32 s9, s7, 1
	s_sub_i32 s6, s6, s11
	s_load_b256 s[36:43], s[0:1], 0x2c
	s_sub_i32 s11, s6, s10
	s_cmp_ge_u32 s6, s10
	s_mov_b32 s23, 0
	s_cselect_b32 s7, s9, s7
	s_cselect_b32 s6, s11, s6
	s_add_i32 s9, s7, 1
	s_cmp_ge_u32 s6, s10
	s_waitcnt lgkmcnt(0)
	s_mul_i32 s22, s46, s14
	s_cselect_b32 s6, s9, s7
	v_lshrrev_b32_e32 v1, 2, v0
	s_xor_b32 s9, s6, s3
	s_lshl_b64 s[6:7], s[22:23], 1
	s_sub_i32 s3, s9, s3
	s_mul_i32 s22, s47, s8
	s_add_u32 s9, s24, s6
	s_addc_u32 s10, s25, s7
	s_lshl_b64 s[6:7], s[22:23], 1
	s_mul_i32 s22, s4, s14
	s_add_u32 s28, s9, s6
	s_addc_u32 s29, s10, s7
	s_lshl_b64 s[6:7], s[22:23], 1
	s_mul_i32 s22, s5, s8
	s_add_u32 s6, s26, s6
	s_addc_u32 s7, s27, s7
	s_lshl_b64 s[4:5], s[22:23], 1
	s_load_b128 s[24:27], s[0:1], 0x7c
	s_mul_i32 s22, s36, s8
	s_add_u32 s46, s6, s4
	s_addc_u32 s47, s7, s5
	s_lshl_b64 s[4:5], s[22:23], 2
	s_mul_i32 s22, s38, s14
	s_load_b64 s[6:7], s[0:1], 0xc8
	s_add_u32 s36, s16, s4
	s_waitcnt lgkmcnt(0)
	s_addc_u32 s27, s17, s5
	s_lshl_b64 s[4:5], s[22:23], 1
	s_mul_i32 s22, s3, s41
	s_add_u32 s9, s18, s4
	s_addc_u32 s10, s19, s5
	s_lshl_b64 s[4:5], s[22:23], 1
	s_mul_i32 s22, s42, s14
	s_add_u32 s41, s9, s4
	s_load_b32 s9, s[0:1], 0x28
	s_addc_u32 s42, s10, s5
	s_load_b64 s[10:11], s[0:1], 0x6c
	s_lshl_b64 s[4:5], s[22:23], 1
	s_mul_i32 s22, s3, s45
	s_add_u32 s12, s20, s4
	s_addc_u32 s3, s21, s5
	s_lshl_b64 s[4:5], s[22:23], 1
	s_mul_i32 s22, s2, s24
	s_add_u32 s43, s12, s4
	s_addc_u32 s45, s3, s5
	;; [unrolled: 4-line block ×3, first 2 shown]
	s_lshl_b64 s[0:1], s[22:23], 2
	v_lshlrev_b32_e32 v3, 3, v0
	s_add_u32 s50, s2, s0
	s_addc_u32 s51, s3, s1
	s_add_i32 s0, s34, 0x7ff
	v_dual_mov_b32 v12, 0 :: v_dual_and_b32 v1, 8, v1
	s_lshr_b32 s52, s0, 11
	s_waitcnt lgkmcnt(0)
	s_bitcmp1_b32 s9, 0
	s_mul_i32 s22, s10, s14
	s_cselect_b32 s53, -1, 0
	s_cmp_gt_i32 s35, 0
	v_or_b32_e32 v2, 31, v0
	s_cselect_b32 s54, -1, 0
	s_and_b32 s1, s34, 0xff
	v_lshlrev_b32_e32 v13, 2, v0
	s_cmp_eq_u32 s1, 0
	v_cmp_gt_u32_e64 s0, 64, v0
	s_cselect_b32 s55, -1, 0
	s_lshl_b64 s[6:7], s[22:23], 1
	s_add_i32 s56, s52, -1
	s_mul_i32 s22, s11, s8
	s_add_u32 s9, s30, s6
	s_addc_u32 s8, s31, s7
	s_lshl_b64 s[6:7], s[22:23], 1
	v_cmp_eq_u32_e64 s1, v2, v0
	s_add_u32 s6, s9, s6
	s_addc_u32 s7, s8, s7
	v_add_co_u32 v16, s6, s6, v3
	v_add_nc_u32_e32 v14, 0, v1
	v_cmp_gt_u32_e64 s2, 2, v0
	v_add_nc_u32_e32 v15, 0, v3
	v_cmp_gt_u32_e64 s3, 32, v0
	v_cmp_lt_u32_e64 s4, 31, v0
	v_cmp_eq_u32_e64 s5, 0, v0
	v_add_co_ci_u32_e64 v17, null, s7, 0, s6
	v_or_b32_e32 v18, 1, v13
	v_or_b32_e32 v19, 2, v13
	;; [unrolled: 1-line block ×3, first 2 shown]
	v_lshlrev_b32_e32 v21, 3, v0
	v_mbcnt_lo_u32_b32 v22, -1, 0
	s_mov_b32 s57, 0x3e9b6dac
	s_add_i32 s58, 0, 0x430
	s_mov_b32 s59, 0
                                        ; implicit-def: $vgpr25
                                        ; implicit-def: $vgpr3
                                        ; implicit-def: $vgpr24
                                        ; implicit-def: $vgpr0
                                        ; implicit-def: $vgpr23
                                        ; implicit-def: $vgpr26
	s_branch .LBB99_12
.LBB99_11:                              ;   in Loop: Header=BB99_12 Depth=1
	s_add_u32 s46, s46, 0x200
	s_addc_u32 s47, s47, 0
	s_mov_b32 s21, s23
	s_add_u32 s28, s28, 0x200
	v_cvt_f16_f32_e32 v6, v33
	v_cvt_f16_f32_e32 v8, v32
	;; [unrolled: 1-line block ×4, first 2 shown]
	s_addc_u32 s29, s29, 0
	s_lshl_b64 s[6:7], s[20:21], 1
	s_add_u32 s41, s41, 0x200
	v_add_co_u32 v4, vcc_lo, v16, s6
	s_addc_u32 s42, s42, 0
	v_add_co_ci_u32_e32 v5, vcc_lo, s7, v17, vcc_lo
	v_pack_b32_f16 v7, v9, v7
	v_pack_b32_f16 v6, v8, v6
	s_add_u32 s43, s43, 0x200
	s_addc_u32 s45, s45, 0
	s_add_i32 s59, s59, 1
	s_waitcnt_vscnt null, 0x0
	s_cmp_eq_u32 s59, s52
	s_barrier
	buffer_gl0_inv
	global_store_b64 v[4:5], v[6:7], off
	s_cbranch_scc1 .LBB99_54
.LBB99_12:                              ; =>This Loop Header: Depth=1
                                        ;     Child Loop BB99_25 Depth 2
	s_waitcnt_vscnt null, 0x0
	s_barrier
	buffer_gl0_inv
	s_and_saveexec_b32 s6, s0
	s_cbranch_execz .LBB99_14
; %bb.13:                               ;   in Loop: Header=BB99_12 Depth=1
	s_clause 0x1
	global_load_b64 v[0:1], v21, s[28:29]
	global_load_b64 v[2:3], v21, s[46:47]
	s_waitcnt vmcnt(1)
	v_lshrrev_b32_e32 v23, 16, v0
	v_lshrrev_b32_e32 v26, 16, v1
	s_waitcnt vmcnt(0)
	v_lshrrev_b32_e32 v24, 16, v2
	v_lshrrev_b32_e32 v25, 16, v3
.LBB99_14:                              ;   in Loop: Header=BB99_12 Depth=1
	s_or_b32 exec_lo, exec_lo, s6
	v_cvt_f32_f16_e32 v4, v2
	s_delay_alu instid0(VALU_DEP_1) | instskip(NEXT) | instid1(VALU_DEP_1)
	v_add_f32_e32 v27, s48, v4
	v_cmp_ge_f32_e32 vcc_lo, 0x41a00000, v27
	s_and_b32 s6, s53, vcc_lo
	s_delay_alu instid0(SALU_CYCLE_1)
	s_and_saveexec_b32 s7, s6
	s_cbranch_execz .LBB99_16
; %bb.15:                               ;   in Loop: Header=BB99_12 Depth=1
	v_mul_f32_e32 v4, 0x3fb8aa3b, v27
	v_cmp_ngt_f32_e32 vcc_lo, 0xc2ce8ed0, v27
	s_delay_alu instid0(VALU_DEP_2) | instskip(SKIP_1) | instid1(VALU_DEP_2)
	v_rndne_f32_e32 v5, v4
	v_fma_f32 v6, 0x3fb8aa3b, v27, -v4
	v_sub_f32_e32 v4, v4, v5
	s_delay_alu instid0(VALU_DEP_2) | instskip(SKIP_1) | instid1(VALU_DEP_2)
	v_fmac_f32_e32 v6, 0x32a5705f, v27
	v_cvt_i32_f32_e32 v5, v5
	v_add_f32_e32 v4, v4, v6
	s_delay_alu instid0(VALU_DEP_1) | instskip(SKIP_2) | instid1(VALU_DEP_1)
	v_exp_f32_e32 v4, v4
	s_waitcnt_depctr 0xfff
	v_ldexp_f32 v4, v4, v5
	v_cndmask_b32_e32 v4, 0, v4, vcc_lo
	v_cmp_nlt_f32_e32 vcc_lo, 0x42b17218, v27
	s_delay_alu instid0(VALU_DEP_2) | instskip(NEXT) | instid1(VALU_DEP_1)
	v_cndmask_b32_e32 v6, 0x7f800000, v4, vcc_lo
	v_add_f32_e32 v7, 1.0, v6
	s_delay_alu instid0(VALU_DEP_1) | instskip(NEXT) | instid1(VALU_DEP_1)
	v_cvt_f64_f32_e32 v[4:5], v7
	v_frexp_exp_i32_f64_e32 v4, v[4:5]
	v_frexp_mant_f32_e32 v5, v7
	s_delay_alu instid0(VALU_DEP_1) | instskip(SKIP_1) | instid1(VALU_DEP_1)
	v_cmp_gt_f32_e32 vcc_lo, 0x3f2aaaab, v5
	v_add_f32_e32 v5, -1.0, v7
	v_sub_f32_e32 v9, v5, v7
	v_sub_f32_e32 v5, v6, v5
	s_delay_alu instid0(VALU_DEP_2) | instskip(NEXT) | instid1(VALU_DEP_1)
	v_add_f32_e32 v9, 1.0, v9
	v_add_f32_e32 v5, v5, v9
	v_cmp_gt_f32_e64 s6, 0x33800000, v6
	v_subrev_co_ci_u32_e32 v4, vcc_lo, 0, v4, vcc_lo
	v_cmp_eq_f32_e32 vcc_lo, 0x7f800000, v6
	s_delay_alu instid0(VALU_DEP_2) | instskip(SKIP_2) | instid1(VALU_DEP_2)
	v_sub_nc_u32_e32 v8, 0, v4
	v_cvt_f32_i32_e32 v4, v4
	s_or_b32 vcc_lo, s6, vcc_lo
	v_ldexp_f32 v7, v7, v8
	v_ldexp_f32 v5, v5, v8
	s_delay_alu instid0(VALU_DEP_2) | instskip(NEXT) | instid1(VALU_DEP_1)
	v_add_f32_e32 v10, 1.0, v7
	v_dual_add_f32 v8, -1.0, v7 :: v_dual_add_f32 v9, -1.0, v10
	s_delay_alu instid0(VALU_DEP_1) | instskip(NEXT) | instid1(VALU_DEP_2)
	v_add_f32_e32 v11, 1.0, v8
	v_sub_f32_e32 v9, v7, v9
	s_delay_alu instid0(VALU_DEP_2) | instskip(NEXT) | instid1(VALU_DEP_2)
	v_sub_f32_e32 v7, v7, v11
	v_add_f32_e32 v9, v5, v9
	s_delay_alu instid0(VALU_DEP_2) | instskip(NEXT) | instid1(VALU_DEP_2)
	v_add_f32_e32 v5, v5, v7
	v_add_f32_e32 v11, v10, v9
	s_delay_alu instid0(VALU_DEP_1) | instskip(NEXT) | instid1(VALU_DEP_2)
	v_rcp_f32_e32 v7, v11
	v_dual_add_f32 v27, v8, v5 :: v_dual_sub_f32 v10, v10, v11
	s_delay_alu instid0(VALU_DEP_1) | instskip(SKIP_2) | instid1(VALU_DEP_1)
	v_dual_sub_f32 v8, v8, v27 :: v_dual_add_f32 v9, v9, v10
	s_waitcnt_depctr 0xfff
	v_dual_mul_f32 v28, v27, v7 :: v_dual_add_f32 v5, v5, v8
	v_mul_f32_e32 v29, v11, v28
	s_delay_alu instid0(VALU_DEP_1) | instskip(NEXT) | instid1(VALU_DEP_1)
	v_fma_f32 v10, v28, v11, -v29
	v_fmac_f32_e32 v10, v28, v9
	s_delay_alu instid0(VALU_DEP_1) | instskip(NEXT) | instid1(VALU_DEP_1)
	v_add_f32_e32 v30, v29, v10
	v_dual_sub_f32 v31, v27, v30 :: v_dual_sub_f32 v8, v30, v29
	s_delay_alu instid0(VALU_DEP_1) | instskip(NEXT) | instid1(VALU_DEP_1)
	v_dual_sub_f32 v27, v27, v31 :: v_dual_sub_f32 v8, v8, v10
	v_sub_f32_e32 v27, v27, v30
	s_delay_alu instid0(VALU_DEP_1) | instskip(NEXT) | instid1(VALU_DEP_1)
	v_add_f32_e32 v5, v5, v27
	v_add_f32_e32 v5, v8, v5
	s_delay_alu instid0(VALU_DEP_1) | instskip(NEXT) | instid1(VALU_DEP_1)
	v_add_f32_e32 v8, v31, v5
	v_mul_f32_e32 v10, v7, v8
	v_sub_f32_e32 v30, v31, v8
	s_delay_alu instid0(VALU_DEP_2) | instskip(NEXT) | instid1(VALU_DEP_2)
	v_mul_f32_e32 v27, v11, v10
	v_add_f32_e32 v5, v5, v30
	s_delay_alu instid0(VALU_DEP_2) | instskip(NEXT) | instid1(VALU_DEP_1)
	v_fma_f32 v11, v10, v11, -v27
	v_fmac_f32_e32 v11, v10, v9
	s_delay_alu instid0(VALU_DEP_1) | instskip(NEXT) | instid1(VALU_DEP_1)
	v_add_f32_e32 v9, v27, v11
	v_sub_f32_e32 v29, v8, v9
	s_delay_alu instid0(VALU_DEP_1) | instskip(NEXT) | instid1(VALU_DEP_1)
	v_dual_sub_f32 v27, v9, v27 :: v_dual_sub_f32 v8, v8, v29
	v_sub_f32_e32 v8, v8, v9
	s_delay_alu instid0(VALU_DEP_1) | instskip(NEXT) | instid1(VALU_DEP_3)
	v_dual_add_f32 v5, v5, v8 :: v_dual_add_f32 v8, v28, v10
	v_sub_f32_e32 v9, v27, v11
	s_delay_alu instid0(VALU_DEP_1) | instskip(NEXT) | instid1(VALU_DEP_3)
	v_add_f32_e32 v5, v9, v5
	v_sub_f32_e32 v9, v8, v28
	s_delay_alu instid0(VALU_DEP_2) | instskip(NEXT) | instid1(VALU_DEP_2)
	v_add_f32_e32 v5, v29, v5
	v_sub_f32_e32 v9, v10, v9
	s_delay_alu instid0(VALU_DEP_2) | instskip(NEXT) | instid1(VALU_DEP_1)
	v_mul_f32_e32 v5, v7, v5
	v_add_f32_e32 v5, v9, v5
	s_delay_alu instid0(VALU_DEP_1) | instskip(NEXT) | instid1(VALU_DEP_1)
	v_add_f32_e32 v7, v8, v5
	v_mul_f32_e32 v9, v7, v7
	s_delay_alu instid0(VALU_DEP_1) | instskip(SKIP_1) | instid1(VALU_DEP_2)
	v_fmaak_f32 v10, s57, v9, 0x3ecc95a3
	v_mul_f32_e32 v11, v7, v9
	v_fmaak_f32 v9, v9, v10, 0x3f2aaada
	v_ldexp_f32 v10, v7, 1
	v_sub_f32_e32 v7, v7, v8
	s_delay_alu instid0(VALU_DEP_3) | instskip(SKIP_1) | instid1(VALU_DEP_2)
	v_mul_f32_e32 v9, v11, v9
	v_mul_f32_e32 v11, 0x3f317218, v4
	v_dual_sub_f32 v5, v5, v7 :: v_dual_add_f32 v8, v10, v9
	s_delay_alu instid0(VALU_DEP_1) | instskip(NEXT) | instid1(VALU_DEP_2)
	v_ldexp_f32 v5, v5, 1
	v_sub_f32_e32 v7, v8, v10
	s_delay_alu instid0(VALU_DEP_4) | instskip(NEXT) | instid1(VALU_DEP_1)
	v_fma_f32 v10, 0x3f317218, v4, -v11
	v_dual_sub_f32 v7, v9, v7 :: v_dual_fmac_f32 v10, 0xb102e308, v4
	s_delay_alu instid0(VALU_DEP_1) | instskip(NEXT) | instid1(VALU_DEP_1)
	v_dual_add_f32 v4, v5, v7 :: v_dual_add_f32 v5, v11, v10
	v_add_f32_e32 v7, v8, v4
	s_delay_alu instid0(VALU_DEP_2) | instskip(NEXT) | instid1(VALU_DEP_2)
	v_sub_f32_e32 v11, v5, v11
	v_dual_add_f32 v9, v5, v7 :: v_dual_sub_f32 v8, v7, v8
	s_delay_alu instid0(VALU_DEP_1) | instskip(NEXT) | instid1(VALU_DEP_2)
	v_dual_sub_f32 v10, v10, v11 :: v_dual_sub_f32 v27, v9, v5
	v_sub_f32_e32 v4, v4, v8
	s_delay_alu instid0(VALU_DEP_2) | instskip(NEXT) | instid1(VALU_DEP_2)
	v_sub_f32_e32 v28, v9, v27
	v_dual_sub_f32 v7, v7, v27 :: v_dual_add_f32 v8, v10, v4
	s_delay_alu instid0(VALU_DEP_2) | instskip(NEXT) | instid1(VALU_DEP_1)
	v_sub_f32_e32 v5, v5, v28
	v_add_f32_e32 v5, v7, v5
	s_delay_alu instid0(VALU_DEP_3) | instskip(NEXT) | instid1(VALU_DEP_2)
	v_sub_f32_e32 v7, v8, v10
	v_add_f32_e32 v5, v8, v5
	s_delay_alu instid0(VALU_DEP_2) | instskip(NEXT) | instid1(VALU_DEP_2)
	v_sub_f32_e32 v8, v8, v7
	v_dual_sub_f32 v4, v4, v7 :: v_dual_add_f32 v11, v9, v5
	s_delay_alu instid0(VALU_DEP_1) | instskip(NEXT) | instid1(VALU_DEP_1)
	v_dual_sub_f32 v8, v10, v8 :: v_dual_sub_f32 v7, v11, v9
	v_dual_add_f32 v4, v4, v8 :: v_dual_sub_f32 v5, v5, v7
	s_delay_alu instid0(VALU_DEP_1) | instskip(NEXT) | instid1(VALU_DEP_1)
	v_add_f32_e32 v4, v4, v5
	v_add_f32_e32 v4, v11, v4
	s_delay_alu instid0(VALU_DEP_1)
	v_cndmask_b32_e32 v27, v4, v6, vcc_lo
.LBB99_16:                              ;   in Loop: Header=BB99_12 Depth=1
	s_or_b32 exec_lo, exec_lo, s7
	v_cvt_f32_f16_e32 v4, v24
	s_delay_alu instid0(VALU_DEP_1) | instskip(NEXT) | instid1(VALU_DEP_1)
	v_add_f32_e32 v28, s48, v4
	v_cmp_ge_f32_e32 vcc_lo, 0x41a00000, v28
	s_and_b32 s6, s53, vcc_lo
	s_delay_alu instid0(SALU_CYCLE_1)
	s_and_saveexec_b32 s7, s6
	s_cbranch_execz .LBB99_18
; %bb.17:                               ;   in Loop: Header=BB99_12 Depth=1
	v_mul_f32_e32 v4, 0x3fb8aa3b, v28
	v_cmp_ngt_f32_e32 vcc_lo, 0xc2ce8ed0, v28
	s_delay_alu instid0(VALU_DEP_2) | instskip(SKIP_1) | instid1(VALU_DEP_2)
	v_rndne_f32_e32 v5, v4
	v_fma_f32 v6, 0x3fb8aa3b, v28, -v4
	v_sub_f32_e32 v4, v4, v5
	s_delay_alu instid0(VALU_DEP_2) | instskip(SKIP_1) | instid1(VALU_DEP_2)
	v_fmac_f32_e32 v6, 0x32a5705f, v28
	v_cvt_i32_f32_e32 v5, v5
	v_add_f32_e32 v4, v4, v6
	s_delay_alu instid0(VALU_DEP_1) | instskip(SKIP_2) | instid1(VALU_DEP_1)
	v_exp_f32_e32 v4, v4
	s_waitcnt_depctr 0xfff
	v_ldexp_f32 v4, v4, v5
	v_cndmask_b32_e32 v4, 0, v4, vcc_lo
	v_cmp_nlt_f32_e32 vcc_lo, 0x42b17218, v28
	s_delay_alu instid0(VALU_DEP_2) | instskip(NEXT) | instid1(VALU_DEP_1)
	v_cndmask_b32_e32 v6, 0x7f800000, v4, vcc_lo
	v_add_f32_e32 v7, 1.0, v6
	s_delay_alu instid0(VALU_DEP_1) | instskip(NEXT) | instid1(VALU_DEP_1)
	v_cvt_f64_f32_e32 v[4:5], v7
	v_frexp_exp_i32_f64_e32 v4, v[4:5]
	v_frexp_mant_f32_e32 v5, v7
	s_delay_alu instid0(VALU_DEP_1) | instskip(SKIP_1) | instid1(VALU_DEP_1)
	v_cmp_gt_f32_e32 vcc_lo, 0x3f2aaaab, v5
	v_add_f32_e32 v5, -1.0, v7
	v_sub_f32_e32 v9, v5, v7
	v_sub_f32_e32 v5, v6, v5
	s_delay_alu instid0(VALU_DEP_2) | instskip(NEXT) | instid1(VALU_DEP_1)
	v_add_f32_e32 v9, 1.0, v9
	v_add_f32_e32 v5, v5, v9
	v_cmp_gt_f32_e64 s6, 0x33800000, v6
	v_subrev_co_ci_u32_e32 v4, vcc_lo, 0, v4, vcc_lo
	v_cmp_eq_f32_e32 vcc_lo, 0x7f800000, v6
	s_delay_alu instid0(VALU_DEP_2) | instskip(SKIP_2) | instid1(VALU_DEP_2)
	v_sub_nc_u32_e32 v8, 0, v4
	v_cvt_f32_i32_e32 v4, v4
	s_or_b32 vcc_lo, s6, vcc_lo
	v_ldexp_f32 v7, v7, v8
	v_ldexp_f32 v5, v5, v8
	s_delay_alu instid0(VALU_DEP_2) | instskip(NEXT) | instid1(VALU_DEP_1)
	v_add_f32_e32 v10, 1.0, v7
	v_dual_add_f32 v8, -1.0, v7 :: v_dual_add_f32 v9, -1.0, v10
	s_delay_alu instid0(VALU_DEP_1) | instskip(NEXT) | instid1(VALU_DEP_2)
	v_add_f32_e32 v11, 1.0, v8
	v_sub_f32_e32 v9, v7, v9
	s_delay_alu instid0(VALU_DEP_2) | instskip(NEXT) | instid1(VALU_DEP_2)
	v_sub_f32_e32 v7, v7, v11
	v_add_f32_e32 v9, v5, v9
	s_delay_alu instid0(VALU_DEP_2) | instskip(NEXT) | instid1(VALU_DEP_1)
	v_add_f32_e32 v5, v5, v7
	v_add_f32_e32 v28, v8, v5
	s_delay_alu instid0(VALU_DEP_1) | instskip(NEXT) | instid1(VALU_DEP_1)
	v_dual_add_f32 v11, v10, v9 :: v_dual_sub_f32 v8, v8, v28
	v_rcp_f32_e32 v7, v11
	v_sub_f32_e32 v10, v10, v11
	s_delay_alu instid0(VALU_DEP_1) | instskip(SKIP_2) | instid1(VALU_DEP_1)
	v_add_f32_e32 v9, v9, v10
	s_waitcnt_depctr 0xfff
	v_mul_f32_e32 v29, v28, v7
	v_mul_f32_e32 v30, v11, v29
	s_delay_alu instid0(VALU_DEP_1) | instskip(NEXT) | instid1(VALU_DEP_1)
	v_fma_f32 v10, v29, v11, -v30
	v_fmac_f32_e32 v10, v29, v9
	s_delay_alu instid0(VALU_DEP_1) | instskip(NEXT) | instid1(VALU_DEP_1)
	v_add_f32_e32 v31, v30, v10
	v_sub_f32_e32 v32, v28, v31
	s_delay_alu instid0(VALU_DEP_1) | instskip(SKIP_1) | instid1(VALU_DEP_2)
	v_sub_f32_e32 v28, v28, v32
	v_dual_add_f32 v5, v5, v8 :: v_dual_sub_f32 v8, v31, v30
	v_sub_f32_e32 v28, v28, v31
	s_delay_alu instid0(VALU_DEP_1) | instskip(NEXT) | instid1(VALU_DEP_1)
	v_dual_sub_f32 v8, v8, v10 :: v_dual_add_f32 v5, v5, v28
	v_add_f32_e32 v5, v8, v5
	s_delay_alu instid0(VALU_DEP_1) | instskip(NEXT) | instid1(VALU_DEP_1)
	v_add_f32_e32 v8, v32, v5
	v_mul_f32_e32 v10, v7, v8
	s_delay_alu instid0(VALU_DEP_1) | instskip(NEXT) | instid1(VALU_DEP_1)
	v_dual_sub_f32 v31, v32, v8 :: v_dual_mul_f32 v28, v11, v10
	v_add_f32_e32 v5, v5, v31
	s_delay_alu instid0(VALU_DEP_2) | instskip(NEXT) | instid1(VALU_DEP_1)
	v_fma_f32 v11, v10, v11, -v28
	v_fmac_f32_e32 v11, v10, v9
	s_delay_alu instid0(VALU_DEP_1) | instskip(NEXT) | instid1(VALU_DEP_1)
	v_add_f32_e32 v9, v28, v11
	v_sub_f32_e32 v30, v8, v9
	s_delay_alu instid0(VALU_DEP_1) | instskip(NEXT) | instid1(VALU_DEP_1)
	v_sub_f32_e32 v8, v8, v30
	v_sub_f32_e32 v8, v8, v9
	s_delay_alu instid0(VALU_DEP_1) | instskip(SKIP_2) | instid1(VALU_DEP_1)
	v_add_f32_e32 v5, v5, v8
	v_add_f32_e32 v8, v29, v10
	v_sub_f32_e32 v28, v9, v28
	v_sub_f32_e32 v9, v28, v11
	s_delay_alu instid0(VALU_DEP_1) | instskip(NEXT) | instid1(VALU_DEP_4)
	v_add_f32_e32 v5, v9, v5
	v_sub_f32_e32 v9, v8, v29
	s_delay_alu instid0(VALU_DEP_2) | instskip(NEXT) | instid1(VALU_DEP_2)
	v_add_f32_e32 v5, v30, v5
	v_sub_f32_e32 v9, v10, v9
	s_delay_alu instid0(VALU_DEP_2) | instskip(NEXT) | instid1(VALU_DEP_1)
	v_mul_f32_e32 v5, v7, v5
	v_add_f32_e32 v5, v9, v5
	s_delay_alu instid0(VALU_DEP_1) | instskip(NEXT) | instid1(VALU_DEP_1)
	v_add_f32_e32 v7, v8, v5
	v_mul_f32_e32 v9, v7, v7
	s_delay_alu instid0(VALU_DEP_1) | instskip(SKIP_1) | instid1(VALU_DEP_2)
	v_fmaak_f32 v10, s57, v9, 0x3ecc95a3
	v_mul_f32_e32 v11, v7, v9
	v_fmaak_f32 v9, v9, v10, 0x3f2aaada
	v_ldexp_f32 v10, v7, 1
	s_delay_alu instid0(VALU_DEP_2) | instskip(SKIP_1) | instid1(VALU_DEP_2)
	v_mul_f32_e32 v9, v11, v9
	v_sub_f32_e32 v7, v7, v8
	v_dual_mul_f32 v11, 0x3f317218, v4 :: v_dual_add_f32 v8, v10, v9
	s_delay_alu instid0(VALU_DEP_2) | instskip(NEXT) | instid1(VALU_DEP_2)
	v_sub_f32_e32 v5, v5, v7
	v_sub_f32_e32 v7, v8, v10
	s_delay_alu instid0(VALU_DEP_3) | instskip(NEXT) | instid1(VALU_DEP_3)
	v_fma_f32 v10, 0x3f317218, v4, -v11
	v_ldexp_f32 v5, v5, 1
	s_delay_alu instid0(VALU_DEP_2) | instskip(NEXT) | instid1(VALU_DEP_1)
	v_dual_sub_f32 v7, v9, v7 :: v_dual_fmac_f32 v10, 0xb102e308, v4
	v_dual_add_f32 v4, v5, v7 :: v_dual_add_f32 v5, v11, v10
	s_delay_alu instid0(VALU_DEP_1) | instskip(NEXT) | instid1(VALU_DEP_1)
	v_add_f32_e32 v7, v8, v4
	v_dual_add_f32 v9, v5, v7 :: v_dual_sub_f32 v8, v7, v8
	s_delay_alu instid0(VALU_DEP_1) | instskip(NEXT) | instid1(VALU_DEP_2)
	v_sub_f32_e32 v28, v9, v5
	v_dual_sub_f32 v11, v5, v11 :: v_dual_sub_f32 v4, v4, v8
	s_delay_alu instid0(VALU_DEP_1) | instskip(SKIP_1) | instid1(VALU_DEP_2)
	v_dual_sub_f32 v29, v9, v28 :: v_dual_sub_f32 v10, v10, v11
	v_sub_f32_e32 v7, v7, v28
	v_dual_sub_f32 v5, v5, v29 :: v_dual_add_f32 v8, v10, v4
	s_delay_alu instid0(VALU_DEP_1) | instskip(NEXT) | instid1(VALU_DEP_2)
	v_add_f32_e32 v5, v7, v5
	v_sub_f32_e32 v7, v8, v10
	s_delay_alu instid0(VALU_DEP_2) | instskip(NEXT) | instid1(VALU_DEP_2)
	v_add_f32_e32 v5, v8, v5
	v_sub_f32_e32 v8, v8, v7
	s_delay_alu instid0(VALU_DEP_2) | instskip(NEXT) | instid1(VALU_DEP_1)
	v_dual_sub_f32 v4, v4, v7 :: v_dual_add_f32 v11, v9, v5
	v_dual_sub_f32 v8, v10, v8 :: v_dual_sub_f32 v7, v11, v9
	s_delay_alu instid0(VALU_DEP_1) | instskip(NEXT) | instid1(VALU_DEP_1)
	v_dual_add_f32 v4, v4, v8 :: v_dual_sub_f32 v5, v5, v7
	v_add_f32_e32 v4, v4, v5
	s_delay_alu instid0(VALU_DEP_1) | instskip(NEXT) | instid1(VALU_DEP_1)
	v_add_f32_e32 v4, v11, v4
	v_cndmask_b32_e32 v28, v4, v6, vcc_lo
.LBB99_18:                              ;   in Loop: Header=BB99_12 Depth=1
	s_or_b32 exec_lo, exec_lo, s7
	v_cvt_f32_f16_e32 v4, v3
	s_delay_alu instid0(VALU_DEP_1) | instskip(NEXT) | instid1(VALU_DEP_1)
	v_add_f32_e32 v29, s48, v4
	v_cmp_ge_f32_e32 vcc_lo, 0x41a00000, v29
	s_and_b32 s6, s53, vcc_lo
	s_delay_alu instid0(SALU_CYCLE_1)
	s_and_saveexec_b32 s7, s6
	s_cbranch_execz .LBB99_20
; %bb.19:                               ;   in Loop: Header=BB99_12 Depth=1
	v_mul_f32_e32 v4, 0x3fb8aa3b, v29
	v_cmp_ngt_f32_e32 vcc_lo, 0xc2ce8ed0, v29
	s_delay_alu instid0(VALU_DEP_2) | instskip(SKIP_1) | instid1(VALU_DEP_2)
	v_rndne_f32_e32 v5, v4
	v_fma_f32 v6, 0x3fb8aa3b, v29, -v4
	v_sub_f32_e32 v4, v4, v5
	s_delay_alu instid0(VALU_DEP_2) | instskip(SKIP_1) | instid1(VALU_DEP_2)
	v_fmac_f32_e32 v6, 0x32a5705f, v29
	v_cvt_i32_f32_e32 v5, v5
	v_add_f32_e32 v4, v4, v6
	s_delay_alu instid0(VALU_DEP_1) | instskip(SKIP_2) | instid1(VALU_DEP_1)
	v_exp_f32_e32 v4, v4
	s_waitcnt_depctr 0xfff
	v_ldexp_f32 v4, v4, v5
	v_cndmask_b32_e32 v4, 0, v4, vcc_lo
	v_cmp_nlt_f32_e32 vcc_lo, 0x42b17218, v29
	s_delay_alu instid0(VALU_DEP_2) | instskip(NEXT) | instid1(VALU_DEP_1)
	v_cndmask_b32_e32 v6, 0x7f800000, v4, vcc_lo
	v_add_f32_e32 v7, 1.0, v6
	s_delay_alu instid0(VALU_DEP_1) | instskip(NEXT) | instid1(VALU_DEP_1)
	v_cvt_f64_f32_e32 v[4:5], v7
	v_frexp_exp_i32_f64_e32 v4, v[4:5]
	v_frexp_mant_f32_e32 v5, v7
	s_delay_alu instid0(VALU_DEP_1) | instskip(SKIP_1) | instid1(VALU_DEP_1)
	v_cmp_gt_f32_e32 vcc_lo, 0x3f2aaaab, v5
	v_add_f32_e32 v5, -1.0, v7
	v_sub_f32_e32 v9, v5, v7
	v_sub_f32_e32 v5, v6, v5
	s_delay_alu instid0(VALU_DEP_2) | instskip(NEXT) | instid1(VALU_DEP_1)
	v_add_f32_e32 v9, 1.0, v9
	v_add_f32_e32 v5, v5, v9
	v_cmp_gt_f32_e64 s6, 0x33800000, v6
	v_subrev_co_ci_u32_e32 v4, vcc_lo, 0, v4, vcc_lo
	v_cmp_eq_f32_e32 vcc_lo, 0x7f800000, v6
	s_delay_alu instid0(VALU_DEP_2) | instskip(SKIP_2) | instid1(VALU_DEP_2)
	v_sub_nc_u32_e32 v8, 0, v4
	v_cvt_f32_i32_e32 v4, v4
	s_or_b32 vcc_lo, s6, vcc_lo
	v_ldexp_f32 v7, v7, v8
	v_ldexp_f32 v5, v5, v8
	s_delay_alu instid0(VALU_DEP_2) | instskip(NEXT) | instid1(VALU_DEP_1)
	v_add_f32_e32 v10, 1.0, v7
	v_dual_add_f32 v8, -1.0, v7 :: v_dual_add_f32 v9, -1.0, v10
	s_delay_alu instid0(VALU_DEP_1) | instskip(NEXT) | instid1(VALU_DEP_2)
	v_add_f32_e32 v11, 1.0, v8
	v_sub_f32_e32 v9, v7, v9
	s_delay_alu instid0(VALU_DEP_2) | instskip(NEXT) | instid1(VALU_DEP_2)
	v_sub_f32_e32 v7, v7, v11
	v_add_f32_e32 v9, v5, v9
	s_delay_alu instid0(VALU_DEP_2) | instskip(NEXT) | instid1(VALU_DEP_2)
	v_add_f32_e32 v5, v5, v7
	v_add_f32_e32 v11, v10, v9
	s_delay_alu instid0(VALU_DEP_1) | instskip(NEXT) | instid1(VALU_DEP_2)
	v_rcp_f32_e32 v7, v11
	v_dual_add_f32 v29, v8, v5 :: v_dual_sub_f32 v10, v10, v11
	s_delay_alu instid0(VALU_DEP_1) | instskip(SKIP_3) | instid1(VALU_DEP_2)
	v_sub_f32_e32 v8, v8, v29
	s_waitcnt_depctr 0xfff
	v_mul_f32_e32 v30, v29, v7
	v_add_f32_e32 v5, v5, v8
	v_mul_f32_e32 v31, v11, v30
	v_add_f32_e32 v9, v9, v10
	s_delay_alu instid0(VALU_DEP_2) | instskip(NEXT) | instid1(VALU_DEP_1)
	v_fma_f32 v10, v30, v11, -v31
	v_fmac_f32_e32 v10, v30, v9
	s_delay_alu instid0(VALU_DEP_1) | instskip(NEXT) | instid1(VALU_DEP_1)
	v_add_f32_e32 v32, v31, v10
	v_dual_sub_f32 v8, v32, v31 :: v_dual_sub_f32 v33, v29, v32
	s_delay_alu instid0(VALU_DEP_1) | instskip(NEXT) | instid1(VALU_DEP_1)
	v_dual_sub_f32 v8, v8, v10 :: v_dual_sub_f32 v29, v29, v33
	v_sub_f32_e32 v29, v29, v32
	s_delay_alu instid0(VALU_DEP_1) | instskip(NEXT) | instid1(VALU_DEP_1)
	v_add_f32_e32 v5, v5, v29
	v_add_f32_e32 v5, v8, v5
	s_delay_alu instid0(VALU_DEP_1) | instskip(NEXT) | instid1(VALU_DEP_1)
	v_add_f32_e32 v8, v33, v5
	v_sub_f32_e32 v32, v33, v8
	v_mul_f32_e32 v10, v7, v8
	s_delay_alu instid0(VALU_DEP_2) | instskip(NEXT) | instid1(VALU_DEP_2)
	v_add_f32_e32 v5, v5, v32
	v_mul_f32_e32 v29, v11, v10
	s_delay_alu instid0(VALU_DEP_1) | instskip(NEXT) | instid1(VALU_DEP_1)
	v_fma_f32 v11, v10, v11, -v29
	v_fmac_f32_e32 v11, v10, v9
	s_delay_alu instid0(VALU_DEP_1) | instskip(NEXT) | instid1(VALU_DEP_1)
	v_add_f32_e32 v9, v29, v11
	v_sub_f32_e32 v31, v8, v9
	s_delay_alu instid0(VALU_DEP_1) | instskip(NEXT) | instid1(VALU_DEP_1)
	v_dual_sub_f32 v29, v9, v29 :: v_dual_sub_f32 v8, v8, v31
	v_dual_sub_f32 v8, v8, v9 :: v_dual_sub_f32 v9, v29, v11
	s_delay_alu instid0(VALU_DEP_1) | instskip(NEXT) | instid1(VALU_DEP_1)
	v_dual_add_f32 v5, v5, v8 :: v_dual_add_f32 v8, v30, v10
	v_add_f32_e32 v5, v9, v5
	s_delay_alu instid0(VALU_DEP_2) | instskip(NEXT) | instid1(VALU_DEP_2)
	v_sub_f32_e32 v9, v8, v30
	v_add_f32_e32 v5, v31, v5
	s_delay_alu instid0(VALU_DEP_2) | instskip(NEXT) | instid1(VALU_DEP_2)
	v_sub_f32_e32 v9, v10, v9
	v_mul_f32_e32 v5, v7, v5
	s_delay_alu instid0(VALU_DEP_1) | instskip(NEXT) | instid1(VALU_DEP_1)
	v_add_f32_e32 v5, v9, v5
	v_add_f32_e32 v7, v8, v5
	s_delay_alu instid0(VALU_DEP_1) | instskip(NEXT) | instid1(VALU_DEP_1)
	v_mul_f32_e32 v9, v7, v7
	v_fmaak_f32 v10, s57, v9, 0x3ecc95a3
	v_mul_f32_e32 v11, v7, v9
	s_delay_alu instid0(VALU_DEP_2) | instskip(SKIP_2) | instid1(VALU_DEP_3)
	v_fmaak_f32 v9, v9, v10, 0x3f2aaada
	v_ldexp_f32 v10, v7, 1
	v_sub_f32_e32 v7, v7, v8
	v_mul_f32_e32 v9, v11, v9
	v_mul_f32_e32 v11, 0x3f317218, v4
	s_delay_alu instid0(VALU_DEP_2) | instskip(NEXT) | instid1(VALU_DEP_1)
	v_dual_sub_f32 v5, v5, v7 :: v_dual_add_f32 v8, v10, v9
	v_ldexp_f32 v5, v5, 1
	s_delay_alu instid0(VALU_DEP_2) | instskip(NEXT) | instid1(VALU_DEP_4)
	v_sub_f32_e32 v7, v8, v10
	v_fma_f32 v10, 0x3f317218, v4, -v11
	s_delay_alu instid0(VALU_DEP_1) | instskip(NEXT) | instid1(VALU_DEP_1)
	v_dual_sub_f32 v7, v9, v7 :: v_dual_fmac_f32 v10, 0xb102e308, v4
	v_dual_add_f32 v4, v5, v7 :: v_dual_add_f32 v5, v11, v10
	s_delay_alu instid0(VALU_DEP_1) | instskip(NEXT) | instid1(VALU_DEP_2)
	v_add_f32_e32 v7, v8, v4
	v_sub_f32_e32 v11, v5, v11
	s_delay_alu instid0(VALU_DEP_2) | instskip(NEXT) | instid1(VALU_DEP_1)
	v_dual_add_f32 v9, v5, v7 :: v_dual_sub_f32 v8, v7, v8
	v_dual_sub_f32 v10, v10, v11 :: v_dual_sub_f32 v29, v9, v5
	s_delay_alu instid0(VALU_DEP_2) | instskip(NEXT) | instid1(VALU_DEP_2)
	v_sub_f32_e32 v4, v4, v8
	v_sub_f32_e32 v30, v9, v29
	s_delay_alu instid0(VALU_DEP_2) | instskip(NEXT) | instid1(VALU_DEP_2)
	v_dual_sub_f32 v7, v7, v29 :: v_dual_add_f32 v8, v10, v4
	v_sub_f32_e32 v5, v5, v30
	s_delay_alu instid0(VALU_DEP_1) | instskip(NEXT) | instid1(VALU_DEP_3)
	v_add_f32_e32 v5, v7, v5
	v_sub_f32_e32 v7, v8, v10
	s_delay_alu instid0(VALU_DEP_2) | instskip(NEXT) | instid1(VALU_DEP_2)
	v_add_f32_e32 v5, v8, v5
	v_sub_f32_e32 v8, v8, v7
	s_delay_alu instid0(VALU_DEP_2) | instskip(NEXT) | instid1(VALU_DEP_1)
	v_dual_sub_f32 v4, v4, v7 :: v_dual_add_f32 v11, v9, v5
	v_dual_sub_f32 v8, v10, v8 :: v_dual_sub_f32 v7, v11, v9
	s_delay_alu instid0(VALU_DEP_1) | instskip(NEXT) | instid1(VALU_DEP_1)
	v_dual_add_f32 v4, v4, v8 :: v_dual_sub_f32 v5, v5, v7
	v_add_f32_e32 v4, v4, v5
	s_delay_alu instid0(VALU_DEP_1) | instskip(NEXT) | instid1(VALU_DEP_1)
	v_add_f32_e32 v4, v11, v4
	v_cndmask_b32_e32 v29, v4, v6, vcc_lo
.LBB99_20:                              ;   in Loop: Header=BB99_12 Depth=1
	s_or_b32 exec_lo, exec_lo, s7
	v_cvt_f32_f16_e32 v4, v25
	s_delay_alu instid0(VALU_DEP_1) | instskip(NEXT) | instid1(VALU_DEP_1)
	v_add_f32_e32 v31, s48, v4
	v_cmp_ge_f32_e32 vcc_lo, 0x41a00000, v31
	s_and_b32 s6, s53, vcc_lo
	s_delay_alu instid0(SALU_CYCLE_1)
	s_and_saveexec_b32 s7, s6
	s_cbranch_execz .LBB99_22
; %bb.21:                               ;   in Loop: Header=BB99_12 Depth=1
	v_mul_f32_e32 v4, 0x3fb8aa3b, v31
	v_cmp_ngt_f32_e32 vcc_lo, 0xc2ce8ed0, v31
	s_delay_alu instid0(VALU_DEP_2) | instskip(SKIP_1) | instid1(VALU_DEP_2)
	v_rndne_f32_e32 v5, v4
	v_fma_f32 v6, 0x3fb8aa3b, v31, -v4
	v_sub_f32_e32 v4, v4, v5
	s_delay_alu instid0(VALU_DEP_2) | instskip(SKIP_1) | instid1(VALU_DEP_2)
	v_fmac_f32_e32 v6, 0x32a5705f, v31
	v_cvt_i32_f32_e32 v5, v5
	v_add_f32_e32 v4, v4, v6
	s_delay_alu instid0(VALU_DEP_1) | instskip(SKIP_2) | instid1(VALU_DEP_1)
	v_exp_f32_e32 v4, v4
	s_waitcnt_depctr 0xfff
	v_ldexp_f32 v4, v4, v5
	v_cndmask_b32_e32 v4, 0, v4, vcc_lo
	v_cmp_nlt_f32_e32 vcc_lo, 0x42b17218, v31
	s_delay_alu instid0(VALU_DEP_2) | instskip(NEXT) | instid1(VALU_DEP_1)
	v_cndmask_b32_e32 v6, 0x7f800000, v4, vcc_lo
	v_add_f32_e32 v7, 1.0, v6
	s_delay_alu instid0(VALU_DEP_1) | instskip(NEXT) | instid1(VALU_DEP_1)
	v_cvt_f64_f32_e32 v[4:5], v7
	v_frexp_exp_i32_f64_e32 v4, v[4:5]
	v_frexp_mant_f32_e32 v5, v7
	s_delay_alu instid0(VALU_DEP_1) | instskip(SKIP_1) | instid1(VALU_DEP_1)
	v_cmp_gt_f32_e32 vcc_lo, 0x3f2aaaab, v5
	v_add_f32_e32 v5, -1.0, v7
	v_sub_f32_e32 v9, v5, v7
	v_sub_f32_e32 v5, v6, v5
	s_delay_alu instid0(VALU_DEP_2) | instskip(NEXT) | instid1(VALU_DEP_1)
	v_add_f32_e32 v9, 1.0, v9
	v_add_f32_e32 v5, v5, v9
	v_cmp_gt_f32_e64 s6, 0x33800000, v6
	v_subrev_co_ci_u32_e32 v4, vcc_lo, 0, v4, vcc_lo
	v_cmp_eq_f32_e32 vcc_lo, 0x7f800000, v6
	s_delay_alu instid0(VALU_DEP_2) | instskip(SKIP_2) | instid1(VALU_DEP_2)
	v_sub_nc_u32_e32 v8, 0, v4
	v_cvt_f32_i32_e32 v4, v4
	s_or_b32 vcc_lo, s6, vcc_lo
	v_ldexp_f32 v7, v7, v8
	v_ldexp_f32 v5, v5, v8
	s_delay_alu instid0(VALU_DEP_2) | instskip(NEXT) | instid1(VALU_DEP_1)
	v_add_f32_e32 v10, 1.0, v7
	v_dual_add_f32 v8, -1.0, v7 :: v_dual_add_f32 v9, -1.0, v10
	s_delay_alu instid0(VALU_DEP_1) | instskip(NEXT) | instid1(VALU_DEP_2)
	v_add_f32_e32 v11, 1.0, v8
	v_sub_f32_e32 v9, v7, v9
	s_delay_alu instid0(VALU_DEP_2) | instskip(NEXT) | instid1(VALU_DEP_2)
	v_sub_f32_e32 v7, v7, v11
	v_add_f32_e32 v9, v5, v9
	s_delay_alu instid0(VALU_DEP_2) | instskip(NEXT) | instid1(VALU_DEP_1)
	v_add_f32_e32 v5, v5, v7
	v_add_f32_e32 v30, v8, v5
	s_delay_alu instid0(VALU_DEP_1) | instskip(NEXT) | instid1(VALU_DEP_1)
	v_dual_add_f32 v11, v10, v9 :: v_dual_sub_f32 v8, v8, v30
	v_rcp_f32_e32 v7, v11
	v_sub_f32_e32 v10, v10, v11
	s_delay_alu instid0(VALU_DEP_1) | instskip(SKIP_2) | instid1(VALU_DEP_1)
	v_add_f32_e32 v9, v9, v10
	s_waitcnt_depctr 0xfff
	v_mul_f32_e32 v31, v30, v7
	v_mul_f32_e32 v32, v11, v31
	s_delay_alu instid0(VALU_DEP_1) | instskip(NEXT) | instid1(VALU_DEP_1)
	v_fma_f32 v10, v31, v11, -v32
	v_dual_fmac_f32 v10, v31, v9 :: v_dual_add_f32 v5, v5, v8
	s_delay_alu instid0(VALU_DEP_1) | instskip(NEXT) | instid1(VALU_DEP_1)
	v_add_f32_e32 v33, v32, v10
	v_sub_f32_e32 v34, v30, v33
	v_sub_f32_e32 v8, v33, v32
	s_delay_alu instid0(VALU_DEP_2) | instskip(NEXT) | instid1(VALU_DEP_2)
	v_sub_f32_e32 v30, v30, v34
	v_sub_f32_e32 v8, v8, v10
	s_delay_alu instid0(VALU_DEP_2) | instskip(NEXT) | instid1(VALU_DEP_1)
	v_sub_f32_e32 v30, v30, v33
	v_add_f32_e32 v5, v5, v30
	s_delay_alu instid0(VALU_DEP_1) | instskip(NEXT) | instid1(VALU_DEP_1)
	v_add_f32_e32 v5, v8, v5
	v_add_f32_e32 v8, v34, v5
	s_delay_alu instid0(VALU_DEP_1) | instskip(NEXT) | instid1(VALU_DEP_1)
	v_mul_f32_e32 v10, v7, v8
	v_dual_sub_f32 v33, v34, v8 :: v_dual_mul_f32 v30, v11, v10
	s_delay_alu instid0(VALU_DEP_1) | instskip(NEXT) | instid1(VALU_DEP_2)
	v_add_f32_e32 v5, v5, v33
	v_fma_f32 v11, v10, v11, -v30
	s_delay_alu instid0(VALU_DEP_1) | instskip(NEXT) | instid1(VALU_DEP_1)
	v_fmac_f32_e32 v11, v10, v9
	v_add_f32_e32 v9, v30, v11
	s_delay_alu instid0(VALU_DEP_1) | instskip(NEXT) | instid1(VALU_DEP_1)
	v_sub_f32_e32 v32, v8, v9
	v_sub_f32_e32 v8, v8, v32
	s_delay_alu instid0(VALU_DEP_1) | instskip(NEXT) | instid1(VALU_DEP_1)
	v_sub_f32_e32 v8, v8, v9
	v_dual_add_f32 v5, v5, v8 :: v_dual_add_f32 v8, v31, v10
	v_sub_f32_e32 v30, v9, v30
	s_delay_alu instid0(VALU_DEP_1) | instskip(NEXT) | instid1(VALU_DEP_1)
	v_sub_f32_e32 v9, v30, v11
	v_add_f32_e32 v5, v9, v5
	s_delay_alu instid0(VALU_DEP_4) | instskip(NEXT) | instid1(VALU_DEP_2)
	v_sub_f32_e32 v9, v8, v31
	v_add_f32_e32 v5, v32, v5
	s_delay_alu instid0(VALU_DEP_2) | instskip(NEXT) | instid1(VALU_DEP_2)
	v_sub_f32_e32 v9, v10, v9
	v_mul_f32_e32 v5, v7, v5
	s_delay_alu instid0(VALU_DEP_1) | instskip(NEXT) | instid1(VALU_DEP_1)
	v_add_f32_e32 v5, v9, v5
	v_add_f32_e32 v7, v8, v5
	s_delay_alu instid0(VALU_DEP_1) | instskip(NEXT) | instid1(VALU_DEP_1)
	v_mul_f32_e32 v9, v7, v7
	v_fmaak_f32 v10, s57, v9, 0x3ecc95a3
	v_mul_f32_e32 v11, v7, v9
	s_delay_alu instid0(VALU_DEP_2) | instskip(SKIP_2) | instid1(VALU_DEP_3)
	v_fmaak_f32 v9, v9, v10, 0x3f2aaada
	v_ldexp_f32 v10, v7, 1
	v_sub_f32_e32 v7, v7, v8
	v_mul_f32_e32 v9, v11, v9
	v_mul_f32_e32 v11, 0x3f317218, v4
	s_delay_alu instid0(VALU_DEP_2) | instskip(NEXT) | instid1(VALU_DEP_1)
	v_dual_sub_f32 v5, v5, v7 :: v_dual_add_f32 v8, v10, v9
	v_ldexp_f32 v5, v5, 1
	s_delay_alu instid0(VALU_DEP_2) | instskip(NEXT) | instid1(VALU_DEP_4)
	v_sub_f32_e32 v7, v8, v10
	v_fma_f32 v10, 0x3f317218, v4, -v11
	s_delay_alu instid0(VALU_DEP_1) | instskip(NEXT) | instid1(VALU_DEP_1)
	v_dual_sub_f32 v7, v9, v7 :: v_dual_fmac_f32 v10, 0xb102e308, v4
	v_dual_add_f32 v4, v5, v7 :: v_dual_add_f32 v5, v11, v10
	s_delay_alu instid0(VALU_DEP_1) | instskip(NEXT) | instid1(VALU_DEP_2)
	v_add_f32_e32 v7, v8, v4
	v_sub_f32_e32 v11, v5, v11
	s_delay_alu instid0(VALU_DEP_2) | instskip(NEXT) | instid1(VALU_DEP_2)
	v_dual_add_f32 v9, v5, v7 :: v_dual_sub_f32 v8, v7, v8
	v_sub_f32_e32 v10, v10, v11
	s_delay_alu instid0(VALU_DEP_2) | instskip(NEXT) | instid1(VALU_DEP_1)
	v_sub_f32_e32 v30, v9, v5
	v_dual_sub_f32 v4, v4, v8 :: v_dual_sub_f32 v31, v9, v30
	s_delay_alu instid0(VALU_DEP_1) | instskip(NEXT) | instid1(VALU_DEP_2)
	v_dual_sub_f32 v7, v7, v30 :: v_dual_add_f32 v8, v10, v4
	v_sub_f32_e32 v5, v5, v31
	s_delay_alu instid0(VALU_DEP_1) | instskip(NEXT) | instid1(VALU_DEP_3)
	v_add_f32_e32 v5, v7, v5
	v_sub_f32_e32 v7, v8, v10
	s_delay_alu instid0(VALU_DEP_2) | instskip(NEXT) | instid1(VALU_DEP_2)
	v_add_f32_e32 v5, v8, v5
	v_sub_f32_e32 v8, v8, v7
	s_delay_alu instid0(VALU_DEP_2) | instskip(NEXT) | instid1(VALU_DEP_1)
	v_dual_sub_f32 v4, v4, v7 :: v_dual_add_f32 v11, v9, v5
	v_dual_sub_f32 v8, v10, v8 :: v_dual_sub_f32 v7, v11, v9
	s_delay_alu instid0(VALU_DEP_1) | instskip(NEXT) | instid1(VALU_DEP_1)
	v_dual_add_f32 v4, v4, v8 :: v_dual_sub_f32 v5, v5, v7
	v_add_f32_e32 v4, v4, v5
	s_delay_alu instid0(VALU_DEP_1) | instskip(NEXT) | instid1(VALU_DEP_1)
	v_add_f32_e32 v4, v11, v4
	v_cndmask_b32_e32 v31, v4, v6, vcc_lo
.LBB99_22:                              ;   in Loop: Header=BB99_12 Depth=1
	s_or_b32 exec_lo, exec_lo, s7
	v_cvt_f32_f16_e32 v4, v1
	v_cvt_f32_f16_e32 v5, v23
	;; [unrolled: 1-line block ×4, first 2 shown]
	s_lshl_b32 s20, s59, 8
	s_delay_alu instid0(VALU_DEP_3) | instskip(NEXT) | instid1(VALU_DEP_3)
	v_dual_mul_f32 v30, s49, v4 :: v_dual_mul_f32 v33, s49, v5
	v_mul_f32_e32 v32, s49, v6
	s_delay_alu instid0(VALU_DEP_3)
	v_mul_f32_e32 v34, s49, v7
	s_and_b32 vcc_lo, exec_lo, s54
	s_barrier
	buffer_gl0_inv
	s_cbranch_vccz .LBB99_11
; %bb.23:                               ;   in Loop: Header=BB99_12 Depth=1
	v_dual_mul_f32 v37, v28, v5 :: v_dual_mul_f32 v38, v27, v6
	v_add_nc_u32_e32 v5, -1, v22
	v_dual_mul_f32 v35, v31, v7 :: v_dual_mul_f32 v36, v29, v4
	v_and_b32_e32 v4, 15, v22
	v_and_b32_e32 v6, 16, v22
	s_delay_alu instid0(VALU_DEP_4)
	v_cmp_gt_i32_e32 vcc_lo, 0, v5
	v_and_b32_e32 v7, 1, v22
	s_sub_i32 s13, s34, s20
	v_add_co_u32 v39, s6, s41, v21
	v_cndmask_b32_e32 v5, v5, v22, vcc_lo
	v_add_co_ci_u32_e64 v40, null, s42, 0, s6
	v_add_co_u32 v41, s6, s43, v21
	v_cmp_gt_u32_e32 vcc_lo, s13, v13
	v_cmp_gt_u32_e64 s14, s13, v18
	v_cmp_gt_u32_e64 s15, s13, v19
	;; [unrolled: 1-line block ×3, first 2 shown]
	s_cmp_lg_u32 s59, 0
	v_add_co_ci_u32_e64 v42, null, s45, 0, s6
	v_cmp_ne_u32_e64 s6, 0, v4
	v_cmp_lt_u32_e64 s7, 1, v4
	v_cmp_lt_u32_e64 s8, 3, v4
	;; [unrolled: 1-line block ×3, first 2 shown]
	v_cmp_ne_u32_e64 s10, 0, v6
	v_cmp_eq_u32_e64 s11, 0, v7
	v_lshlrev_b32_e32 v43, 2, v5
	v_cmp_eq_u32_e64 s12, 0, v22
	s_mov_b32 s22, 0
	s_cselect_b32 s21, -1, 0
	s_cmp_eq_u32 s59, s56
	s_mov_b32 s24, s22
	s_cselect_b32 s60, -1, 0
	s_or_b32 s13, s55, vcc_lo
	s_or_b32 s14, s55, s14
	s_or_b32 s15, s55, s15
	;; [unrolled: 1-line block ×3, first 2 shown]
	s_mov_b32 s30, s22
	s_mov_b32 s38, s22
	s_mov_b32 s61, s35
	s_mov_b32 s62, s58
	s_branch .LBB99_25
.LBB99_24:                              ;   in Loop: Header=BB99_25 Depth=2
	s_or_b32 exec_lo, exec_lo, s17
	v_cndmask_b32_e64 v6, v53, v11, s12
	v_cndmask_b32_e64 v7, v52, v10, s12
	s_add_i32 s61, s61, -1
	s_add_i32 s62, s62, 8
	s_add_i32 s38, s38, s26
	v_fma_f32 v6, v6, v49, v46
	v_mul_f32_e32 v7, v7, v49
	s_add_i32 s30, s30, s44
	s_add_i32 s24, s24, s40
	;; [unrolled: 1-line block ×3, first 2 shown]
	v_cndmask_b32_e64 v6, v6, v46, s5
	v_cndmask_b32_e64 v7, v7, v49, s5
	s_cmp_eq_u32 s61, 0
	s_waitcnt lgkmcnt(0)
	s_delay_alu instid0(VALU_DEP_1) | instskip(NEXT) | instid1(VALU_DEP_1)
	v_fmac_f32_e32 v6, v8, v7
	v_fmac_f32_e32 v44, v6, v50
	s_delay_alu instid0(VALU_DEP_1) | instskip(SKIP_1) | instid1(VALU_DEP_2)
	v_fmac_f32_e32 v45, v44, v51
	v_fma_mix_f32 v33, v44, v4, v33 op_sel:[0,1,0] op_sel_hi:[0,1,0]
	v_fmac_f32_e32 v47, v45, v48
	v_fma_mix_f32 v32, v6, v4, v32 op_sel_hi:[0,1,0]
	v_fma_mix_f32 v30, v45, v5, v30 op_sel_hi:[0,1,0]
	s_delay_alu instid0(VALU_DEP_3)
	v_fma_mix_f32 v34, v47, v5, v34 op_sel:[0,1,0] op_sel_hi:[0,1,0]
	s_cbranch_scc1 .LBB99_11
.LBB99_25:                              ;   Parent Loop BB99_12 Depth=1
                                        ; =>  This Inner Loop Header: Depth=2
	s_lshl_b64 s[18:19], s[22:23], 2
	s_mov_b32 s25, s23
	s_add_u32 s18, s36, s18
	s_addc_u32 s19, s27, s19
	s_lshl_b64 s[64:65], s[24:25], 1
	s_mov_b32 s31, s23
	v_add_co_u32 v4, vcc_lo, v39, s64
	v_add_co_ci_u32_e32 v5, vcc_lo, s65, v40, vcc_lo
	s_lshl_b64 s[64:65], s[30:31], 1
	s_delay_alu instid0(SALU_CYCLE_1)
	v_add_co_u32 v6, vcc_lo, v41, s64
	v_add_co_ci_u32_e32 v7, vcc_lo, s65, v42, vcc_lo
	global_load_b32 v10, v12, s[18:19]
	global_load_b64 v[8:9], v[4:5], off
	global_load_b64 v[4:5], v[6:7], off
	s_and_not1_b32 vcc_lo, exec_lo, s21
	s_cbranch_vccnz .LBB99_27
; %bb.26:                               ;   in Loop: Header=BB99_25 Depth=2
	v_mov_b32_e32 v6, s62
	ds_load_b64 v[6:7], v6
	s_cbranch_execz .LBB99_28
	s_branch .LBB99_31
.LBB99_27:                              ;   in Loop: Header=BB99_25 Depth=2
                                        ; implicit-def: $vgpr6
.LBB99_28:                              ;   in Loop: Header=BB99_25 Depth=2
	s_waitcnt lgkmcnt(0)
	v_mov_b32_e32 v7, 0
	s_and_not1_b32 vcc_lo, exec_lo, s33
	s_cbranch_vccnz .LBB99_30
; %bb.29:                               ;   in Loop: Header=BB99_25 Depth=2
	s_mov_b32 s39, s23
	s_delay_alu instid0(SALU_CYCLE_1) | instskip(NEXT) | instid1(SALU_CYCLE_1)
	s_lshl_b64 s[18:19], s[38:39], 2
	s_add_u32 s18, s50, s18
	s_addc_u32 s19, s51, s19
	global_load_b32 v7, v12, s[18:19]
.LBB99_30:                              ;   in Loop: Header=BB99_25 Depth=2
	v_mov_b32_e32 v6, 1.0
.LBB99_31:                              ;   in Loop: Header=BB99_25 Depth=2
	s_waitcnt vmcnt(1)
	v_lshrrev_b32_e32 v11, 16, v8
	v_cvt_f32_f16_e32 v45, v9
	v_cvt_f32_f16_e32 v8, v8
	v_lshrrev_b32_e32 v9, 16, v9
	s_delay_alu instid0(VALU_DEP_4) | instskip(SKIP_1) | instid1(VALU_DEP_4)
	v_cvt_f32_f16_e32 v11, v11
	v_mul_f32_e32 v10, 0x3fb8aa3b, v10
	v_mul_f32_e32 v8, v38, v8
	s_delay_alu instid0(VALU_DEP_4) | instskip(SKIP_4) | instid1(VALU_DEP_4)
	v_cvt_f32_f16_e32 v9, v9
	v_mul_f32_e32 v45, v36, v45
	v_mul_f32_e32 v11, v37, v11
	;; [unrolled: 1-line block ×4, first 2 shown]
	v_cndmask_b32_e64 v45, 0, v45, s15
	s_delay_alu instid0(VALU_DEP_3) | instskip(NEXT) | instid1(VALU_DEP_3)
	v_cmp_gt_f32_e64 s19, 0xc2fc0000, v48
	v_cmp_gt_f32_e32 vcc_lo, 0xc2fc0000, v44
	s_delay_alu instid0(VALU_DEP_2) | instskip(SKIP_2) | instid1(VALU_DEP_3)
	v_cndmask_b32_e64 v48, 0, 0x42800000, s19
	v_cndmask_b32_e64 v44, 0, 0x42800000, vcc_lo
	v_cndmask_b32_e64 v50, 1.0, 0x1f800000, vcc_lo
	v_fmac_f32_e32 v48, v10, v31
	s_delay_alu instid0(VALU_DEP_3) | instskip(NEXT) | instid1(VALU_DEP_2)
	v_fmac_f32_e32 v44, v10, v27
	v_exp_f32_e32 v48, v48
	v_mul_f32_e32 v46, v10, v28
	s_delay_alu instid0(VALU_DEP_2) | instskip(SKIP_1) | instid1(VALU_DEP_2)
	v_exp_f32_e32 v44, v44
	v_mul_f32_e32 v47, v10, v29
	v_cmp_gt_f32_e64 s17, 0xc2fc0000, v46
	s_delay_alu instid0(VALU_DEP_1) | instskip(SKIP_4) | instid1(VALU_DEP_2)
	v_cndmask_b32_e64 v46, 0, 0x42800000, s17
	s_waitcnt_depctr 0xfff
	v_mul_f32_e32 v44, v44, v50
	v_cmp_gt_f32_e64 s18, 0xc2fc0000, v47
	v_fmac_f32_e32 v46, v10, v28
	v_cndmask_b32_e64 v47, 0, 0x42800000, s18
	s_delay_alu instid0(VALU_DEP_2) | instskip(SKIP_1) | instid1(VALU_DEP_2)
	v_exp_f32_e32 v49, v46
	v_cndmask_b32_e64 v46, 0, v8, s13
	v_fmac_f32_e32 v47, v10, v29
	v_cndmask_b32_e64 v10, 1.0, 0x1f800000, s17
	s_waitcnt_depctr 0xfff
	v_mul_f32_e32 v10, v49, v10
	v_exp_f32_e32 v8, v47
	v_cndmask_b32_e64 v47, 1.0, 0x1f800000, s18
	v_cndmask_b32_e64 v49, 1.0, v44, s13
	v_cndmask_b32_e64 v44, 0, v11, s14
	v_cndmask_b32_e64 v11, 1.0, 0x1f800000, s19
	v_cndmask_b32_e64 v50, 1.0, v10, s14
	s_waitcnt_depctr 0xfff
	v_mul_f32_e32 v8, v8, v47
	v_mul_f32_e32 v10, v50, v49
	s_delay_alu instid0(VALU_DEP_2) | instskip(SKIP_2) | instid1(VALU_DEP_2)
	v_cndmask_b32_e64 v51, 1.0, v8, s15
	v_dual_mul_f32 v8, v35, v9 :: v_dual_mul_f32 v9, v48, v11
	v_fma_f32 v11, v50, v46, v44
	v_cndmask_b32_e64 v47, 0, v8, s16
	s_delay_alu instid0(VALU_DEP_3) | instskip(SKIP_1) | instid1(VALU_DEP_4)
	v_cndmask_b32_e64 v48, 1.0, v9, s16
	v_mul_f32_e32 v8, v10, v51
	v_fma_f32 v9, v11, v51, v45
	s_delay_alu instid0(VALU_DEP_2) | instskip(NEXT) | instid1(VALU_DEP_2)
	v_mul_f32_e32 v8, v8, v48
	v_fma_f32 v9, v9, v48, v47
	s_delay_alu instid0(VALU_DEP_2) | instskip(NEXT) | instid1(VALU_DEP_2)
	v_mov_b32_dpp v11, v8 row_shr:1 row_mask:0xf bank_mask:0xf
	v_mov_b32_dpp v10, v9 row_shr:1 row_mask:0xf bank_mask:0xf
	s_and_saveexec_b32 s17, s6
; %bb.32:                               ;   in Loop: Header=BB99_25 Depth=2
	s_delay_alu instid0(VALU_DEP_2) | instskip(NEXT) | instid1(VALU_DEP_1)
	v_mul_f32_e32 v11, v8, v11
	v_dual_fmac_f32 v9, v8, v10 :: v_dual_mov_b32 v8, v11
; %bb.33:                               ;   in Loop: Header=BB99_25 Depth=2
	s_or_b32 exec_lo, exec_lo, s17
	s_delay_alu instid0(VALU_DEP_1) | instskip(NEXT) | instid1(VALU_DEP_2)
	v_mov_b32_dpp v10, v8 row_shr:2 row_mask:0xf bank_mask:0xf
	v_mov_b32_dpp v11, v9 row_shr:2 row_mask:0xf bank_mask:0xf
	s_and_saveexec_b32 s17, s7
; %bb.34:                               ;   in Loop: Header=BB99_25 Depth=2
	s_delay_alu instid0(VALU_DEP_1) | instskip(NEXT) | instid1(VALU_DEP_3)
	v_fmac_f32_e32 v9, v8, v11
	v_mul_f32_e32 v8, v8, v10
; %bb.35:                               ;   in Loop: Header=BB99_25 Depth=2
	s_or_b32 exec_lo, exec_lo, s17
	s_delay_alu instid0(VALU_DEP_1) | instskip(NEXT) | instid1(VALU_DEP_3)
	v_mov_b32_dpp v10, v8 row_shr:4 row_mask:0xf bank_mask:0xf
	v_mov_b32_dpp v11, v9 row_shr:4 row_mask:0xf bank_mask:0xf
	s_and_saveexec_b32 s17, s8
; %bb.36:                               ;   in Loop: Header=BB99_25 Depth=2
	s_delay_alu instid0(VALU_DEP_1) | instskip(NEXT) | instid1(VALU_DEP_3)
	v_fmac_f32_e32 v9, v8, v11
	v_mul_f32_e32 v8, v8, v10
; %bb.37:                               ;   in Loop: Header=BB99_25 Depth=2
	s_or_b32 exec_lo, exec_lo, s17
	s_delay_alu instid0(VALU_DEP_1) | instskip(NEXT) | instid1(VALU_DEP_3)
	v_mov_b32_dpp v10, v8 row_shr:8 row_mask:0xf bank_mask:0xf
	v_mov_b32_dpp v11, v9 row_shr:8 row_mask:0xf bank_mask:0xf
	s_and_saveexec_b32 s17, s9
; %bb.38:                               ;   in Loop: Header=BB99_25 Depth=2
	s_delay_alu instid0(VALU_DEP_1) | instskip(NEXT) | instid1(VALU_DEP_3)
	v_fmac_f32_e32 v9, v8, v11
	v_mul_f32_e32 v8, v8, v10
; %bb.39:                               ;   in Loop: Header=BB99_25 Depth=2
	s_or_b32 exec_lo, exec_lo, s17
	ds_swizzle_b32 v11, v8 offset:swizzle(BROADCAST,32,15)
	ds_swizzle_b32 v10, v9 offset:swizzle(BROADCAST,32,15)
	s_and_saveexec_b32 s17, s10
	s_cbranch_execz .LBB99_41
; %bb.40:                               ;   in Loop: Header=BB99_25 Depth=2
	s_waitcnt lgkmcnt(1)
	v_mul_f32_e32 v11, v8, v11
	s_waitcnt lgkmcnt(0)
	s_delay_alu instid0(VALU_DEP_1)
	v_dual_fmac_f32 v9, v8, v10 :: v_dual_mov_b32 v8, v11
.LBB99_41:                              ;   in Loop: Header=BB99_25 Depth=2
	s_or_b32 exec_lo, exec_lo, s17
	s_and_saveexec_b32 s17, s1
	s_cbranch_execz .LBB99_43
; %bb.42:                               ;   in Loop: Header=BB99_25 Depth=2
	ds_store_b64 v14, v[8:9] offset:1056
.LBB99_43:                              ;   in Loop: Header=BB99_25 Depth=2
	s_or_b32 exec_lo, exec_lo, s17
	s_waitcnt vmcnt(0) lgkmcnt(0)
	s_waitcnt_vscnt null, 0x0
	s_barrier
	buffer_gl0_inv
	s_and_saveexec_b32 s17, s2
	s_cbranch_execz .LBB99_45
; %bb.44:                               ;   in Loop: Header=BB99_25 Depth=2
	ds_load_b64 v[10:11], v15 offset:1056
	s_waitcnt lgkmcnt(0)
	v_mov_b32_dpp v52, v10 row_shr:1 row_mask:0xf bank_mask:0xf
	v_mov_b32_dpp v53, v11 row_shr:1 row_mask:0xf bank_mask:0xf
	s_delay_alu instid0(VALU_DEP_2) | instskip(NEXT) | instid1(VALU_DEP_2)
	v_mul_f32_e32 v52, v10, v52
	v_fma_f32 v53, v10, v53, v11
	s_delay_alu instid0(VALU_DEP_2) | instskip(NEXT) | instid1(VALU_DEP_2)
	v_cndmask_b32_e64 v10, v52, v10, s11
	v_cndmask_b32_e64 v11, v53, v11, s11
	ds_store_b64 v15, v[10:11] offset:1056
.LBB99_45:                              ;   in Loop: Header=BB99_25 Depth=2
	s_or_b32 exec_lo, exec_lo, s17
	s_waitcnt lgkmcnt(0)
	s_barrier
	buffer_gl0_inv
                                        ; implicit-def: $vgpr11
	s_and_saveexec_b32 s17, s4
	s_cbranch_execz .LBB99_47
; %bb.46:                               ;   in Loop: Header=BB99_25 Depth=2
	ds_load_b64 v[10:11], v14 offset:1048
	s_waitcnt lgkmcnt(0)
	v_mul_f32_e32 v52, v8, v10
	v_fmac_f32_e32 v9, v8, v11
	s_delay_alu instid0(VALU_DEP_2)
	v_mov_b32_e32 v8, v52
.LBB99_47:                              ;   in Loop: Header=BB99_25 Depth=2
	s_or_b32 exec_lo, exec_lo, s17
	ds_bpermute_b32 v52, v43, v8
	ds_bpermute_b32 v53, v43, v9
	s_and_saveexec_b32 s17, s3
	s_cbranch_execz .LBB99_51
; %bb.48:                               ;   in Loop: Header=BB99_25 Depth=2
	ds_load_b64 v[8:9], v12 offset:1064
	s_and_saveexec_b32 s18, s5
	s_cbranch_execz .LBB99_50
; %bb.49:                               ;   in Loop: Header=BB99_25 Depth=2
	ds_store_b64 v12, v[6:7] offset:1064
.LBB99_50:                              ;   in Loop: Header=BB99_25 Depth=2
	s_or_b32 exec_lo, exec_lo, s18
	s_waitcnt lgkmcnt(0)
	v_fmac_f32_e32 v9, v7, v8
	s_delay_alu instid0(VALU_DEP_1)
	v_dual_mul_f32 v6, v6, v8 :: v_dual_mov_b32 v7, v9
.LBB99_51:                              ;   in Loop: Header=BB99_25 Depth=2
	s_or_b32 exec_lo, exec_lo, s17
	s_waitcnt lgkmcnt(0)
	s_barrier
	buffer_gl0_inv
	ds_load_b32 v8, v12 offset:1068
	s_and_saveexec_b32 s17, s5
	s_cbranch_execz .LBB99_24
; %bb.52:                               ;   in Loop: Header=BB99_25 Depth=2
	v_mov_b32_e32 v9, s62
	s_and_not1_b32 vcc_lo, exec_lo, s60
	ds_store_b64 v9, v[6:7]
	s_cbranch_vccnz .LBB99_24
; %bb.53:                               ;   in Loop: Header=BB99_25 Depth=2
	s_mov_b32 s39, s23
	s_delay_alu instid0(SALU_CYCLE_1) | instskip(NEXT) | instid1(SALU_CYCLE_1)
	s_lshl_b64 s[18:19], s[38:39], 2
	s_add_u32 s18, s50, s18
	s_addc_u32 s19, s51, s19
	global_store_b32 v12, v7, s[18:19]
	s_branch .LBB99_24
.LBB99_54:
	s_nop 0
	s_sendmsg sendmsg(MSG_DEALLOC_VGPRS)
	s_endpgm
	.section	.rodata,"a",@progbits
	.p2align	6, 0x0
	.amdhsa_kernel _Z25selective_scan_fwd_kernelI32Selective_Scan_fwd_kernel_traitsILi64ELi4ELi1ELb1ELb1ELb1ELb0ELb0EN3c104HalfEffEEv13SSMParamsBase
		.amdhsa_group_segment_fixed_size 0
		.amdhsa_private_segment_fixed_size 0
		.amdhsa_kernarg_size 248
		.amdhsa_user_sgpr_count 14
		.amdhsa_user_sgpr_dispatch_ptr 0
		.amdhsa_user_sgpr_queue_ptr 0
		.amdhsa_user_sgpr_kernarg_segment_ptr 1
		.amdhsa_user_sgpr_dispatch_id 0
		.amdhsa_user_sgpr_private_segment_size 0
		.amdhsa_wavefront_size32 1
		.amdhsa_uses_dynamic_stack 0
		.amdhsa_enable_private_segment 0
		.amdhsa_system_sgpr_workgroup_id_x 1
		.amdhsa_system_sgpr_workgroup_id_y 1
		.amdhsa_system_sgpr_workgroup_id_z 0
		.amdhsa_system_sgpr_workgroup_info 0
		.amdhsa_system_vgpr_workitem_id 0
		.amdhsa_next_free_vgpr 54
		.amdhsa_next_free_sgpr 66
		.amdhsa_reserve_vcc 1
		.amdhsa_float_round_mode_32 0
		.amdhsa_float_round_mode_16_64 0
		.amdhsa_float_denorm_mode_32 3
		.amdhsa_float_denorm_mode_16_64 3
		.amdhsa_dx10_clamp 1
		.amdhsa_ieee_mode 1
		.amdhsa_fp16_overflow 0
		.amdhsa_workgroup_processor_mode 1
		.amdhsa_memory_ordered 1
		.amdhsa_forward_progress 0
		.amdhsa_shared_vgpr_count 0
		.amdhsa_exception_fp_ieee_invalid_op 0
		.amdhsa_exception_fp_denorm_src 0
		.amdhsa_exception_fp_ieee_div_zero 0
		.amdhsa_exception_fp_ieee_overflow 0
		.amdhsa_exception_fp_ieee_underflow 0
		.amdhsa_exception_fp_ieee_inexact 0
		.amdhsa_exception_int_div_zero 0
	.end_amdhsa_kernel
	.section	.text._Z25selective_scan_fwd_kernelI32Selective_Scan_fwd_kernel_traitsILi64ELi4ELi1ELb1ELb1ELb1ELb0ELb0EN3c104HalfEffEEv13SSMParamsBase,"axG",@progbits,_Z25selective_scan_fwd_kernelI32Selective_Scan_fwd_kernel_traitsILi64ELi4ELi1ELb1ELb1ELb1ELb0ELb0EN3c104HalfEffEEv13SSMParamsBase,comdat
.Lfunc_end99:
	.size	_Z25selective_scan_fwd_kernelI32Selective_Scan_fwd_kernel_traitsILi64ELi4ELi1ELb1ELb1ELb1ELb0ELb0EN3c104HalfEffEEv13SSMParamsBase, .Lfunc_end99-_Z25selective_scan_fwd_kernelI32Selective_Scan_fwd_kernel_traitsILi64ELi4ELi1ELb1ELb1ELb1ELb0ELb0EN3c104HalfEffEEv13SSMParamsBase
                                        ; -- End function
	.section	.AMDGPU.csdata,"",@progbits
; Kernel info:
; codeLenInByte = 5844
; NumSgprs: 68
; NumVgprs: 54
; ScratchSize: 0
; MemoryBound: 0
; FloatMode: 240
; IeeeMode: 1
; LDSByteSize: 0 bytes/workgroup (compile time only)
; SGPRBlocks: 8
; VGPRBlocks: 6
; NumSGPRsForWavesPerEU: 68
; NumVGPRsForWavesPerEU: 54
; Occupancy: 16
; WaveLimiterHint : 0
; COMPUTE_PGM_RSRC2:SCRATCH_EN: 0
; COMPUTE_PGM_RSRC2:USER_SGPR: 14
; COMPUTE_PGM_RSRC2:TRAP_HANDLER: 0
; COMPUTE_PGM_RSRC2:TGID_X_EN: 1
; COMPUTE_PGM_RSRC2:TGID_Y_EN: 1
; COMPUTE_PGM_RSRC2:TGID_Z_EN: 0
; COMPUTE_PGM_RSRC2:TIDIG_COMP_CNT: 0
	.section	.text._Z25selective_scan_fwd_kernelI32Selective_Scan_fwd_kernel_traitsILi64ELi4ELi1ELb0ELb1ELb1ELb1ELb1EN3c104HalfEffEEv13SSMParamsBase,"axG",@progbits,_Z25selective_scan_fwd_kernelI32Selective_Scan_fwd_kernel_traitsILi64ELi4ELi1ELb0ELb1ELb1ELb1ELb1EN3c104HalfEffEEv13SSMParamsBase,comdat
	.protected	_Z25selective_scan_fwd_kernelI32Selective_Scan_fwd_kernel_traitsILi64ELi4ELi1ELb0ELb1ELb1ELb1ELb1EN3c104HalfEffEEv13SSMParamsBase ; -- Begin function _Z25selective_scan_fwd_kernelI32Selective_Scan_fwd_kernel_traitsILi64ELi4ELi1ELb0ELb1ELb1ELb1ELb1EN3c104HalfEffEEv13SSMParamsBase
	.globl	_Z25selective_scan_fwd_kernelI32Selective_Scan_fwd_kernel_traitsILi64ELi4ELi1ELb0ELb1ELb1ELb1ELb1EN3c104HalfEffEEv13SSMParamsBase
	.p2align	8
	.type	_Z25selective_scan_fwd_kernelI32Selective_Scan_fwd_kernel_traitsILi64ELi4ELi1ELb0ELb1ELb1ELb1ELb1EN3c104HalfEffEEv13SSMParamsBase,@function
_Z25selective_scan_fwd_kernelI32Selective_Scan_fwd_kernel_traitsILi64ELi4ELi1ELb0ELb1ELb1ELb1ELb1EN3c104HalfEffEEv13SSMParamsBase: ; @_Z25selective_scan_fwd_kernelI32Selective_Scan_fwd_kernel_traitsILi64ELi4ELi1ELb0ELb1ELb1ELb1ELb1EN3c104HalfEffEEv13SSMParamsBase
; %bb.0:
	s_clause 0x2
	s_load_b32 s11, s[0:1], 0x18
	s_load_b256 s[52:59], s[0:1], 0xc8
	s_load_b128 s[4:7], s[0:1], 0xe8
	s_mov_b32 s12, s15
	s_ashr_i32 s15, s14, 31
	s_mov_b32 s33, 0
	s_lshl_b64 s[8:9], s[14:15], 2
	s_waitcnt lgkmcnt(0)
	s_abs_i32 s10, s11
	s_add_u32 s2, s58, s8
	v_cvt_f32_u32_e32 v1, s10
	s_addc_u32 s3, s59, s9
	s_cmp_eq_u64 s[6:7], 0
	s_delay_alu instid0(VALU_DEP_1) | instskip(SKIP_2) | instid1(VALU_DEP_1)
	v_rcp_iflag_f32_e32 v1, v1
	s_waitcnt_depctr 0xfff
	v_mul_f32_e32 v1, 0x4f7ffffe, v1
	v_cvt_u32_f32_e32 v1, v1
	s_delay_alu instid0(VALU_DEP_1)
	v_readfirstlane_b32 s60, v1
	s_cbranch_scc1 .LBB100_2
; %bb.1:
	v_mov_b32_e32 v1, 0
	s_add_u32 s6, s6, s14
	s_addc_u32 s7, s7, s15
	global_load_u8 v1, v1, s[6:7]
	s_waitcnt vmcnt(0)
	v_and_b32_e32 v1, 1, v1
	s_delay_alu instid0(VALU_DEP_1)
	v_cmp_eq_u32_e64 s33, 1, v1
.LBB100_2:
	s_load_b64 s[6:7], s[0:1], 0x20
	s_cmp_eq_u64 s[4:5], 0
	s_cbranch_scc1 .LBB100_4
; %bb.3:
	s_add_u32 s4, s4, s8
	s_addc_u32 s5, s5, s9
	s_load_b32 s14, s[4:5], 0x0
	s_waitcnt lgkmcnt(0)
	s_ashr_i32 s15, s14, 31
.LBB100_4:
	s_waitcnt lgkmcnt(0)
	s_cmp_eq_u64 s[6:7], s[14:15]
	s_cbranch_scc1 .LBB100_108
; %bb.5:
	s_load_b512 s[16:31], s[0:1], 0x88
	s_load_b64 s[34:35], s[2:3], 0x0
	s_mov_b32 s58, 0
	s_mov_b32 s59, 0
	s_waitcnt lgkmcnt(0)
	s_cmp_eq_u64 s[22:23], 0
	s_cbranch_scc1 .LBB100_7
; %bb.6:
	s_ashr_i32 s13, s12, 31
	s_delay_alu instid0(SALU_CYCLE_1) | instskip(NEXT) | instid1(SALU_CYCLE_1)
	s_lshl_b64 s[2:3], s[12:13], 2
	s_add_u32 s2, s22, s2
	s_addc_u32 s3, s23, s3
	s_load_b32 s59, s[2:3], 0x0
.LBB100_7:
	s_cmp_eq_u64 s[28:29], 0
	s_cbranch_scc1 .LBB100_9
; %bb.8:
	s_ashr_i32 s13, s12, 31
	s_delay_alu instid0(SALU_CYCLE_1) | instskip(NEXT) | instid1(SALU_CYCLE_1)
	s_lshl_b64 s[2:3], s[12:13], 2
	s_add_u32 s2, s28, s2
	s_addc_u32 s3, s29, s3
	s_load_b32 s58, s[2:3], 0x0
.LBB100_9:
	s_sub_i32 s23, s35, s34
	s_delay_alu instid0(SALU_CYCLE_1)
	s_cmp_lt_i32 s23, 1
	s_cbranch_scc1 .LBB100_108
; %bb.10:
	s_sub_i32 s2, 0, s10
	s_load_b256 s[36:43], s[0:1], 0x4c
	s_mul_i32 s2, s2, s60
	s_abs_i32 s3, s12
	s_mul_hi_u32 s2, s60, s2
	s_ashr_i32 s5, s11, 31
	s_add_i32 s60, s60, s2
	s_ashr_i32 s2, s12, 31
	s_mul_hi_u32 s4, s3, s60
	s_xor_b32 s5, s2, s5
	s_mul_i32 s6, s4, s10
	s_load_b256 s[44:51], s[0:1], 0x2c
	s_sub_i32 s2, s3, s6
	s_add_i32 s3, s4, 1
	s_sub_i32 s6, s2, s10
	s_cmp_ge_u32 s2, s10
	s_mov_b32 s29, 0
	s_cselect_b32 s3, s3, s4
	s_cselect_b32 s2, s6, s2
	s_add_i32 s4, s3, 1
	s_cmp_ge_u32 s2, s10
	s_waitcnt lgkmcnt(0)
	s_mul_i32 s28, s34, s38
	s_cselect_b32 s4, s4, s3
	s_lshl_b64 s[2:3], s[28:29], 1
	s_xor_b32 s4, s4, s5
	s_mul_i32 s28, s39, s12
	s_sub_i32 s6, s4, s5
	s_add_u32 s4, s24, s2
	s_addc_u32 s5, s25, s3
	s_lshl_b64 s[2:3], s[28:29], 1
	s_mul_i32 s28, s34, s40
	s_add_u32 s38, s4, s2
	s_addc_u32 s39, s5, s3
	s_lshl_b64 s[2:3], s[28:29], 1
	s_mul_i32 s28, s41, s12
	;; [unrolled: 4-line block ×3, first 2 shown]
	s_add_u32 s40, s4, s2
	s_addc_u32 s41, s5, s3
	s_load_b64 s[4:5], s[0:1], 0x7c
	s_lshl_b64 s[2:3], s[28:29], 2
	v_lshlrev_b32_e32 v8, 2, v0
	s_mul_i32 s28, s34, s46
	s_add_u32 s44, s16, s2
	s_addc_u32 s46, s17, s3
	s_lshl_b64 s[2:3], s[28:29], 1
	s_mul_i32 s28, s6, s49
	s_add_u32 s7, s18, s2
	v_mbcnt_lo_u32_b32 v1, -1, 0
	v_and_b32_e32 v2, 0x80, v8
	v_dual_mov_b32 v12, 0 :: v_dual_and_b32 v3, 32, v0
	s_addc_u32 s8, s19, s3
	s_lshl_b64 s[2:3], s[28:29], 1
	s_mul_i32 s28, s34, s50
	s_add_u32 s47, s7, s2
	s_addc_u32 s49, s8, s3
	s_lshl_b64 s[2:3], s[28:29], 1
	s_mul_i32 s28, s6, s37
	s_clause 0x1
	s_load_b32 s37, s[0:1], 0xc
	s_load_b32 s8, s[0:1], 0x28
	v_or_b32_e32 v9, v1, v2
	v_or_b32_e32 v4, v1, v3
	s_add_u32 s7, s20, s2
	s_load_b128 s[16:19], s[0:1], 0x6c
	s_addc_u32 s6, s21, s3
	v_or_b32_e32 v11, 0x60, v9
	v_lshrrev_b32_e32 v14, 3, v4
	s_lshl_b64 s[2:3], s[28:29], 1
	s_waitcnt lgkmcnt(0)
	s_mul_i32 s28, s14, s4
	s_add_u32 s51, s7, s2
	s_load_b32 s50, s[0:1], 0x84
	s_addc_u32 s60, s6, s3
	s_lshl_b64 s[0:1], s[28:29], 2
	v_or_b32_e32 v10, 64, v9
	v_lshrrev_b32_e32 v7, 5, v11
	v_and_b32_e32 v16, 6, v14
	s_mul_i32 s28, s5, s12
	s_add_u32 s2, s52, s0
	s_addc_u32 s3, s53, s1
	s_lshl_b64 s[0:1], s[28:29], 2
	v_lshrrev_b32_e32 v5, 5, v2
	s_add_u32 s52, s2, s0
	v_lshrrev_b32_e32 v6, 5, v10
	v_and_b32_e32 v7, 6, v7
	v_lshl_add_u32 v4, v4, 2, v16
	s_addc_u32 s53, s3, s1
	s_add_i32 s0, s23, 0x7ff
	v_add_lshl_u32 v5, v5, v9, 1
	s_lshr_b32 s61, s0, 11
	s_bitcmp1_b32 s8, 0
	v_add_lshl_u32 v6, v6, v9, 1
	v_add_lshl_u32 v7, v7, v9, 1
	v_lshl_add_u32 v17, v4, 1, 0
	v_and_b32_e32 v4, 15, v1
	s_cselect_b32 s62, -1, 0
	s_cmp_gt_i32 s37, 0
	s_mul_i32 s28, s34, s16
	s_cselect_b32 s63, -1, 0
	s_add_i32 s0, 0, 0x210
	s_and_b32 s1, s23, 0xff
	v_add_nc_u32_e32 v18, s0, v5
	v_add_nc_u32_e32 v19, s0, v6
	s_cmp_eq_u32 s1, 0
	v_add_nc_u32_e32 v20, s0, v7
	v_cmp_ne_u32_e64 s0, 0, v4
	v_cmp_lt_u32_e64 s1, 1, v4
	v_cmp_lt_u32_e64 s2, 3, v4
	v_cmp_lt_u32_e64 s3, 7, v4
	v_add_nc_u32_e32 v4, -1, v1
	v_or_b32_e32 v3, 31, v3
	s_cselect_b32 s64, -1, 0
	s_lshl_b64 s[14:15], s[28:29], 1
	s_add_i32 s65, s61, -1
	v_cmp_gt_i32_e32 vcc_lo, 0, v4
	s_mul_i32 s28, s17, s12
	v_add_nc_u32_e32 v14, 0, v5
	v_lshrrev_b32_e32 v5, 2, v0
	s_add_u32 s13, s30, s14
	v_cndmask_b32_e32 v4, v4, v1, vcc_lo
	s_addc_u32 s16, s31, s15
	s_lshl_b64 s[14:15], s[28:29], 1
	v_cmp_eq_u32_e64 s5, v3, v0
	v_and_b32_e32 v3, 1, v1
	v_cmp_gt_u32_e64 s6, 2, v0
	v_lshl_add_u32 v22, v0, 3, 0
	v_cmp_gt_u32_e64 s8, 32, v0
	v_cmp_lt_u32_e64 s9, 31, v0
	v_cmp_eq_u32_e64 s10, 0, v0
	s_mul_i32 s28, s34, s42
	v_lshlrev_b32_e32 v0, 1, v1
	s_add_u32 s13, s13, s14
	s_addc_u32 s16, s16, s15
	s_lshl_b64 s[14:15], s[28:29], 1
	v_and_b32_e32 v5, 8, v5
	s_mul_i32 s28, s43, s12
	s_add_u32 s17, s54, s14
	v_cmp_eq_u32_e64 s7, 0, v3
	s_addc_u32 s20, s55, s15
	s_lshl_b64 s[14:15], s[28:29], 1
	v_add_co_u32 v3, s13, s13, v0
	s_mul_i32 s28, s34, s18
	v_lshlrev_b32_e32 v23, 2, v4
	v_add_co_ci_u32_e64 v4, null, s16, 0, s13
	s_add_u32 s16, s17, s14
	v_add_nc_u32_e32 v21, 0, v5
	s_addc_u32 s17, s20, s15
	s_lshl_b64 s[14:15], s[28:29], 1
	v_lshlrev_b32_e32 v5, 1, v2
	s_mul_i32 s28, s19, s12
	s_add_u32 s14, s56, s14
	s_addc_u32 s15, s57, s15
	s_lshl_b64 s[12:13], s[28:29], 1
	v_add_nc_u32_e32 v15, 0, v6
	v_and_b32_e32 v6, 16, v1
	v_add_co_u32 v24, vcc_lo, v3, v5
	s_add_u32 s12, s14, s12
	v_add_co_u32 v3, s14, s16, v0
	v_add_co_ci_u32_e32 v25, vcc_lo, 0, v4, vcc_lo
	v_add_co_ci_u32_e64 v4, null, s17, 0, s14
	s_addc_u32 s13, s15, s13
	v_add_co_u32 v0, s12, s12, v0
	v_cmp_ne_u32_e64 s4, 0, v6
	v_add_co_ci_u32_e64 v6, null, s13, 0, s12
	v_add_co_u32 v26, vcc_lo, v3, v5
	v_add_co_ci_u32_e32 v27, vcc_lo, 0, v4, vcc_lo
	v_add_co_u32 v28, vcc_lo, v0, v5
	v_or_b32_e32 v13, 32, v9
	v_add_nc_u32_e32 v16, 0, v7
	v_cmp_eq_u32_e64 s11, 0, v1
	v_add_co_ci_u32_e32 v29, vcc_lo, 0, v6, vcc_lo
	v_or_b32_e32 v30, 1, v8
	v_or_b32_e32 v31, 2, v8
	;; [unrolled: 1-line block ×3, first 2 shown]
	v_lshlrev_b32_e32 v33, 1, v1
	v_lshlrev_b32_e32 v34, 1, v2
	s_mov_b32 s42, 0x3e9b6dac
	s_add_i32 s43, 0, 0x430
	s_mov_b32 s54, 0xbfb8aa3b
	s_mov_b32 s55, 0xb2a5705f
	;; [unrolled: 1-line block ×3, first 2 shown]
	s_branch .LBB100_12
.LBB100_11:                             ;   in Loop: Header=BB100_12 Depth=1
	s_or_b32 exec_lo, exec_lo, s12
	s_add_u32 s40, s40, 0x200
	s_addc_u32 s41, s41, 0
	s_add_u32 s38, s38, 0x200
	s_addc_u32 s39, s39, 0
	;; [unrolled: 2-line block ×4, first 2 shown]
	s_add_i32 s56, s56, 1
	s_delay_alu instid0(SALU_CYCLE_1)
	s_cmp_lg_u32 s56, s61
	s_cbranch_scc0 .LBB100_108
.LBB100_12:                             ; =>This Loop Header: Depth=1
                                        ;     Child Loop BB100_37 Depth 2
	v_add_co_u32 v0, s12, s38, v33
	s_delay_alu instid0(VALU_DEP_1) | instskip(SKIP_1) | instid1(VALU_DEP_2)
	v_add_co_ci_u32_e64 v1, null, s39, 0, s12
	s_lshl_b32 s24, s56, 8
	v_add_co_u32 v0, vcc_lo, v0, v34
	s_sub_i32 s19, s23, s24
	s_delay_alu instid0(VALU_DEP_2)
	v_add_co_ci_u32_e32 v1, vcc_lo, 0, v1, vcc_lo
	v_cmp_gt_u32_e64 s12, s19, v9
	s_waitcnt lgkmcnt(0)
	v_mov_b32_e32 v2, 0
	s_waitcnt lgkmcnt(0)
	s_waitcnt_vscnt null, 0x0
	s_barrier
	buffer_gl0_inv
	s_and_saveexec_b32 s13, s12
	s_cbranch_execz .LBB100_14
; %bb.13:                               ;   in Loop: Header=BB100_12 Depth=1
	global_load_u16 v2, v[0:1], off
.LBB100_14:                             ;   in Loop: Header=BB100_12 Depth=1
	s_or_b32 exec_lo, exec_lo, s13
	v_cmp_gt_u32_e64 s13, s19, v13
	v_mov_b32_e32 v3, 0
	v_mov_b32_e32 v5, 0
	s_delay_alu instid0(VALU_DEP_3)
	s_and_saveexec_b32 s14, s13
	s_cbranch_execz .LBB100_16
; %bb.15:                               ;   in Loop: Header=BB100_12 Depth=1
	global_load_u16 v5, v[0:1], off offset:64
.LBB100_16:                             ;   in Loop: Header=BB100_12 Depth=1
	s_or_b32 exec_lo, exec_lo, s14
	v_cmp_gt_u32_e64 s14, s19, v10
	s_delay_alu instid0(VALU_DEP_1)
	s_and_saveexec_b32 s15, s14
	s_cbranch_execz .LBB100_18
; %bb.17:                               ;   in Loop: Header=BB100_12 Depth=1
	global_load_u16 v3, v[0:1], off offset:128
.LBB100_18:                             ;   in Loop: Header=BB100_12 Depth=1
	s_or_b32 exec_lo, exec_lo, s15
	v_cmp_gt_u32_e64 s15, s19, v11
	v_mov_b32_e32 v4, 0
	v_mov_b32_e32 v6, 0
	s_delay_alu instid0(VALU_DEP_3)
	s_and_saveexec_b32 s16, s15
	s_cbranch_execz .LBB100_20
; %bb.19:                               ;   in Loop: Header=BB100_12 Depth=1
	global_load_u16 v6, v[0:1], off offset:192
.LBB100_20:                             ;   in Loop: Header=BB100_12 Depth=1
	s_or_b32 exec_lo, exec_lo, s16
	s_waitcnt vmcnt(0)
	ds_store_b16 v14, v2
	ds_store_b16 v14, v5 offset:64
	ds_store_b16 v15, v3 offset:128
	;; [unrolled: 1-line block ×3, first 2 shown]
	; wave barrier
	ds_load_b64 v[0:1], v17
	v_add_co_u32 v2, s16, s40, v33
	s_delay_alu instid0(VALU_DEP_1) | instskip(SKIP_1) | instid1(VALU_DEP_2)
	v_add_co_ci_u32_e64 v3, null, s41, 0, s16
	s_waitcnt lgkmcnt(0)
	v_add_co_u32 v2, vcc_lo, v2, v34
	s_delay_alu instid0(VALU_DEP_2)
	v_add_co_ci_u32_e32 v3, vcc_lo, 0, v3, vcc_lo
	s_barrier
	buffer_gl0_inv
	s_and_saveexec_b32 s16, s12
	s_cbranch_execz .LBB100_22
; %bb.21:                               ;   in Loop: Header=BB100_12 Depth=1
	global_load_u16 v4, v[2:3], off
.LBB100_22:                             ;   in Loop: Header=BB100_12 Depth=1
	s_or_b32 exec_lo, exec_lo, s16
	v_dual_mov_b32 v5, 0 :: v_dual_mov_b32 v6, 0
	s_and_saveexec_b32 s16, s13
	s_cbranch_execnz .LBB100_99
; %bb.23:                               ;   in Loop: Header=BB100_12 Depth=1
	s_or_b32 exec_lo, exec_lo, s16
	s_and_saveexec_b32 s16, s14
	s_cbranch_execnz .LBB100_100
.LBB100_24:                             ;   in Loop: Header=BB100_12 Depth=1
	s_or_b32 exec_lo, exec_lo, s16
	v_mov_b32_e32 v7, 0
	s_and_saveexec_b32 s16, s15
	s_cbranch_execz .LBB100_26
.LBB100_25:                             ;   in Loop: Header=BB100_12 Depth=1
	global_load_u16 v7, v[2:3], off offset:192
.LBB100_26:                             ;   in Loop: Header=BB100_12 Depth=1
	s_or_b32 exec_lo, exec_lo, s16
	s_waitcnt vmcnt(0)
	ds_store_b16 v14, v4
	ds_store_b16 v14, v6 offset:64
	ds_store_b16 v15, v5 offset:128
	;; [unrolled: 1-line block ×3, first 2 shown]
	; wave barrier
	ds_load_b64 v[2:3], v17
	s_waitcnt lgkmcnt(0)
	v_cvt_f32_f16_e32 v4, v2
	s_delay_alu instid0(VALU_DEP_1) | instskip(NEXT) | instid1(VALU_DEP_1)
	v_add_f32_e32 v35, s58, v4
	v_cmp_ge_f32_e32 vcc_lo, 0x41a00000, v35
	s_and_b32 s16, s62, vcc_lo
	s_delay_alu instid0(SALU_CYCLE_1)
	s_and_saveexec_b32 s17, s16
	s_cbranch_execz .LBB100_28
; %bb.27:                               ;   in Loop: Header=BB100_12 Depth=1
	v_mul_f32_e32 v4, 0x3fb8aa3b, v35
	v_cmp_ngt_f32_e32 vcc_lo, 0xc2ce8ed0, v35
	s_delay_alu instid0(VALU_DEP_2) | instskip(SKIP_1) | instid1(VALU_DEP_2)
	v_rndne_f32_e32 v5, v4
	v_fma_f32 v6, 0x3fb8aa3b, v35, -v4
	v_sub_f32_e32 v4, v4, v5
	s_delay_alu instid0(VALU_DEP_2) | instskip(SKIP_1) | instid1(VALU_DEP_2)
	v_fmac_f32_e32 v6, 0x32a5705f, v35
	v_cvt_i32_f32_e32 v5, v5
	v_add_f32_e32 v4, v4, v6
	s_delay_alu instid0(VALU_DEP_1) | instskip(SKIP_2) | instid1(VALU_DEP_1)
	v_exp_f32_e32 v4, v4
	s_waitcnt_depctr 0xfff
	v_ldexp_f32 v4, v4, v5
	v_cndmask_b32_e32 v4, 0, v4, vcc_lo
	v_cmp_nlt_f32_e32 vcc_lo, 0x42b17218, v35
	s_delay_alu instid0(VALU_DEP_2) | instskip(NEXT) | instid1(VALU_DEP_1)
	v_cndmask_b32_e32 v6, 0x7f800000, v4, vcc_lo
	v_add_f32_e32 v7, 1.0, v6
	s_delay_alu instid0(VALU_DEP_1) | instskip(NEXT) | instid1(VALU_DEP_1)
	v_cvt_f64_f32_e32 v[4:5], v7
	v_frexp_exp_i32_f64_e32 v4, v[4:5]
	v_frexp_mant_f32_e32 v5, v7
	s_delay_alu instid0(VALU_DEP_1) | instskip(SKIP_1) | instid1(VALU_DEP_1)
	v_cmp_gt_f32_e32 vcc_lo, 0x3f2aaaab, v5
	v_add_f32_e32 v5, -1.0, v7
	v_dual_sub_f32 v36, v5, v7 :: v_dual_sub_f32 v5, v6, v5
	s_delay_alu instid0(VALU_DEP_1) | instskip(NEXT) | instid1(VALU_DEP_1)
	v_add_f32_e32 v36, 1.0, v36
	v_add_f32_e32 v5, v5, v36
	v_subrev_co_ci_u32_e32 v4, vcc_lo, 0, v4, vcc_lo
	s_delay_alu instid0(VALU_DEP_1) | instskip(SKIP_1) | instid1(VALU_DEP_2)
	v_sub_nc_u32_e32 v35, 0, v4
	v_cvt_f32_i32_e32 v4, v4
	v_ldexp_f32 v7, v7, v35
	v_ldexp_f32 v5, v5, v35
	s_delay_alu instid0(VALU_DEP_2) | instskip(SKIP_3) | instid1(VALU_DEP_4)
	v_add_f32_e32 v37, 1.0, v7
	v_add_f32_e32 v35, -1.0, v7
	v_cmp_eq_f32_e32 vcc_lo, 0x7f800000, v6
	v_cmp_gt_f32_e64 s16, 0x33800000, v6
	v_add_f32_e32 v36, -1.0, v37
	s_delay_alu instid0(VALU_DEP_4) | instskip(NEXT) | instid1(VALU_DEP_3)
	v_add_f32_e32 v38, 1.0, v35
	s_or_b32 vcc_lo, s16, vcc_lo
	s_delay_alu instid0(VALU_DEP_2) | instskip(NEXT) | instid1(VALU_DEP_1)
	v_sub_f32_e32 v36, v7, v36
	v_dual_sub_f32 v7, v7, v38 :: v_dual_add_f32 v36, v5, v36
	s_delay_alu instid0(VALU_DEP_1) | instskip(NEXT) | instid1(VALU_DEP_1)
	v_add_f32_e32 v5, v5, v7
	v_dual_add_f32 v39, v35, v5 :: v_dual_add_f32 v38, v37, v36
	s_delay_alu instid0(VALU_DEP_1) | instskip(NEXT) | instid1(VALU_DEP_2)
	v_sub_f32_e32 v35, v35, v39
	v_rcp_f32_e32 v7, v38
	v_sub_f32_e32 v37, v37, v38
	s_delay_alu instid0(VALU_DEP_1) | instskip(SKIP_2) | instid1(VALU_DEP_1)
	v_dual_add_f32 v5, v5, v35 :: v_dual_add_f32 v36, v36, v37
	s_waitcnt_depctr 0xfff
	v_mul_f32_e32 v40, v39, v7
	v_mul_f32_e32 v41, v38, v40
	s_delay_alu instid0(VALU_DEP_1) | instskip(NEXT) | instid1(VALU_DEP_1)
	v_fma_f32 v37, v40, v38, -v41
	v_fmac_f32_e32 v37, v40, v36
	s_delay_alu instid0(VALU_DEP_1) | instskip(NEXT) | instid1(VALU_DEP_1)
	v_add_f32_e32 v42, v41, v37
	v_sub_f32_e32 v43, v39, v42
	s_delay_alu instid0(VALU_DEP_1) | instskip(SKIP_1) | instid1(VALU_DEP_2)
	v_sub_f32_e32 v39, v39, v43
	v_sub_f32_e32 v35, v42, v41
	;; [unrolled: 1-line block ×3, first 2 shown]
	s_delay_alu instid0(VALU_DEP_2) | instskip(NEXT) | instid1(VALU_DEP_2)
	v_sub_f32_e32 v35, v35, v37
	v_add_f32_e32 v5, v5, v39
	s_delay_alu instid0(VALU_DEP_1) | instskip(NEXT) | instid1(VALU_DEP_1)
	v_add_f32_e32 v5, v35, v5
	v_add_f32_e32 v35, v43, v5
	s_delay_alu instid0(VALU_DEP_1) | instskip(NEXT) | instid1(VALU_DEP_1)
	v_mul_f32_e32 v37, v7, v35
	v_dual_sub_f32 v42, v43, v35 :: v_dual_mul_f32 v39, v38, v37
	s_delay_alu instid0(VALU_DEP_1) | instskip(NEXT) | instid1(VALU_DEP_2)
	v_add_f32_e32 v5, v5, v42
	v_fma_f32 v38, v37, v38, -v39
	s_delay_alu instid0(VALU_DEP_1) | instskip(NEXT) | instid1(VALU_DEP_1)
	v_fmac_f32_e32 v38, v37, v36
	v_add_f32_e32 v36, v39, v38
	s_delay_alu instid0(VALU_DEP_1) | instskip(SKIP_1) | instid1(VALU_DEP_2)
	v_sub_f32_e32 v41, v35, v36
	v_sub_f32_e32 v39, v36, v39
	;; [unrolled: 1-line block ×3, first 2 shown]
	s_delay_alu instid0(VALU_DEP_1) | instskip(NEXT) | instid1(VALU_DEP_1)
	v_sub_f32_e32 v35, v35, v36
	v_dual_sub_f32 v36, v39, v38 :: v_dual_add_f32 v5, v5, v35
	v_add_f32_e32 v35, v40, v37
	s_delay_alu instid0(VALU_DEP_1) | instskip(NEXT) | instid1(VALU_DEP_1)
	v_dual_add_f32 v5, v36, v5 :: v_dual_sub_f32 v36, v35, v40
	v_add_f32_e32 v5, v41, v5
	s_delay_alu instid0(VALU_DEP_1) | instskip(NEXT) | instid1(VALU_DEP_1)
	v_dual_sub_f32 v36, v37, v36 :: v_dual_mul_f32 v5, v7, v5
	v_add_f32_e32 v5, v36, v5
	s_delay_alu instid0(VALU_DEP_1) | instskip(NEXT) | instid1(VALU_DEP_1)
	v_add_f32_e32 v7, v35, v5
	v_mul_f32_e32 v36, v7, v7
	s_delay_alu instid0(VALU_DEP_1) | instskip(SKIP_1) | instid1(VALU_DEP_2)
	v_fmaak_f32 v37, s42, v36, 0x3ecc95a3
	v_mul_f32_e32 v38, v7, v36
	v_fmaak_f32 v36, v36, v37, 0x3f2aaada
	v_ldexp_f32 v37, v7, 1
	s_delay_alu instid0(VALU_DEP_2) | instskip(NEXT) | instid1(VALU_DEP_1)
	v_dual_sub_f32 v7, v7, v35 :: v_dual_mul_f32 v36, v38, v36
	v_dual_mul_f32 v38, 0x3f317218, v4 :: v_dual_sub_f32 v5, v5, v7
	s_delay_alu instid0(VALU_DEP_2) | instskip(NEXT) | instid1(VALU_DEP_2)
	v_add_f32_e32 v35, v37, v36
	v_ldexp_f32 v5, v5, 1
	s_delay_alu instid0(VALU_DEP_2) | instskip(NEXT) | instid1(VALU_DEP_4)
	v_sub_f32_e32 v7, v35, v37
	v_fma_f32 v37, 0x3f317218, v4, -v38
	s_delay_alu instid0(VALU_DEP_2) | instskip(NEXT) | instid1(VALU_DEP_1)
	v_sub_f32_e32 v7, v36, v7
	v_dual_fmac_f32 v37, 0xb102e308, v4 :: v_dual_add_f32 v4, v5, v7
	s_delay_alu instid0(VALU_DEP_1) | instskip(NEXT) | instid1(VALU_DEP_1)
	v_add_f32_e32 v5, v38, v37
	v_dual_add_f32 v7, v35, v4 :: v_dual_sub_f32 v38, v5, v38
	s_delay_alu instid0(VALU_DEP_1) | instskip(SKIP_1) | instid1(VALU_DEP_3)
	v_add_f32_e32 v36, v5, v7
	v_sub_f32_e32 v35, v7, v35
	v_sub_f32_e32 v37, v37, v38
	s_delay_alu instid0(VALU_DEP_3) | instskip(NEXT) | instid1(VALU_DEP_3)
	v_sub_f32_e32 v39, v36, v5
	v_sub_f32_e32 v4, v4, v35
	s_delay_alu instid0(VALU_DEP_2) | instskip(SKIP_1) | instid1(VALU_DEP_3)
	v_sub_f32_e32 v40, v36, v39
	v_sub_f32_e32 v7, v7, v39
	v_add_f32_e32 v35, v37, v4
	s_delay_alu instid0(VALU_DEP_3) | instskip(NEXT) | instid1(VALU_DEP_1)
	v_sub_f32_e32 v5, v5, v40
	v_add_f32_e32 v5, v7, v5
	s_delay_alu instid0(VALU_DEP_3) | instskip(NEXT) | instid1(VALU_DEP_1)
	v_sub_f32_e32 v7, v35, v37
	v_dual_add_f32 v5, v35, v5 :: v_dual_sub_f32 v4, v4, v7
	s_delay_alu instid0(VALU_DEP_1) | instskip(NEXT) | instid1(VALU_DEP_1)
	v_dual_sub_f32 v35, v35, v7 :: v_dual_add_f32 v38, v36, v5
	v_sub_f32_e32 v35, v37, v35
	s_delay_alu instid0(VALU_DEP_1) | instskip(NEXT) | instid1(VALU_DEP_1)
	v_dual_sub_f32 v7, v38, v36 :: v_dual_add_f32 v4, v4, v35
	v_sub_f32_e32 v5, v5, v7
	s_delay_alu instid0(VALU_DEP_1) | instskip(NEXT) | instid1(VALU_DEP_1)
	v_add_f32_e32 v4, v4, v5
	v_add_f32_e32 v4, v38, v4
	s_delay_alu instid0(VALU_DEP_1)
	v_cndmask_b32_e32 v35, v4, v6, vcc_lo
.LBB100_28:                             ;   in Loop: Header=BB100_12 Depth=1
	s_or_b32 exec_lo, exec_lo, s17
	v_lshrrev_b32_e32 v2, 16, v2
	s_delay_alu instid0(VALU_DEP_1) | instskip(NEXT) | instid1(VALU_DEP_1)
	v_cvt_f32_f16_e32 v2, v2
	v_add_f32_e32 v36, s58, v2
	s_delay_alu instid0(VALU_DEP_1) | instskip(SKIP_1) | instid1(SALU_CYCLE_1)
	v_cmp_ge_f32_e32 vcc_lo, 0x41a00000, v36
	s_and_b32 s16, s62, vcc_lo
	s_and_saveexec_b32 s17, s16
	s_cbranch_execz .LBB100_30
; %bb.29:                               ;   in Loop: Header=BB100_12 Depth=1
	v_mul_f32_e32 v2, 0x3fb8aa3b, v36
	v_cmp_ngt_f32_e32 vcc_lo, 0xc2ce8ed0, v36
	s_delay_alu instid0(VALU_DEP_2) | instskip(SKIP_1) | instid1(VALU_DEP_2)
	v_rndne_f32_e32 v4, v2
	v_fma_f32 v5, 0x3fb8aa3b, v36, -v2
	v_sub_f32_e32 v2, v2, v4
	s_delay_alu instid0(VALU_DEP_2) | instskip(SKIP_1) | instid1(VALU_DEP_2)
	v_fmac_f32_e32 v5, 0x32a5705f, v36
	v_cvt_i32_f32_e32 v4, v4
	v_add_f32_e32 v2, v2, v5
	s_delay_alu instid0(VALU_DEP_1) | instskip(SKIP_2) | instid1(VALU_DEP_1)
	v_exp_f32_e32 v2, v2
	s_waitcnt_depctr 0xfff
	v_ldexp_f32 v2, v2, v4
	v_cndmask_b32_e32 v2, 0, v2, vcc_lo
	v_cmp_nlt_f32_e32 vcc_lo, 0x42b17218, v36
	s_delay_alu instid0(VALU_DEP_2) | instskip(NEXT) | instid1(VALU_DEP_1)
	v_cndmask_b32_e32 v2, 0x7f800000, v2, vcc_lo
	v_add_f32_e32 v6, 1.0, v2
	s_delay_alu instid0(VALU_DEP_1) | instskip(NEXT) | instid1(VALU_DEP_1)
	v_cvt_f64_f32_e32 v[4:5], v6
	v_frexp_exp_i32_f64_e32 v4, v[4:5]
	v_frexp_mant_f32_e32 v5, v6
	s_delay_alu instid0(VALU_DEP_1) | instskip(SKIP_1) | instid1(VALU_DEP_1)
	v_cmp_gt_f32_e32 vcc_lo, 0x3f2aaaab, v5
	v_add_f32_e32 v5, -1.0, v6
	v_dual_sub_f32 v36, v5, v6 :: v_dual_sub_f32 v5, v2, v5
	v_subrev_co_ci_u32_e32 v4, vcc_lo, 0, v4, vcc_lo
	s_delay_alu instid0(VALU_DEP_1) | instskip(SKIP_1) | instid1(VALU_DEP_2)
	v_sub_nc_u32_e32 v7, 0, v4
	v_cvt_f32_i32_e32 v4, v4
	v_ldexp_f32 v6, v6, v7
	s_delay_alu instid0(VALU_DEP_1) | instskip(NEXT) | instid1(VALU_DEP_1)
	v_dual_add_f32 v36, 1.0, v36 :: v_dual_add_f32 v37, 1.0, v6
	v_add_f32_e32 v5, v5, v36
	s_delay_alu instid0(VALU_DEP_1) | instskip(NEXT) | instid1(VALU_DEP_3)
	v_ldexp_f32 v5, v5, v7
	v_dual_add_f32 v7, -1.0, v6 :: v_dual_add_f32 v36, -1.0, v37
	s_delay_alu instid0(VALU_DEP_1) | instskip(NEXT) | instid1(VALU_DEP_2)
	v_add_f32_e32 v38, 1.0, v7
	v_sub_f32_e32 v36, v6, v36
	s_delay_alu instid0(VALU_DEP_2) | instskip(NEXT) | instid1(VALU_DEP_2)
	v_sub_f32_e32 v6, v6, v38
	v_add_f32_e32 v36, v5, v36
	s_delay_alu instid0(VALU_DEP_2) | instskip(NEXT) | instid1(VALU_DEP_1)
	v_add_f32_e32 v5, v5, v6
	v_dual_add_f32 v39, v7, v5 :: v_dual_add_f32 v38, v37, v36
	v_cmp_eq_f32_e32 vcc_lo, 0x7f800000, v2
	v_cmp_gt_f32_e64 s16, 0x33800000, v2
	s_delay_alu instid0(VALU_DEP_3) | instskip(NEXT) | instid1(VALU_DEP_4)
	v_sub_f32_e32 v7, v7, v39
	v_rcp_f32_e32 v6, v38
	v_sub_f32_e32 v37, v37, v38
	s_delay_alu instid0(VALU_DEP_3) | instskip(NEXT) | instid1(VALU_DEP_1)
	s_or_b32 vcc_lo, s16, vcc_lo
	v_dual_add_f32 v5, v5, v7 :: v_dual_add_f32 v36, v36, v37
	s_waitcnt_depctr 0xfff
	v_mul_f32_e32 v40, v39, v6
	s_delay_alu instid0(VALU_DEP_1) | instskip(NEXT) | instid1(VALU_DEP_1)
	v_mul_f32_e32 v41, v38, v40
	v_fma_f32 v37, v40, v38, -v41
	s_delay_alu instid0(VALU_DEP_1) | instskip(NEXT) | instid1(VALU_DEP_1)
	v_fmac_f32_e32 v37, v40, v36
	v_add_f32_e32 v42, v41, v37
	s_delay_alu instid0(VALU_DEP_1) | instskip(NEXT) | instid1(VALU_DEP_1)
	v_sub_f32_e32 v43, v39, v42
	v_sub_f32_e32 v39, v39, v43
	s_delay_alu instid0(VALU_DEP_1) | instskip(SKIP_1) | instid1(VALU_DEP_2)
	v_sub_f32_e32 v39, v39, v42
	v_sub_f32_e32 v7, v42, v41
	v_add_f32_e32 v5, v5, v39
	s_delay_alu instid0(VALU_DEP_2) | instskip(NEXT) | instid1(VALU_DEP_1)
	v_sub_f32_e32 v7, v7, v37
	v_add_f32_e32 v5, v7, v5
	s_delay_alu instid0(VALU_DEP_1) | instskip(NEXT) | instid1(VALU_DEP_1)
	v_add_f32_e32 v7, v43, v5
	v_mul_f32_e32 v37, v6, v7
	s_delay_alu instid0(VALU_DEP_1) | instskip(NEXT) | instid1(VALU_DEP_1)
	v_dual_sub_f32 v42, v43, v7 :: v_dual_mul_f32 v39, v38, v37
	v_add_f32_e32 v5, v5, v42
	s_delay_alu instid0(VALU_DEP_2) | instskip(NEXT) | instid1(VALU_DEP_1)
	v_fma_f32 v38, v37, v38, -v39
	v_fmac_f32_e32 v38, v37, v36
	s_delay_alu instid0(VALU_DEP_1) | instskip(NEXT) | instid1(VALU_DEP_1)
	v_add_f32_e32 v36, v39, v38
	v_sub_f32_e32 v41, v7, v36
	s_delay_alu instid0(VALU_DEP_1) | instskip(NEXT) | instid1(VALU_DEP_1)
	v_sub_f32_e32 v7, v7, v41
	v_sub_f32_e32 v7, v7, v36
	s_delay_alu instid0(VALU_DEP_1) | instskip(SKIP_2) | instid1(VALU_DEP_1)
	v_add_f32_e32 v5, v5, v7
	v_add_f32_e32 v7, v40, v37
	v_sub_f32_e32 v39, v36, v39
	v_sub_f32_e32 v36, v39, v38
	s_delay_alu instid0(VALU_DEP_1) | instskip(NEXT) | instid1(VALU_DEP_1)
	v_dual_add_f32 v5, v36, v5 :: v_dual_sub_f32 v36, v7, v40
	v_add_f32_e32 v5, v41, v5
	s_delay_alu instid0(VALU_DEP_1) | instskip(NEXT) | instid1(VALU_DEP_1)
	v_dual_sub_f32 v36, v37, v36 :: v_dual_mul_f32 v5, v6, v5
	v_add_f32_e32 v5, v36, v5
	s_delay_alu instid0(VALU_DEP_1) | instskip(NEXT) | instid1(VALU_DEP_1)
	v_add_f32_e32 v6, v7, v5
	v_mul_f32_e32 v36, v6, v6
	s_delay_alu instid0(VALU_DEP_1) | instskip(SKIP_1) | instid1(VALU_DEP_2)
	v_fmaak_f32 v37, s42, v36, 0x3ecc95a3
	v_mul_f32_e32 v38, v6, v36
	v_fmaak_f32 v36, v36, v37, 0x3f2aaada
	v_ldexp_f32 v37, v6, 1
	v_sub_f32_e32 v6, v6, v7
	s_delay_alu instid0(VALU_DEP_3) | instskip(SKIP_1) | instid1(VALU_DEP_2)
	v_mul_f32_e32 v36, v38, v36
	v_mul_f32_e32 v38, 0x3f317218, v4
	v_add_f32_e32 v7, v37, v36
	s_delay_alu instid0(VALU_DEP_1) | instskip(NEXT) | instid1(VALU_DEP_3)
	v_dual_sub_f32 v5, v5, v6 :: v_dual_sub_f32 v6, v7, v37
	v_fma_f32 v37, 0x3f317218, v4, -v38
	s_delay_alu instid0(VALU_DEP_2) | instskip(NEXT) | instid1(VALU_DEP_2)
	v_ldexp_f32 v5, v5, 1
	v_dual_sub_f32 v6, v36, v6 :: v_dual_fmac_f32 v37, 0xb102e308, v4
	s_delay_alu instid0(VALU_DEP_1) | instskip(NEXT) | instid1(VALU_DEP_1)
	v_dual_add_f32 v4, v5, v6 :: v_dual_add_f32 v5, v38, v37
	v_add_f32_e32 v6, v7, v4
	s_delay_alu instid0(VALU_DEP_1) | instskip(NEXT) | instid1(VALU_DEP_1)
	v_add_f32_e32 v36, v5, v6
	v_sub_f32_e32 v39, v36, v5
	s_delay_alu instid0(VALU_DEP_1) | instskip(SKIP_2) | instid1(VALU_DEP_2)
	v_sub_f32_e32 v40, v36, v39
	v_sub_f32_e32 v7, v6, v7
	;; [unrolled: 1-line block ×5, first 2 shown]
	s_delay_alu instid0(VALU_DEP_1) | instskip(NEXT) | instid1(VALU_DEP_1)
	v_sub_f32_e32 v37, v37, v38
	v_add_f32_e32 v7, v37, v4
	v_sub_f32_e32 v5, v5, v40
	s_delay_alu instid0(VALU_DEP_1) | instskip(NEXT) | instid1(VALU_DEP_3)
	v_add_f32_e32 v5, v6, v5
	v_sub_f32_e32 v6, v7, v37
	s_delay_alu instid0(VALU_DEP_1) | instskip(NEXT) | instid1(VALU_DEP_1)
	v_dual_sub_f32 v4, v4, v6 :: v_dual_add_f32 v5, v7, v5
	v_dual_sub_f32 v7, v7, v6 :: v_dual_add_f32 v38, v36, v5
	s_delay_alu instid0(VALU_DEP_1) | instskip(NEXT) | instid1(VALU_DEP_1)
	v_dual_sub_f32 v7, v37, v7 :: v_dual_sub_f32 v6, v38, v36
	v_dual_add_f32 v4, v4, v7 :: v_dual_sub_f32 v5, v5, v6
	s_delay_alu instid0(VALU_DEP_1) | instskip(NEXT) | instid1(VALU_DEP_1)
	v_add_f32_e32 v4, v4, v5
	v_add_f32_e32 v4, v38, v4
	s_delay_alu instid0(VALU_DEP_1)
	v_cndmask_b32_e32 v36, v4, v2, vcc_lo
.LBB100_30:                             ;   in Loop: Header=BB100_12 Depth=1
	s_or_b32 exec_lo, exec_lo, s17
	v_cvt_f32_f16_e32 v2, v3
	s_delay_alu instid0(VALU_DEP_1) | instskip(NEXT) | instid1(VALU_DEP_1)
	v_add_f32_e32 v41, s58, v2
	v_cmp_ge_f32_e32 vcc_lo, 0x41a00000, v41
	s_and_b32 s16, s62, vcc_lo
	s_delay_alu instid0(SALU_CYCLE_1)
	s_and_saveexec_b32 s17, s16
	s_cbranch_execz .LBB100_32
; %bb.31:                               ;   in Loop: Header=BB100_12 Depth=1
	v_mul_f32_e32 v2, 0x3fb8aa3b, v41
	v_cmp_ngt_f32_e32 vcc_lo, 0xc2ce8ed0, v41
	s_delay_alu instid0(VALU_DEP_2) | instskip(SKIP_1) | instid1(VALU_DEP_1)
	v_rndne_f32_e32 v4, v2
	v_fma_f32 v5, 0x3fb8aa3b, v41, -v2
	v_dual_sub_f32 v2, v2, v4 :: v_dual_fmac_f32 v5, 0x32a5705f, v41
	v_cvt_i32_f32_e32 v4, v4
	s_delay_alu instid0(VALU_DEP_2) | instskip(NEXT) | instid1(VALU_DEP_1)
	v_add_f32_e32 v2, v2, v5
	v_exp_f32_e32 v2, v2
	s_waitcnt_depctr 0xfff
	v_ldexp_f32 v2, v2, v4
	s_delay_alu instid0(VALU_DEP_1) | instskip(SKIP_1) | instid1(VALU_DEP_2)
	v_cndmask_b32_e32 v2, 0, v2, vcc_lo
	v_cmp_nlt_f32_e32 vcc_lo, 0x42b17218, v41
	v_cndmask_b32_e32 v2, 0x7f800000, v2, vcc_lo
	s_delay_alu instid0(VALU_DEP_1) | instskip(NEXT) | instid1(VALU_DEP_1)
	v_add_f32_e32 v6, 1.0, v2
	v_cvt_f64_f32_e32 v[4:5], v6
	s_delay_alu instid0(VALU_DEP_1) | instskip(SKIP_1) | instid1(VALU_DEP_1)
	v_frexp_exp_i32_f64_e32 v4, v[4:5]
	v_frexp_mant_f32_e32 v5, v6
	v_cmp_gt_f32_e32 vcc_lo, 0x3f2aaaab, v5
	v_add_f32_e32 v5, -1.0, v6
	s_delay_alu instid0(VALU_DEP_1) | instskip(SKIP_1) | instid1(VALU_DEP_2)
	v_sub_f32_e32 v37, v5, v6
	v_sub_f32_e32 v5, v2, v5
	v_add_f32_e32 v37, 1.0, v37
	s_delay_alu instid0(VALU_DEP_1) | instskip(SKIP_3) | instid1(VALU_DEP_2)
	v_add_f32_e32 v5, v5, v37
	v_cmp_gt_f32_e64 s16, 0x33800000, v2
	v_subrev_co_ci_u32_e32 v4, vcc_lo, 0, v4, vcc_lo
	v_cmp_eq_f32_e32 vcc_lo, 0x7f800000, v2
	v_sub_nc_u32_e32 v7, 0, v4
	v_cvt_f32_i32_e32 v4, v4
	s_or_b32 vcc_lo, s16, vcc_lo
	s_delay_alu instid0(VALU_DEP_2) | instskip(SKIP_1) | instid1(VALU_DEP_2)
	v_ldexp_f32 v6, v6, v7
	v_ldexp_f32 v5, v5, v7
	v_add_f32_e32 v38, 1.0, v6
	v_add_f32_e32 v7, -1.0, v6
	s_delay_alu instid0(VALU_DEP_1) | instskip(NEXT) | instid1(VALU_DEP_3)
	v_add_f32_e32 v39, 1.0, v7
	v_add_f32_e32 v37, -1.0, v38
	s_delay_alu instid0(VALU_DEP_1) | instskip(NEXT) | instid1(VALU_DEP_1)
	v_sub_f32_e32 v37, v6, v37
	v_dual_sub_f32 v6, v6, v39 :: v_dual_add_f32 v37, v5, v37
	s_delay_alu instid0(VALU_DEP_1) | instskip(NEXT) | instid1(VALU_DEP_2)
	v_add_f32_e32 v39, v38, v37
	v_add_f32_e32 v5, v5, v6
	s_delay_alu instid0(VALU_DEP_2) | instskip(SKIP_1) | instid1(VALU_DEP_1)
	v_rcp_f32_e32 v6, v39
	v_sub_f32_e32 v38, v38, v39
	v_dual_add_f32 v40, v7, v5 :: v_dual_add_f32 v37, v37, v38
	s_delay_alu instid0(VALU_DEP_1) | instskip(SKIP_2) | instid1(VALU_DEP_1)
	v_sub_f32_e32 v7, v7, v40
	s_waitcnt_depctr 0xfff
	v_mul_f32_e32 v41, v40, v6
	v_mul_f32_e32 v42, v39, v41
	s_delay_alu instid0(VALU_DEP_1) | instskip(NEXT) | instid1(VALU_DEP_1)
	v_fma_f32 v38, v41, v39, -v42
	v_fmac_f32_e32 v38, v41, v37
	s_delay_alu instid0(VALU_DEP_1) | instskip(NEXT) | instid1(VALU_DEP_1)
	v_add_f32_e32 v43, v42, v38
	v_sub_f32_e32 v44, v40, v43
	s_delay_alu instid0(VALU_DEP_1) | instskip(NEXT) | instid1(VALU_DEP_1)
	v_dual_sub_f32 v40, v40, v44 :: v_dual_add_f32 v5, v5, v7
	v_dual_sub_f32 v7, v43, v42 :: v_dual_sub_f32 v40, v40, v43
	s_delay_alu instid0(VALU_DEP_1) | instskip(NEXT) | instid1(VALU_DEP_2)
	v_sub_f32_e32 v7, v7, v38
	v_add_f32_e32 v5, v5, v40
	s_delay_alu instid0(VALU_DEP_1) | instskip(NEXT) | instid1(VALU_DEP_1)
	v_add_f32_e32 v5, v7, v5
	v_add_f32_e32 v7, v44, v5
	s_delay_alu instid0(VALU_DEP_1) | instskip(NEXT) | instid1(VALU_DEP_1)
	v_mul_f32_e32 v38, v6, v7
	v_dual_sub_f32 v43, v44, v7 :: v_dual_mul_f32 v40, v39, v38
	s_delay_alu instid0(VALU_DEP_1) | instskip(NEXT) | instid1(VALU_DEP_2)
	v_add_f32_e32 v5, v5, v43
	v_fma_f32 v39, v38, v39, -v40
	s_delay_alu instid0(VALU_DEP_1) | instskip(NEXT) | instid1(VALU_DEP_1)
	v_fmac_f32_e32 v39, v38, v37
	v_add_f32_e32 v37, v40, v39
	s_delay_alu instid0(VALU_DEP_1) | instskip(NEXT) | instid1(VALU_DEP_1)
	v_sub_f32_e32 v42, v7, v37
	v_dual_sub_f32 v40, v37, v40 :: v_dual_sub_f32 v7, v7, v42
	s_delay_alu instid0(VALU_DEP_1) | instskip(NEXT) | instid1(VALU_DEP_2)
	v_sub_f32_e32 v7, v7, v37
	v_sub_f32_e32 v37, v40, v39
	s_delay_alu instid0(VALU_DEP_2) | instskip(SKIP_1) | instid1(VALU_DEP_2)
	v_add_f32_e32 v5, v5, v7
	v_add_f32_e32 v7, v41, v38
	;; [unrolled: 1-line block ×3, first 2 shown]
	s_delay_alu instid0(VALU_DEP_2) | instskip(NEXT) | instid1(VALU_DEP_2)
	v_sub_f32_e32 v37, v7, v41
	v_add_f32_e32 v5, v42, v5
	s_delay_alu instid0(VALU_DEP_2) | instskip(NEXT) | instid1(VALU_DEP_2)
	v_sub_f32_e32 v37, v38, v37
	v_mul_f32_e32 v5, v6, v5
	s_delay_alu instid0(VALU_DEP_1) | instskip(NEXT) | instid1(VALU_DEP_1)
	v_add_f32_e32 v5, v37, v5
	v_add_f32_e32 v6, v7, v5
	s_delay_alu instid0(VALU_DEP_1) | instskip(NEXT) | instid1(VALU_DEP_1)
	v_mul_f32_e32 v37, v6, v6
	v_fmaak_f32 v38, s42, v37, 0x3ecc95a3
	v_mul_f32_e32 v39, v6, v37
	s_delay_alu instid0(VALU_DEP_2) | instskip(SKIP_1) | instid1(VALU_DEP_2)
	v_fmaak_f32 v37, v37, v38, 0x3f2aaada
	v_ldexp_f32 v38, v6, 1
	v_dual_sub_f32 v6, v6, v7 :: v_dual_mul_f32 v37, v39, v37
	v_mul_f32_e32 v39, 0x3f317218, v4
	s_delay_alu instid0(VALU_DEP_2) | instskip(NEXT) | instid1(VALU_DEP_3)
	v_sub_f32_e32 v5, v5, v6
	v_add_f32_e32 v7, v38, v37
	s_delay_alu instid0(VALU_DEP_2) | instskip(NEXT) | instid1(VALU_DEP_2)
	v_ldexp_f32 v5, v5, 1
	v_sub_f32_e32 v6, v7, v38
	v_fma_f32 v38, 0x3f317218, v4, -v39
	s_delay_alu instid0(VALU_DEP_2) | instskip(NEXT) | instid1(VALU_DEP_2)
	v_sub_f32_e32 v6, v37, v6
	v_fmac_f32_e32 v38, 0xb102e308, v4
	s_delay_alu instid0(VALU_DEP_2) | instskip(NEXT) | instid1(VALU_DEP_2)
	v_add_f32_e32 v4, v5, v6
	v_add_f32_e32 v5, v39, v38
	s_delay_alu instid0(VALU_DEP_1) | instskip(NEXT) | instid1(VALU_DEP_1)
	v_dual_add_f32 v6, v7, v4 :: v_dual_sub_f32 v39, v5, v39
	v_add_f32_e32 v37, v5, v6
	v_sub_f32_e32 v7, v6, v7
	s_delay_alu instid0(VALU_DEP_3) | instskip(NEXT) | instid1(VALU_DEP_3)
	v_sub_f32_e32 v38, v38, v39
	v_sub_f32_e32 v40, v37, v5
	s_delay_alu instid0(VALU_DEP_1) | instskip(SKIP_1) | instid1(VALU_DEP_2)
	v_dual_sub_f32 v4, v4, v7 :: v_dual_sub_f32 v41, v37, v40
	v_sub_f32_e32 v6, v6, v40
	v_add_f32_e32 v7, v38, v4
	s_delay_alu instid0(VALU_DEP_3) | instskip(NEXT) | instid1(VALU_DEP_1)
	v_sub_f32_e32 v5, v5, v41
	v_dual_add_f32 v5, v6, v5 :: v_dual_sub_f32 v6, v7, v38
	s_delay_alu instid0(VALU_DEP_1) | instskip(NEXT) | instid1(VALU_DEP_2)
	v_add_f32_e32 v5, v7, v5
	v_sub_f32_e32 v7, v7, v6
	s_delay_alu instid0(VALU_DEP_2) | instskip(NEXT) | instid1(VALU_DEP_1)
	v_dual_sub_f32 v4, v4, v6 :: v_dual_add_f32 v39, v37, v5
	v_dual_sub_f32 v7, v38, v7 :: v_dual_sub_f32 v6, v39, v37
	s_delay_alu instid0(VALU_DEP_1) | instskip(NEXT) | instid1(VALU_DEP_1)
	v_dual_add_f32 v4, v4, v7 :: v_dual_sub_f32 v5, v5, v6
	v_add_f32_e32 v4, v4, v5
	s_delay_alu instid0(VALU_DEP_1) | instskip(NEXT) | instid1(VALU_DEP_1)
	v_add_f32_e32 v4, v39, v4
	v_cndmask_b32_e32 v41, v4, v2, vcc_lo
.LBB100_32:                             ;   in Loop: Header=BB100_12 Depth=1
	s_or_b32 exec_lo, exec_lo, s17
	v_lshrrev_b32_e32 v2, 16, v3
	s_delay_alu instid0(VALU_DEP_1) | instskip(NEXT) | instid1(VALU_DEP_1)
	v_cvt_f32_f16_e32 v2, v2
	v_add_f32_e32 v42, s58, v2
	s_delay_alu instid0(VALU_DEP_1) | instskip(SKIP_1) | instid1(SALU_CYCLE_1)
	v_cmp_ge_f32_e32 vcc_lo, 0x41a00000, v42
	s_and_b32 s16, s62, vcc_lo
	s_and_saveexec_b32 s17, s16
	s_cbranch_execz .LBB100_34
; %bb.33:                               ;   in Loop: Header=BB100_12 Depth=1
	v_mul_f32_e32 v2, 0x3fb8aa3b, v42
	v_cmp_ngt_f32_e32 vcc_lo, 0xc2ce8ed0, v42
	s_delay_alu instid0(VALU_DEP_2) | instskip(SKIP_1) | instid1(VALU_DEP_2)
	v_rndne_f32_e32 v3, v2
	v_fma_f32 v4, 0x3fb8aa3b, v42, -v2
	v_sub_f32_e32 v2, v2, v3
	s_delay_alu instid0(VALU_DEP_2) | instskip(SKIP_1) | instid1(VALU_DEP_2)
	v_fmac_f32_e32 v4, 0x32a5705f, v42
	v_cvt_i32_f32_e32 v3, v3
	v_add_f32_e32 v2, v2, v4
	s_delay_alu instid0(VALU_DEP_1) | instskip(SKIP_2) | instid1(VALU_DEP_1)
	v_exp_f32_e32 v2, v2
	s_waitcnt_depctr 0xfff
	v_ldexp_f32 v2, v2, v3
	v_cndmask_b32_e32 v2, 0, v2, vcc_lo
	v_cmp_nlt_f32_e32 vcc_lo, 0x42b17218, v42
	s_delay_alu instid0(VALU_DEP_2) | instskip(NEXT) | instid1(VALU_DEP_1)
	v_cndmask_b32_e32 v4, 0x7f800000, v2, vcc_lo
	v_add_f32_e32 v5, 1.0, v4
	s_delay_alu instid0(VALU_DEP_1) | instskip(NEXT) | instid1(VALU_DEP_1)
	v_cvt_f64_f32_e32 v[2:3], v5
	v_frexp_exp_i32_f64_e32 v2, v[2:3]
	v_frexp_mant_f32_e32 v3, v5
	s_delay_alu instid0(VALU_DEP_1) | instskip(SKIP_1) | instid1(VALU_DEP_1)
	v_cmp_gt_f32_e32 vcc_lo, 0x3f2aaaab, v3
	v_add_f32_e32 v3, -1.0, v5
	v_sub_f32_e32 v7, v3, v5
	s_delay_alu instid0(VALU_DEP_1) | instskip(SKIP_1) | instid1(VALU_DEP_1)
	v_add_f32_e32 v7, 1.0, v7
	v_subrev_co_ci_u32_e32 v2, vcc_lo, 0, v2, vcc_lo
	v_sub_nc_u32_e32 v6, 0, v2
	v_cvt_f32_i32_e32 v2, v2
	s_delay_alu instid0(VALU_DEP_2) | instskip(NEXT) | instid1(VALU_DEP_1)
	v_ldexp_f32 v5, v5, v6
	v_add_f32_e32 v37, 1.0, v5
	v_sub_f32_e32 v3, v4, v3
	v_cmp_eq_f32_e32 vcc_lo, 0x7f800000, v4
	v_cmp_gt_f32_e64 s16, 0x33800000, v4
	s_delay_alu instid0(VALU_DEP_3) | instskip(NEXT) | instid1(VALU_DEP_2)
	v_add_f32_e32 v3, v3, v7
	s_or_b32 vcc_lo, s16, vcc_lo
	s_delay_alu instid0(VALU_DEP_1) | instskip(SKIP_1) | instid1(VALU_DEP_1)
	v_ldexp_f32 v3, v3, v6
	v_add_f32_e32 v6, -1.0, v5
	v_dual_add_f32 v7, -1.0, v37 :: v_dual_add_f32 v38, 1.0, v6
	s_delay_alu instid0(VALU_DEP_1) | instskip(NEXT) | instid1(VALU_DEP_2)
	v_sub_f32_e32 v7, v5, v7
	v_sub_f32_e32 v5, v5, v38
	s_delay_alu instid0(VALU_DEP_2) | instskip(NEXT) | instid1(VALU_DEP_1)
	v_add_f32_e32 v7, v3, v7
	v_dual_add_f32 v3, v3, v5 :: v_dual_add_f32 v38, v37, v7
	s_delay_alu instid0(VALU_DEP_1) | instskip(NEXT) | instid1(VALU_DEP_2)
	v_add_f32_e32 v39, v6, v3
	v_rcp_f32_e32 v5, v38
	s_delay_alu instid0(VALU_DEP_1) | instskip(NEXT) | instid1(VALU_DEP_1)
	v_dual_sub_f32 v37, v37, v38 :: v_dual_sub_f32 v6, v6, v39
	v_add_f32_e32 v3, v3, v6
	s_waitcnt_depctr 0xfff
	v_mul_f32_e32 v40, v39, v5
	s_delay_alu instid0(VALU_DEP_1) | instskip(NEXT) | instid1(VALU_DEP_1)
	v_dual_mul_f32 v42, v38, v40 :: v_dual_add_f32 v7, v7, v37
	v_fma_f32 v37, v40, v38, -v42
	s_delay_alu instid0(VALU_DEP_1) | instskip(NEXT) | instid1(VALU_DEP_1)
	v_fmac_f32_e32 v37, v40, v7
	v_add_f32_e32 v43, v42, v37
	s_delay_alu instid0(VALU_DEP_1) | instskip(SKIP_1) | instid1(VALU_DEP_1)
	v_sub_f32_e32 v6, v43, v42
	v_sub_f32_e32 v44, v39, v43
	v_dual_sub_f32 v6, v6, v37 :: v_dual_sub_f32 v39, v39, v44
	s_delay_alu instid0(VALU_DEP_1) | instskip(NEXT) | instid1(VALU_DEP_1)
	v_sub_f32_e32 v39, v39, v43
	v_add_f32_e32 v3, v3, v39
	s_delay_alu instid0(VALU_DEP_1) | instskip(NEXT) | instid1(VALU_DEP_1)
	v_add_f32_e32 v3, v6, v3
	v_add_f32_e32 v6, v44, v3
	s_delay_alu instid0(VALU_DEP_1) | instskip(SKIP_1) | instid1(VALU_DEP_2)
	v_mul_f32_e32 v37, v5, v6
	v_sub_f32_e32 v43, v44, v6
	v_mul_f32_e32 v39, v38, v37
	s_delay_alu instid0(VALU_DEP_2) | instskip(NEXT) | instid1(VALU_DEP_2)
	v_add_f32_e32 v3, v3, v43
	v_fma_f32 v38, v37, v38, -v39
	s_delay_alu instid0(VALU_DEP_1) | instskip(NEXT) | instid1(VALU_DEP_1)
	v_fmac_f32_e32 v38, v37, v7
	v_add_f32_e32 v7, v39, v38
	s_delay_alu instid0(VALU_DEP_1) | instskip(NEXT) | instid1(VALU_DEP_1)
	v_sub_f32_e32 v42, v6, v7
	v_dual_sub_f32 v39, v7, v39 :: v_dual_sub_f32 v6, v6, v42
	s_delay_alu instid0(VALU_DEP_1) | instskip(NEXT) | instid1(VALU_DEP_1)
	v_dual_sub_f32 v6, v6, v7 :: v_dual_sub_f32 v7, v39, v38
	v_dual_add_f32 v3, v3, v6 :: v_dual_add_f32 v6, v40, v37
	s_delay_alu instid0(VALU_DEP_1) | instskip(NEXT) | instid1(VALU_DEP_2)
	v_add_f32_e32 v3, v7, v3
	v_sub_f32_e32 v7, v6, v40
	s_delay_alu instid0(VALU_DEP_2) | instskip(NEXT) | instid1(VALU_DEP_2)
	v_add_f32_e32 v3, v42, v3
	v_sub_f32_e32 v7, v37, v7
	s_delay_alu instid0(VALU_DEP_2) | instskip(NEXT) | instid1(VALU_DEP_1)
	v_mul_f32_e32 v3, v5, v3
	v_add_f32_e32 v3, v7, v3
	s_delay_alu instid0(VALU_DEP_1) | instskip(NEXT) | instid1(VALU_DEP_1)
	v_add_f32_e32 v5, v6, v3
	v_mul_f32_e32 v7, v5, v5
	s_delay_alu instid0(VALU_DEP_1) | instskip(NEXT) | instid1(VALU_DEP_1)
	v_fmaak_f32 v37, s42, v7, 0x3ecc95a3
	v_dual_mul_f32 v38, v5, v7 :: v_dual_fmaak_f32 v7, v7, v37, 0x3f2aaada
	v_ldexp_f32 v37, v5, 1
	v_sub_f32_e32 v5, v5, v6
	s_delay_alu instid0(VALU_DEP_3) | instskip(NEXT) | instid1(VALU_DEP_1)
	v_dual_mul_f32 v7, v38, v7 :: v_dual_mul_f32 v38, 0x3f317218, v2
	v_dual_sub_f32 v3, v3, v5 :: v_dual_add_f32 v6, v37, v7
	s_delay_alu instid0(VALU_DEP_1) | instskip(NEXT) | instid1(VALU_DEP_2)
	v_ldexp_f32 v3, v3, 1
	v_sub_f32_e32 v5, v6, v37
	s_delay_alu instid0(VALU_DEP_4) | instskip(NEXT) | instid1(VALU_DEP_2)
	v_fma_f32 v37, 0x3f317218, v2, -v38
	v_sub_f32_e32 v5, v7, v5
	s_delay_alu instid0(VALU_DEP_1) | instskip(NEXT) | instid1(VALU_DEP_1)
	v_dual_fmac_f32 v37, 0xb102e308, v2 :: v_dual_add_f32 v2, v3, v5
	v_add_f32_e32 v3, v38, v37
	s_delay_alu instid0(VALU_DEP_2) | instskip(NEXT) | instid1(VALU_DEP_2)
	v_add_f32_e32 v5, v6, v2
	v_sub_f32_e32 v38, v3, v38
	s_delay_alu instid0(VALU_DEP_2) | instskip(NEXT) | instid1(VALU_DEP_2)
	v_dual_add_f32 v7, v3, v5 :: v_dual_sub_f32 v6, v5, v6
	v_sub_f32_e32 v37, v37, v38
	s_delay_alu instid0(VALU_DEP_2) | instskip(NEXT) | instid1(VALU_DEP_1)
	v_dual_sub_f32 v39, v7, v3 :: v_dual_sub_f32 v2, v2, v6
	v_sub_f32_e32 v40, v7, v39
	v_sub_f32_e32 v5, v5, v39
	s_delay_alu instid0(VALU_DEP_2) | instskip(NEXT) | instid1(VALU_DEP_1)
	v_dual_add_f32 v6, v37, v2 :: v_dual_sub_f32 v3, v3, v40
	v_add_f32_e32 v3, v5, v3
	s_delay_alu instid0(VALU_DEP_2) | instskip(NEXT) | instid1(VALU_DEP_2)
	v_sub_f32_e32 v5, v6, v37
	v_add_f32_e32 v3, v6, v3
	s_delay_alu instid0(VALU_DEP_2) | instskip(SKIP_1) | instid1(VALU_DEP_3)
	v_sub_f32_e32 v6, v6, v5
	v_sub_f32_e32 v2, v2, v5
	v_add_f32_e32 v38, v7, v3
	s_delay_alu instid0(VALU_DEP_1) | instskip(NEXT) | instid1(VALU_DEP_1)
	v_dual_sub_f32 v6, v37, v6 :: v_dual_sub_f32 v5, v38, v7
	v_dual_add_f32 v2, v2, v6 :: v_dual_sub_f32 v3, v3, v5
	s_delay_alu instid0(VALU_DEP_1) | instskip(NEXT) | instid1(VALU_DEP_1)
	v_add_f32_e32 v2, v2, v3
	v_add_f32_e32 v2, v38, v2
	s_delay_alu instid0(VALU_DEP_1)
	v_cndmask_b32_e32 v42, v2, v4, vcc_lo
.LBB100_34:                             ;   in Loop: Header=BB100_12 Depth=1
	s_or_b32 exec_lo, exec_lo, s17
	v_lshrrev_b32_e32 v2, 16, v0
	v_lshrrev_b32_e32 v3, 16, v1
	v_cvt_f32_f16_e32 v1, v1
	v_cvt_f32_f16_e32 v0, v0
	s_and_b32 vcc_lo, exec_lo, s63
	v_cvt_f32_f16_e32 v2, v2
	v_cvt_f32_f16_e32 v3, v3
	v_mul_f32_e32 v38, s59, v1
	v_mul_f32_e32 v40, s59, v0
	s_delay_alu instid0(VALU_DEP_4) | instskip(NEXT) | instid1(VALU_DEP_4)
	v_mul_f32_e32 v37, s59, v2
	v_mul_f32_e32 v39, s59, v3
	s_barrier
	buffer_gl0_inv
	s_cbranch_vccz .LBB100_82
; %bb.35:                               ;   in Loop: Header=BB100_12 Depth=1
	v_dual_mul_f32 v43, v42, v3 :: v_dual_mul_f32 v48, v41, v1
	v_add_co_u32 v3, s16, s47, v33
	s_delay_alu instid0(VALU_DEP_1) | instskip(SKIP_1) | instid1(VALU_DEP_1)
	v_add_co_ci_u32_e64 v4, null, s49, 0, s16
	v_add_co_u32 v5, s16, s51, v33
	v_add_co_ci_u32_e64 v6, null, s60, 0, s16
	s_delay_alu instid0(VALU_DEP_4) | instskip(NEXT) | instid1(VALU_DEP_4)
	v_add_co_u32 v44, vcc_lo, v3, v34
	v_add_co_ci_u32_e32 v45, vcc_lo, 0, v4, vcc_lo
	s_delay_alu instid0(VALU_DEP_4) | instskip(NEXT) | instid1(VALU_DEP_4)
	v_add_co_u32 v46, vcc_lo, v5, v34
	v_add_co_ci_u32_e32 v47, vcc_lo, 0, v6, vcc_lo
	v_cmp_gt_u32_e32 vcc_lo, s19, v8
	v_cmp_gt_u32_e64 s17, s19, v30
	v_cmp_gt_u32_e64 s18, s19, v31
	;; [unrolled: 1-line block ×3, first 2 shown]
	s_cmp_lg_u32 s56, 0
	v_dual_mul_f32 v49, v36, v2 :: v_dual_mul_f32 v50, v35, v0
	s_mov_b32 s28, 0
	s_cselect_b32 s25, -1, 0
	s_cmp_eq_u32 s56, s65
	s_mov_b32 s26, s28
	s_cselect_b32 s57, -1, 0
	s_or_b32 s16, s64, vcc_lo
	s_or_b32 s17, s64, s17
	s_or_b32 s18, s64, s18
	;; [unrolled: 1-line block ×3, first 2 shown]
	s_mov_b32 s30, s28
	s_mov_b32 s34, s28
	;; [unrolled: 1-line block ×4, first 2 shown]
	s_branch .LBB100_37
.LBB100_36:                             ;   in Loop: Header=BB100_37 Depth=2
	s_or_b32 exec_lo, exec_lo, s20
	v_cndmask_b32_e64 v2, v60, v7, s11
	v_cndmask_b32_e64 v3, v59, v6, s11
	s_add_i32 s66, s66, -1
	s_add_i32 s67, s67, 8
	s_add_i32 s34, s34, s50
	v_fma_f32 v2, v2, v56, v53
	v_mul_f32_e32 v3, v3, v56
	s_add_i32 s30, s30, s36
	s_add_i32 s26, s26, s48
	;; [unrolled: 1-line block ×3, first 2 shown]
	v_cndmask_b32_e64 v2, v2, v53, s10
	v_cndmask_b32_e64 v3, v3, v56, s10
	s_cmp_eq_u32 s66, 0
	s_waitcnt lgkmcnt(0)
	s_delay_alu instid0(VALU_DEP_1) | instskip(NEXT) | instid1(VALU_DEP_1)
	v_fmac_f32_e32 v2, v4, v3
	v_fmac_f32_e32 v51, v2, v57
	v_fma_mix_f32 v40, v2, v0, v40 op_sel_hi:[0,1,0]
	s_delay_alu instid0(VALU_DEP_2) | instskip(SKIP_1) | instid1(VALU_DEP_2)
	v_fmac_f32_e32 v52, v51, v58
	v_fma_mix_f32 v37, v51, v0, v37 op_sel:[0,1,0] op_sel_hi:[0,1,0]
	v_fmac_f32_e32 v54, v52, v55
	v_fma_mix_f32 v38, v52, v1, v38 op_sel_hi:[0,1,0]
	s_delay_alu instid0(VALU_DEP_2)
	v_fma_mix_f32 v39, v54, v1, v39 op_sel:[0,1,0] op_sel_hi:[0,1,0]
	s_cbranch_scc1 .LBB100_82
.LBB100_37:                             ;   Parent Loop BB100_12 Depth=1
                                        ; =>  This Inner Loop Header: Depth=2
	s_lshl_b64 s[20:21], s[28:29], 2
	s_mov_b32 s27, s29
	s_add_u32 s20, s44, s20
	s_addc_u32 s21, s46, s21
	v_dual_mov_b32 v2, 0 :: v_dual_mov_b32 v3, 0
	global_load_b32 v6, v12, s[20:21]
	s_lshl_b64 s[20:21], s[26:27], 1
	s_delay_alu instid0(SALU_CYCLE_1)
	v_add_co_u32 v0, vcc_lo, v44, s20
	v_add_co_ci_u32_e32 v1, vcc_lo, s21, v45, vcc_lo
	s_and_saveexec_b32 s20, s12
	s_cbranch_execnz .LBB100_49
; %bb.38:                               ;   in Loop: Header=BB100_37 Depth=2
	s_or_b32 exec_lo, exec_lo, s20
	s_and_saveexec_b32 s20, s13
	s_cbranch_execnz .LBB100_50
.LBB100_39:                             ;   in Loop: Header=BB100_37 Depth=2
	s_or_b32 exec_lo, exec_lo, s20
	v_mov_b32_e32 v4, 0
	s_and_saveexec_b32 s20, s14
	s_cbranch_execnz .LBB100_51
.LBB100_40:                             ;   in Loop: Header=BB100_37 Depth=2
	s_or_b32 exec_lo, exec_lo, s20
	s_and_saveexec_b32 s20, s15
	s_cbranch_execz .LBB100_42
.LBB100_41:                             ;   in Loop: Header=BB100_37 Depth=2
	global_load_u16 v0, v[0:1], off offset:192
	s_waitcnt vmcnt(0)
	v_lshl_or_b32 v4, v0, 16, v4
.LBB100_42:                             ;   in Loop: Header=BB100_37 Depth=2
	s_or_b32 exec_lo, exec_lo, s20
	s_waitcnt vmcnt(0)
	ds_store_b16 v14, v3
	ds_store_b16 v14, v2 offset:64
	ds_store_b16 v15, v4 offset:128
	ds_store_b16_d16_hi v16, v4 offset:192
	; wave barrier
	ds_load_b64 v[4:5], v17
	s_mov_b32 s31, s29
	v_dual_mov_b32 v2, 0 :: v_dual_mov_b32 v3, 0
	s_lshl_b64 s[20:21], s[30:31], 1
	s_delay_alu instid0(SALU_CYCLE_1)
	v_add_co_u32 v0, vcc_lo, v46, s20
	v_add_co_ci_u32_e32 v1, vcc_lo, s21, v47, vcc_lo
	s_and_saveexec_b32 s20, s12
	s_cbranch_execnz .LBB100_52
; %bb.43:                               ;   in Loop: Header=BB100_37 Depth=2
	s_or_b32 exec_lo, exec_lo, s20
	s_and_saveexec_b32 s20, s13
	s_cbranch_execnz .LBB100_53
.LBB100_44:                             ;   in Loop: Header=BB100_37 Depth=2
	s_or_b32 exec_lo, exec_lo, s20
	v_mov_b32_e32 v7, 0
	s_and_saveexec_b32 s20, s14
	s_cbranch_execnz .LBB100_54
.LBB100_45:                             ;   in Loop: Header=BB100_37 Depth=2
	s_or_b32 exec_lo, exec_lo, s20
	s_and_saveexec_b32 s20, s15
	s_cbranch_execz .LBB100_47
.LBB100_46:                             ;   in Loop: Header=BB100_37 Depth=2
	global_load_u16 v0, v[0:1], off offset:192
	s_waitcnt vmcnt(0)
	v_lshl_or_b32 v7, v0, 16, v7
.LBB100_47:                             ;   in Loop: Header=BB100_37 Depth=2
	s_or_b32 exec_lo, exec_lo, s20
	s_waitcnt vmcnt(0)
	ds_store_b16 v14, v3 offset:528
	ds_store_b16 v18, v2 offset:64
	ds_store_b16 v19, v7 offset:128
	ds_store_b16_d16_hi v20, v7 offset:192
	; wave barrier
	ds_load_b64 v[0:1], v17 offset:528
	s_and_not1_b32 vcc_lo, exec_lo, s25
	s_cbranch_vccnz .LBB100_55
; %bb.48:                               ;   in Loop: Header=BB100_37 Depth=2
	v_mov_b32_e32 v2, s67
	ds_load_b64 v[2:3], v2
	s_cbranch_execz .LBB100_56
	s_branch .LBB100_59
.LBB100_49:                             ;   in Loop: Header=BB100_37 Depth=2
	global_load_u16 v3, v[0:1], off
	s_or_b32 exec_lo, exec_lo, s20
	s_and_saveexec_b32 s20, s13
	s_cbranch_execz .LBB100_39
.LBB100_50:                             ;   in Loop: Header=BB100_37 Depth=2
	global_load_u16 v2, v[0:1], off offset:64
	s_or_b32 exec_lo, exec_lo, s20
	v_mov_b32_e32 v4, 0
	s_and_saveexec_b32 s20, s14
	s_cbranch_execz .LBB100_40
.LBB100_51:                             ;   in Loop: Header=BB100_37 Depth=2
	global_load_u16 v4, v[0:1], off offset:128
	s_or_b32 exec_lo, exec_lo, s20
	s_and_saveexec_b32 s20, s15
	s_cbranch_execnz .LBB100_41
	s_branch .LBB100_42
.LBB100_52:                             ;   in Loop: Header=BB100_37 Depth=2
	global_load_u16 v3, v[0:1], off
	s_or_b32 exec_lo, exec_lo, s20
	s_and_saveexec_b32 s20, s13
	s_cbranch_execz .LBB100_44
.LBB100_53:                             ;   in Loop: Header=BB100_37 Depth=2
	global_load_u16 v2, v[0:1], off offset:64
	s_or_b32 exec_lo, exec_lo, s20
	v_mov_b32_e32 v7, 0
	s_and_saveexec_b32 s20, s14
	s_cbranch_execz .LBB100_45
.LBB100_54:                             ;   in Loop: Header=BB100_37 Depth=2
	global_load_u16 v7, v[0:1], off offset:128
	s_or_b32 exec_lo, exec_lo, s20
	s_and_saveexec_b32 s20, s15
	s_cbranch_execnz .LBB100_46
	s_branch .LBB100_47
.LBB100_55:                             ;   in Loop: Header=BB100_37 Depth=2
                                        ; implicit-def: $vgpr2
.LBB100_56:                             ;   in Loop: Header=BB100_37 Depth=2
	s_waitcnt lgkmcnt(0)
	v_mov_b32_e32 v3, 0
	s_and_not1_b32 vcc_lo, exec_lo, s33
	s_cbranch_vccnz .LBB100_58
; %bb.57:                               ;   in Loop: Header=BB100_37 Depth=2
	s_mov_b32 s35, s29
	s_delay_alu instid0(SALU_CYCLE_1) | instskip(NEXT) | instid1(SALU_CYCLE_1)
	s_lshl_b64 s[20:21], s[34:35], 2
	s_add_u32 s20, s52, s20
	s_addc_u32 s21, s53, s21
	global_load_b32 v3, v12, s[20:21]
.LBB100_58:                             ;   in Loop: Header=BB100_37 Depth=2
	v_mov_b32_e32 v2, 1.0
.LBB100_59:                             ;   in Loop: Header=BB100_37 Depth=2
	s_waitcnt lgkmcnt(5)
	v_lshrrev_b32_e32 v7, 16, v4
	v_lshrrev_b32_e32 v51, 16, v5
	v_cvt_f32_f16_e32 v5, v5
	v_cvt_f32_f16_e32 v4, v4
	s_delay_alu instid0(VALU_DEP_4) | instskip(SKIP_2) | instid1(VALU_DEP_4)
	v_cvt_f32_f16_e32 v7, v7
	v_mul_f32_e32 v6, 0x3fb8aa3b, v6
	v_cvt_f32_f16_e32 v55, v51
	v_dual_mul_f32 v4, v50, v4 :: v_dual_mul_f32 v5, v48, v5
	s_delay_alu instid0(VALU_DEP_4) | instskip(NEXT) | instid1(VALU_DEP_4)
	v_mul_f32_e32 v7, v49, v7
	v_mul_f32_e32 v52, v6, v35
	s_delay_alu instid0(VALU_DEP_1) | instskip(SKIP_2) | instid1(VALU_DEP_2)
	v_cmp_gt_f32_e32 vcc_lo, 0xc2fc0000, v52
	v_cndmask_b32_e64 v52, 0, 0x42800000, vcc_lo
	v_cndmask_b32_e64 v57, 1.0, 0x1f800000, vcc_lo
	v_fmac_f32_e32 v52, v6, v35
	s_delay_alu instid0(VALU_DEP_1) | instskip(SKIP_2) | instid1(VALU_DEP_1)
	v_exp_f32_e32 v52, v52
	s_waitcnt_depctr 0xfff
	v_dual_mul_f32 v53, v6, v36 :: v_dual_mul_f32 v52, v52, v57
	v_cmp_gt_f32_e64 s20, 0xc2fc0000, v53
	v_mul_f32_e32 v53, v6, v42
	s_delay_alu instid0(VALU_DEP_2) | instskip(NEXT) | instid1(VALU_DEP_2)
	v_cndmask_b32_e64 v51, 0, 0x42800000, s20
	v_cmp_gt_f32_e64 s22, 0xc2fc0000, v53
	v_cndmask_b32_e64 v53, 0, v4, s16
	s_delay_alu instid0(VALU_DEP_2) | instskip(NEXT) | instid1(VALU_DEP_1)
	v_cndmask_b32_e64 v56, 0, 0x42800000, s22
	v_fmac_f32_e32 v56, v6, v42
	s_delay_alu instid0(VALU_DEP_1) | instskip(SKIP_3) | instid1(VALU_DEP_3)
	v_exp_f32_e32 v59, v56
	v_mul_f32_e32 v54, v6, v41
	v_cndmask_b32_e64 v56, 1.0, v52, s16
	v_cndmask_b32_e64 v52, 0, v5, s18
	v_cmp_gt_f32_e64 s21, 0xc2fc0000, v54
	s_delay_alu instid0(VALU_DEP_1) | instskip(NEXT) | instid1(VALU_DEP_1)
	v_cndmask_b32_e64 v54, 0, 0x42800000, s21
	v_fmac_f32_e32 v54, v6, v41
	s_delay_alu instid0(VALU_DEP_1)
	v_exp_f32_e32 v4, v54
	v_cndmask_b32_e64 v54, 1.0, 0x1f800000, s21
	v_fmac_f32_e32 v51, v6, v36
	v_cndmask_b32_e64 v6, 1.0, 0x1f800000, s20
	s_waitcnt_depctr 0xfff
	v_mul_f32_e32 v4, v4, v54
	v_exp_f32_e32 v51, v51
	s_delay_alu instid0(VALU_DEP_1)
	v_cndmask_b32_e64 v58, 1.0, v4, s18
	v_mul_f32_e32 v4, v43, v55
	s_waitcnt_depctr 0xfff
	v_mul_f32_e32 v6, v51, v6
	v_cndmask_b32_e64 v51, 0, v7, s17
	v_cndmask_b32_e64 v7, 1.0, 0x1f800000, s22
	v_cndmask_b32_e64 v54, 0, v4, s19
	s_delay_alu instid0(VALU_DEP_4) | instskip(NEXT) | instid1(VALU_DEP_1)
	v_cndmask_b32_e64 v57, 1.0, v6, s17
	v_dual_mul_f32 v5, v59, v7 :: v_dual_mul_f32 v6, v57, v56
	v_fma_f32 v7, v57, v53, v51
	s_delay_alu instid0(VALU_DEP_2) | instskip(NEXT) | instid1(VALU_DEP_3)
	v_cndmask_b32_e64 v55, 1.0, v5, s19
	v_mul_f32_e32 v4, v6, v58
	s_delay_alu instid0(VALU_DEP_3) | instskip(NEXT) | instid1(VALU_DEP_2)
	v_fma_f32 v5, v7, v58, v52
	v_mul_f32_e32 v4, v4, v55
	s_delay_alu instid0(VALU_DEP_2) | instskip(NEXT) | instid1(VALU_DEP_2)
	v_fma_f32 v5, v5, v55, v54
	v_mov_b32_dpp v7, v4 row_shr:1 row_mask:0xf bank_mask:0xf
	s_delay_alu instid0(VALU_DEP_2)
	v_mov_b32_dpp v6, v5 row_shr:1 row_mask:0xf bank_mask:0xf
	s_and_saveexec_b32 s20, s0
; %bb.60:                               ;   in Loop: Header=BB100_37 Depth=2
	s_delay_alu instid0(VALU_DEP_2) | instskip(NEXT) | instid1(VALU_DEP_1)
	v_mul_f32_e32 v7, v4, v7
	v_dual_fmac_f32 v5, v4, v6 :: v_dual_mov_b32 v4, v7
; %bb.61:                               ;   in Loop: Header=BB100_37 Depth=2
	s_or_b32 exec_lo, exec_lo, s20
	s_delay_alu instid0(VALU_DEP_1) | instskip(NEXT) | instid1(VALU_DEP_2)
	v_mov_b32_dpp v6, v4 row_shr:2 row_mask:0xf bank_mask:0xf
	v_mov_b32_dpp v7, v5 row_shr:2 row_mask:0xf bank_mask:0xf
	s_and_saveexec_b32 s20, s1
; %bb.62:                               ;   in Loop: Header=BB100_37 Depth=2
	s_delay_alu instid0(VALU_DEP_1) | instskip(NEXT) | instid1(VALU_DEP_3)
	v_fmac_f32_e32 v5, v4, v7
	v_mul_f32_e32 v4, v4, v6
; %bb.63:                               ;   in Loop: Header=BB100_37 Depth=2
	s_or_b32 exec_lo, exec_lo, s20
	s_delay_alu instid0(VALU_DEP_1) | instskip(NEXT) | instid1(VALU_DEP_3)
	v_mov_b32_dpp v6, v4 row_shr:4 row_mask:0xf bank_mask:0xf
	v_mov_b32_dpp v7, v5 row_shr:4 row_mask:0xf bank_mask:0xf
	s_and_saveexec_b32 s20, s2
; %bb.64:                               ;   in Loop: Header=BB100_37 Depth=2
	s_delay_alu instid0(VALU_DEP_1) | instskip(NEXT) | instid1(VALU_DEP_3)
	v_fmac_f32_e32 v5, v4, v7
	v_mul_f32_e32 v4, v4, v6
; %bb.65:                               ;   in Loop: Header=BB100_37 Depth=2
	s_or_b32 exec_lo, exec_lo, s20
	s_delay_alu instid0(VALU_DEP_1) | instskip(NEXT) | instid1(VALU_DEP_3)
	v_mov_b32_dpp v6, v4 row_shr:8 row_mask:0xf bank_mask:0xf
	v_mov_b32_dpp v7, v5 row_shr:8 row_mask:0xf bank_mask:0xf
	s_and_saveexec_b32 s20, s3
; %bb.66:                               ;   in Loop: Header=BB100_37 Depth=2
	s_delay_alu instid0(VALU_DEP_1) | instskip(NEXT) | instid1(VALU_DEP_3)
	v_fmac_f32_e32 v5, v4, v7
	v_mul_f32_e32 v4, v4, v6
; %bb.67:                               ;   in Loop: Header=BB100_37 Depth=2
	s_or_b32 exec_lo, exec_lo, s20
	ds_swizzle_b32 v7, v4 offset:swizzle(BROADCAST,32,15)
	ds_swizzle_b32 v6, v5 offset:swizzle(BROADCAST,32,15)
	s_and_saveexec_b32 s20, s4
	s_cbranch_execz .LBB100_69
; %bb.68:                               ;   in Loop: Header=BB100_37 Depth=2
	s_waitcnt lgkmcnt(1)
	v_mul_f32_e32 v7, v4, v7
	s_waitcnt lgkmcnt(0)
	s_delay_alu instid0(VALU_DEP_1)
	v_dual_fmac_f32 v5, v4, v6 :: v_dual_mov_b32 v4, v7
.LBB100_69:                             ;   in Loop: Header=BB100_37 Depth=2
	s_or_b32 exec_lo, exec_lo, s20
	s_and_saveexec_b32 s20, s5
	s_cbranch_execz .LBB100_71
; %bb.70:                               ;   in Loop: Header=BB100_37 Depth=2
	ds_store_b64 v21, v[4:5] offset:1056
.LBB100_71:                             ;   in Loop: Header=BB100_37 Depth=2
	s_or_b32 exec_lo, exec_lo, s20
	s_waitcnt vmcnt(0) lgkmcnt(0)
	s_waitcnt_vscnt null, 0x0
	s_barrier
	buffer_gl0_inv
	s_and_saveexec_b32 s20, s6
	s_cbranch_execz .LBB100_73
; %bb.72:                               ;   in Loop: Header=BB100_37 Depth=2
	ds_load_b64 v[6:7], v22 offset:1056
	s_waitcnt lgkmcnt(0)
	v_mov_b32_dpp v59, v6 row_shr:1 row_mask:0xf bank_mask:0xf
	v_mov_b32_dpp v60, v7 row_shr:1 row_mask:0xf bank_mask:0xf
	s_delay_alu instid0(VALU_DEP_2) | instskip(NEXT) | instid1(VALU_DEP_2)
	v_mul_f32_e32 v59, v6, v59
	v_fma_f32 v60, v6, v60, v7
	s_delay_alu instid0(VALU_DEP_2) | instskip(NEXT) | instid1(VALU_DEP_2)
	v_cndmask_b32_e64 v6, v59, v6, s7
	v_cndmask_b32_e64 v7, v60, v7, s7
	ds_store_b64 v22, v[6:7] offset:1056
.LBB100_73:                             ;   in Loop: Header=BB100_37 Depth=2
	s_or_b32 exec_lo, exec_lo, s20
	s_waitcnt lgkmcnt(0)
	s_barrier
	buffer_gl0_inv
                                        ; implicit-def: $vgpr7
	s_and_saveexec_b32 s20, s9
	s_cbranch_execz .LBB100_75
; %bb.74:                               ;   in Loop: Header=BB100_37 Depth=2
	ds_load_b64 v[6:7], v21 offset:1048
	s_waitcnt lgkmcnt(0)
	v_mul_f32_e32 v59, v4, v6
	s_delay_alu instid0(VALU_DEP_1)
	v_dual_fmac_f32 v5, v4, v7 :: v_dual_mov_b32 v4, v59
.LBB100_75:                             ;   in Loop: Header=BB100_37 Depth=2
	s_or_b32 exec_lo, exec_lo, s20
	ds_bpermute_b32 v59, v23, v4
	ds_bpermute_b32 v60, v23, v5
	s_and_saveexec_b32 s20, s8
	s_cbranch_execz .LBB100_79
; %bb.76:                               ;   in Loop: Header=BB100_37 Depth=2
	ds_load_b64 v[4:5], v12 offset:1064
	s_and_saveexec_b32 s21, s10
	s_cbranch_execz .LBB100_78
; %bb.77:                               ;   in Loop: Header=BB100_37 Depth=2
	ds_store_b64 v12, v[2:3] offset:1064
.LBB100_78:                             ;   in Loop: Header=BB100_37 Depth=2
	s_or_b32 exec_lo, exec_lo, s21
	s_waitcnt lgkmcnt(0)
	v_fmac_f32_e32 v5, v3, v4
	s_delay_alu instid0(VALU_DEP_1)
	v_dual_mul_f32 v2, v2, v4 :: v_dual_mov_b32 v3, v5
.LBB100_79:                             ;   in Loop: Header=BB100_37 Depth=2
	s_or_b32 exec_lo, exec_lo, s20
	s_waitcnt lgkmcnt(0)
	s_barrier
	buffer_gl0_inv
	ds_load_b32 v4, v12 offset:1068
	s_and_saveexec_b32 s20, s10
	s_cbranch_execz .LBB100_36
; %bb.80:                               ;   in Loop: Header=BB100_37 Depth=2
	v_mov_b32_e32 v5, s67
	s_and_not1_b32 vcc_lo, exec_lo, s57
	ds_store_b64 v5, v[2:3]
	s_cbranch_vccnz .LBB100_36
; %bb.81:                               ;   in Loop: Header=BB100_37 Depth=2
	s_mov_b32 s35, s29
	s_delay_alu instid0(SALU_CYCLE_1) | instskip(NEXT) | instid1(SALU_CYCLE_1)
	s_lshl_b64 s[68:69], s[34:35], 2
	s_add_u32 s68, s52, s68
	s_addc_u32 s69, s53, s69
	global_store_b32 v12, v3, s[68:69]
	s_branch .LBB100_36
.LBB100_82:                             ;   in Loop: Header=BB100_12 Depth=1
	v_cvt_f16_f32_e32 v0, v40
	s_delay_alu instid0(VALU_DEP_3) | instskip(NEXT) | instid1(VALU_DEP_3)
	v_cvt_f16_f32_e32 v1, v38
	v_cvt_f16_f32_e32 v2, v39
	;; [unrolled: 1-line block ×3, first 2 shown]
	s_waitcnt_vscnt null, 0x0
	s_barrier
	buffer_gl0_inv
	v_pack_b32_f16 v1, v1, v2
	v_pack_b32_f16 v0, v0, v3
	s_mov_b32 s25, s29
	s_delay_alu instid0(SALU_CYCLE_1)
	s_lshl_b64 s[20:21], s[24:25], 1
	ds_store_b64 v17, v[0:1]
	; wave barrier
	ds_load_u16 v4, v14 offset:64
	ds_load_u16 v3, v15 offset:128
	;; [unrolled: 1-line block ×3, first 2 shown]
	v_add_co_u32 v0, vcc_lo, v24, s20
	v_add_co_ci_u32_e32 v1, vcc_lo, s21, v25, vcc_lo
	s_and_saveexec_b32 s16, s12
	s_cbranch_execnz .LBB100_101
; %bb.83:                               ;   in Loop: Header=BB100_12 Depth=1
	s_or_b32 exec_lo, exec_lo, s16
	s_and_saveexec_b32 s16, s13
	s_cbranch_execnz .LBB100_102
.LBB100_84:                             ;   in Loop: Header=BB100_12 Depth=1
	s_or_b32 exec_lo, exec_lo, s16
	s_and_saveexec_b32 s16, s14
	s_cbranch_execnz .LBB100_103
.LBB100_85:                             ;   in Loop: Header=BB100_12 Depth=1
	s_or_b32 exec_lo, exec_lo, s16
	s_and_saveexec_b32 s16, s15
	s_cbranch_execz .LBB100_87
.LBB100_86:                             ;   in Loop: Header=BB100_12 Depth=1
	s_waitcnt lgkmcnt(0)
	global_store_b16 v[0:1], v2, off offset:192
.LBB100_87:                             ;   in Loop: Header=BB100_12 Depth=1
	s_or_b32 exec_lo, exec_lo, s16
	v_add_co_u32 v0, vcc_lo, v26, s20
	v_add_co_ci_u32_e32 v1, vcc_lo, s21, v27, vcc_lo
	s_waitcnt lgkmcnt(0)
	v_dual_mov_b32 v2, 0 :: v_dual_mov_b32 v3, 0
	s_waitcnt_vscnt null, 0x0
	s_barrier
	buffer_gl0_inv
	s_and_saveexec_b32 s16, s12
	s_cbranch_execz .LBB100_89
; %bb.88:                               ;   in Loop: Header=BB100_12 Depth=1
	global_load_u16 v3, v[0:1], off
.LBB100_89:                             ;   in Loop: Header=BB100_12 Depth=1
	s_or_b32 exec_lo, exec_lo, s16
	s_and_saveexec_b32 s16, s13
	s_cbranch_execz .LBB100_91
; %bb.90:                               ;   in Loop: Header=BB100_12 Depth=1
	global_load_u16 v2, v[0:1], off offset:64
.LBB100_91:                             ;   in Loop: Header=BB100_12 Depth=1
	s_or_b32 exec_lo, exec_lo, s16
	v_dual_mov_b32 v4, 0 :: v_dual_mov_b32 v5, 0
	s_and_saveexec_b32 s16, s14
	s_cbranch_execz .LBB100_93
; %bb.92:                               ;   in Loop: Header=BB100_12 Depth=1
	global_load_u16 v5, v[0:1], off offset:128
.LBB100_93:                             ;   in Loop: Header=BB100_12 Depth=1
	s_or_b32 exec_lo, exec_lo, s16
	s_and_saveexec_b32 s16, s15
	s_cbranch_execz .LBB100_95
; %bb.94:                               ;   in Loop: Header=BB100_12 Depth=1
	global_load_u16 v4, v[0:1], off offset:192
.LBB100_95:                             ;   in Loop: Header=BB100_12 Depth=1
	s_or_b32 exec_lo, exec_lo, s16
	s_waitcnt vmcnt(0)
	ds_store_b16 v14, v3
	ds_store_b16 v14, v2 offset:64
	ds_store_b16 v15, v5 offset:128
	ds_store_b16 v16, v4 offset:192
	; wave barrier
	ds_load_b64 v[0:1], v17
	s_waitcnt lgkmcnt(0)
	s_barrier
	buffer_gl0_inv
	v_cvt_f32_f16_e32 v3, v0
	v_lshrrev_b32_e32 v2, 16, v0
	v_cvt_f32_f16_e32 v5, v1
	v_lshrrev_b32_e32 v4, 16, v1
	s_delay_alu instid0(VALU_DEP_4) | instskip(NEXT) | instid1(VALU_DEP_4)
	v_mul_f32_e32 v6, 0xbfb8aa3b, v3
	v_cvt_f32_f16_e32 v2, v2
	s_delay_alu instid0(VALU_DEP_4) | instskip(NEXT) | instid1(VALU_DEP_4)
	v_mul_f32_e32 v7, 0xbfb8aa3b, v5
	v_cvt_f32_f16_e32 v4, v4
	v_cmp_nlt_f32_e32 vcc_lo, 0x42ce8ed0, v3
	v_rndne_f32_e32 v36, v6
	v_fma_mix_f32 v41, v0, s54, -v6 op_sel_hi:[1,0,0]
	s_delay_alu instid0(VALU_DEP_4)
	v_dual_mul_f32 v35, 0xbfb8aa3b, v2 :: v_dual_mul_f32 v42, 0xbfb8aa3b, v4
	v_rndne_f32_e32 v43, v7
	v_fma_mix_f32 v44, v1, s54, -v7 op_sel_hi:[1,0,0]
	v_sub_f32_e32 v6, v6, v36
	v_fma_mix_f32 v41, v0, s55, v41 op_sel_hi:[1,0,0]
	v_rndne_f32_e32 v45, v35
	v_sub_f32_e32 v7, v7, v43
	v_fma_mix_f32 v46, v0, s54, -v35 op_sel:[1,0,0] op_sel_hi:[1,0,0]
	v_fma_mix_f32 v44, v1, s55, v44 op_sel_hi:[1,0,0]
	v_add_f32_e32 v6, v6, v41
	v_rndne_f32_e32 v47, v42
	v_sub_f32_e32 v35, v35, v45
	v_fma_mix_f32 v0, v0, s55, v46 op_sel:[1,0,0] op_sel_hi:[1,0,0]
	v_add_f32_e32 v7, v7, v44
	v_exp_f32_e32 v6, v6
	v_sub_f32_e32 v41, v42, v47
	v_fma_mix_f32 v48, v1, s54, -v42 op_sel:[1,0,0] op_sel_hi:[1,0,0]
	v_add_f32_e32 v0, v35, v0
	v_exp_f32_e32 v7, v7
	v_cvt_i32_f32_e32 v35, v36
	v_cvt_i32_f32_e32 v36, v43
	v_fma_mix_f32 v1, v1, s55, v48 op_sel:[1,0,0] op_sel_hi:[1,0,0]
	v_exp_f32_e32 v0, v0
	s_delay_alu instid0(TRANS32_DEP_3) | instid1(VALU_DEP_3)
	v_ldexp_f32 v6, v6, v35
	v_cvt_i32_f32_e32 v35, v47
	s_delay_alu instid0(TRANS32_DEP_2) | instskip(NEXT) | instid1(VALU_DEP_3)
	v_ldexp_f32 v7, v7, v36
	v_cndmask_b32_e32 v6, 0, v6, vcc_lo
	v_cmp_nlt_f32_e32 vcc_lo, 0x42ce8ed0, v5
	s_delay_alu instid0(VALU_DEP_3) | instskip(SKIP_3) | instid1(VALU_DEP_1)
	v_cndmask_b32_e32 v7, 0, v7, vcc_lo
	v_cmp_nlt_f32_e32 vcc_lo, 0x42ce8ed0, v2
	v_add_f32_e32 v1, v41, v1
	v_cvt_i32_f32_e32 v41, v45
	v_ldexp_f32 v0, v0, v41
	s_delay_alu instid0(VALU_DEP_1) | instskip(NEXT) | instid1(VALU_DEP_4)
	v_cndmask_b32_e32 v0, 0, v0, vcc_lo
	v_exp_f32_e32 v1, v1
	v_cmp_nlt_f32_e32 vcc_lo, 0x42ce8ed0, v4
	s_waitcnt_depctr 0xfff
	v_ldexp_f32 v1, v1, v35
	s_delay_alu instid0(VALU_DEP_1) | instskip(SKIP_3) | instid1(VALU_DEP_2)
	v_cndmask_b32_e32 v1, 0, v1, vcc_lo
	v_cmp_ngt_f32_e32 vcc_lo, 0xc2b17218, v3
	v_cndmask_b32_e32 v6, 0x7f800000, v6, vcc_lo
	v_cmp_ngt_f32_e32 vcc_lo, 0xc2b17218, v5
	v_dual_add_f32 v6, 1.0, v6 :: v_dual_cndmask_b32 v7, 0x7f800000, v7
	v_cmp_ngt_f32_e32 vcc_lo, 0xc2b17218, v4
	s_delay_alu instid0(VALU_DEP_2) | instskip(SKIP_3) | instid1(VALU_DEP_4)
	v_div_scale_f32 v35, null, v6, v6, v3
	v_cndmask_b32_e32 v1, 0x7f800000, v1, vcc_lo
	v_cmp_ngt_f32_e32 vcc_lo, 0xc2b17218, v2
	v_add_f32_e32 v7, 1.0, v7
	v_rcp_f32_e32 v43, v35
	v_div_scale_f32 v47, s16, v3, v6, v3
	v_dual_cndmask_b32 v0, 0x7f800000, v0 :: v_dual_add_f32 v1, 1.0, v1
	s_delay_alu instid0(VALU_DEP_3) | instskip(SKIP_1) | instid1(VALU_DEP_3)
	v_div_scale_f32 v36, null, v7, v7, v5
	v_div_scale_f32 v48, s17, v5, v7, v5
	v_add_f32_e32 v0, 1.0, v0
	s_delay_alu instid0(VALU_DEP_3) | instskip(SKIP_1) | instid1(TRANS32_DEP_2)
	v_rcp_f32_e32 v44, v36
	v_div_scale_f32 v42, null, v1, v1, v4
	v_fma_f32 v50, -v35, v43, 1.0
	s_delay_alu instid0(VALU_DEP_3) | instskip(NEXT) | instid1(VALU_DEP_3)
	v_div_scale_f32 v41, null, v0, v0, v2
	v_rcp_f32_e32 v46, v42
	v_div_scale_f32 v49, vcc_lo, v2, v0, v2
	s_delay_alu instid0(VALU_DEP_2) | instskip(NEXT) | instid1(TRANS32_DEP_3)
	v_rcp_f32_e32 v45, v41
	v_fma_f32 v51, -v36, v44, 1.0
	v_div_scale_f32 v54, s18, v4, v1, v4
	s_delay_alu instid0(VALU_DEP_2) | instskip(SKIP_3) | instid1(VALU_DEP_1)
	v_dual_fmac_f32 v44, v51, v44 :: v_dual_fmac_f32 v43, v50, v43
	s_waitcnt_depctr 0xfff
	v_fma_f32 v53, -v42, v46, 1.0
	v_fma_f32 v52, -v41, v45, 1.0
	v_dual_fmac_f32 v46, v53, v46 :: v_dual_fmac_f32 v45, v52, v45
	v_mul_f32_e32 v52, v48, v44
	v_mul_f32_e32 v50, v47, v43
	s_delay_alu instid0(VALU_DEP_2) | instskip(NEXT) | instid1(VALU_DEP_2)
	v_fma_f32 v57, -v36, v52, v48
	v_fma_f32 v55, -v35, v50, v47
	v_mul_f32_e32 v51, v49, v45
	s_delay_alu instid0(VALU_DEP_3) | instskip(NEXT) | instid1(VALU_DEP_3)
	v_dual_mul_f32 v53, v54, v46 :: v_dual_fmac_f32 v52, v57, v44
	v_fmac_f32_e32 v50, v55, v43
	s_delay_alu instid0(VALU_DEP_3) | instskip(NEXT) | instid1(VALU_DEP_3)
	v_fma_f32 v56, -v41, v51, v49
	v_fma_f32 v58, -v42, v53, v54
	s_delay_alu instid0(VALU_DEP_4) | instskip(NEXT) | instid1(VALU_DEP_4)
	v_fma_f32 v36, -v36, v52, v48
	v_fma_f32 v35, -v35, v50, v47
	s_delay_alu instid0(VALU_DEP_4) | instskip(NEXT) | instid1(VALU_DEP_4)
	v_fmac_f32_e32 v51, v56, v45
	v_fmac_f32_e32 v53, v58, v46
	s_delay_alu instid0(VALU_DEP_2) | instskip(NEXT) | instid1(VALU_DEP_2)
	v_fma_f32 v41, -v41, v51, v49
	v_fma_f32 v42, -v42, v53, v54
	s_delay_alu instid0(VALU_DEP_2) | instskip(SKIP_3) | instid1(VALU_DEP_2)
	v_div_fmas_f32 v41, v41, v45, v51
	s_mov_b32 vcc_lo, s16
	v_div_fmas_f32 v35, v35, v43, v50
	s_mov_b32 vcc_lo, s18
	v_div_fixup_f32 v2, v41, v0, v2
	v_div_fmas_f32 v42, v42, v46, v53
	s_mov_b32 vcc_lo, s17
	v_div_fixup_f32 v3, v35, v6, v3
	v_div_fmas_f32 v36, v36, v44, v52
	s_delay_alu instid0(VALU_DEP_3) | instskip(NEXT) | instid1(VALU_DEP_3)
	v_div_fixup_f32 v4, v42, v1, v4
	v_fma_mixlo_f16 v0, v40, v3, 0
	s_delay_alu instid0(VALU_DEP_3) | instskip(NEXT) | instid1(VALU_DEP_2)
	v_div_fixup_f32 v5, v36, v7, v5
	v_fma_mixhi_f16 v0, v37, v2, 0
	s_delay_alu instid0(VALU_DEP_2) | instskip(NEXT) | instid1(VALU_DEP_1)
	v_fma_mixlo_f16 v1, v38, v5, 0
	v_fma_mixhi_f16 v1, v39, v4, 0
	ds_store_b64 v17, v[0:1]
	; wave barrier
	ds_load_u16 v4, v14 offset:64
	ds_load_u16 v3, v15 offset:128
	;; [unrolled: 1-line block ×3, first 2 shown]
	v_add_co_u32 v0, vcc_lo, v28, s20
	v_add_co_ci_u32_e32 v1, vcc_lo, s21, v29, vcc_lo
	s_and_saveexec_b32 s16, s12
	s_cbranch_execnz .LBB100_104
; %bb.96:                               ;   in Loop: Header=BB100_12 Depth=1
	s_or_b32 exec_lo, exec_lo, s16
	s_and_saveexec_b32 s12, s13
	s_cbranch_execnz .LBB100_105
.LBB100_97:                             ;   in Loop: Header=BB100_12 Depth=1
	s_or_b32 exec_lo, exec_lo, s12
	s_and_saveexec_b32 s12, s14
	s_cbranch_execnz .LBB100_106
.LBB100_98:                             ;   in Loop: Header=BB100_12 Depth=1
	s_or_b32 exec_lo, exec_lo, s12
	s_and_saveexec_b32 s12, s15
	s_cbranch_execz .LBB100_11
	s_branch .LBB100_107
.LBB100_99:                             ;   in Loop: Header=BB100_12 Depth=1
	global_load_u16 v6, v[2:3], off offset:64
	s_or_b32 exec_lo, exec_lo, s16
	s_and_saveexec_b32 s16, s14
	s_cbranch_execz .LBB100_24
.LBB100_100:                            ;   in Loop: Header=BB100_12 Depth=1
	global_load_u16 v5, v[2:3], off offset:128
	s_or_b32 exec_lo, exec_lo, s16
	v_mov_b32_e32 v7, 0
	s_and_saveexec_b32 s16, s15
	s_cbranch_execnz .LBB100_25
	s_branch .LBB100_26
.LBB100_101:                            ;   in Loop: Header=BB100_12 Depth=1
	ds_load_u16 v5, v14
	s_waitcnt lgkmcnt(0)
	global_store_b16 v[0:1], v5, off
	s_or_b32 exec_lo, exec_lo, s16
	s_and_saveexec_b32 s16, s13
	s_cbranch_execz .LBB100_84
.LBB100_102:                            ;   in Loop: Header=BB100_12 Depth=1
	s_waitcnt lgkmcnt(2)
	global_store_b16 v[0:1], v4, off offset:64
	s_or_b32 exec_lo, exec_lo, s16
	s_and_saveexec_b32 s16, s14
	s_cbranch_execz .LBB100_85
.LBB100_103:                            ;   in Loop: Header=BB100_12 Depth=1
	s_waitcnt lgkmcnt(1)
	global_store_b16 v[0:1], v3, off offset:128
	s_or_b32 exec_lo, exec_lo, s16
	s_and_saveexec_b32 s16, s15
	s_cbranch_execnz .LBB100_86
	s_branch .LBB100_87
.LBB100_104:                            ;   in Loop: Header=BB100_12 Depth=1
	ds_load_u16 v5, v14
	s_waitcnt lgkmcnt(0)
	global_store_b16 v[0:1], v5, off
	s_or_b32 exec_lo, exec_lo, s16
	s_and_saveexec_b32 s12, s13
	s_cbranch_execz .LBB100_97
.LBB100_105:                            ;   in Loop: Header=BB100_12 Depth=1
	s_waitcnt lgkmcnt(2)
	global_store_b16 v[0:1], v4, off offset:64
	s_or_b32 exec_lo, exec_lo, s12
	s_and_saveexec_b32 s12, s14
	s_cbranch_execz .LBB100_98
.LBB100_106:                            ;   in Loop: Header=BB100_12 Depth=1
	s_waitcnt lgkmcnt(1)
	global_store_b16 v[0:1], v3, off offset:128
	s_or_b32 exec_lo, exec_lo, s12
	s_and_saveexec_b32 s12, s15
	s_cbranch_execz .LBB100_11
.LBB100_107:                            ;   in Loop: Header=BB100_12 Depth=1
	s_waitcnt lgkmcnt(0)
	global_store_b16 v[0:1], v2, off offset:192
	s_branch .LBB100_11
.LBB100_108:
	s_nop 0
	s_sendmsg sendmsg(MSG_DEALLOC_VGPRS)
	s_endpgm
	.section	.rodata,"a",@progbits
	.p2align	6, 0x0
	.amdhsa_kernel _Z25selective_scan_fwd_kernelI32Selective_Scan_fwd_kernel_traitsILi64ELi4ELi1ELb0ELb1ELb1ELb1ELb1EN3c104HalfEffEEv13SSMParamsBase
		.amdhsa_group_segment_fixed_size 0
		.amdhsa_private_segment_fixed_size 0
		.amdhsa_kernarg_size 248
		.amdhsa_user_sgpr_count 14
		.amdhsa_user_sgpr_dispatch_ptr 0
		.amdhsa_user_sgpr_queue_ptr 0
		.amdhsa_user_sgpr_kernarg_segment_ptr 1
		.amdhsa_user_sgpr_dispatch_id 0
		.amdhsa_user_sgpr_private_segment_size 0
		.amdhsa_wavefront_size32 1
		.amdhsa_uses_dynamic_stack 0
		.amdhsa_enable_private_segment 0
		.amdhsa_system_sgpr_workgroup_id_x 1
		.amdhsa_system_sgpr_workgroup_id_y 1
		.amdhsa_system_sgpr_workgroup_id_z 0
		.amdhsa_system_sgpr_workgroup_info 0
		.amdhsa_system_vgpr_workitem_id 0
		.amdhsa_next_free_vgpr 61
		.amdhsa_next_free_sgpr 70
		.amdhsa_reserve_vcc 1
		.amdhsa_float_round_mode_32 0
		.amdhsa_float_round_mode_16_64 0
		.amdhsa_float_denorm_mode_32 3
		.amdhsa_float_denorm_mode_16_64 3
		.amdhsa_dx10_clamp 1
		.amdhsa_ieee_mode 1
		.amdhsa_fp16_overflow 0
		.amdhsa_workgroup_processor_mode 1
		.amdhsa_memory_ordered 1
		.amdhsa_forward_progress 0
		.amdhsa_shared_vgpr_count 0
		.amdhsa_exception_fp_ieee_invalid_op 0
		.amdhsa_exception_fp_denorm_src 0
		.amdhsa_exception_fp_ieee_div_zero 0
		.amdhsa_exception_fp_ieee_overflow 0
		.amdhsa_exception_fp_ieee_underflow 0
		.amdhsa_exception_fp_ieee_inexact 0
		.amdhsa_exception_int_div_zero 0
	.end_amdhsa_kernel
	.section	.text._Z25selective_scan_fwd_kernelI32Selective_Scan_fwd_kernel_traitsILi64ELi4ELi1ELb0ELb1ELb1ELb1ELb1EN3c104HalfEffEEv13SSMParamsBase,"axG",@progbits,_Z25selective_scan_fwd_kernelI32Selective_Scan_fwd_kernel_traitsILi64ELi4ELi1ELb0ELb1ELb1ELb1ELb1EN3c104HalfEffEEv13SSMParamsBase,comdat
.Lfunc_end100:
	.size	_Z25selective_scan_fwd_kernelI32Selective_Scan_fwd_kernel_traitsILi64ELi4ELi1ELb0ELb1ELb1ELb1ELb1EN3c104HalfEffEEv13SSMParamsBase, .Lfunc_end100-_Z25selective_scan_fwd_kernelI32Selective_Scan_fwd_kernel_traitsILi64ELi4ELi1ELb0ELb1ELb1ELb1ELb1EN3c104HalfEffEEv13SSMParamsBase
                                        ; -- End function
	.section	.AMDGPU.csdata,"",@progbits
; Kernel info:
; codeLenInByte = 8288
; NumSgprs: 72
; NumVgprs: 61
; ScratchSize: 0
; MemoryBound: 0
; FloatMode: 240
; IeeeMode: 1
; LDSByteSize: 0 bytes/workgroup (compile time only)
; SGPRBlocks: 8
; VGPRBlocks: 7
; NumSGPRsForWavesPerEU: 72
; NumVGPRsForWavesPerEU: 61
; Occupancy: 16
; WaveLimiterHint : 1
; COMPUTE_PGM_RSRC2:SCRATCH_EN: 0
; COMPUTE_PGM_RSRC2:USER_SGPR: 14
; COMPUTE_PGM_RSRC2:TRAP_HANDLER: 0
; COMPUTE_PGM_RSRC2:TGID_X_EN: 1
; COMPUTE_PGM_RSRC2:TGID_Y_EN: 1
; COMPUTE_PGM_RSRC2:TGID_Z_EN: 0
; COMPUTE_PGM_RSRC2:TIDIG_COMP_CNT: 0
	.section	.text._Z25selective_scan_fwd_kernelI32Selective_Scan_fwd_kernel_traitsILi64ELi4ELi1ELb0ELb1ELb1ELb1ELb0EN3c104HalfEffEEv13SSMParamsBase,"axG",@progbits,_Z25selective_scan_fwd_kernelI32Selective_Scan_fwd_kernel_traitsILi64ELi4ELi1ELb0ELb1ELb1ELb1ELb0EN3c104HalfEffEEv13SSMParamsBase,comdat
	.protected	_Z25selective_scan_fwd_kernelI32Selective_Scan_fwd_kernel_traitsILi64ELi4ELi1ELb0ELb1ELb1ELb1ELb0EN3c104HalfEffEEv13SSMParamsBase ; -- Begin function _Z25selective_scan_fwd_kernelI32Selective_Scan_fwd_kernel_traitsILi64ELi4ELi1ELb0ELb1ELb1ELb1ELb0EN3c104HalfEffEEv13SSMParamsBase
	.globl	_Z25selective_scan_fwd_kernelI32Selective_Scan_fwd_kernel_traitsILi64ELi4ELi1ELb0ELb1ELb1ELb1ELb0EN3c104HalfEffEEv13SSMParamsBase
	.p2align	8
	.type	_Z25selective_scan_fwd_kernelI32Selective_Scan_fwd_kernel_traitsILi64ELi4ELi1ELb0ELb1ELb1ELb1ELb0EN3c104HalfEffEEv13SSMParamsBase,@function
_Z25selective_scan_fwd_kernelI32Selective_Scan_fwd_kernel_traitsILi64ELi4ELi1ELb0ELb1ELb1ELb1ELb0EN3c104HalfEffEEv13SSMParamsBase: ; @_Z25selective_scan_fwd_kernelI32Selective_Scan_fwd_kernel_traitsILi64ELi4ELi1ELb0ELb1ELb1ELb1ELb0EN3c104HalfEffEEv13SSMParamsBase
; %bb.0:
	s_clause 0x1
	s_load_b32 s9, s[0:1], 0x18
	s_load_b128 s[4:7], s[0:1], 0xe8
	s_mov_b32 s12, s15
	s_mov_b32 s33, 0
	s_waitcnt lgkmcnt(0)
	s_abs_i32 s8, s9
	s_cmp_eq_u64 s[6:7], 0
	v_cvt_f32_u32_e32 v1, s8
	s_delay_alu instid0(VALU_DEP_1) | instskip(SKIP_2) | instid1(VALU_DEP_1)
	v_rcp_iflag_f32_e32 v1, v1
	s_waitcnt_depctr 0xfff
	v_mul_f32_e32 v1, 0x4f7ffffe, v1
	v_cvt_u32_f32_e32 v1, v1
	s_delay_alu instid0(VALU_DEP_1)
	v_readfirstlane_b32 s10, v1
	s_cbranch_scc1 .LBB101_2
; %bb.1:
	v_mov_b32_e32 v1, 0
	s_ashr_i32 s3, s14, 31
	s_add_u32 s2, s6, s14
	s_addc_u32 s3, s7, s3
	global_load_u8 v1, v1, s[2:3]
	s_waitcnt vmcnt(0)
	v_and_b32_e32 v1, 1, v1
	s_delay_alu instid0(VALU_DEP_1)
	v_cmp_eq_u32_e64 s33, 1, v1
.LBB101_2:
	s_load_b64 s[6:7], s[0:1], 0x20
	s_cmp_eq_u64 s[4:5], 0
	s_cbranch_scc1 .LBB101_4
; %bb.3:
	s_ashr_i32 s15, s14, 31
	s_delay_alu instid0(SALU_CYCLE_1) | instskip(NEXT) | instid1(SALU_CYCLE_1)
	s_lshl_b64 s[2:3], s[14:15], 2
	s_add_u32 s2, s4, s2
	s_addc_u32 s3, s5, s3
	s_load_b32 s2, s[2:3], 0x0
	s_waitcnt lgkmcnt(0)
	s_ashr_i32 s3, s2, 31
	s_delay_alu instid0(SALU_CYCLE_1)
	s_cmp_eq_u64 s[6:7], s[2:3]
	s_cbranch_scc0 .LBB101_5
	s_branch .LBB101_108
.LBB101_4:
	s_mov_b32 s2, s14
	s_delay_alu instid0(SALU_CYCLE_1)
	s_ashr_i32 s3, s2, 31
	s_waitcnt lgkmcnt(0)
	s_cmp_eq_u64 s[6:7], s[2:3]
	s_cbranch_scc1 .LBB101_108
.LBB101_5:
	s_clause 0x1
	s_load_b512 s[16:31], s[0:1], 0x88
	s_load_b64 s[34:35], s[0:1], 0x8
	s_mov_b32 s52, 0
	s_mov_b32 s53, 0
	s_waitcnt lgkmcnt(0)
	s_cmp_eq_u64 s[22:23], 0
	s_cbranch_scc1 .LBB101_7
; %bb.6:
	s_ashr_i32 s13, s12, 31
	s_delay_alu instid0(SALU_CYCLE_1) | instskip(NEXT) | instid1(SALU_CYCLE_1)
	s_lshl_b64 s[4:5], s[12:13], 2
	s_add_u32 s4, s22, s4
	s_addc_u32 s5, s23, s5
	s_load_b32 s53, s[4:5], 0x0
.LBB101_7:
	s_cmp_eq_u64 s[28:29], 0
	s_cbranch_scc1 .LBB101_9
; %bb.8:
	s_ashr_i32 s13, s12, 31
	s_delay_alu instid0(SALU_CYCLE_1) | instskip(NEXT) | instid1(SALU_CYCLE_1)
	s_lshl_b64 s[4:5], s[12:13], 2
	s_add_u32 s4, s28, s4
	s_addc_u32 s5, s29, s5
	s_load_b32 s52, s[4:5], 0x0
.LBB101_9:
	s_cmp_lt_i32 s34, 1
	s_cbranch_scc1 .LBB101_108
; %bb.10:
	s_sub_i32 s3, 0, s8
	s_load_b256 s[36:43], s[0:1], 0x4c
	s_mul_i32 s3, s3, s10
	s_abs_i32 s4, s12
	s_mul_hi_u32 s3, s10, s3
	s_ashr_i32 s6, s9, 31
	s_add_i32 s10, s10, s3
	s_ashr_i32 s3, s12, 31
	s_mul_hi_u32 s5, s4, s10
	s_xor_b32 s3, s3, s6
	s_mul_i32 s7, s5, s8
	s_add_i32 s6, s5, 1
	s_sub_i32 s4, s4, s7
	s_load_b256 s[44:51], s[0:1], 0x2c
	s_sub_i32 s7, s4, s8
	s_cmp_ge_u32 s4, s8
	s_mov_b32 s29, 0
	s_cselect_b32 s5, s6, s5
	s_cselect_b32 s4, s7, s4
	s_add_i32 s6, s5, 1
	s_cmp_ge_u32 s4, s8
	s_waitcnt lgkmcnt(0)
	s_mul_i32 s28, s38, s14
	s_cselect_b32 s6, s6, s5
	s_lshl_b64 s[4:5], s[28:29], 1
	s_xor_b32 s6, s6, s3
	s_mul_i32 s28, s39, s12
	s_sub_i32 s3, s6, s3
	s_add_u32 s6, s24, s4
	s_addc_u32 s7, s25, s5
	s_lshl_b64 s[4:5], s[28:29], 1
	s_mul_i32 s28, s40, s14
	s_add_u32 s47, s6, s4
	s_addc_u32 s40, s7, s5
	s_lshl_b64 s[4:5], s[28:29], 1
	s_mul_i32 s28, s41, s12
	;; [unrolled: 4-line block ×4, first 2 shown]
	s_add_u32 s51, s16, s4
	s_addc_u32 s46, s17, s5
	s_lshl_b64 s[4:5], s[28:29], 1
	s_clause 0x1
	s_load_b64 s[6:7], s[0:1], 0x7c
	s_load_b128 s[24:27], s[0:1], 0x6c
	v_lshlrev_b32_e32 v8, 2, v0
	s_add_u32 s8, s18, s4
	s_addc_u32 s9, s19, s5
	s_clause 0x1
	s_load_b128 s[16:19], s[0:1], 0xc8
	s_load_b64 s[22:23], s[0:1], 0xd8
	s_mul_i32 s28, s3, s49
	v_mbcnt_lo_u32_b32 v1, -1, 0
	v_and_b32_e32 v2, 0x80, v8
	v_dual_mov_b32 v12, 0 :: v_dual_and_b32 v3, 32, v0
	s_lshl_b64 s[4:5], s[28:29], 1
	s_mul_i32 s28, s50, s14
	s_add_u32 s49, s8, s4
	s_addc_u32 s50, s9, s5
	s_clause 0x1
	s_load_b32 s54, s[0:1], 0x84
	s_load_b32 s9, s[0:1], 0x28
	v_or_b32_e32 v9, v1, v2
	v_or_b32_e32 v4, v1, v3
	s_lshl_b64 s[4:5], s[28:29], 1
	s_mul_i32 s28, s3, s37
	s_add_u32 s8, s20, s4
	v_or_b32_e32 v11, 0x60, v9
	v_lshrrev_b32_e32 v14, 3, v4
	s_addc_u32 s3, s21, s5
	s_lshl_b64 s[4:5], s[28:29], 1
	s_waitcnt lgkmcnt(0)
	s_mul_i32 s28, s2, s6
	s_add_u32 s37, s8, s4
	s_addc_u32 s55, s3, s5
	s_lshl_b64 s[0:1], s[28:29], 2
	v_or_b32_e32 v10, 64, v9
	v_lshrrev_b32_e32 v7, 5, v11
	v_and_b32_e32 v16, 6, v14
	s_mul_i32 s28, s7, s12
	s_add_u32 s2, s16, s0
	s_addc_u32 s3, s17, s1
	s_lshl_b64 s[0:1], s[28:29], 2
	v_lshrrev_b32_e32 v5, 5, v2
	s_add_u32 s56, s2, s0
	v_lshrrev_b32_e32 v6, 5, v10
	v_and_b32_e32 v7, 6, v7
	v_lshl_add_u32 v4, v4, 2, v16
	s_addc_u32 s57, s3, s1
	s_add_i32 s0, s34, 0x7ff
	v_add_lshl_u32 v5, v5, v9, 1
	s_lshr_b32 s58, s0, 11
	s_bitcmp1_b32 s9, 0
	v_add_lshl_u32 v6, v6, v9, 1
	v_add_lshl_u32 v7, v7, v9, 1
	v_lshl_add_u32 v17, v4, 1, 0
	v_and_b32_e32 v4, 15, v1
	s_cselect_b32 s59, -1, 0
	s_cmp_gt_i32 s35, 0
	s_mul_i32 s28, s24, s14
	s_cselect_b32 s60, -1, 0
	s_add_i32 s0, 0, 0x210
	s_and_b32 s1, s34, 0xff
	v_add_nc_u32_e32 v18, s0, v5
	v_add_nc_u32_e32 v19, s0, v6
	s_cmp_eq_u32 s1, 0
	v_add_nc_u32_e32 v20, s0, v7
	v_cmp_ne_u32_e64 s0, 0, v4
	v_cmp_lt_u32_e64 s1, 1, v4
	v_cmp_lt_u32_e64 s2, 3, v4
	;; [unrolled: 1-line block ×3, first 2 shown]
	v_add_nc_u32_e32 v4, -1, v1
	s_cselect_b32 s61, -1, 0
	v_or_b32_e32 v3, 31, v3
	s_lshl_b64 s[16:17], s[28:29], 1
	s_add_i32 s62, s58, -1
	s_mul_i32 s28, s25, s12
	v_add_nc_u32_e32 v14, 0, v5
	v_lshrrev_b32_e32 v5, 2, v0
	v_cmp_gt_i32_e32 vcc_lo, 0, v4
	s_add_u32 s13, s30, s16
	s_addc_u32 s15, s31, s17
	s_lshl_b64 s[16:17], s[28:29], 1
	s_mul_i32 s28, s42, s14
	v_cndmask_b32_e32 v4, v4, v1, vcc_lo
	v_cmp_eq_u32_e64 s5, v3, v0
	v_and_b32_e32 v3, 1, v1
	v_cmp_gt_u32_e64 s6, 2, v0
	v_lshl_add_u32 v22, v0, 3, 0
	v_cmp_gt_u32_e64 s8, 32, v0
	v_cmp_lt_u32_e64 s9, 31, v0
	v_cmp_eq_u32_e64 s10, 0, v0
	s_add_u32 s13, s13, s16
	v_lshlrev_b32_e32 v0, 1, v1
	s_addc_u32 s15, s15, s17
	s_lshl_b64 s[16:17], s[28:29], 1
	v_and_b32_e32 v5, 8, v5
	s_mul_i32 s28, s43, s12
	s_add_u32 s18, s18, s16
	s_addc_u32 s19, s19, s17
	s_lshl_b64 s[16:17], s[28:29], 1
	v_cmp_eq_u32_e64 s7, 0, v3
	v_add_co_u32 v3, s13, s13, v0
	s_mul_i32 s28, s26, s14
	s_add_u32 s16, s18, s16
	v_add_nc_u32_e32 v21, 0, v5
	v_lshlrev_b32_e32 v23, 2, v4
	v_add_co_ci_u32_e64 v4, null, s15, 0, s13
	s_addc_u32 s17, s19, s17
	s_lshl_b64 s[14:15], s[28:29], 1
	v_lshlrev_b32_e32 v5, 1, v2
	s_mul_i32 s28, s27, s12
	s_add_u32 s14, s22, s14
	s_addc_u32 s15, s23, s15
	s_lshl_b64 s[12:13], s[28:29], 1
	v_add_nc_u32_e32 v15, 0, v6
	v_and_b32_e32 v6, 16, v1
	v_add_co_u32 v24, vcc_lo, v3, v5
	s_add_u32 s12, s14, s12
	v_add_co_u32 v3, s14, s16, v0
	v_add_co_ci_u32_e32 v25, vcc_lo, 0, v4, vcc_lo
	v_add_co_ci_u32_e64 v4, null, s17, 0, s14
	s_addc_u32 s13, s15, s13
	v_add_co_u32 v0, s12, s12, v0
	v_cmp_ne_u32_e64 s4, 0, v6
	v_add_co_ci_u32_e64 v6, null, s13, 0, s12
	v_add_co_u32 v26, vcc_lo, v3, v5
	v_add_co_ci_u32_e32 v27, vcc_lo, 0, v4, vcc_lo
	v_add_co_u32 v28, vcc_lo, v0, v5
	v_or_b32_e32 v13, 32, v9
	v_add_nc_u32_e32 v16, 0, v7
	v_cmp_eq_u32_e64 s11, 0, v1
	v_add_co_ci_u32_e32 v29, vcc_lo, 0, v6, vcc_lo
	v_or_b32_e32 v30, 1, v8
	v_or_b32_e32 v31, 2, v8
	;; [unrolled: 1-line block ×3, first 2 shown]
	v_lshlrev_b32_e32 v33, 1, v1
	v_lshlrev_b32_e32 v34, 1, v2
	s_mov_b32 s23, 0x3e9b6dac
	s_add_i32 s42, 0, 0x430
	s_mov_b32 s43, 0xbfb8aa3b
	s_mov_b32 s63, 0xb2a5705f
	;; [unrolled: 1-line block ×3, first 2 shown]
	s_branch .LBB101_12
.LBB101_11:                             ;   in Loop: Header=BB101_12 Depth=1
	s_or_b32 exec_lo, exec_lo, s12
	s_add_u32 s41, s41, 0x200
	s_addc_u32 s44, s44, 0
	s_add_u32 s47, s47, 0x200
	s_addc_u32 s40, s40, 0
	;; [unrolled: 2-line block ×4, first 2 shown]
	s_add_i32 s64, s64, 1
	s_delay_alu instid0(SALU_CYCLE_1)
	s_cmp_lg_u32 s64, s58
	s_cbranch_scc0 .LBB101_108
.LBB101_12:                             ; =>This Loop Header: Depth=1
                                        ;     Child Loop BB101_37 Depth 2
	v_add_co_u32 v0, s12, s47, v33
	s_delay_alu instid0(VALU_DEP_1) | instskip(SKIP_1) | instid1(VALU_DEP_2)
	v_add_co_ci_u32_e64 v1, null, s40, 0, s12
	s_lshl_b32 s24, s64, 8
	v_add_co_u32 v0, vcc_lo, v0, v34
	s_sub_i32 s19, s34, s24
	s_delay_alu instid0(VALU_DEP_2)
	v_add_co_ci_u32_e32 v1, vcc_lo, 0, v1, vcc_lo
	v_cmp_gt_u32_e64 s12, s19, v9
	s_waitcnt lgkmcnt(0)
	v_mov_b32_e32 v2, 0
	s_waitcnt_vscnt null, 0x0
	s_barrier
	buffer_gl0_inv
	s_and_saveexec_b32 s13, s12
	s_cbranch_execz .LBB101_14
; %bb.13:                               ;   in Loop: Header=BB101_12 Depth=1
	global_load_u16 v2, v[0:1], off
.LBB101_14:                             ;   in Loop: Header=BB101_12 Depth=1
	s_or_b32 exec_lo, exec_lo, s13
	v_cmp_gt_u32_e64 s13, s19, v13
	v_mov_b32_e32 v3, 0
	v_mov_b32_e32 v5, 0
	s_delay_alu instid0(VALU_DEP_3)
	s_and_saveexec_b32 s14, s13
	s_cbranch_execz .LBB101_16
; %bb.15:                               ;   in Loop: Header=BB101_12 Depth=1
	global_load_u16 v5, v[0:1], off offset:64
.LBB101_16:                             ;   in Loop: Header=BB101_12 Depth=1
	s_or_b32 exec_lo, exec_lo, s14
	v_cmp_gt_u32_e64 s14, s19, v10
	s_delay_alu instid0(VALU_DEP_1)
	s_and_saveexec_b32 s15, s14
	s_cbranch_execz .LBB101_18
; %bb.17:                               ;   in Loop: Header=BB101_12 Depth=1
	global_load_u16 v3, v[0:1], off offset:128
.LBB101_18:                             ;   in Loop: Header=BB101_12 Depth=1
	s_or_b32 exec_lo, exec_lo, s15
	v_cmp_gt_u32_e64 s15, s19, v11
	v_mov_b32_e32 v4, 0
	v_mov_b32_e32 v6, 0
	s_delay_alu instid0(VALU_DEP_3)
	s_and_saveexec_b32 s16, s15
	s_cbranch_execz .LBB101_20
; %bb.19:                               ;   in Loop: Header=BB101_12 Depth=1
	global_load_u16 v6, v[0:1], off offset:192
.LBB101_20:                             ;   in Loop: Header=BB101_12 Depth=1
	s_or_b32 exec_lo, exec_lo, s16
	s_waitcnt vmcnt(0)
	ds_store_b16 v14, v2
	ds_store_b16 v14, v5 offset:64
	ds_store_b16 v15, v3 offset:128
	;; [unrolled: 1-line block ×3, first 2 shown]
	; wave barrier
	ds_load_b64 v[0:1], v17
	v_add_co_u32 v2, s16, s41, v33
	s_delay_alu instid0(VALU_DEP_1) | instskip(SKIP_1) | instid1(VALU_DEP_2)
	v_add_co_ci_u32_e64 v3, null, s44, 0, s16
	s_waitcnt lgkmcnt(0)
	v_add_co_u32 v2, vcc_lo, v2, v34
	s_delay_alu instid0(VALU_DEP_2)
	v_add_co_ci_u32_e32 v3, vcc_lo, 0, v3, vcc_lo
	s_barrier
	buffer_gl0_inv
	s_and_saveexec_b32 s16, s12
	s_cbranch_execz .LBB101_22
; %bb.21:                               ;   in Loop: Header=BB101_12 Depth=1
	global_load_u16 v4, v[2:3], off
.LBB101_22:                             ;   in Loop: Header=BB101_12 Depth=1
	s_or_b32 exec_lo, exec_lo, s16
	v_dual_mov_b32 v5, 0 :: v_dual_mov_b32 v6, 0
	s_and_saveexec_b32 s16, s13
	s_cbranch_execnz .LBB101_99
; %bb.23:                               ;   in Loop: Header=BB101_12 Depth=1
	s_or_b32 exec_lo, exec_lo, s16
	s_and_saveexec_b32 s16, s14
	s_cbranch_execnz .LBB101_100
.LBB101_24:                             ;   in Loop: Header=BB101_12 Depth=1
	s_or_b32 exec_lo, exec_lo, s16
	v_mov_b32_e32 v7, 0
	s_and_saveexec_b32 s16, s15
	s_cbranch_execz .LBB101_26
.LBB101_25:                             ;   in Loop: Header=BB101_12 Depth=1
	global_load_u16 v7, v[2:3], off offset:192
.LBB101_26:                             ;   in Loop: Header=BB101_12 Depth=1
	s_or_b32 exec_lo, exec_lo, s16
	s_waitcnt vmcnt(0)
	ds_store_b16 v14, v4
	ds_store_b16 v14, v6 offset:64
	ds_store_b16 v15, v5 offset:128
	;; [unrolled: 1-line block ×3, first 2 shown]
	; wave barrier
	ds_load_b64 v[2:3], v17
	s_waitcnt lgkmcnt(0)
	v_cvt_f32_f16_e32 v4, v2
	s_delay_alu instid0(VALU_DEP_1) | instskip(NEXT) | instid1(VALU_DEP_1)
	v_add_f32_e32 v35, s52, v4
	v_cmp_ge_f32_e32 vcc_lo, 0x41a00000, v35
	s_and_b32 s16, s59, vcc_lo
	s_delay_alu instid0(SALU_CYCLE_1)
	s_and_saveexec_b32 s17, s16
	s_cbranch_execz .LBB101_28
; %bb.27:                               ;   in Loop: Header=BB101_12 Depth=1
	v_mul_f32_e32 v4, 0x3fb8aa3b, v35
	v_cmp_ngt_f32_e32 vcc_lo, 0xc2ce8ed0, v35
	s_delay_alu instid0(VALU_DEP_2) | instskip(SKIP_1) | instid1(VALU_DEP_2)
	v_rndne_f32_e32 v5, v4
	v_fma_f32 v6, 0x3fb8aa3b, v35, -v4
	v_sub_f32_e32 v4, v4, v5
	s_delay_alu instid0(VALU_DEP_2) | instskip(SKIP_1) | instid1(VALU_DEP_2)
	v_fmac_f32_e32 v6, 0x32a5705f, v35
	v_cvt_i32_f32_e32 v5, v5
	v_add_f32_e32 v4, v4, v6
	s_delay_alu instid0(VALU_DEP_1) | instskip(SKIP_2) | instid1(VALU_DEP_1)
	v_exp_f32_e32 v4, v4
	s_waitcnt_depctr 0xfff
	v_ldexp_f32 v4, v4, v5
	v_cndmask_b32_e32 v4, 0, v4, vcc_lo
	v_cmp_nlt_f32_e32 vcc_lo, 0x42b17218, v35
	s_delay_alu instid0(VALU_DEP_2) | instskip(NEXT) | instid1(VALU_DEP_1)
	v_cndmask_b32_e32 v6, 0x7f800000, v4, vcc_lo
	v_add_f32_e32 v7, 1.0, v6
	s_delay_alu instid0(VALU_DEP_1) | instskip(NEXT) | instid1(VALU_DEP_1)
	v_cvt_f64_f32_e32 v[4:5], v7
	v_frexp_exp_i32_f64_e32 v4, v[4:5]
	v_frexp_mant_f32_e32 v5, v7
	s_delay_alu instid0(VALU_DEP_1) | instskip(SKIP_1) | instid1(VALU_DEP_1)
	v_cmp_gt_f32_e32 vcc_lo, 0x3f2aaaab, v5
	v_add_f32_e32 v5, -1.0, v7
	v_dual_sub_f32 v36, v5, v7 :: v_dual_sub_f32 v5, v6, v5
	s_delay_alu instid0(VALU_DEP_1) | instskip(NEXT) | instid1(VALU_DEP_1)
	v_add_f32_e32 v36, 1.0, v36
	v_add_f32_e32 v5, v5, v36
	v_subrev_co_ci_u32_e32 v4, vcc_lo, 0, v4, vcc_lo
	s_delay_alu instid0(VALU_DEP_1) | instskip(SKIP_1) | instid1(VALU_DEP_2)
	v_sub_nc_u32_e32 v35, 0, v4
	v_cvt_f32_i32_e32 v4, v4
	v_ldexp_f32 v7, v7, v35
	v_ldexp_f32 v5, v5, v35
	s_delay_alu instid0(VALU_DEP_2) | instskip(SKIP_3) | instid1(VALU_DEP_4)
	v_add_f32_e32 v37, 1.0, v7
	v_add_f32_e32 v35, -1.0, v7
	v_cmp_eq_f32_e32 vcc_lo, 0x7f800000, v6
	v_cmp_gt_f32_e64 s16, 0x33800000, v6
	v_add_f32_e32 v36, -1.0, v37
	s_delay_alu instid0(VALU_DEP_4) | instskip(NEXT) | instid1(VALU_DEP_3)
	v_add_f32_e32 v38, 1.0, v35
	s_or_b32 vcc_lo, s16, vcc_lo
	s_delay_alu instid0(VALU_DEP_2) | instskip(NEXT) | instid1(VALU_DEP_1)
	v_sub_f32_e32 v36, v7, v36
	v_dual_sub_f32 v7, v7, v38 :: v_dual_add_f32 v36, v5, v36
	s_delay_alu instid0(VALU_DEP_1) | instskip(NEXT) | instid1(VALU_DEP_1)
	v_add_f32_e32 v5, v5, v7
	v_dual_add_f32 v39, v35, v5 :: v_dual_add_f32 v38, v37, v36
	s_delay_alu instid0(VALU_DEP_1) | instskip(NEXT) | instid1(VALU_DEP_2)
	v_sub_f32_e32 v35, v35, v39
	v_rcp_f32_e32 v7, v38
	v_sub_f32_e32 v37, v37, v38
	s_delay_alu instid0(VALU_DEP_1) | instskip(SKIP_2) | instid1(VALU_DEP_1)
	v_dual_add_f32 v5, v5, v35 :: v_dual_add_f32 v36, v36, v37
	s_waitcnt_depctr 0xfff
	v_mul_f32_e32 v40, v39, v7
	v_mul_f32_e32 v41, v38, v40
	s_delay_alu instid0(VALU_DEP_1) | instskip(NEXT) | instid1(VALU_DEP_1)
	v_fma_f32 v37, v40, v38, -v41
	v_fmac_f32_e32 v37, v40, v36
	s_delay_alu instid0(VALU_DEP_1) | instskip(NEXT) | instid1(VALU_DEP_1)
	v_add_f32_e32 v42, v41, v37
	v_sub_f32_e32 v43, v39, v42
	s_delay_alu instid0(VALU_DEP_1) | instskip(SKIP_1) | instid1(VALU_DEP_2)
	v_sub_f32_e32 v39, v39, v43
	v_sub_f32_e32 v35, v42, v41
	;; [unrolled: 1-line block ×3, first 2 shown]
	s_delay_alu instid0(VALU_DEP_2) | instskip(NEXT) | instid1(VALU_DEP_2)
	v_sub_f32_e32 v35, v35, v37
	v_add_f32_e32 v5, v5, v39
	s_delay_alu instid0(VALU_DEP_1) | instskip(NEXT) | instid1(VALU_DEP_1)
	v_add_f32_e32 v5, v35, v5
	v_add_f32_e32 v35, v43, v5
	s_delay_alu instid0(VALU_DEP_1) | instskip(NEXT) | instid1(VALU_DEP_1)
	v_mul_f32_e32 v37, v7, v35
	v_dual_sub_f32 v42, v43, v35 :: v_dual_mul_f32 v39, v38, v37
	s_delay_alu instid0(VALU_DEP_1) | instskip(NEXT) | instid1(VALU_DEP_2)
	v_add_f32_e32 v5, v5, v42
	v_fma_f32 v38, v37, v38, -v39
	s_delay_alu instid0(VALU_DEP_1) | instskip(NEXT) | instid1(VALU_DEP_1)
	v_fmac_f32_e32 v38, v37, v36
	v_add_f32_e32 v36, v39, v38
	s_delay_alu instid0(VALU_DEP_1) | instskip(SKIP_1) | instid1(VALU_DEP_2)
	v_sub_f32_e32 v41, v35, v36
	v_sub_f32_e32 v39, v36, v39
	;; [unrolled: 1-line block ×3, first 2 shown]
	s_delay_alu instid0(VALU_DEP_1) | instskip(NEXT) | instid1(VALU_DEP_1)
	v_sub_f32_e32 v35, v35, v36
	v_dual_sub_f32 v36, v39, v38 :: v_dual_add_f32 v5, v5, v35
	v_add_f32_e32 v35, v40, v37
	s_delay_alu instid0(VALU_DEP_1) | instskip(NEXT) | instid1(VALU_DEP_1)
	v_dual_add_f32 v5, v36, v5 :: v_dual_sub_f32 v36, v35, v40
	v_add_f32_e32 v5, v41, v5
	s_delay_alu instid0(VALU_DEP_1) | instskip(NEXT) | instid1(VALU_DEP_1)
	v_dual_sub_f32 v36, v37, v36 :: v_dual_mul_f32 v5, v7, v5
	v_add_f32_e32 v5, v36, v5
	s_delay_alu instid0(VALU_DEP_1) | instskip(NEXT) | instid1(VALU_DEP_1)
	v_add_f32_e32 v7, v35, v5
	v_mul_f32_e32 v36, v7, v7
	s_delay_alu instid0(VALU_DEP_1) | instskip(SKIP_1) | instid1(VALU_DEP_2)
	v_fmaak_f32 v37, s23, v36, 0x3ecc95a3
	v_mul_f32_e32 v38, v7, v36
	v_fmaak_f32 v36, v36, v37, 0x3f2aaada
	v_ldexp_f32 v37, v7, 1
	s_delay_alu instid0(VALU_DEP_2) | instskip(NEXT) | instid1(VALU_DEP_1)
	v_dual_sub_f32 v7, v7, v35 :: v_dual_mul_f32 v36, v38, v36
	v_dual_mul_f32 v38, 0x3f317218, v4 :: v_dual_sub_f32 v5, v5, v7
	s_delay_alu instid0(VALU_DEP_2) | instskip(NEXT) | instid1(VALU_DEP_2)
	v_add_f32_e32 v35, v37, v36
	v_ldexp_f32 v5, v5, 1
	s_delay_alu instid0(VALU_DEP_2) | instskip(NEXT) | instid1(VALU_DEP_4)
	v_sub_f32_e32 v7, v35, v37
	v_fma_f32 v37, 0x3f317218, v4, -v38
	s_delay_alu instid0(VALU_DEP_2) | instskip(NEXT) | instid1(VALU_DEP_1)
	v_sub_f32_e32 v7, v36, v7
	v_dual_fmac_f32 v37, 0xb102e308, v4 :: v_dual_add_f32 v4, v5, v7
	s_delay_alu instid0(VALU_DEP_1) | instskip(NEXT) | instid1(VALU_DEP_1)
	v_add_f32_e32 v5, v38, v37
	v_dual_add_f32 v7, v35, v4 :: v_dual_sub_f32 v38, v5, v38
	s_delay_alu instid0(VALU_DEP_1) | instskip(SKIP_1) | instid1(VALU_DEP_3)
	v_add_f32_e32 v36, v5, v7
	v_sub_f32_e32 v35, v7, v35
	v_sub_f32_e32 v37, v37, v38
	s_delay_alu instid0(VALU_DEP_3) | instskip(NEXT) | instid1(VALU_DEP_3)
	v_sub_f32_e32 v39, v36, v5
	v_sub_f32_e32 v4, v4, v35
	s_delay_alu instid0(VALU_DEP_2) | instskip(SKIP_1) | instid1(VALU_DEP_3)
	v_sub_f32_e32 v40, v36, v39
	v_sub_f32_e32 v7, v7, v39
	v_add_f32_e32 v35, v37, v4
	s_delay_alu instid0(VALU_DEP_3) | instskip(NEXT) | instid1(VALU_DEP_1)
	v_sub_f32_e32 v5, v5, v40
	v_add_f32_e32 v5, v7, v5
	s_delay_alu instid0(VALU_DEP_3) | instskip(NEXT) | instid1(VALU_DEP_1)
	v_sub_f32_e32 v7, v35, v37
	v_dual_add_f32 v5, v35, v5 :: v_dual_sub_f32 v4, v4, v7
	s_delay_alu instid0(VALU_DEP_1) | instskip(NEXT) | instid1(VALU_DEP_1)
	v_dual_sub_f32 v35, v35, v7 :: v_dual_add_f32 v38, v36, v5
	v_sub_f32_e32 v35, v37, v35
	s_delay_alu instid0(VALU_DEP_1) | instskip(NEXT) | instid1(VALU_DEP_1)
	v_dual_sub_f32 v7, v38, v36 :: v_dual_add_f32 v4, v4, v35
	v_sub_f32_e32 v5, v5, v7
	s_delay_alu instid0(VALU_DEP_1) | instskip(NEXT) | instid1(VALU_DEP_1)
	v_add_f32_e32 v4, v4, v5
	v_add_f32_e32 v4, v38, v4
	s_delay_alu instid0(VALU_DEP_1)
	v_cndmask_b32_e32 v35, v4, v6, vcc_lo
.LBB101_28:                             ;   in Loop: Header=BB101_12 Depth=1
	s_or_b32 exec_lo, exec_lo, s17
	v_lshrrev_b32_e32 v2, 16, v2
	s_delay_alu instid0(VALU_DEP_1) | instskip(NEXT) | instid1(VALU_DEP_1)
	v_cvt_f32_f16_e32 v2, v2
	v_add_f32_e32 v36, s52, v2
	s_delay_alu instid0(VALU_DEP_1) | instskip(SKIP_1) | instid1(SALU_CYCLE_1)
	v_cmp_ge_f32_e32 vcc_lo, 0x41a00000, v36
	s_and_b32 s16, s59, vcc_lo
	s_and_saveexec_b32 s17, s16
	s_cbranch_execz .LBB101_30
; %bb.29:                               ;   in Loop: Header=BB101_12 Depth=1
	v_mul_f32_e32 v2, 0x3fb8aa3b, v36
	v_cmp_ngt_f32_e32 vcc_lo, 0xc2ce8ed0, v36
	s_delay_alu instid0(VALU_DEP_2) | instskip(SKIP_1) | instid1(VALU_DEP_2)
	v_rndne_f32_e32 v4, v2
	v_fma_f32 v5, 0x3fb8aa3b, v36, -v2
	v_sub_f32_e32 v2, v2, v4
	s_delay_alu instid0(VALU_DEP_2) | instskip(SKIP_1) | instid1(VALU_DEP_2)
	v_fmac_f32_e32 v5, 0x32a5705f, v36
	v_cvt_i32_f32_e32 v4, v4
	v_add_f32_e32 v2, v2, v5
	s_delay_alu instid0(VALU_DEP_1) | instskip(SKIP_2) | instid1(VALU_DEP_1)
	v_exp_f32_e32 v2, v2
	s_waitcnt_depctr 0xfff
	v_ldexp_f32 v2, v2, v4
	v_cndmask_b32_e32 v2, 0, v2, vcc_lo
	v_cmp_nlt_f32_e32 vcc_lo, 0x42b17218, v36
	s_delay_alu instid0(VALU_DEP_2) | instskip(NEXT) | instid1(VALU_DEP_1)
	v_cndmask_b32_e32 v2, 0x7f800000, v2, vcc_lo
	v_add_f32_e32 v6, 1.0, v2
	s_delay_alu instid0(VALU_DEP_1) | instskip(NEXT) | instid1(VALU_DEP_1)
	v_cvt_f64_f32_e32 v[4:5], v6
	v_frexp_exp_i32_f64_e32 v4, v[4:5]
	v_frexp_mant_f32_e32 v5, v6
	s_delay_alu instid0(VALU_DEP_1) | instskip(SKIP_1) | instid1(VALU_DEP_1)
	v_cmp_gt_f32_e32 vcc_lo, 0x3f2aaaab, v5
	v_add_f32_e32 v5, -1.0, v6
	v_dual_sub_f32 v36, v5, v6 :: v_dual_sub_f32 v5, v2, v5
	v_subrev_co_ci_u32_e32 v4, vcc_lo, 0, v4, vcc_lo
	s_delay_alu instid0(VALU_DEP_1) | instskip(SKIP_1) | instid1(VALU_DEP_2)
	v_sub_nc_u32_e32 v7, 0, v4
	v_cvt_f32_i32_e32 v4, v4
	v_ldexp_f32 v6, v6, v7
	s_delay_alu instid0(VALU_DEP_1) | instskip(NEXT) | instid1(VALU_DEP_1)
	v_dual_add_f32 v36, 1.0, v36 :: v_dual_add_f32 v37, 1.0, v6
	v_add_f32_e32 v5, v5, v36
	s_delay_alu instid0(VALU_DEP_1) | instskip(NEXT) | instid1(VALU_DEP_3)
	v_ldexp_f32 v5, v5, v7
	v_dual_add_f32 v7, -1.0, v6 :: v_dual_add_f32 v36, -1.0, v37
	s_delay_alu instid0(VALU_DEP_1) | instskip(NEXT) | instid1(VALU_DEP_2)
	v_add_f32_e32 v38, 1.0, v7
	v_sub_f32_e32 v36, v6, v36
	s_delay_alu instid0(VALU_DEP_2) | instskip(NEXT) | instid1(VALU_DEP_2)
	v_sub_f32_e32 v6, v6, v38
	v_add_f32_e32 v36, v5, v36
	s_delay_alu instid0(VALU_DEP_2) | instskip(NEXT) | instid1(VALU_DEP_1)
	v_add_f32_e32 v5, v5, v6
	v_dual_add_f32 v39, v7, v5 :: v_dual_add_f32 v38, v37, v36
	v_cmp_eq_f32_e32 vcc_lo, 0x7f800000, v2
	v_cmp_gt_f32_e64 s16, 0x33800000, v2
	s_delay_alu instid0(VALU_DEP_3) | instskip(NEXT) | instid1(VALU_DEP_4)
	v_sub_f32_e32 v7, v7, v39
	v_rcp_f32_e32 v6, v38
	v_sub_f32_e32 v37, v37, v38
	s_delay_alu instid0(VALU_DEP_3) | instskip(NEXT) | instid1(VALU_DEP_1)
	s_or_b32 vcc_lo, s16, vcc_lo
	v_dual_add_f32 v5, v5, v7 :: v_dual_add_f32 v36, v36, v37
	s_waitcnt_depctr 0xfff
	v_mul_f32_e32 v40, v39, v6
	s_delay_alu instid0(VALU_DEP_1) | instskip(NEXT) | instid1(VALU_DEP_1)
	v_mul_f32_e32 v41, v38, v40
	v_fma_f32 v37, v40, v38, -v41
	s_delay_alu instid0(VALU_DEP_1) | instskip(NEXT) | instid1(VALU_DEP_1)
	v_fmac_f32_e32 v37, v40, v36
	v_add_f32_e32 v42, v41, v37
	s_delay_alu instid0(VALU_DEP_1) | instskip(NEXT) | instid1(VALU_DEP_1)
	v_sub_f32_e32 v43, v39, v42
	v_sub_f32_e32 v39, v39, v43
	s_delay_alu instid0(VALU_DEP_1) | instskip(SKIP_1) | instid1(VALU_DEP_2)
	v_sub_f32_e32 v39, v39, v42
	v_sub_f32_e32 v7, v42, v41
	v_add_f32_e32 v5, v5, v39
	s_delay_alu instid0(VALU_DEP_2) | instskip(NEXT) | instid1(VALU_DEP_1)
	v_sub_f32_e32 v7, v7, v37
	v_add_f32_e32 v5, v7, v5
	s_delay_alu instid0(VALU_DEP_1) | instskip(NEXT) | instid1(VALU_DEP_1)
	v_add_f32_e32 v7, v43, v5
	v_mul_f32_e32 v37, v6, v7
	s_delay_alu instid0(VALU_DEP_1) | instskip(NEXT) | instid1(VALU_DEP_1)
	v_dual_sub_f32 v42, v43, v7 :: v_dual_mul_f32 v39, v38, v37
	v_add_f32_e32 v5, v5, v42
	s_delay_alu instid0(VALU_DEP_2) | instskip(NEXT) | instid1(VALU_DEP_1)
	v_fma_f32 v38, v37, v38, -v39
	v_fmac_f32_e32 v38, v37, v36
	s_delay_alu instid0(VALU_DEP_1) | instskip(NEXT) | instid1(VALU_DEP_1)
	v_add_f32_e32 v36, v39, v38
	v_sub_f32_e32 v41, v7, v36
	s_delay_alu instid0(VALU_DEP_1) | instskip(NEXT) | instid1(VALU_DEP_1)
	v_sub_f32_e32 v7, v7, v41
	v_sub_f32_e32 v7, v7, v36
	s_delay_alu instid0(VALU_DEP_1) | instskip(SKIP_2) | instid1(VALU_DEP_1)
	v_add_f32_e32 v5, v5, v7
	v_add_f32_e32 v7, v40, v37
	v_sub_f32_e32 v39, v36, v39
	v_sub_f32_e32 v36, v39, v38
	s_delay_alu instid0(VALU_DEP_1) | instskip(NEXT) | instid1(VALU_DEP_1)
	v_dual_add_f32 v5, v36, v5 :: v_dual_sub_f32 v36, v7, v40
	v_add_f32_e32 v5, v41, v5
	s_delay_alu instid0(VALU_DEP_1) | instskip(NEXT) | instid1(VALU_DEP_1)
	v_dual_sub_f32 v36, v37, v36 :: v_dual_mul_f32 v5, v6, v5
	v_add_f32_e32 v5, v36, v5
	s_delay_alu instid0(VALU_DEP_1) | instskip(NEXT) | instid1(VALU_DEP_1)
	v_add_f32_e32 v6, v7, v5
	v_mul_f32_e32 v36, v6, v6
	s_delay_alu instid0(VALU_DEP_1) | instskip(SKIP_1) | instid1(VALU_DEP_2)
	v_fmaak_f32 v37, s23, v36, 0x3ecc95a3
	v_mul_f32_e32 v38, v6, v36
	v_fmaak_f32 v36, v36, v37, 0x3f2aaada
	v_ldexp_f32 v37, v6, 1
	v_sub_f32_e32 v6, v6, v7
	s_delay_alu instid0(VALU_DEP_3) | instskip(SKIP_1) | instid1(VALU_DEP_2)
	v_mul_f32_e32 v36, v38, v36
	v_mul_f32_e32 v38, 0x3f317218, v4
	v_add_f32_e32 v7, v37, v36
	s_delay_alu instid0(VALU_DEP_1) | instskip(NEXT) | instid1(VALU_DEP_3)
	v_dual_sub_f32 v5, v5, v6 :: v_dual_sub_f32 v6, v7, v37
	v_fma_f32 v37, 0x3f317218, v4, -v38
	s_delay_alu instid0(VALU_DEP_2) | instskip(NEXT) | instid1(VALU_DEP_2)
	v_ldexp_f32 v5, v5, 1
	v_dual_sub_f32 v6, v36, v6 :: v_dual_fmac_f32 v37, 0xb102e308, v4
	s_delay_alu instid0(VALU_DEP_1) | instskip(NEXT) | instid1(VALU_DEP_1)
	v_dual_add_f32 v4, v5, v6 :: v_dual_add_f32 v5, v38, v37
	v_add_f32_e32 v6, v7, v4
	s_delay_alu instid0(VALU_DEP_1) | instskip(NEXT) | instid1(VALU_DEP_1)
	v_add_f32_e32 v36, v5, v6
	v_sub_f32_e32 v39, v36, v5
	s_delay_alu instid0(VALU_DEP_1) | instskip(SKIP_2) | instid1(VALU_DEP_2)
	v_sub_f32_e32 v40, v36, v39
	v_sub_f32_e32 v7, v6, v7
	;; [unrolled: 1-line block ×5, first 2 shown]
	s_delay_alu instid0(VALU_DEP_1) | instskip(NEXT) | instid1(VALU_DEP_1)
	v_sub_f32_e32 v37, v37, v38
	v_add_f32_e32 v7, v37, v4
	v_sub_f32_e32 v5, v5, v40
	s_delay_alu instid0(VALU_DEP_1) | instskip(NEXT) | instid1(VALU_DEP_3)
	v_add_f32_e32 v5, v6, v5
	v_sub_f32_e32 v6, v7, v37
	s_delay_alu instid0(VALU_DEP_1) | instskip(NEXT) | instid1(VALU_DEP_1)
	v_dual_sub_f32 v4, v4, v6 :: v_dual_add_f32 v5, v7, v5
	v_dual_sub_f32 v7, v7, v6 :: v_dual_add_f32 v38, v36, v5
	s_delay_alu instid0(VALU_DEP_1) | instskip(NEXT) | instid1(VALU_DEP_1)
	v_dual_sub_f32 v7, v37, v7 :: v_dual_sub_f32 v6, v38, v36
	v_dual_add_f32 v4, v4, v7 :: v_dual_sub_f32 v5, v5, v6
	s_delay_alu instid0(VALU_DEP_1) | instskip(NEXT) | instid1(VALU_DEP_1)
	v_add_f32_e32 v4, v4, v5
	v_add_f32_e32 v4, v38, v4
	s_delay_alu instid0(VALU_DEP_1)
	v_cndmask_b32_e32 v36, v4, v2, vcc_lo
.LBB101_30:                             ;   in Loop: Header=BB101_12 Depth=1
	s_or_b32 exec_lo, exec_lo, s17
	v_cvt_f32_f16_e32 v2, v3
	s_delay_alu instid0(VALU_DEP_1) | instskip(NEXT) | instid1(VALU_DEP_1)
	v_add_f32_e32 v41, s52, v2
	v_cmp_ge_f32_e32 vcc_lo, 0x41a00000, v41
	s_and_b32 s16, s59, vcc_lo
	s_delay_alu instid0(SALU_CYCLE_1)
	s_and_saveexec_b32 s17, s16
	s_cbranch_execz .LBB101_32
; %bb.31:                               ;   in Loop: Header=BB101_12 Depth=1
	v_mul_f32_e32 v2, 0x3fb8aa3b, v41
	v_cmp_ngt_f32_e32 vcc_lo, 0xc2ce8ed0, v41
	s_delay_alu instid0(VALU_DEP_2) | instskip(SKIP_1) | instid1(VALU_DEP_1)
	v_rndne_f32_e32 v4, v2
	v_fma_f32 v5, 0x3fb8aa3b, v41, -v2
	v_dual_sub_f32 v2, v2, v4 :: v_dual_fmac_f32 v5, 0x32a5705f, v41
	v_cvt_i32_f32_e32 v4, v4
	s_delay_alu instid0(VALU_DEP_2) | instskip(NEXT) | instid1(VALU_DEP_1)
	v_add_f32_e32 v2, v2, v5
	v_exp_f32_e32 v2, v2
	s_waitcnt_depctr 0xfff
	v_ldexp_f32 v2, v2, v4
	s_delay_alu instid0(VALU_DEP_1) | instskip(SKIP_1) | instid1(VALU_DEP_2)
	v_cndmask_b32_e32 v2, 0, v2, vcc_lo
	v_cmp_nlt_f32_e32 vcc_lo, 0x42b17218, v41
	v_cndmask_b32_e32 v2, 0x7f800000, v2, vcc_lo
	s_delay_alu instid0(VALU_DEP_1) | instskip(NEXT) | instid1(VALU_DEP_1)
	v_add_f32_e32 v6, 1.0, v2
	v_cvt_f64_f32_e32 v[4:5], v6
	s_delay_alu instid0(VALU_DEP_1) | instskip(SKIP_1) | instid1(VALU_DEP_1)
	v_frexp_exp_i32_f64_e32 v4, v[4:5]
	v_frexp_mant_f32_e32 v5, v6
	v_cmp_gt_f32_e32 vcc_lo, 0x3f2aaaab, v5
	v_add_f32_e32 v5, -1.0, v6
	s_delay_alu instid0(VALU_DEP_1) | instskip(SKIP_1) | instid1(VALU_DEP_2)
	v_sub_f32_e32 v37, v5, v6
	v_sub_f32_e32 v5, v2, v5
	v_add_f32_e32 v37, 1.0, v37
	s_delay_alu instid0(VALU_DEP_1) | instskip(SKIP_3) | instid1(VALU_DEP_2)
	v_add_f32_e32 v5, v5, v37
	v_cmp_gt_f32_e64 s16, 0x33800000, v2
	v_subrev_co_ci_u32_e32 v4, vcc_lo, 0, v4, vcc_lo
	v_cmp_eq_f32_e32 vcc_lo, 0x7f800000, v2
	v_sub_nc_u32_e32 v7, 0, v4
	v_cvt_f32_i32_e32 v4, v4
	s_or_b32 vcc_lo, s16, vcc_lo
	s_delay_alu instid0(VALU_DEP_2) | instskip(SKIP_1) | instid1(VALU_DEP_2)
	v_ldexp_f32 v6, v6, v7
	v_ldexp_f32 v5, v5, v7
	v_add_f32_e32 v38, 1.0, v6
	v_add_f32_e32 v7, -1.0, v6
	s_delay_alu instid0(VALU_DEP_1) | instskip(NEXT) | instid1(VALU_DEP_3)
	v_add_f32_e32 v39, 1.0, v7
	v_add_f32_e32 v37, -1.0, v38
	s_delay_alu instid0(VALU_DEP_1) | instskip(NEXT) | instid1(VALU_DEP_1)
	v_sub_f32_e32 v37, v6, v37
	v_dual_sub_f32 v6, v6, v39 :: v_dual_add_f32 v37, v5, v37
	s_delay_alu instid0(VALU_DEP_1) | instskip(NEXT) | instid1(VALU_DEP_2)
	v_add_f32_e32 v39, v38, v37
	v_add_f32_e32 v5, v5, v6
	s_delay_alu instid0(VALU_DEP_2) | instskip(SKIP_1) | instid1(VALU_DEP_1)
	v_rcp_f32_e32 v6, v39
	v_sub_f32_e32 v38, v38, v39
	v_dual_add_f32 v40, v7, v5 :: v_dual_add_f32 v37, v37, v38
	s_delay_alu instid0(VALU_DEP_1) | instskip(SKIP_2) | instid1(VALU_DEP_1)
	v_sub_f32_e32 v7, v7, v40
	s_waitcnt_depctr 0xfff
	v_mul_f32_e32 v41, v40, v6
	v_mul_f32_e32 v42, v39, v41
	s_delay_alu instid0(VALU_DEP_1) | instskip(NEXT) | instid1(VALU_DEP_1)
	v_fma_f32 v38, v41, v39, -v42
	v_fmac_f32_e32 v38, v41, v37
	s_delay_alu instid0(VALU_DEP_1) | instskip(NEXT) | instid1(VALU_DEP_1)
	v_add_f32_e32 v43, v42, v38
	v_sub_f32_e32 v44, v40, v43
	s_delay_alu instid0(VALU_DEP_1) | instskip(NEXT) | instid1(VALU_DEP_1)
	v_dual_sub_f32 v40, v40, v44 :: v_dual_add_f32 v5, v5, v7
	v_dual_sub_f32 v7, v43, v42 :: v_dual_sub_f32 v40, v40, v43
	s_delay_alu instid0(VALU_DEP_1) | instskip(NEXT) | instid1(VALU_DEP_2)
	v_sub_f32_e32 v7, v7, v38
	v_add_f32_e32 v5, v5, v40
	s_delay_alu instid0(VALU_DEP_1) | instskip(NEXT) | instid1(VALU_DEP_1)
	v_add_f32_e32 v5, v7, v5
	v_add_f32_e32 v7, v44, v5
	s_delay_alu instid0(VALU_DEP_1) | instskip(NEXT) | instid1(VALU_DEP_1)
	v_mul_f32_e32 v38, v6, v7
	v_dual_sub_f32 v43, v44, v7 :: v_dual_mul_f32 v40, v39, v38
	s_delay_alu instid0(VALU_DEP_1) | instskip(NEXT) | instid1(VALU_DEP_2)
	v_add_f32_e32 v5, v5, v43
	v_fma_f32 v39, v38, v39, -v40
	s_delay_alu instid0(VALU_DEP_1) | instskip(NEXT) | instid1(VALU_DEP_1)
	v_fmac_f32_e32 v39, v38, v37
	v_add_f32_e32 v37, v40, v39
	s_delay_alu instid0(VALU_DEP_1) | instskip(NEXT) | instid1(VALU_DEP_1)
	v_sub_f32_e32 v42, v7, v37
	v_dual_sub_f32 v40, v37, v40 :: v_dual_sub_f32 v7, v7, v42
	s_delay_alu instid0(VALU_DEP_1) | instskip(NEXT) | instid1(VALU_DEP_2)
	v_sub_f32_e32 v7, v7, v37
	v_sub_f32_e32 v37, v40, v39
	s_delay_alu instid0(VALU_DEP_2) | instskip(SKIP_1) | instid1(VALU_DEP_2)
	v_add_f32_e32 v5, v5, v7
	v_add_f32_e32 v7, v41, v38
	;; [unrolled: 1-line block ×3, first 2 shown]
	s_delay_alu instid0(VALU_DEP_2) | instskip(NEXT) | instid1(VALU_DEP_2)
	v_sub_f32_e32 v37, v7, v41
	v_add_f32_e32 v5, v42, v5
	s_delay_alu instid0(VALU_DEP_2) | instskip(NEXT) | instid1(VALU_DEP_2)
	v_sub_f32_e32 v37, v38, v37
	v_mul_f32_e32 v5, v6, v5
	s_delay_alu instid0(VALU_DEP_1) | instskip(NEXT) | instid1(VALU_DEP_1)
	v_add_f32_e32 v5, v37, v5
	v_add_f32_e32 v6, v7, v5
	s_delay_alu instid0(VALU_DEP_1) | instskip(NEXT) | instid1(VALU_DEP_1)
	v_mul_f32_e32 v37, v6, v6
	v_fmaak_f32 v38, s23, v37, 0x3ecc95a3
	v_mul_f32_e32 v39, v6, v37
	s_delay_alu instid0(VALU_DEP_2) | instskip(SKIP_1) | instid1(VALU_DEP_2)
	v_fmaak_f32 v37, v37, v38, 0x3f2aaada
	v_ldexp_f32 v38, v6, 1
	v_dual_sub_f32 v6, v6, v7 :: v_dual_mul_f32 v37, v39, v37
	v_mul_f32_e32 v39, 0x3f317218, v4
	s_delay_alu instid0(VALU_DEP_2) | instskip(NEXT) | instid1(VALU_DEP_3)
	v_sub_f32_e32 v5, v5, v6
	v_add_f32_e32 v7, v38, v37
	s_delay_alu instid0(VALU_DEP_2) | instskip(NEXT) | instid1(VALU_DEP_2)
	v_ldexp_f32 v5, v5, 1
	v_sub_f32_e32 v6, v7, v38
	v_fma_f32 v38, 0x3f317218, v4, -v39
	s_delay_alu instid0(VALU_DEP_2) | instskip(NEXT) | instid1(VALU_DEP_2)
	v_sub_f32_e32 v6, v37, v6
	v_fmac_f32_e32 v38, 0xb102e308, v4
	s_delay_alu instid0(VALU_DEP_2) | instskip(NEXT) | instid1(VALU_DEP_2)
	v_add_f32_e32 v4, v5, v6
	v_add_f32_e32 v5, v39, v38
	s_delay_alu instid0(VALU_DEP_1) | instskip(NEXT) | instid1(VALU_DEP_1)
	v_dual_add_f32 v6, v7, v4 :: v_dual_sub_f32 v39, v5, v39
	v_add_f32_e32 v37, v5, v6
	v_sub_f32_e32 v7, v6, v7
	s_delay_alu instid0(VALU_DEP_3) | instskip(NEXT) | instid1(VALU_DEP_3)
	v_sub_f32_e32 v38, v38, v39
	v_sub_f32_e32 v40, v37, v5
	s_delay_alu instid0(VALU_DEP_1) | instskip(SKIP_1) | instid1(VALU_DEP_2)
	v_dual_sub_f32 v4, v4, v7 :: v_dual_sub_f32 v41, v37, v40
	v_sub_f32_e32 v6, v6, v40
	v_add_f32_e32 v7, v38, v4
	s_delay_alu instid0(VALU_DEP_3) | instskip(NEXT) | instid1(VALU_DEP_1)
	v_sub_f32_e32 v5, v5, v41
	v_dual_add_f32 v5, v6, v5 :: v_dual_sub_f32 v6, v7, v38
	s_delay_alu instid0(VALU_DEP_1) | instskip(NEXT) | instid1(VALU_DEP_2)
	v_add_f32_e32 v5, v7, v5
	v_sub_f32_e32 v7, v7, v6
	s_delay_alu instid0(VALU_DEP_2) | instskip(NEXT) | instid1(VALU_DEP_1)
	v_dual_sub_f32 v4, v4, v6 :: v_dual_add_f32 v39, v37, v5
	v_dual_sub_f32 v7, v38, v7 :: v_dual_sub_f32 v6, v39, v37
	s_delay_alu instid0(VALU_DEP_1) | instskip(NEXT) | instid1(VALU_DEP_1)
	v_dual_add_f32 v4, v4, v7 :: v_dual_sub_f32 v5, v5, v6
	v_add_f32_e32 v4, v4, v5
	s_delay_alu instid0(VALU_DEP_1) | instskip(NEXT) | instid1(VALU_DEP_1)
	v_add_f32_e32 v4, v39, v4
	v_cndmask_b32_e32 v41, v4, v2, vcc_lo
.LBB101_32:                             ;   in Loop: Header=BB101_12 Depth=1
	s_or_b32 exec_lo, exec_lo, s17
	v_lshrrev_b32_e32 v2, 16, v3
	s_delay_alu instid0(VALU_DEP_1) | instskip(NEXT) | instid1(VALU_DEP_1)
	v_cvt_f32_f16_e32 v2, v2
	v_add_f32_e32 v42, s52, v2
	s_delay_alu instid0(VALU_DEP_1) | instskip(SKIP_1) | instid1(SALU_CYCLE_1)
	v_cmp_ge_f32_e32 vcc_lo, 0x41a00000, v42
	s_and_b32 s16, s59, vcc_lo
	s_and_saveexec_b32 s17, s16
	s_cbranch_execz .LBB101_34
; %bb.33:                               ;   in Loop: Header=BB101_12 Depth=1
	v_mul_f32_e32 v2, 0x3fb8aa3b, v42
	v_cmp_ngt_f32_e32 vcc_lo, 0xc2ce8ed0, v42
	s_delay_alu instid0(VALU_DEP_2) | instskip(SKIP_1) | instid1(VALU_DEP_2)
	v_rndne_f32_e32 v3, v2
	v_fma_f32 v4, 0x3fb8aa3b, v42, -v2
	v_sub_f32_e32 v2, v2, v3
	s_delay_alu instid0(VALU_DEP_2) | instskip(SKIP_1) | instid1(VALU_DEP_2)
	v_fmac_f32_e32 v4, 0x32a5705f, v42
	v_cvt_i32_f32_e32 v3, v3
	v_add_f32_e32 v2, v2, v4
	s_delay_alu instid0(VALU_DEP_1) | instskip(SKIP_2) | instid1(VALU_DEP_1)
	v_exp_f32_e32 v2, v2
	s_waitcnt_depctr 0xfff
	v_ldexp_f32 v2, v2, v3
	v_cndmask_b32_e32 v2, 0, v2, vcc_lo
	v_cmp_nlt_f32_e32 vcc_lo, 0x42b17218, v42
	s_delay_alu instid0(VALU_DEP_2) | instskip(NEXT) | instid1(VALU_DEP_1)
	v_cndmask_b32_e32 v4, 0x7f800000, v2, vcc_lo
	v_add_f32_e32 v5, 1.0, v4
	s_delay_alu instid0(VALU_DEP_1) | instskip(NEXT) | instid1(VALU_DEP_1)
	v_cvt_f64_f32_e32 v[2:3], v5
	v_frexp_exp_i32_f64_e32 v2, v[2:3]
	v_frexp_mant_f32_e32 v3, v5
	s_delay_alu instid0(VALU_DEP_1) | instskip(SKIP_1) | instid1(VALU_DEP_1)
	v_cmp_gt_f32_e32 vcc_lo, 0x3f2aaaab, v3
	v_add_f32_e32 v3, -1.0, v5
	v_sub_f32_e32 v7, v3, v5
	s_delay_alu instid0(VALU_DEP_1) | instskip(SKIP_1) | instid1(VALU_DEP_1)
	v_add_f32_e32 v7, 1.0, v7
	v_subrev_co_ci_u32_e32 v2, vcc_lo, 0, v2, vcc_lo
	v_sub_nc_u32_e32 v6, 0, v2
	v_cvt_f32_i32_e32 v2, v2
	s_delay_alu instid0(VALU_DEP_2) | instskip(NEXT) | instid1(VALU_DEP_1)
	v_ldexp_f32 v5, v5, v6
	v_add_f32_e32 v37, 1.0, v5
	v_sub_f32_e32 v3, v4, v3
	v_cmp_eq_f32_e32 vcc_lo, 0x7f800000, v4
	v_cmp_gt_f32_e64 s16, 0x33800000, v4
	s_delay_alu instid0(VALU_DEP_3) | instskip(NEXT) | instid1(VALU_DEP_2)
	v_add_f32_e32 v3, v3, v7
	s_or_b32 vcc_lo, s16, vcc_lo
	s_delay_alu instid0(VALU_DEP_1) | instskip(SKIP_1) | instid1(VALU_DEP_1)
	v_ldexp_f32 v3, v3, v6
	v_add_f32_e32 v6, -1.0, v5
	v_dual_add_f32 v7, -1.0, v37 :: v_dual_add_f32 v38, 1.0, v6
	s_delay_alu instid0(VALU_DEP_1) | instskip(NEXT) | instid1(VALU_DEP_2)
	v_sub_f32_e32 v7, v5, v7
	v_sub_f32_e32 v5, v5, v38
	s_delay_alu instid0(VALU_DEP_2) | instskip(NEXT) | instid1(VALU_DEP_1)
	v_add_f32_e32 v7, v3, v7
	v_dual_add_f32 v3, v3, v5 :: v_dual_add_f32 v38, v37, v7
	s_delay_alu instid0(VALU_DEP_1) | instskip(NEXT) | instid1(VALU_DEP_2)
	v_add_f32_e32 v39, v6, v3
	v_rcp_f32_e32 v5, v38
	s_delay_alu instid0(VALU_DEP_1) | instskip(NEXT) | instid1(VALU_DEP_1)
	v_dual_sub_f32 v37, v37, v38 :: v_dual_sub_f32 v6, v6, v39
	v_add_f32_e32 v3, v3, v6
	s_waitcnt_depctr 0xfff
	v_mul_f32_e32 v40, v39, v5
	s_delay_alu instid0(VALU_DEP_1) | instskip(NEXT) | instid1(VALU_DEP_1)
	v_dual_mul_f32 v42, v38, v40 :: v_dual_add_f32 v7, v7, v37
	v_fma_f32 v37, v40, v38, -v42
	s_delay_alu instid0(VALU_DEP_1) | instskip(NEXT) | instid1(VALU_DEP_1)
	v_fmac_f32_e32 v37, v40, v7
	v_add_f32_e32 v43, v42, v37
	s_delay_alu instid0(VALU_DEP_1) | instskip(SKIP_1) | instid1(VALU_DEP_1)
	v_sub_f32_e32 v6, v43, v42
	v_sub_f32_e32 v44, v39, v43
	v_dual_sub_f32 v6, v6, v37 :: v_dual_sub_f32 v39, v39, v44
	s_delay_alu instid0(VALU_DEP_1) | instskip(NEXT) | instid1(VALU_DEP_1)
	v_sub_f32_e32 v39, v39, v43
	v_add_f32_e32 v3, v3, v39
	s_delay_alu instid0(VALU_DEP_1) | instskip(NEXT) | instid1(VALU_DEP_1)
	v_add_f32_e32 v3, v6, v3
	v_add_f32_e32 v6, v44, v3
	s_delay_alu instid0(VALU_DEP_1) | instskip(SKIP_1) | instid1(VALU_DEP_2)
	v_mul_f32_e32 v37, v5, v6
	v_sub_f32_e32 v43, v44, v6
	v_mul_f32_e32 v39, v38, v37
	s_delay_alu instid0(VALU_DEP_2) | instskip(NEXT) | instid1(VALU_DEP_2)
	v_add_f32_e32 v3, v3, v43
	v_fma_f32 v38, v37, v38, -v39
	s_delay_alu instid0(VALU_DEP_1) | instskip(NEXT) | instid1(VALU_DEP_1)
	v_fmac_f32_e32 v38, v37, v7
	v_add_f32_e32 v7, v39, v38
	s_delay_alu instid0(VALU_DEP_1) | instskip(NEXT) | instid1(VALU_DEP_1)
	v_sub_f32_e32 v42, v6, v7
	v_dual_sub_f32 v39, v7, v39 :: v_dual_sub_f32 v6, v6, v42
	s_delay_alu instid0(VALU_DEP_1) | instskip(NEXT) | instid1(VALU_DEP_1)
	v_dual_sub_f32 v6, v6, v7 :: v_dual_sub_f32 v7, v39, v38
	v_dual_add_f32 v3, v3, v6 :: v_dual_add_f32 v6, v40, v37
	s_delay_alu instid0(VALU_DEP_1) | instskip(NEXT) | instid1(VALU_DEP_2)
	v_add_f32_e32 v3, v7, v3
	v_sub_f32_e32 v7, v6, v40
	s_delay_alu instid0(VALU_DEP_2) | instskip(NEXT) | instid1(VALU_DEP_2)
	v_add_f32_e32 v3, v42, v3
	v_sub_f32_e32 v7, v37, v7
	s_delay_alu instid0(VALU_DEP_2) | instskip(NEXT) | instid1(VALU_DEP_1)
	v_mul_f32_e32 v3, v5, v3
	v_add_f32_e32 v3, v7, v3
	s_delay_alu instid0(VALU_DEP_1) | instskip(NEXT) | instid1(VALU_DEP_1)
	v_add_f32_e32 v5, v6, v3
	v_mul_f32_e32 v7, v5, v5
	s_delay_alu instid0(VALU_DEP_1) | instskip(NEXT) | instid1(VALU_DEP_1)
	v_fmaak_f32 v37, s23, v7, 0x3ecc95a3
	v_dual_mul_f32 v38, v5, v7 :: v_dual_fmaak_f32 v7, v7, v37, 0x3f2aaada
	v_ldexp_f32 v37, v5, 1
	v_sub_f32_e32 v5, v5, v6
	s_delay_alu instid0(VALU_DEP_3) | instskip(NEXT) | instid1(VALU_DEP_1)
	v_dual_mul_f32 v7, v38, v7 :: v_dual_mul_f32 v38, 0x3f317218, v2
	v_dual_sub_f32 v3, v3, v5 :: v_dual_add_f32 v6, v37, v7
	s_delay_alu instid0(VALU_DEP_1) | instskip(NEXT) | instid1(VALU_DEP_2)
	v_ldexp_f32 v3, v3, 1
	v_sub_f32_e32 v5, v6, v37
	s_delay_alu instid0(VALU_DEP_4) | instskip(NEXT) | instid1(VALU_DEP_2)
	v_fma_f32 v37, 0x3f317218, v2, -v38
	v_sub_f32_e32 v5, v7, v5
	s_delay_alu instid0(VALU_DEP_1) | instskip(NEXT) | instid1(VALU_DEP_1)
	v_dual_fmac_f32 v37, 0xb102e308, v2 :: v_dual_add_f32 v2, v3, v5
	v_add_f32_e32 v3, v38, v37
	s_delay_alu instid0(VALU_DEP_2) | instskip(NEXT) | instid1(VALU_DEP_2)
	v_add_f32_e32 v5, v6, v2
	v_sub_f32_e32 v38, v3, v38
	s_delay_alu instid0(VALU_DEP_2) | instskip(NEXT) | instid1(VALU_DEP_2)
	v_dual_add_f32 v7, v3, v5 :: v_dual_sub_f32 v6, v5, v6
	v_sub_f32_e32 v37, v37, v38
	s_delay_alu instid0(VALU_DEP_2) | instskip(NEXT) | instid1(VALU_DEP_1)
	v_dual_sub_f32 v39, v7, v3 :: v_dual_sub_f32 v2, v2, v6
	v_sub_f32_e32 v40, v7, v39
	v_sub_f32_e32 v5, v5, v39
	s_delay_alu instid0(VALU_DEP_2) | instskip(NEXT) | instid1(VALU_DEP_1)
	v_dual_add_f32 v6, v37, v2 :: v_dual_sub_f32 v3, v3, v40
	v_add_f32_e32 v3, v5, v3
	s_delay_alu instid0(VALU_DEP_2) | instskip(NEXT) | instid1(VALU_DEP_2)
	v_sub_f32_e32 v5, v6, v37
	v_add_f32_e32 v3, v6, v3
	s_delay_alu instid0(VALU_DEP_2) | instskip(SKIP_1) | instid1(VALU_DEP_3)
	v_sub_f32_e32 v6, v6, v5
	v_sub_f32_e32 v2, v2, v5
	v_add_f32_e32 v38, v7, v3
	s_delay_alu instid0(VALU_DEP_1) | instskip(NEXT) | instid1(VALU_DEP_1)
	v_dual_sub_f32 v6, v37, v6 :: v_dual_sub_f32 v5, v38, v7
	v_dual_add_f32 v2, v2, v6 :: v_dual_sub_f32 v3, v3, v5
	s_delay_alu instid0(VALU_DEP_1) | instskip(NEXT) | instid1(VALU_DEP_1)
	v_add_f32_e32 v2, v2, v3
	v_add_f32_e32 v2, v38, v2
	s_delay_alu instid0(VALU_DEP_1)
	v_cndmask_b32_e32 v42, v2, v4, vcc_lo
.LBB101_34:                             ;   in Loop: Header=BB101_12 Depth=1
	s_or_b32 exec_lo, exec_lo, s17
	v_lshrrev_b32_e32 v2, 16, v0
	v_lshrrev_b32_e32 v3, 16, v1
	v_cvt_f32_f16_e32 v1, v1
	v_cvt_f32_f16_e32 v0, v0
	s_and_b32 vcc_lo, exec_lo, s60
	v_cvt_f32_f16_e32 v2, v2
	v_cvt_f32_f16_e32 v3, v3
	v_mul_f32_e32 v38, s53, v1
	v_mul_f32_e32 v40, s53, v0
	s_delay_alu instid0(VALU_DEP_4) | instskip(NEXT) | instid1(VALU_DEP_4)
	v_mul_f32_e32 v37, s53, v2
	v_mul_f32_e32 v39, s53, v3
	s_barrier
	buffer_gl0_inv
	s_cbranch_vccz .LBB101_82
; %bb.35:                               ;   in Loop: Header=BB101_12 Depth=1
	v_dual_mul_f32 v43, v42, v3 :: v_dual_mul_f32 v48, v41, v1
	v_add_co_u32 v3, s16, s49, v33
	s_delay_alu instid0(VALU_DEP_1) | instskip(SKIP_1) | instid1(VALU_DEP_1)
	v_add_co_ci_u32_e64 v4, null, s50, 0, s16
	v_add_co_u32 v5, s16, s37, v33
	v_add_co_ci_u32_e64 v6, null, s55, 0, s16
	s_delay_alu instid0(VALU_DEP_4) | instskip(NEXT) | instid1(VALU_DEP_4)
	v_add_co_u32 v44, vcc_lo, v3, v34
	v_add_co_ci_u32_e32 v45, vcc_lo, 0, v4, vcc_lo
	s_delay_alu instid0(VALU_DEP_4) | instskip(NEXT) | instid1(VALU_DEP_4)
	v_add_co_u32 v46, vcc_lo, v5, v34
	v_add_co_ci_u32_e32 v47, vcc_lo, 0, v6, vcc_lo
	v_cmp_gt_u32_e32 vcc_lo, s19, v8
	v_cmp_gt_u32_e64 s17, s19, v30
	v_cmp_gt_u32_e64 s18, s19, v31
	;; [unrolled: 1-line block ×3, first 2 shown]
	s_cmp_lg_u32 s64, 0
	v_dual_mul_f32 v49, v36, v2 :: v_dual_mul_f32 v50, v35, v0
	s_mov_b32 s28, 0
	s_cselect_b32 s25, -1, 0
	s_cmp_eq_u32 s64, s62
	s_mov_b32 s26, s28
	s_cselect_b32 s65, -1, 0
	s_or_b32 s16, s61, vcc_lo
	s_or_b32 s17, s61, s17
	s_or_b32 s18, s61, s18
	;; [unrolled: 1-line block ×3, first 2 shown]
	s_mov_b32 s30, s28
	s_mov_b32 s38, s28
	;; [unrolled: 1-line block ×4, first 2 shown]
	s_branch .LBB101_37
.LBB101_36:                             ;   in Loop: Header=BB101_37 Depth=2
	s_or_b32 exec_lo, exec_lo, s20
	v_cndmask_b32_e64 v2, v60, v7, s11
	v_cndmask_b32_e64 v3, v59, v6, s11
	s_add_i32 s66, s66, -1
	s_add_i32 s67, s67, 8
	s_add_i32 s38, s38, s54
	v_fma_f32 v2, v2, v56, v53
	v_mul_f32_e32 v3, v3, v56
	s_add_i32 s30, s30, s36
	s_add_i32 s26, s26, s48
	;; [unrolled: 1-line block ×3, first 2 shown]
	v_cndmask_b32_e64 v2, v2, v53, s10
	v_cndmask_b32_e64 v3, v3, v56, s10
	s_cmp_eq_u32 s66, 0
	s_waitcnt lgkmcnt(0)
	s_delay_alu instid0(VALU_DEP_1) | instskip(NEXT) | instid1(VALU_DEP_1)
	v_fmac_f32_e32 v2, v4, v3
	v_fmac_f32_e32 v51, v2, v57
	v_fma_mix_f32 v40, v2, v0, v40 op_sel_hi:[0,1,0]
	s_delay_alu instid0(VALU_DEP_2) | instskip(SKIP_1) | instid1(VALU_DEP_2)
	v_fmac_f32_e32 v52, v51, v58
	v_fma_mix_f32 v37, v51, v0, v37 op_sel:[0,1,0] op_sel_hi:[0,1,0]
	v_fmac_f32_e32 v54, v52, v55
	v_fma_mix_f32 v38, v52, v1, v38 op_sel_hi:[0,1,0]
	s_delay_alu instid0(VALU_DEP_2)
	v_fma_mix_f32 v39, v54, v1, v39 op_sel:[0,1,0] op_sel_hi:[0,1,0]
	s_cbranch_scc1 .LBB101_82
.LBB101_37:                             ;   Parent Loop BB101_12 Depth=1
                                        ; =>  This Inner Loop Header: Depth=2
	s_lshl_b64 s[20:21], s[28:29], 2
	s_mov_b32 s27, s29
	s_add_u32 s20, s51, s20
	s_addc_u32 s21, s46, s21
	v_dual_mov_b32 v2, 0 :: v_dual_mov_b32 v3, 0
	global_load_b32 v6, v12, s[20:21]
	s_lshl_b64 s[20:21], s[26:27], 1
	s_delay_alu instid0(SALU_CYCLE_1)
	v_add_co_u32 v0, vcc_lo, v44, s20
	v_add_co_ci_u32_e32 v1, vcc_lo, s21, v45, vcc_lo
	s_and_saveexec_b32 s20, s12
	s_cbranch_execnz .LBB101_49
; %bb.38:                               ;   in Loop: Header=BB101_37 Depth=2
	s_or_b32 exec_lo, exec_lo, s20
	s_and_saveexec_b32 s20, s13
	s_cbranch_execnz .LBB101_50
.LBB101_39:                             ;   in Loop: Header=BB101_37 Depth=2
	s_or_b32 exec_lo, exec_lo, s20
	v_mov_b32_e32 v4, 0
	s_and_saveexec_b32 s20, s14
	s_cbranch_execnz .LBB101_51
.LBB101_40:                             ;   in Loop: Header=BB101_37 Depth=2
	s_or_b32 exec_lo, exec_lo, s20
	s_and_saveexec_b32 s20, s15
	s_cbranch_execz .LBB101_42
.LBB101_41:                             ;   in Loop: Header=BB101_37 Depth=2
	global_load_u16 v0, v[0:1], off offset:192
	s_waitcnt vmcnt(0)
	v_lshl_or_b32 v4, v0, 16, v4
.LBB101_42:                             ;   in Loop: Header=BB101_37 Depth=2
	s_or_b32 exec_lo, exec_lo, s20
	s_waitcnt vmcnt(0)
	ds_store_b16 v14, v3
	ds_store_b16 v14, v2 offset:64
	ds_store_b16 v15, v4 offset:128
	ds_store_b16_d16_hi v16, v4 offset:192
	; wave barrier
	ds_load_b64 v[4:5], v17
	s_mov_b32 s31, s29
	v_dual_mov_b32 v2, 0 :: v_dual_mov_b32 v3, 0
	s_lshl_b64 s[20:21], s[30:31], 1
	s_delay_alu instid0(SALU_CYCLE_1)
	v_add_co_u32 v0, vcc_lo, v46, s20
	v_add_co_ci_u32_e32 v1, vcc_lo, s21, v47, vcc_lo
	s_and_saveexec_b32 s20, s12
	s_cbranch_execnz .LBB101_52
; %bb.43:                               ;   in Loop: Header=BB101_37 Depth=2
	s_or_b32 exec_lo, exec_lo, s20
	s_and_saveexec_b32 s20, s13
	s_cbranch_execnz .LBB101_53
.LBB101_44:                             ;   in Loop: Header=BB101_37 Depth=2
	s_or_b32 exec_lo, exec_lo, s20
	v_mov_b32_e32 v7, 0
	s_and_saveexec_b32 s20, s14
	s_cbranch_execnz .LBB101_54
.LBB101_45:                             ;   in Loop: Header=BB101_37 Depth=2
	s_or_b32 exec_lo, exec_lo, s20
	s_and_saveexec_b32 s20, s15
	s_cbranch_execz .LBB101_47
.LBB101_46:                             ;   in Loop: Header=BB101_37 Depth=2
	global_load_u16 v0, v[0:1], off offset:192
	s_waitcnt vmcnt(0)
	v_lshl_or_b32 v7, v0, 16, v7
.LBB101_47:                             ;   in Loop: Header=BB101_37 Depth=2
	s_or_b32 exec_lo, exec_lo, s20
	s_waitcnt vmcnt(0)
	ds_store_b16 v14, v3 offset:528
	ds_store_b16 v18, v2 offset:64
	;; [unrolled: 1-line block ×3, first 2 shown]
	ds_store_b16_d16_hi v20, v7 offset:192
	; wave barrier
	ds_load_b64 v[0:1], v17 offset:528
	s_and_not1_b32 vcc_lo, exec_lo, s25
	s_cbranch_vccnz .LBB101_55
; %bb.48:                               ;   in Loop: Header=BB101_37 Depth=2
	v_mov_b32_e32 v2, s67
	ds_load_b64 v[2:3], v2
	s_cbranch_execz .LBB101_56
	s_branch .LBB101_59
.LBB101_49:                             ;   in Loop: Header=BB101_37 Depth=2
	global_load_u16 v3, v[0:1], off
	s_or_b32 exec_lo, exec_lo, s20
	s_and_saveexec_b32 s20, s13
	s_cbranch_execz .LBB101_39
.LBB101_50:                             ;   in Loop: Header=BB101_37 Depth=2
	global_load_u16 v2, v[0:1], off offset:64
	s_or_b32 exec_lo, exec_lo, s20
	v_mov_b32_e32 v4, 0
	s_and_saveexec_b32 s20, s14
	s_cbranch_execz .LBB101_40
.LBB101_51:                             ;   in Loop: Header=BB101_37 Depth=2
	global_load_u16 v4, v[0:1], off offset:128
	s_or_b32 exec_lo, exec_lo, s20
	s_and_saveexec_b32 s20, s15
	s_cbranch_execnz .LBB101_41
	s_branch .LBB101_42
.LBB101_52:                             ;   in Loop: Header=BB101_37 Depth=2
	global_load_u16 v3, v[0:1], off
	s_or_b32 exec_lo, exec_lo, s20
	s_and_saveexec_b32 s20, s13
	s_cbranch_execz .LBB101_44
.LBB101_53:                             ;   in Loop: Header=BB101_37 Depth=2
	global_load_u16 v2, v[0:1], off offset:64
	s_or_b32 exec_lo, exec_lo, s20
	v_mov_b32_e32 v7, 0
	s_and_saveexec_b32 s20, s14
	s_cbranch_execz .LBB101_45
.LBB101_54:                             ;   in Loop: Header=BB101_37 Depth=2
	global_load_u16 v7, v[0:1], off offset:128
	s_or_b32 exec_lo, exec_lo, s20
	s_and_saveexec_b32 s20, s15
	s_cbranch_execnz .LBB101_46
	s_branch .LBB101_47
.LBB101_55:                             ;   in Loop: Header=BB101_37 Depth=2
                                        ; implicit-def: $vgpr2
.LBB101_56:                             ;   in Loop: Header=BB101_37 Depth=2
	s_waitcnt lgkmcnt(0)
	v_mov_b32_e32 v3, 0
	s_and_not1_b32 vcc_lo, exec_lo, s33
	s_cbranch_vccnz .LBB101_58
; %bb.57:                               ;   in Loop: Header=BB101_37 Depth=2
	s_mov_b32 s39, s29
	s_delay_alu instid0(SALU_CYCLE_1) | instskip(NEXT) | instid1(SALU_CYCLE_1)
	s_lshl_b64 s[20:21], s[38:39], 2
	s_add_u32 s20, s56, s20
	s_addc_u32 s21, s57, s21
	global_load_b32 v3, v12, s[20:21]
.LBB101_58:                             ;   in Loop: Header=BB101_37 Depth=2
	v_mov_b32_e32 v2, 1.0
.LBB101_59:                             ;   in Loop: Header=BB101_37 Depth=2
	s_waitcnt lgkmcnt(5)
	v_lshrrev_b32_e32 v7, 16, v4
	v_lshrrev_b32_e32 v51, 16, v5
	v_cvt_f32_f16_e32 v5, v5
	v_cvt_f32_f16_e32 v4, v4
	s_delay_alu instid0(VALU_DEP_4) | instskip(SKIP_2) | instid1(VALU_DEP_4)
	v_cvt_f32_f16_e32 v7, v7
	v_mul_f32_e32 v6, 0x3fb8aa3b, v6
	v_cvt_f32_f16_e32 v55, v51
	v_dual_mul_f32 v4, v50, v4 :: v_dual_mul_f32 v5, v48, v5
	s_delay_alu instid0(VALU_DEP_4) | instskip(NEXT) | instid1(VALU_DEP_4)
	v_mul_f32_e32 v7, v49, v7
	v_mul_f32_e32 v52, v6, v35
	s_delay_alu instid0(VALU_DEP_1) | instskip(SKIP_2) | instid1(VALU_DEP_2)
	v_cmp_gt_f32_e32 vcc_lo, 0xc2fc0000, v52
	v_cndmask_b32_e64 v52, 0, 0x42800000, vcc_lo
	v_cndmask_b32_e64 v57, 1.0, 0x1f800000, vcc_lo
	v_fmac_f32_e32 v52, v6, v35
	s_delay_alu instid0(VALU_DEP_1) | instskip(SKIP_2) | instid1(VALU_DEP_1)
	v_exp_f32_e32 v52, v52
	s_waitcnt_depctr 0xfff
	v_dual_mul_f32 v53, v6, v36 :: v_dual_mul_f32 v52, v52, v57
	v_cmp_gt_f32_e64 s20, 0xc2fc0000, v53
	v_mul_f32_e32 v53, v6, v42
	s_delay_alu instid0(VALU_DEP_2) | instskip(NEXT) | instid1(VALU_DEP_2)
	v_cndmask_b32_e64 v51, 0, 0x42800000, s20
	v_cmp_gt_f32_e64 s22, 0xc2fc0000, v53
	v_cndmask_b32_e64 v53, 0, v4, s16
	s_delay_alu instid0(VALU_DEP_2) | instskip(NEXT) | instid1(VALU_DEP_1)
	v_cndmask_b32_e64 v56, 0, 0x42800000, s22
	v_fmac_f32_e32 v56, v6, v42
	s_delay_alu instid0(VALU_DEP_1) | instskip(SKIP_3) | instid1(VALU_DEP_3)
	v_exp_f32_e32 v59, v56
	v_mul_f32_e32 v54, v6, v41
	v_cndmask_b32_e64 v56, 1.0, v52, s16
	v_cndmask_b32_e64 v52, 0, v5, s18
	v_cmp_gt_f32_e64 s21, 0xc2fc0000, v54
	s_delay_alu instid0(VALU_DEP_1) | instskip(NEXT) | instid1(VALU_DEP_1)
	v_cndmask_b32_e64 v54, 0, 0x42800000, s21
	v_fmac_f32_e32 v54, v6, v41
	s_delay_alu instid0(VALU_DEP_1)
	v_exp_f32_e32 v4, v54
	v_cndmask_b32_e64 v54, 1.0, 0x1f800000, s21
	v_fmac_f32_e32 v51, v6, v36
	v_cndmask_b32_e64 v6, 1.0, 0x1f800000, s20
	s_waitcnt_depctr 0xfff
	v_mul_f32_e32 v4, v4, v54
	v_exp_f32_e32 v51, v51
	s_delay_alu instid0(VALU_DEP_1)
	v_cndmask_b32_e64 v58, 1.0, v4, s18
	v_mul_f32_e32 v4, v43, v55
	s_waitcnt_depctr 0xfff
	v_mul_f32_e32 v6, v51, v6
	v_cndmask_b32_e64 v51, 0, v7, s17
	v_cndmask_b32_e64 v7, 1.0, 0x1f800000, s22
	v_cndmask_b32_e64 v54, 0, v4, s19
	s_delay_alu instid0(VALU_DEP_4) | instskip(NEXT) | instid1(VALU_DEP_1)
	v_cndmask_b32_e64 v57, 1.0, v6, s17
	v_dual_mul_f32 v5, v59, v7 :: v_dual_mul_f32 v6, v57, v56
	v_fma_f32 v7, v57, v53, v51
	s_delay_alu instid0(VALU_DEP_2) | instskip(NEXT) | instid1(VALU_DEP_3)
	v_cndmask_b32_e64 v55, 1.0, v5, s19
	v_mul_f32_e32 v4, v6, v58
	s_delay_alu instid0(VALU_DEP_3) | instskip(NEXT) | instid1(VALU_DEP_2)
	v_fma_f32 v5, v7, v58, v52
	v_mul_f32_e32 v4, v4, v55
	s_delay_alu instid0(VALU_DEP_2) | instskip(NEXT) | instid1(VALU_DEP_2)
	v_fma_f32 v5, v5, v55, v54
	v_mov_b32_dpp v7, v4 row_shr:1 row_mask:0xf bank_mask:0xf
	s_delay_alu instid0(VALU_DEP_2)
	v_mov_b32_dpp v6, v5 row_shr:1 row_mask:0xf bank_mask:0xf
	s_and_saveexec_b32 s20, s0
; %bb.60:                               ;   in Loop: Header=BB101_37 Depth=2
	s_delay_alu instid0(VALU_DEP_2) | instskip(NEXT) | instid1(VALU_DEP_1)
	v_mul_f32_e32 v7, v4, v7
	v_dual_fmac_f32 v5, v4, v6 :: v_dual_mov_b32 v4, v7
; %bb.61:                               ;   in Loop: Header=BB101_37 Depth=2
	s_or_b32 exec_lo, exec_lo, s20
	s_delay_alu instid0(VALU_DEP_1) | instskip(NEXT) | instid1(VALU_DEP_2)
	v_mov_b32_dpp v6, v4 row_shr:2 row_mask:0xf bank_mask:0xf
	v_mov_b32_dpp v7, v5 row_shr:2 row_mask:0xf bank_mask:0xf
	s_and_saveexec_b32 s20, s1
; %bb.62:                               ;   in Loop: Header=BB101_37 Depth=2
	s_delay_alu instid0(VALU_DEP_1) | instskip(NEXT) | instid1(VALU_DEP_3)
	v_fmac_f32_e32 v5, v4, v7
	v_mul_f32_e32 v4, v4, v6
; %bb.63:                               ;   in Loop: Header=BB101_37 Depth=2
	s_or_b32 exec_lo, exec_lo, s20
	s_delay_alu instid0(VALU_DEP_1) | instskip(NEXT) | instid1(VALU_DEP_3)
	v_mov_b32_dpp v6, v4 row_shr:4 row_mask:0xf bank_mask:0xf
	v_mov_b32_dpp v7, v5 row_shr:4 row_mask:0xf bank_mask:0xf
	s_and_saveexec_b32 s20, s2
; %bb.64:                               ;   in Loop: Header=BB101_37 Depth=2
	s_delay_alu instid0(VALU_DEP_1) | instskip(NEXT) | instid1(VALU_DEP_3)
	v_fmac_f32_e32 v5, v4, v7
	v_mul_f32_e32 v4, v4, v6
; %bb.65:                               ;   in Loop: Header=BB101_37 Depth=2
	s_or_b32 exec_lo, exec_lo, s20
	s_delay_alu instid0(VALU_DEP_1) | instskip(NEXT) | instid1(VALU_DEP_3)
	v_mov_b32_dpp v6, v4 row_shr:8 row_mask:0xf bank_mask:0xf
	v_mov_b32_dpp v7, v5 row_shr:8 row_mask:0xf bank_mask:0xf
	s_and_saveexec_b32 s20, s3
; %bb.66:                               ;   in Loop: Header=BB101_37 Depth=2
	s_delay_alu instid0(VALU_DEP_1) | instskip(NEXT) | instid1(VALU_DEP_3)
	v_fmac_f32_e32 v5, v4, v7
	v_mul_f32_e32 v4, v4, v6
; %bb.67:                               ;   in Loop: Header=BB101_37 Depth=2
	s_or_b32 exec_lo, exec_lo, s20
	ds_swizzle_b32 v7, v4 offset:swizzle(BROADCAST,32,15)
	ds_swizzle_b32 v6, v5 offset:swizzle(BROADCAST,32,15)
	s_and_saveexec_b32 s20, s4
	s_cbranch_execz .LBB101_69
; %bb.68:                               ;   in Loop: Header=BB101_37 Depth=2
	s_waitcnt lgkmcnt(1)
	v_mul_f32_e32 v7, v4, v7
	s_waitcnt lgkmcnt(0)
	s_delay_alu instid0(VALU_DEP_1)
	v_dual_fmac_f32 v5, v4, v6 :: v_dual_mov_b32 v4, v7
.LBB101_69:                             ;   in Loop: Header=BB101_37 Depth=2
	s_or_b32 exec_lo, exec_lo, s20
	s_and_saveexec_b32 s20, s5
	s_cbranch_execz .LBB101_71
; %bb.70:                               ;   in Loop: Header=BB101_37 Depth=2
	ds_store_b64 v21, v[4:5] offset:1056
.LBB101_71:                             ;   in Loop: Header=BB101_37 Depth=2
	s_or_b32 exec_lo, exec_lo, s20
	s_waitcnt vmcnt(0) lgkmcnt(0)
	s_waitcnt_vscnt null, 0x0
	s_barrier
	buffer_gl0_inv
	s_and_saveexec_b32 s20, s6
	s_cbranch_execz .LBB101_73
; %bb.72:                               ;   in Loop: Header=BB101_37 Depth=2
	ds_load_b64 v[6:7], v22 offset:1056
	s_waitcnt lgkmcnt(0)
	v_mov_b32_dpp v59, v6 row_shr:1 row_mask:0xf bank_mask:0xf
	v_mov_b32_dpp v60, v7 row_shr:1 row_mask:0xf bank_mask:0xf
	s_delay_alu instid0(VALU_DEP_2) | instskip(NEXT) | instid1(VALU_DEP_2)
	v_mul_f32_e32 v59, v6, v59
	v_fma_f32 v60, v6, v60, v7
	s_delay_alu instid0(VALU_DEP_2) | instskip(NEXT) | instid1(VALU_DEP_2)
	v_cndmask_b32_e64 v6, v59, v6, s7
	v_cndmask_b32_e64 v7, v60, v7, s7
	ds_store_b64 v22, v[6:7] offset:1056
.LBB101_73:                             ;   in Loop: Header=BB101_37 Depth=2
	s_or_b32 exec_lo, exec_lo, s20
	s_waitcnt lgkmcnt(0)
	s_barrier
	buffer_gl0_inv
                                        ; implicit-def: $vgpr7
	s_and_saveexec_b32 s20, s9
	s_cbranch_execz .LBB101_75
; %bb.74:                               ;   in Loop: Header=BB101_37 Depth=2
	ds_load_b64 v[6:7], v21 offset:1048
	s_waitcnt lgkmcnt(0)
	v_mul_f32_e32 v59, v4, v6
	s_delay_alu instid0(VALU_DEP_1)
	v_dual_fmac_f32 v5, v4, v7 :: v_dual_mov_b32 v4, v59
.LBB101_75:                             ;   in Loop: Header=BB101_37 Depth=2
	s_or_b32 exec_lo, exec_lo, s20
	ds_bpermute_b32 v59, v23, v4
	ds_bpermute_b32 v60, v23, v5
	s_and_saveexec_b32 s20, s8
	s_cbranch_execz .LBB101_79
; %bb.76:                               ;   in Loop: Header=BB101_37 Depth=2
	ds_load_b64 v[4:5], v12 offset:1064
	s_and_saveexec_b32 s21, s10
	s_cbranch_execz .LBB101_78
; %bb.77:                               ;   in Loop: Header=BB101_37 Depth=2
	ds_store_b64 v12, v[2:3] offset:1064
.LBB101_78:                             ;   in Loop: Header=BB101_37 Depth=2
	s_or_b32 exec_lo, exec_lo, s21
	s_waitcnt lgkmcnt(0)
	v_fmac_f32_e32 v5, v3, v4
	s_delay_alu instid0(VALU_DEP_1)
	v_dual_mul_f32 v2, v2, v4 :: v_dual_mov_b32 v3, v5
.LBB101_79:                             ;   in Loop: Header=BB101_37 Depth=2
	s_or_b32 exec_lo, exec_lo, s20
	s_waitcnt lgkmcnt(0)
	s_barrier
	buffer_gl0_inv
	ds_load_b32 v4, v12 offset:1068
	s_and_saveexec_b32 s20, s10
	s_cbranch_execz .LBB101_36
; %bb.80:                               ;   in Loop: Header=BB101_37 Depth=2
	v_mov_b32_e32 v5, s67
	s_and_not1_b32 vcc_lo, exec_lo, s65
	ds_store_b64 v5, v[2:3]
	s_cbranch_vccnz .LBB101_36
; %bb.81:                               ;   in Loop: Header=BB101_37 Depth=2
	s_mov_b32 s39, s29
	s_delay_alu instid0(SALU_CYCLE_1) | instskip(NEXT) | instid1(SALU_CYCLE_1)
	s_lshl_b64 s[68:69], s[38:39], 2
	s_add_u32 s68, s56, s68
	s_addc_u32 s69, s57, s69
	global_store_b32 v12, v3, s[68:69]
	s_branch .LBB101_36
.LBB101_82:                             ;   in Loop: Header=BB101_12 Depth=1
	v_cvt_f16_f32_e32 v0, v40
	s_delay_alu instid0(VALU_DEP_3) | instskip(NEXT) | instid1(VALU_DEP_3)
	v_cvt_f16_f32_e32 v1, v38
	v_cvt_f16_f32_e32 v2, v39
	;; [unrolled: 1-line block ×3, first 2 shown]
	s_waitcnt_vscnt null, 0x0
	s_barrier
	buffer_gl0_inv
	v_pack_b32_f16 v1, v1, v2
	v_pack_b32_f16 v0, v0, v3
	s_mov_b32 s25, s29
	s_delay_alu instid0(SALU_CYCLE_1)
	s_lshl_b64 s[20:21], s[24:25], 1
	ds_store_b64 v17, v[0:1]
	; wave barrier
	ds_load_u16 v4, v14 offset:64
	ds_load_u16 v3, v15 offset:128
	;; [unrolled: 1-line block ×3, first 2 shown]
	v_add_co_u32 v0, vcc_lo, v24, s20
	v_add_co_ci_u32_e32 v1, vcc_lo, s21, v25, vcc_lo
	s_and_saveexec_b32 s16, s12
	s_cbranch_execnz .LBB101_101
; %bb.83:                               ;   in Loop: Header=BB101_12 Depth=1
	s_or_b32 exec_lo, exec_lo, s16
	s_and_saveexec_b32 s16, s13
	s_cbranch_execnz .LBB101_102
.LBB101_84:                             ;   in Loop: Header=BB101_12 Depth=1
	s_or_b32 exec_lo, exec_lo, s16
	s_and_saveexec_b32 s16, s14
	s_cbranch_execnz .LBB101_103
.LBB101_85:                             ;   in Loop: Header=BB101_12 Depth=1
	s_or_b32 exec_lo, exec_lo, s16
	s_and_saveexec_b32 s16, s15
	s_cbranch_execz .LBB101_87
.LBB101_86:                             ;   in Loop: Header=BB101_12 Depth=1
	s_waitcnt lgkmcnt(0)
	global_store_b16 v[0:1], v2, off offset:192
.LBB101_87:                             ;   in Loop: Header=BB101_12 Depth=1
	s_or_b32 exec_lo, exec_lo, s16
	v_add_co_u32 v0, vcc_lo, v26, s20
	v_add_co_ci_u32_e32 v1, vcc_lo, s21, v27, vcc_lo
	s_waitcnt lgkmcnt(0)
	v_dual_mov_b32 v2, 0 :: v_dual_mov_b32 v3, 0
	s_waitcnt_vscnt null, 0x0
	s_barrier
	buffer_gl0_inv
	s_and_saveexec_b32 s16, s12
	s_cbranch_execz .LBB101_89
; %bb.88:                               ;   in Loop: Header=BB101_12 Depth=1
	global_load_u16 v3, v[0:1], off
.LBB101_89:                             ;   in Loop: Header=BB101_12 Depth=1
	s_or_b32 exec_lo, exec_lo, s16
	s_and_saveexec_b32 s16, s13
	s_cbranch_execz .LBB101_91
; %bb.90:                               ;   in Loop: Header=BB101_12 Depth=1
	global_load_u16 v2, v[0:1], off offset:64
.LBB101_91:                             ;   in Loop: Header=BB101_12 Depth=1
	s_or_b32 exec_lo, exec_lo, s16
	v_dual_mov_b32 v4, 0 :: v_dual_mov_b32 v5, 0
	s_and_saveexec_b32 s16, s14
	s_cbranch_execz .LBB101_93
; %bb.92:                               ;   in Loop: Header=BB101_12 Depth=1
	global_load_u16 v5, v[0:1], off offset:128
.LBB101_93:                             ;   in Loop: Header=BB101_12 Depth=1
	s_or_b32 exec_lo, exec_lo, s16
	s_and_saveexec_b32 s16, s15
	s_cbranch_execz .LBB101_95
; %bb.94:                               ;   in Loop: Header=BB101_12 Depth=1
	global_load_u16 v4, v[0:1], off offset:192
.LBB101_95:                             ;   in Loop: Header=BB101_12 Depth=1
	s_or_b32 exec_lo, exec_lo, s16
	s_waitcnt vmcnt(0)
	ds_store_b16 v14, v3
	ds_store_b16 v14, v2 offset:64
	ds_store_b16 v15, v5 offset:128
	;; [unrolled: 1-line block ×3, first 2 shown]
	; wave barrier
	ds_load_b64 v[0:1], v17
	s_waitcnt lgkmcnt(0)
	s_barrier
	buffer_gl0_inv
	v_cvt_f32_f16_e32 v3, v0
	v_lshrrev_b32_e32 v2, 16, v0
	v_cvt_f32_f16_e32 v5, v1
	v_lshrrev_b32_e32 v4, 16, v1
	s_delay_alu instid0(VALU_DEP_4) | instskip(NEXT) | instid1(VALU_DEP_4)
	v_mul_f32_e32 v6, 0xbfb8aa3b, v3
	v_cvt_f32_f16_e32 v2, v2
	s_delay_alu instid0(VALU_DEP_4) | instskip(NEXT) | instid1(VALU_DEP_4)
	v_mul_f32_e32 v7, 0xbfb8aa3b, v5
	v_cvt_f32_f16_e32 v4, v4
	v_cmp_nlt_f32_e32 vcc_lo, 0x42ce8ed0, v3
	v_rndne_f32_e32 v36, v6
	v_fma_mix_f32 v41, v0, s43, -v6 op_sel_hi:[1,0,0]
	s_delay_alu instid0(VALU_DEP_4)
	v_dual_mul_f32 v35, 0xbfb8aa3b, v2 :: v_dual_mul_f32 v42, 0xbfb8aa3b, v4
	v_rndne_f32_e32 v43, v7
	v_fma_mix_f32 v44, v1, s43, -v7 op_sel_hi:[1,0,0]
	v_sub_f32_e32 v6, v6, v36
	v_fma_mix_f32 v41, v0, s63, v41 op_sel_hi:[1,0,0]
	v_rndne_f32_e32 v45, v35
	v_sub_f32_e32 v7, v7, v43
	v_fma_mix_f32 v46, v0, s43, -v35 op_sel:[1,0,0] op_sel_hi:[1,0,0]
	v_fma_mix_f32 v44, v1, s63, v44 op_sel_hi:[1,0,0]
	v_add_f32_e32 v6, v6, v41
	v_rndne_f32_e32 v47, v42
	v_sub_f32_e32 v35, v35, v45
	v_fma_mix_f32 v0, v0, s63, v46 op_sel:[1,0,0] op_sel_hi:[1,0,0]
	v_add_f32_e32 v7, v7, v44
	v_exp_f32_e32 v6, v6
	v_sub_f32_e32 v41, v42, v47
	v_fma_mix_f32 v48, v1, s43, -v42 op_sel:[1,0,0] op_sel_hi:[1,0,0]
	v_add_f32_e32 v0, v35, v0
	v_exp_f32_e32 v7, v7
	v_cvt_i32_f32_e32 v35, v36
	v_cvt_i32_f32_e32 v36, v43
	v_fma_mix_f32 v1, v1, s63, v48 op_sel:[1,0,0] op_sel_hi:[1,0,0]
	v_exp_f32_e32 v0, v0
	s_delay_alu instid0(TRANS32_DEP_3) | instid1(VALU_DEP_3)
	v_ldexp_f32 v6, v6, v35
	v_cvt_i32_f32_e32 v35, v47
	s_delay_alu instid0(TRANS32_DEP_2) | instskip(NEXT) | instid1(VALU_DEP_3)
	v_ldexp_f32 v7, v7, v36
	v_cndmask_b32_e32 v6, 0, v6, vcc_lo
	v_cmp_nlt_f32_e32 vcc_lo, 0x42ce8ed0, v5
	s_delay_alu instid0(VALU_DEP_3) | instskip(SKIP_3) | instid1(VALU_DEP_1)
	v_cndmask_b32_e32 v7, 0, v7, vcc_lo
	v_cmp_nlt_f32_e32 vcc_lo, 0x42ce8ed0, v2
	v_add_f32_e32 v1, v41, v1
	v_cvt_i32_f32_e32 v41, v45
	v_ldexp_f32 v0, v0, v41
	s_delay_alu instid0(VALU_DEP_1) | instskip(NEXT) | instid1(VALU_DEP_4)
	v_cndmask_b32_e32 v0, 0, v0, vcc_lo
	v_exp_f32_e32 v1, v1
	v_cmp_nlt_f32_e32 vcc_lo, 0x42ce8ed0, v4
	s_waitcnt_depctr 0xfff
	v_ldexp_f32 v1, v1, v35
	s_delay_alu instid0(VALU_DEP_1) | instskip(SKIP_3) | instid1(VALU_DEP_2)
	v_cndmask_b32_e32 v1, 0, v1, vcc_lo
	v_cmp_ngt_f32_e32 vcc_lo, 0xc2b17218, v3
	v_cndmask_b32_e32 v6, 0x7f800000, v6, vcc_lo
	v_cmp_ngt_f32_e32 vcc_lo, 0xc2b17218, v5
	v_dual_add_f32 v6, 1.0, v6 :: v_dual_cndmask_b32 v7, 0x7f800000, v7
	v_cmp_ngt_f32_e32 vcc_lo, 0xc2b17218, v4
	s_delay_alu instid0(VALU_DEP_2) | instskip(SKIP_3) | instid1(VALU_DEP_4)
	v_div_scale_f32 v35, null, v6, v6, v3
	v_cndmask_b32_e32 v1, 0x7f800000, v1, vcc_lo
	v_cmp_ngt_f32_e32 vcc_lo, 0xc2b17218, v2
	v_add_f32_e32 v7, 1.0, v7
	v_rcp_f32_e32 v43, v35
	v_div_scale_f32 v47, s16, v3, v6, v3
	v_dual_cndmask_b32 v0, 0x7f800000, v0 :: v_dual_add_f32 v1, 1.0, v1
	s_delay_alu instid0(VALU_DEP_3) | instskip(SKIP_1) | instid1(VALU_DEP_3)
	v_div_scale_f32 v36, null, v7, v7, v5
	v_div_scale_f32 v48, s17, v5, v7, v5
	v_add_f32_e32 v0, 1.0, v0
	s_delay_alu instid0(VALU_DEP_3) | instskip(SKIP_1) | instid1(TRANS32_DEP_2)
	v_rcp_f32_e32 v44, v36
	v_div_scale_f32 v42, null, v1, v1, v4
	v_fma_f32 v50, -v35, v43, 1.0
	s_delay_alu instid0(VALU_DEP_3) | instskip(NEXT) | instid1(VALU_DEP_3)
	v_div_scale_f32 v41, null, v0, v0, v2
	v_rcp_f32_e32 v46, v42
	v_div_scale_f32 v49, vcc_lo, v2, v0, v2
	s_delay_alu instid0(VALU_DEP_2) | instskip(NEXT) | instid1(TRANS32_DEP_3)
	v_rcp_f32_e32 v45, v41
	v_fma_f32 v51, -v36, v44, 1.0
	v_div_scale_f32 v54, s18, v4, v1, v4
	s_delay_alu instid0(VALU_DEP_2) | instskip(SKIP_3) | instid1(VALU_DEP_1)
	v_dual_fmac_f32 v44, v51, v44 :: v_dual_fmac_f32 v43, v50, v43
	s_waitcnt_depctr 0xfff
	v_fma_f32 v53, -v42, v46, 1.0
	v_fma_f32 v52, -v41, v45, 1.0
	v_dual_fmac_f32 v46, v53, v46 :: v_dual_fmac_f32 v45, v52, v45
	v_mul_f32_e32 v52, v48, v44
	v_mul_f32_e32 v50, v47, v43
	s_delay_alu instid0(VALU_DEP_2) | instskip(NEXT) | instid1(VALU_DEP_2)
	v_fma_f32 v57, -v36, v52, v48
	v_fma_f32 v55, -v35, v50, v47
	v_mul_f32_e32 v51, v49, v45
	s_delay_alu instid0(VALU_DEP_3) | instskip(NEXT) | instid1(VALU_DEP_3)
	v_dual_mul_f32 v53, v54, v46 :: v_dual_fmac_f32 v52, v57, v44
	v_fmac_f32_e32 v50, v55, v43
	s_delay_alu instid0(VALU_DEP_3) | instskip(NEXT) | instid1(VALU_DEP_3)
	v_fma_f32 v56, -v41, v51, v49
	v_fma_f32 v58, -v42, v53, v54
	s_delay_alu instid0(VALU_DEP_4) | instskip(NEXT) | instid1(VALU_DEP_4)
	v_fma_f32 v36, -v36, v52, v48
	v_fma_f32 v35, -v35, v50, v47
	s_delay_alu instid0(VALU_DEP_4) | instskip(NEXT) | instid1(VALU_DEP_4)
	v_fmac_f32_e32 v51, v56, v45
	v_fmac_f32_e32 v53, v58, v46
	s_delay_alu instid0(VALU_DEP_2) | instskip(NEXT) | instid1(VALU_DEP_2)
	v_fma_f32 v41, -v41, v51, v49
	v_fma_f32 v42, -v42, v53, v54
	s_delay_alu instid0(VALU_DEP_2) | instskip(SKIP_3) | instid1(VALU_DEP_2)
	v_div_fmas_f32 v41, v41, v45, v51
	s_mov_b32 vcc_lo, s16
	v_div_fmas_f32 v35, v35, v43, v50
	s_mov_b32 vcc_lo, s18
	v_div_fixup_f32 v2, v41, v0, v2
	v_div_fmas_f32 v42, v42, v46, v53
	s_mov_b32 vcc_lo, s17
	v_div_fixup_f32 v3, v35, v6, v3
	v_div_fmas_f32 v36, v36, v44, v52
	s_delay_alu instid0(VALU_DEP_3) | instskip(NEXT) | instid1(VALU_DEP_3)
	v_div_fixup_f32 v4, v42, v1, v4
	v_fma_mixlo_f16 v0, v40, v3, 0
	s_delay_alu instid0(VALU_DEP_3) | instskip(NEXT) | instid1(VALU_DEP_2)
	v_div_fixup_f32 v5, v36, v7, v5
	v_fma_mixhi_f16 v0, v37, v2, 0
	s_delay_alu instid0(VALU_DEP_2) | instskip(NEXT) | instid1(VALU_DEP_1)
	v_fma_mixlo_f16 v1, v38, v5, 0
	v_fma_mixhi_f16 v1, v39, v4, 0
	ds_store_b64 v17, v[0:1]
	; wave barrier
	ds_load_u16 v4, v14 offset:64
	ds_load_u16 v3, v15 offset:128
	;; [unrolled: 1-line block ×3, first 2 shown]
	v_add_co_u32 v0, vcc_lo, v28, s20
	v_add_co_ci_u32_e32 v1, vcc_lo, s21, v29, vcc_lo
	s_and_saveexec_b32 s16, s12
	s_cbranch_execnz .LBB101_104
; %bb.96:                               ;   in Loop: Header=BB101_12 Depth=1
	s_or_b32 exec_lo, exec_lo, s16
	s_and_saveexec_b32 s12, s13
	s_cbranch_execnz .LBB101_105
.LBB101_97:                             ;   in Loop: Header=BB101_12 Depth=1
	s_or_b32 exec_lo, exec_lo, s12
	s_and_saveexec_b32 s12, s14
	s_cbranch_execnz .LBB101_106
.LBB101_98:                             ;   in Loop: Header=BB101_12 Depth=1
	s_or_b32 exec_lo, exec_lo, s12
	s_and_saveexec_b32 s12, s15
	s_cbranch_execz .LBB101_11
	s_branch .LBB101_107
.LBB101_99:                             ;   in Loop: Header=BB101_12 Depth=1
	global_load_u16 v6, v[2:3], off offset:64
	s_or_b32 exec_lo, exec_lo, s16
	s_and_saveexec_b32 s16, s14
	s_cbranch_execz .LBB101_24
.LBB101_100:                            ;   in Loop: Header=BB101_12 Depth=1
	global_load_u16 v5, v[2:3], off offset:128
	s_or_b32 exec_lo, exec_lo, s16
	v_mov_b32_e32 v7, 0
	s_and_saveexec_b32 s16, s15
	s_cbranch_execnz .LBB101_25
	s_branch .LBB101_26
.LBB101_101:                            ;   in Loop: Header=BB101_12 Depth=1
	ds_load_u16 v5, v14
	s_waitcnt lgkmcnt(0)
	global_store_b16 v[0:1], v5, off
	s_or_b32 exec_lo, exec_lo, s16
	s_and_saveexec_b32 s16, s13
	s_cbranch_execz .LBB101_84
.LBB101_102:                            ;   in Loop: Header=BB101_12 Depth=1
	s_waitcnt lgkmcnt(2)
	global_store_b16 v[0:1], v4, off offset:64
	s_or_b32 exec_lo, exec_lo, s16
	s_and_saveexec_b32 s16, s14
	s_cbranch_execz .LBB101_85
.LBB101_103:                            ;   in Loop: Header=BB101_12 Depth=1
	s_waitcnt lgkmcnt(1)
	global_store_b16 v[0:1], v3, off offset:128
	s_or_b32 exec_lo, exec_lo, s16
	s_and_saveexec_b32 s16, s15
	s_cbranch_execnz .LBB101_86
	s_branch .LBB101_87
.LBB101_104:                            ;   in Loop: Header=BB101_12 Depth=1
	ds_load_u16 v5, v14
	s_waitcnt lgkmcnt(0)
	global_store_b16 v[0:1], v5, off
	s_or_b32 exec_lo, exec_lo, s16
	s_and_saveexec_b32 s12, s13
	s_cbranch_execz .LBB101_97
.LBB101_105:                            ;   in Loop: Header=BB101_12 Depth=1
	s_waitcnt lgkmcnt(2)
	global_store_b16 v[0:1], v4, off offset:64
	s_or_b32 exec_lo, exec_lo, s12
	s_and_saveexec_b32 s12, s14
	s_cbranch_execz .LBB101_98
.LBB101_106:                            ;   in Loop: Header=BB101_12 Depth=1
	s_waitcnt lgkmcnt(1)
	global_store_b16 v[0:1], v3, off offset:128
	s_or_b32 exec_lo, exec_lo, s12
	s_and_saveexec_b32 s12, s15
	s_cbranch_execz .LBB101_11
.LBB101_107:                            ;   in Loop: Header=BB101_12 Depth=1
	s_waitcnt lgkmcnt(0)
	global_store_b16 v[0:1], v2, off offset:192
	s_branch .LBB101_11
.LBB101_108:
	s_nop 0
	s_sendmsg sendmsg(MSG_DEALLOC_VGPRS)
	s_endpgm
	.section	.rodata,"a",@progbits
	.p2align	6, 0x0
	.amdhsa_kernel _Z25selective_scan_fwd_kernelI32Selective_Scan_fwd_kernel_traitsILi64ELi4ELi1ELb0ELb1ELb1ELb1ELb0EN3c104HalfEffEEv13SSMParamsBase
		.amdhsa_group_segment_fixed_size 0
		.amdhsa_private_segment_fixed_size 0
		.amdhsa_kernarg_size 248
		.amdhsa_user_sgpr_count 14
		.amdhsa_user_sgpr_dispatch_ptr 0
		.amdhsa_user_sgpr_queue_ptr 0
		.amdhsa_user_sgpr_kernarg_segment_ptr 1
		.amdhsa_user_sgpr_dispatch_id 0
		.amdhsa_user_sgpr_private_segment_size 0
		.amdhsa_wavefront_size32 1
		.amdhsa_uses_dynamic_stack 0
		.amdhsa_enable_private_segment 0
		.amdhsa_system_sgpr_workgroup_id_x 1
		.amdhsa_system_sgpr_workgroup_id_y 1
		.amdhsa_system_sgpr_workgroup_id_z 0
		.amdhsa_system_sgpr_workgroup_info 0
		.amdhsa_system_vgpr_workitem_id 0
		.amdhsa_next_free_vgpr 61
		.amdhsa_next_free_sgpr 70
		.amdhsa_reserve_vcc 1
		.amdhsa_float_round_mode_32 0
		.amdhsa_float_round_mode_16_64 0
		.amdhsa_float_denorm_mode_32 3
		.amdhsa_float_denorm_mode_16_64 3
		.amdhsa_dx10_clamp 1
		.amdhsa_ieee_mode 1
		.amdhsa_fp16_overflow 0
		.amdhsa_workgroup_processor_mode 1
		.amdhsa_memory_ordered 1
		.amdhsa_forward_progress 0
		.amdhsa_shared_vgpr_count 0
		.amdhsa_exception_fp_ieee_invalid_op 0
		.amdhsa_exception_fp_denorm_src 0
		.amdhsa_exception_fp_ieee_div_zero 0
		.amdhsa_exception_fp_ieee_overflow 0
		.amdhsa_exception_fp_ieee_underflow 0
		.amdhsa_exception_fp_ieee_inexact 0
		.amdhsa_exception_int_div_zero 0
	.end_amdhsa_kernel
	.section	.text._Z25selective_scan_fwd_kernelI32Selective_Scan_fwd_kernel_traitsILi64ELi4ELi1ELb0ELb1ELb1ELb1ELb0EN3c104HalfEffEEv13SSMParamsBase,"axG",@progbits,_Z25selective_scan_fwd_kernelI32Selective_Scan_fwd_kernel_traitsILi64ELi4ELi1ELb0ELb1ELb1ELb1ELb0EN3c104HalfEffEEv13SSMParamsBase,comdat
.Lfunc_end101:
	.size	_Z25selective_scan_fwd_kernelI32Selective_Scan_fwd_kernel_traitsILi64ELi4ELi1ELb0ELb1ELb1ELb1ELb0EN3c104HalfEffEEv13SSMParamsBase, .Lfunc_end101-_Z25selective_scan_fwd_kernelI32Selective_Scan_fwd_kernel_traitsILi64ELi4ELi1ELb0ELb1ELb1ELb1ELb0EN3c104HalfEffEEv13SSMParamsBase
                                        ; -- End function
	.section	.AMDGPU.csdata,"",@progbits
; Kernel info:
; codeLenInByte = 8316
; NumSgprs: 72
; NumVgprs: 61
; ScratchSize: 0
; MemoryBound: 0
; FloatMode: 240
; IeeeMode: 1
; LDSByteSize: 0 bytes/workgroup (compile time only)
; SGPRBlocks: 8
; VGPRBlocks: 7
; NumSGPRsForWavesPerEU: 72
; NumVGPRsForWavesPerEU: 61
; Occupancy: 16
; WaveLimiterHint : 0
; COMPUTE_PGM_RSRC2:SCRATCH_EN: 0
; COMPUTE_PGM_RSRC2:USER_SGPR: 14
; COMPUTE_PGM_RSRC2:TRAP_HANDLER: 0
; COMPUTE_PGM_RSRC2:TGID_X_EN: 1
; COMPUTE_PGM_RSRC2:TGID_Y_EN: 1
; COMPUTE_PGM_RSRC2:TGID_Z_EN: 0
; COMPUTE_PGM_RSRC2:TIDIG_COMP_CNT: 0
	.section	.text._Z25selective_scan_fwd_kernelI32Selective_Scan_fwd_kernel_traitsILi64ELi4ELi1ELb0ELb1ELb1ELb0ELb1EN3c104HalfEffEEv13SSMParamsBase,"axG",@progbits,_Z25selective_scan_fwd_kernelI32Selective_Scan_fwd_kernel_traitsILi64ELi4ELi1ELb0ELb1ELb1ELb0ELb1EN3c104HalfEffEEv13SSMParamsBase,comdat
	.protected	_Z25selective_scan_fwd_kernelI32Selective_Scan_fwd_kernel_traitsILi64ELi4ELi1ELb0ELb1ELb1ELb0ELb1EN3c104HalfEffEEv13SSMParamsBase ; -- Begin function _Z25selective_scan_fwd_kernelI32Selective_Scan_fwd_kernel_traitsILi64ELi4ELi1ELb0ELb1ELb1ELb0ELb1EN3c104HalfEffEEv13SSMParamsBase
	.globl	_Z25selective_scan_fwd_kernelI32Selective_Scan_fwd_kernel_traitsILi64ELi4ELi1ELb0ELb1ELb1ELb0ELb1EN3c104HalfEffEEv13SSMParamsBase
	.p2align	8
	.type	_Z25selective_scan_fwd_kernelI32Selective_Scan_fwd_kernel_traitsILi64ELi4ELi1ELb0ELb1ELb1ELb0ELb1EN3c104HalfEffEEv13SSMParamsBase,@function
_Z25selective_scan_fwd_kernelI32Selective_Scan_fwd_kernel_traitsILi64ELi4ELi1ELb0ELb1ELb1ELb0ELb1EN3c104HalfEffEEv13SSMParamsBase: ; @_Z25selective_scan_fwd_kernelI32Selective_Scan_fwd_kernel_traitsILi64ELi4ELi1ELb0ELb1ELb1ELb0ELb1EN3c104HalfEffEEv13SSMParamsBase
; %bb.0:
	s_clause 0x2
	s_load_b32 s35, s[0:1], 0x18
	s_load_b128 s[4:7], s[0:1], 0xe0
	s_load_b64 s[10:11], s[0:1], 0xf0
	s_mov_b32 s12, s15
	s_ashr_i32 s15, s14, 31
	s_mov_b32 s33, 0
	s_lshl_b64 s[8:9], s[14:15], 2
	s_waitcnt lgkmcnt(0)
	s_abs_i32 s34, s35
	s_add_u32 s2, s4, s8
	v_cvt_f32_u32_e32 v1, s34
	s_addc_u32 s3, s5, s9
	s_cmp_eq_u64 s[10:11], 0
	s_delay_alu instid0(VALU_DEP_1) | instskip(SKIP_2) | instid1(VALU_DEP_1)
	v_rcp_iflag_f32_e32 v1, v1
	s_waitcnt_depctr 0xfff
	v_mul_f32_e32 v1, 0x4f7ffffe, v1
	v_cvt_u32_f32_e32 v1, v1
	s_delay_alu instid0(VALU_DEP_1)
	v_readfirstlane_b32 s36, v1
	s_cbranch_scc1 .LBB102_2
; %bb.1:
	v_mov_b32_e32 v1, 0
	s_add_u32 s4, s10, s14
	s_addc_u32 s5, s11, s15
	global_load_u8 v1, v1, s[4:5]
	s_waitcnt vmcnt(0)
	v_and_b32_e32 v1, 1, v1
	s_delay_alu instid0(VALU_DEP_1)
	v_cmp_eq_u32_e64 s33, 1, v1
.LBB102_2:
	s_load_b64 s[4:5], s[0:1], 0x20
	s_cmp_eq_u64 s[6:7], 0
	s_cbranch_scc1 .LBB102_4
; %bb.3:
	s_add_u32 s6, s6, s8
	s_addc_u32 s7, s7, s9
	s_load_b32 s14, s[6:7], 0x0
	s_waitcnt lgkmcnt(0)
	s_ashr_i32 s15, s14, 31
.LBB102_4:
	s_waitcnt lgkmcnt(0)
	s_cmp_eq_u64 s[4:5], s[14:15]
	s_cbranch_scc1 .LBB102_92
; %bb.5:
	s_load_b512 s[16:31], s[0:1], 0x88
	s_load_b64 s[10:11], s[2:3], 0x0
	s_mov_b32 s48, 0
	s_mov_b32 s49, 0
	s_waitcnt lgkmcnt(0)
	s_cmp_eq_u64 s[22:23], 0
	s_cbranch_scc1 .LBB102_7
; %bb.6:
	s_ashr_i32 s13, s12, 31
	s_delay_alu instid0(SALU_CYCLE_1) | instskip(NEXT) | instid1(SALU_CYCLE_1)
	s_lshl_b64 s[2:3], s[12:13], 2
	s_add_u32 s2, s22, s2
	s_addc_u32 s3, s23, s3
	s_load_b32 s49, s[2:3], 0x0
.LBB102_7:
	s_cmp_eq_u64 s[28:29], 0
	s_cbranch_scc1 .LBB102_9
; %bb.8:
	s_ashr_i32 s13, s12, 31
	s_delay_alu instid0(SALU_CYCLE_1) | instskip(NEXT) | instid1(SALU_CYCLE_1)
	s_lshl_b64 s[2:3], s[12:13], 2
	s_add_u32 s2, s28, s2
	s_addc_u32 s3, s29, s3
	s_load_b32 s48, s[2:3], 0x0
.LBB102_9:
	s_sub_i32 s23, s11, s10
	s_delay_alu instid0(SALU_CYCLE_1)
	s_cmp_lt_i32 s23, 1
	s_cbranch_scc1 .LBB102_92
; %bb.10:
	s_sub_i32 s2, 0, s34
	s_abs_i32 s5, s12
	s_mul_i32 s4, s2, s36
	s_clause 0x1
	s_load_b64 s[2:3], s[0:1], 0x5c
	s_load_b128 s[44:47], s[0:1], 0x4c
	s_mul_hi_u32 s4, s36, s4
	s_ashr_i32 s7, s35, 31
	s_add_i32 s36, s36, s4
	s_ashr_i32 s4, s12, 31
	s_mul_hi_u32 s6, s5, s36
	s_xor_b32 s7, s4, s7
	s_mul_i32 s8, s6, s34
	s_load_b256 s[36:43], s[0:1], 0x2c
	s_sub_i32 s4, s5, s8
	s_add_i32 s5, s6, 1
	s_sub_i32 s8, s4, s34
	s_cmp_ge_u32 s4, s34
	s_mov_b32 s29, 0
	s_cselect_b32 s5, s5, s6
	s_cselect_b32 s4, s8, s4
	s_add_i32 s6, s5, 1
	s_cmp_ge_u32 s4, s34
	v_lshlrev_b32_e32 v8, 2, v0
	s_cselect_b32 s4, s6, s5
	s_waitcnt lgkmcnt(0)
	s_mul_i32 s28, s10, s46
	s_xor_b32 s6, s4, s7
	s_lshl_b64 s[4:5], s[28:29], 1
	s_sub_i32 s6, s6, s7
	s_mul_i32 s28, s47, s12
	s_add_u32 s7, s24, s4
	s_addc_u32 s8, s25, s5
	s_lshl_b64 s[4:5], s[28:29], 1
	s_mul_i32 s28, s10, s2
	s_add_u32 s43, s7, s4
	s_addc_u32 s46, s8, s5
	s_lshl_b64 s[4:5], s[28:29], 1
	;; [unrolled: 4-line block ×3, first 2 shown]
	s_mul_i32 s28, s36, s12
	s_add_u32 s47, s4, s2
	s_addc_u32 s36, s5, s3
	s_clause 0x1
	s_load_b128 s[24:27], s[0:1], 0x7c
	s_load_b64 s[4:5], s[0:1], 0xc8
	s_lshl_b64 s[2:3], s[28:29], 2
	s_mul_i32 s28, s10, s38
	s_add_u32 s50, s16, s2
	s_addc_u32 s51, s17, s3
	s_lshl_b64 s[2:3], s[28:29], 1
	s_mul_i32 s28, s6, s41
	s_add_u32 s7, s18, s2
	v_mbcnt_lo_u32_b32 v1, -1, 0
	v_and_b32_e32 v2, 0x80, v8
	v_dual_mov_b32 v12, 0 :: v_dual_and_b32 v3, 32, v0
	s_addc_u32 s8, s19, s3
	s_lshl_b64 s[2:3], s[28:29], 1
	s_mul_i32 s28, s10, s42
	s_waitcnt lgkmcnt(0)
	s_add_u32 s27, s7, s2
	s_addc_u32 s41, s8, s3
	s_clause 0x1
	s_load_b32 s42, s[0:1], 0xc
	s_load_b32 s8, s[0:1], 0x28
	v_or_b32_e32 v9, v1, v2
	v_or_b32_e32 v4, v1, v3
	s_lshl_b64 s[2:3], s[28:29], 1
	s_mul_i32 s28, s6, s45
	s_add_u32 s7, s20, s2
	v_or_b32_e32 v11, 0x60, v9
	v_lshrrev_b32_e32 v14, 3, v4
	s_addc_u32 s6, s21, s3
	s_lshl_b64 s[2:3], s[28:29], 1
	s_mul_i32 s28, s14, s24
	s_load_b64 s[16:17], s[0:1], 0x6c
	s_add_u32 s45, s7, s2
	s_addc_u32 s52, s6, s3
	s_lshl_b64 s[0:1], s[28:29], 2
	v_or_b32_e32 v10, 64, v9
	v_lshrrev_b32_e32 v7, 5, v11
	v_and_b32_e32 v16, 6, v14
	s_mul_i32 s28, s25, s12
	s_add_u32 s2, s4, s0
	s_addc_u32 s3, s5, s1
	s_lshl_b64 s[0:1], s[28:29], 2
	v_lshrrev_b32_e32 v5, 5, v2
	s_add_u32 s53, s2, s0
	v_lshrrev_b32_e32 v6, 5, v10
	v_and_b32_e32 v7, 6, v7
	v_lshl_add_u32 v4, v4, 2, v16
	s_addc_u32 s54, s3, s1
	s_add_i32 s0, s23, 0x7ff
	v_add_lshl_u32 v5, v5, v9, 1
	s_lshr_b32 s55, s0, 11
	s_waitcnt lgkmcnt(0)
	s_bitcmp1_b32 s8, 0
	v_add_lshl_u32 v6, v6, v9, 1
	v_add_lshl_u32 v7, v7, v9, 1
	v_lshl_add_u32 v17, v4, 1, 0
	v_and_b32_e32 v4, 15, v1
	s_cselect_b32 s56, -1, 0
	s_cmp_gt_i32 s42, 0
	v_or_b32_e32 v3, 31, v3
	s_cselect_b32 s57, -1, 0
	s_add_i32 s0, 0, 0x210
	s_and_b32 s1, s23, 0xff
	v_add_nc_u32_e32 v18, s0, v5
	v_add_nc_u32_e32 v19, s0, v6
	s_cmp_eq_u32 s1, 0
	v_add_nc_u32_e32 v20, s0, v7
	v_cmp_ne_u32_e64 s0, 0, v4
	v_cmp_lt_u32_e64 s1, 1, v4
	v_cmp_lt_u32_e64 s2, 3, v4
	;; [unrolled: 1-line block ×3, first 2 shown]
	v_add_nc_u32_e32 v4, -1, v1
	s_mul_i32 s28, s10, s16
	s_cselect_b32 s58, -1, 0
	s_lshl_b64 s[14:15], s[28:29], 1
	s_add_i32 s59, s55, -1
	v_cmp_gt_i32_e32 vcc_lo, 0, v4
	s_mul_i32 s28, s17, s12
	v_add_nc_u32_e32 v14, 0, v5
	v_lshrrev_b32_e32 v5, 2, v0
	v_cmp_eq_u32_e64 s5, v3, v0
	v_cndmask_b32_e32 v4, v4, v1, vcc_lo
	v_and_b32_e32 v3, 1, v1
	v_cmp_gt_u32_e64 s6, 2, v0
	v_lshl_add_u32 v22, v0, 3, 0
	v_cmp_gt_u32_e64 s8, 32, v0
	v_cmp_lt_u32_e64 s9, 31, v0
	v_cmp_eq_u32_e64 s10, 0, v0
	s_add_u32 s11, s30, s14
	v_lshlrev_b32_e32 v0, 1, v1
	s_addc_u32 s14, s31, s15
	s_lshl_b64 s[12:13], s[28:29], 1
	v_cmp_eq_u32_e64 s7, 0, v3
	s_add_u32 s11, s11, s12
	s_addc_u32 s12, s14, s13
	v_lshlrev_b32_e32 v3, 1, v2
	v_add_co_u32 v0, s11, s11, v0
	v_add_nc_u32_e32 v15, 0, v6
	v_and_b32_e32 v6, 16, v1
	v_and_b32_e32 v5, 8, v5
	v_lshlrev_b32_e32 v23, 2, v4
	v_add_co_ci_u32_e64 v4, null, s12, 0, s11
	v_add_co_u32 v24, vcc_lo, v0, v3
	v_or_b32_e32 v13, 32, v9
	v_add_nc_u32_e32 v16, 0, v7
	v_cmp_ne_u32_e64 s4, 0, v6
	v_add_nc_u32_e32 v21, 0, v5
	v_cmp_eq_u32_e64 s11, 0, v1
	v_add_co_ci_u32_e32 v25, vcc_lo, 0, v4, vcc_lo
	v_or_b32_e32 v26, 1, v8
	v_or_b32_e32 v27, 2, v8
	;; [unrolled: 1-line block ×3, first 2 shown]
	v_lshlrev_b32_e32 v29, 1, v1
	v_lshlrev_b32_e32 v30, 1, v2
	s_mov_b32 s60, 0x3e9b6dac
	s_add_i32 s61, 0, 0x430
	s_mov_b32 s62, 0
	s_branch .LBB102_12
.LBB102_11:                             ;   in Loop: Header=BB102_12 Depth=1
	s_or_b32 exec_lo, exec_lo, s12
	s_add_u32 s47, s47, 0x200
	s_addc_u32 s36, s36, 0
	s_add_u32 s43, s43, 0x200
	s_addc_u32 s46, s46, 0
	;; [unrolled: 2-line block ×4, first 2 shown]
	s_add_i32 s62, s62, 1
	s_delay_alu instid0(SALU_CYCLE_1)
	s_cmp_eq_u32 s62, s55
	s_cbranch_scc1 .LBB102_92
.LBB102_12:                             ; =>This Loop Header: Depth=1
                                        ;     Child Loop BB102_37 Depth 2
	v_add_co_u32 v0, s12, s43, v29
	s_delay_alu instid0(VALU_DEP_1) | instskip(SKIP_1) | instid1(VALU_DEP_2)
	v_add_co_ci_u32_e64 v1, null, s46, 0, s12
	s_lshl_b32 s24, s62, 8
	v_add_co_u32 v0, vcc_lo, v0, v30
	s_sub_i32 s19, s23, s24
	s_delay_alu instid0(VALU_DEP_2)
	v_add_co_ci_u32_e32 v1, vcc_lo, 0, v1, vcc_lo
	v_cmp_gt_u32_e64 s12, s19, v9
	s_waitcnt lgkmcnt(0)
	v_mov_b32_e32 v2, 0
	s_waitcnt_vscnt null, 0x0
	s_barrier
	buffer_gl0_inv
	s_and_saveexec_b32 s13, s12
	s_cbranch_execz .LBB102_14
; %bb.13:                               ;   in Loop: Header=BB102_12 Depth=1
	global_load_u16 v2, v[0:1], off
.LBB102_14:                             ;   in Loop: Header=BB102_12 Depth=1
	s_or_b32 exec_lo, exec_lo, s13
	v_cmp_gt_u32_e64 s13, s19, v13
	v_mov_b32_e32 v3, 0
	v_mov_b32_e32 v5, 0
	s_delay_alu instid0(VALU_DEP_3)
	s_and_saveexec_b32 s14, s13
	s_cbranch_execz .LBB102_16
; %bb.15:                               ;   in Loop: Header=BB102_12 Depth=1
	global_load_u16 v5, v[0:1], off offset:64
.LBB102_16:                             ;   in Loop: Header=BB102_12 Depth=1
	s_or_b32 exec_lo, exec_lo, s14
	v_cmp_gt_u32_e64 s14, s19, v10
	s_delay_alu instid0(VALU_DEP_1)
	s_and_saveexec_b32 s15, s14
	s_cbranch_execz .LBB102_18
; %bb.17:                               ;   in Loop: Header=BB102_12 Depth=1
	global_load_u16 v3, v[0:1], off offset:128
.LBB102_18:                             ;   in Loop: Header=BB102_12 Depth=1
	s_or_b32 exec_lo, exec_lo, s15
	v_cmp_gt_u32_e64 s15, s19, v11
	v_mov_b32_e32 v4, 0
	v_mov_b32_e32 v6, 0
	s_delay_alu instid0(VALU_DEP_3)
	s_and_saveexec_b32 s16, s15
	s_cbranch_execz .LBB102_20
; %bb.19:                               ;   in Loop: Header=BB102_12 Depth=1
	global_load_u16 v6, v[0:1], off offset:192
.LBB102_20:                             ;   in Loop: Header=BB102_12 Depth=1
	s_or_b32 exec_lo, exec_lo, s16
	s_waitcnt vmcnt(0)
	ds_store_b16 v14, v2
	ds_store_b16 v14, v5 offset:64
	ds_store_b16 v15, v3 offset:128
	;; [unrolled: 1-line block ×3, first 2 shown]
	; wave barrier
	ds_load_b64 v[0:1], v17
	v_add_co_u32 v2, s16, s47, v29
	s_delay_alu instid0(VALU_DEP_1) | instskip(SKIP_1) | instid1(VALU_DEP_2)
	v_add_co_ci_u32_e64 v3, null, s36, 0, s16
	s_waitcnt lgkmcnt(0)
	v_add_co_u32 v2, vcc_lo, v2, v30
	s_delay_alu instid0(VALU_DEP_2)
	v_add_co_ci_u32_e32 v3, vcc_lo, 0, v3, vcc_lo
	s_barrier
	buffer_gl0_inv
	s_and_saveexec_b32 s16, s12
	s_cbranch_execz .LBB102_22
; %bb.21:                               ;   in Loop: Header=BB102_12 Depth=1
	global_load_u16 v4, v[2:3], off
.LBB102_22:                             ;   in Loop: Header=BB102_12 Depth=1
	s_or_b32 exec_lo, exec_lo, s16
	v_dual_mov_b32 v5, 0 :: v_dual_mov_b32 v6, 0
	s_and_saveexec_b32 s16, s13
	s_cbranch_execnz .LBB102_86
; %bb.23:                               ;   in Loop: Header=BB102_12 Depth=1
	s_or_b32 exec_lo, exec_lo, s16
	s_and_saveexec_b32 s16, s14
	s_cbranch_execnz .LBB102_87
.LBB102_24:                             ;   in Loop: Header=BB102_12 Depth=1
	s_or_b32 exec_lo, exec_lo, s16
	v_mov_b32_e32 v7, 0
	s_and_saveexec_b32 s16, s15
	s_cbranch_execz .LBB102_26
.LBB102_25:                             ;   in Loop: Header=BB102_12 Depth=1
	global_load_u16 v7, v[2:3], off offset:192
.LBB102_26:                             ;   in Loop: Header=BB102_12 Depth=1
	s_or_b32 exec_lo, exec_lo, s16
	s_waitcnt vmcnt(0)
	ds_store_b16 v14, v4
	ds_store_b16 v14, v6 offset:64
	ds_store_b16 v15, v5 offset:128
	;; [unrolled: 1-line block ×3, first 2 shown]
	; wave barrier
	ds_load_b64 v[2:3], v17
	s_waitcnt lgkmcnt(0)
	v_cvt_f32_f16_e32 v4, v2
	s_delay_alu instid0(VALU_DEP_1) | instskip(NEXT) | instid1(VALU_DEP_1)
	v_add_f32_e32 v31, s48, v4
	v_cmp_ge_f32_e32 vcc_lo, 0x41a00000, v31
	s_and_b32 s16, s56, vcc_lo
	s_delay_alu instid0(SALU_CYCLE_1)
	s_and_saveexec_b32 s17, s16
	s_cbranch_execz .LBB102_28
; %bb.27:                               ;   in Loop: Header=BB102_12 Depth=1
	v_mul_f32_e32 v4, 0x3fb8aa3b, v31
	v_cmp_ngt_f32_e32 vcc_lo, 0xc2ce8ed0, v31
	s_delay_alu instid0(VALU_DEP_2) | instskip(SKIP_1) | instid1(VALU_DEP_2)
	v_rndne_f32_e32 v5, v4
	v_fma_f32 v6, 0x3fb8aa3b, v31, -v4
	v_sub_f32_e32 v4, v4, v5
	s_delay_alu instid0(VALU_DEP_2) | instskip(SKIP_1) | instid1(VALU_DEP_2)
	v_fmac_f32_e32 v6, 0x32a5705f, v31
	v_cvt_i32_f32_e32 v5, v5
	v_add_f32_e32 v4, v4, v6
	s_delay_alu instid0(VALU_DEP_1) | instskip(SKIP_2) | instid1(VALU_DEP_1)
	v_exp_f32_e32 v4, v4
	s_waitcnt_depctr 0xfff
	v_ldexp_f32 v4, v4, v5
	v_cndmask_b32_e32 v4, 0, v4, vcc_lo
	v_cmp_nlt_f32_e32 vcc_lo, 0x42b17218, v31
	s_delay_alu instid0(VALU_DEP_2) | instskip(NEXT) | instid1(VALU_DEP_1)
	v_cndmask_b32_e32 v6, 0x7f800000, v4, vcc_lo
	v_add_f32_e32 v7, 1.0, v6
	s_delay_alu instid0(VALU_DEP_1) | instskip(NEXT) | instid1(VALU_DEP_1)
	v_cvt_f64_f32_e32 v[4:5], v7
	v_frexp_exp_i32_f64_e32 v4, v[4:5]
	v_frexp_mant_f32_e32 v5, v7
	s_delay_alu instid0(VALU_DEP_1) | instskip(SKIP_1) | instid1(VALU_DEP_1)
	v_cmp_gt_f32_e32 vcc_lo, 0x3f2aaaab, v5
	v_add_f32_e32 v5, -1.0, v7
	v_dual_sub_f32 v32, v5, v7 :: v_dual_sub_f32 v5, v6, v5
	s_delay_alu instid0(VALU_DEP_1) | instskip(NEXT) | instid1(VALU_DEP_1)
	v_add_f32_e32 v32, 1.0, v32
	v_add_f32_e32 v5, v5, v32
	v_subrev_co_ci_u32_e32 v4, vcc_lo, 0, v4, vcc_lo
	s_delay_alu instid0(VALU_DEP_1) | instskip(SKIP_1) | instid1(VALU_DEP_2)
	v_sub_nc_u32_e32 v31, 0, v4
	v_cvt_f32_i32_e32 v4, v4
	v_ldexp_f32 v7, v7, v31
	v_ldexp_f32 v5, v5, v31
	s_delay_alu instid0(VALU_DEP_2) | instskip(SKIP_3) | instid1(VALU_DEP_4)
	v_add_f32_e32 v33, 1.0, v7
	v_add_f32_e32 v31, -1.0, v7
	v_cmp_eq_f32_e32 vcc_lo, 0x7f800000, v6
	v_cmp_gt_f32_e64 s16, 0x33800000, v6
	v_add_f32_e32 v32, -1.0, v33
	s_delay_alu instid0(VALU_DEP_4) | instskip(NEXT) | instid1(VALU_DEP_3)
	v_add_f32_e32 v34, 1.0, v31
	s_or_b32 vcc_lo, s16, vcc_lo
	s_delay_alu instid0(VALU_DEP_2) | instskip(NEXT) | instid1(VALU_DEP_1)
	v_sub_f32_e32 v32, v7, v32
	v_dual_sub_f32 v7, v7, v34 :: v_dual_add_f32 v32, v5, v32
	s_delay_alu instid0(VALU_DEP_1) | instskip(NEXT) | instid1(VALU_DEP_1)
	v_add_f32_e32 v5, v5, v7
	v_dual_add_f32 v35, v31, v5 :: v_dual_add_f32 v34, v33, v32
	s_delay_alu instid0(VALU_DEP_1) | instskip(NEXT) | instid1(VALU_DEP_2)
	v_sub_f32_e32 v31, v31, v35
	v_rcp_f32_e32 v7, v34
	v_sub_f32_e32 v33, v33, v34
	s_delay_alu instid0(VALU_DEP_1) | instskip(SKIP_2) | instid1(VALU_DEP_1)
	v_dual_add_f32 v5, v5, v31 :: v_dual_add_f32 v32, v32, v33
	s_waitcnt_depctr 0xfff
	v_mul_f32_e32 v36, v35, v7
	v_mul_f32_e32 v37, v34, v36
	s_delay_alu instid0(VALU_DEP_1) | instskip(NEXT) | instid1(VALU_DEP_1)
	v_fma_f32 v33, v36, v34, -v37
	v_fmac_f32_e32 v33, v36, v32
	s_delay_alu instid0(VALU_DEP_1) | instskip(NEXT) | instid1(VALU_DEP_1)
	v_add_f32_e32 v38, v37, v33
	v_sub_f32_e32 v39, v35, v38
	s_delay_alu instid0(VALU_DEP_1) | instskip(SKIP_1) | instid1(VALU_DEP_2)
	v_sub_f32_e32 v35, v35, v39
	v_sub_f32_e32 v31, v38, v37
	v_sub_f32_e32 v35, v35, v38
	s_delay_alu instid0(VALU_DEP_2) | instskip(NEXT) | instid1(VALU_DEP_2)
	v_sub_f32_e32 v31, v31, v33
	v_add_f32_e32 v5, v5, v35
	s_delay_alu instid0(VALU_DEP_1) | instskip(NEXT) | instid1(VALU_DEP_1)
	v_add_f32_e32 v5, v31, v5
	v_add_f32_e32 v31, v39, v5
	s_delay_alu instid0(VALU_DEP_1) | instskip(NEXT) | instid1(VALU_DEP_1)
	v_mul_f32_e32 v33, v7, v31
	v_dual_sub_f32 v38, v39, v31 :: v_dual_mul_f32 v35, v34, v33
	s_delay_alu instid0(VALU_DEP_1) | instskip(NEXT) | instid1(VALU_DEP_2)
	v_add_f32_e32 v5, v5, v38
	v_fma_f32 v34, v33, v34, -v35
	s_delay_alu instid0(VALU_DEP_1) | instskip(NEXT) | instid1(VALU_DEP_1)
	v_fmac_f32_e32 v34, v33, v32
	v_add_f32_e32 v32, v35, v34
	s_delay_alu instid0(VALU_DEP_1) | instskip(SKIP_1) | instid1(VALU_DEP_2)
	v_sub_f32_e32 v37, v31, v32
	v_sub_f32_e32 v35, v32, v35
	;; [unrolled: 1-line block ×3, first 2 shown]
	s_delay_alu instid0(VALU_DEP_1) | instskip(NEXT) | instid1(VALU_DEP_1)
	v_sub_f32_e32 v31, v31, v32
	v_dual_sub_f32 v32, v35, v34 :: v_dual_add_f32 v5, v5, v31
	v_add_f32_e32 v31, v36, v33
	s_delay_alu instid0(VALU_DEP_1) | instskip(NEXT) | instid1(VALU_DEP_1)
	v_dual_add_f32 v5, v32, v5 :: v_dual_sub_f32 v32, v31, v36
	v_add_f32_e32 v5, v37, v5
	s_delay_alu instid0(VALU_DEP_1) | instskip(NEXT) | instid1(VALU_DEP_1)
	v_dual_sub_f32 v32, v33, v32 :: v_dual_mul_f32 v5, v7, v5
	v_add_f32_e32 v5, v32, v5
	s_delay_alu instid0(VALU_DEP_1) | instskip(NEXT) | instid1(VALU_DEP_1)
	v_add_f32_e32 v7, v31, v5
	v_mul_f32_e32 v32, v7, v7
	s_delay_alu instid0(VALU_DEP_1) | instskip(SKIP_1) | instid1(VALU_DEP_2)
	v_fmaak_f32 v33, s60, v32, 0x3ecc95a3
	v_mul_f32_e32 v34, v7, v32
	v_fmaak_f32 v32, v32, v33, 0x3f2aaada
	v_ldexp_f32 v33, v7, 1
	s_delay_alu instid0(VALU_DEP_2) | instskip(NEXT) | instid1(VALU_DEP_1)
	v_dual_sub_f32 v7, v7, v31 :: v_dual_mul_f32 v32, v34, v32
	v_dual_mul_f32 v34, 0x3f317218, v4 :: v_dual_sub_f32 v5, v5, v7
	s_delay_alu instid0(VALU_DEP_2) | instskip(NEXT) | instid1(VALU_DEP_2)
	v_add_f32_e32 v31, v33, v32
	v_ldexp_f32 v5, v5, 1
	s_delay_alu instid0(VALU_DEP_2) | instskip(NEXT) | instid1(VALU_DEP_4)
	v_sub_f32_e32 v7, v31, v33
	v_fma_f32 v33, 0x3f317218, v4, -v34
	s_delay_alu instid0(VALU_DEP_2) | instskip(NEXT) | instid1(VALU_DEP_1)
	v_sub_f32_e32 v7, v32, v7
	v_dual_fmac_f32 v33, 0xb102e308, v4 :: v_dual_add_f32 v4, v5, v7
	s_delay_alu instid0(VALU_DEP_1) | instskip(NEXT) | instid1(VALU_DEP_1)
	v_add_f32_e32 v5, v34, v33
	v_dual_add_f32 v7, v31, v4 :: v_dual_sub_f32 v34, v5, v34
	s_delay_alu instid0(VALU_DEP_1) | instskip(SKIP_1) | instid1(VALU_DEP_3)
	v_add_f32_e32 v32, v5, v7
	v_sub_f32_e32 v31, v7, v31
	v_sub_f32_e32 v33, v33, v34
	s_delay_alu instid0(VALU_DEP_3) | instskip(NEXT) | instid1(VALU_DEP_3)
	v_sub_f32_e32 v35, v32, v5
	v_sub_f32_e32 v4, v4, v31
	s_delay_alu instid0(VALU_DEP_2) | instskip(SKIP_1) | instid1(VALU_DEP_3)
	v_sub_f32_e32 v36, v32, v35
	v_sub_f32_e32 v7, v7, v35
	v_add_f32_e32 v31, v33, v4
	s_delay_alu instid0(VALU_DEP_3) | instskip(NEXT) | instid1(VALU_DEP_1)
	v_sub_f32_e32 v5, v5, v36
	v_add_f32_e32 v5, v7, v5
	s_delay_alu instid0(VALU_DEP_3) | instskip(NEXT) | instid1(VALU_DEP_1)
	v_sub_f32_e32 v7, v31, v33
	v_dual_add_f32 v5, v31, v5 :: v_dual_sub_f32 v4, v4, v7
	s_delay_alu instid0(VALU_DEP_1) | instskip(NEXT) | instid1(VALU_DEP_1)
	v_dual_sub_f32 v31, v31, v7 :: v_dual_add_f32 v34, v32, v5
	v_sub_f32_e32 v31, v33, v31
	s_delay_alu instid0(VALU_DEP_1) | instskip(NEXT) | instid1(VALU_DEP_1)
	v_dual_sub_f32 v7, v34, v32 :: v_dual_add_f32 v4, v4, v31
	v_sub_f32_e32 v5, v5, v7
	s_delay_alu instid0(VALU_DEP_1) | instskip(NEXT) | instid1(VALU_DEP_1)
	v_add_f32_e32 v4, v4, v5
	v_add_f32_e32 v4, v34, v4
	s_delay_alu instid0(VALU_DEP_1)
	v_cndmask_b32_e32 v31, v4, v6, vcc_lo
.LBB102_28:                             ;   in Loop: Header=BB102_12 Depth=1
	s_or_b32 exec_lo, exec_lo, s17
	v_lshrrev_b32_e32 v2, 16, v2
	s_delay_alu instid0(VALU_DEP_1) | instskip(NEXT) | instid1(VALU_DEP_1)
	v_cvt_f32_f16_e32 v2, v2
	v_add_f32_e32 v32, s48, v2
	s_delay_alu instid0(VALU_DEP_1) | instskip(SKIP_1) | instid1(SALU_CYCLE_1)
	v_cmp_ge_f32_e32 vcc_lo, 0x41a00000, v32
	s_and_b32 s16, s56, vcc_lo
	s_and_saveexec_b32 s17, s16
	s_cbranch_execz .LBB102_30
; %bb.29:                               ;   in Loop: Header=BB102_12 Depth=1
	v_mul_f32_e32 v2, 0x3fb8aa3b, v32
	v_cmp_ngt_f32_e32 vcc_lo, 0xc2ce8ed0, v32
	s_delay_alu instid0(VALU_DEP_2) | instskip(SKIP_1) | instid1(VALU_DEP_2)
	v_rndne_f32_e32 v4, v2
	v_fma_f32 v5, 0x3fb8aa3b, v32, -v2
	v_sub_f32_e32 v2, v2, v4
	s_delay_alu instid0(VALU_DEP_2) | instskip(SKIP_1) | instid1(VALU_DEP_2)
	v_fmac_f32_e32 v5, 0x32a5705f, v32
	v_cvt_i32_f32_e32 v4, v4
	v_add_f32_e32 v2, v2, v5
	s_delay_alu instid0(VALU_DEP_1) | instskip(SKIP_2) | instid1(VALU_DEP_1)
	v_exp_f32_e32 v2, v2
	s_waitcnt_depctr 0xfff
	v_ldexp_f32 v2, v2, v4
	v_cndmask_b32_e32 v2, 0, v2, vcc_lo
	v_cmp_nlt_f32_e32 vcc_lo, 0x42b17218, v32
	s_delay_alu instid0(VALU_DEP_2) | instskip(NEXT) | instid1(VALU_DEP_1)
	v_cndmask_b32_e32 v2, 0x7f800000, v2, vcc_lo
	v_add_f32_e32 v6, 1.0, v2
	s_delay_alu instid0(VALU_DEP_1) | instskip(NEXT) | instid1(VALU_DEP_1)
	v_cvt_f64_f32_e32 v[4:5], v6
	v_frexp_exp_i32_f64_e32 v4, v[4:5]
	v_frexp_mant_f32_e32 v5, v6
	s_delay_alu instid0(VALU_DEP_1) | instskip(SKIP_1) | instid1(VALU_DEP_1)
	v_cmp_gt_f32_e32 vcc_lo, 0x3f2aaaab, v5
	v_add_f32_e32 v5, -1.0, v6
	v_dual_sub_f32 v32, v5, v6 :: v_dual_sub_f32 v5, v2, v5
	v_subrev_co_ci_u32_e32 v4, vcc_lo, 0, v4, vcc_lo
	s_delay_alu instid0(VALU_DEP_1) | instskip(SKIP_1) | instid1(VALU_DEP_2)
	v_sub_nc_u32_e32 v7, 0, v4
	v_cvt_f32_i32_e32 v4, v4
	v_ldexp_f32 v6, v6, v7
	s_delay_alu instid0(VALU_DEP_1) | instskip(NEXT) | instid1(VALU_DEP_1)
	v_dual_add_f32 v32, 1.0, v32 :: v_dual_add_f32 v33, 1.0, v6
	v_add_f32_e32 v5, v5, v32
	s_delay_alu instid0(VALU_DEP_1) | instskip(NEXT) | instid1(VALU_DEP_3)
	v_ldexp_f32 v5, v5, v7
	v_dual_add_f32 v7, -1.0, v6 :: v_dual_add_f32 v32, -1.0, v33
	s_delay_alu instid0(VALU_DEP_1) | instskip(NEXT) | instid1(VALU_DEP_2)
	v_add_f32_e32 v34, 1.0, v7
	v_sub_f32_e32 v32, v6, v32
	s_delay_alu instid0(VALU_DEP_2) | instskip(NEXT) | instid1(VALU_DEP_2)
	v_sub_f32_e32 v6, v6, v34
	v_add_f32_e32 v32, v5, v32
	s_delay_alu instid0(VALU_DEP_2) | instskip(NEXT) | instid1(VALU_DEP_1)
	v_add_f32_e32 v5, v5, v6
	v_dual_add_f32 v35, v7, v5 :: v_dual_add_f32 v34, v33, v32
	v_cmp_eq_f32_e32 vcc_lo, 0x7f800000, v2
	v_cmp_gt_f32_e64 s16, 0x33800000, v2
	s_delay_alu instid0(VALU_DEP_3) | instskip(NEXT) | instid1(VALU_DEP_4)
	v_sub_f32_e32 v7, v7, v35
	v_rcp_f32_e32 v6, v34
	v_sub_f32_e32 v33, v33, v34
	s_delay_alu instid0(VALU_DEP_3) | instskip(NEXT) | instid1(VALU_DEP_1)
	s_or_b32 vcc_lo, s16, vcc_lo
	v_dual_add_f32 v5, v5, v7 :: v_dual_add_f32 v32, v32, v33
	s_waitcnt_depctr 0xfff
	v_mul_f32_e32 v36, v35, v6
	s_delay_alu instid0(VALU_DEP_1) | instskip(NEXT) | instid1(VALU_DEP_1)
	v_mul_f32_e32 v37, v34, v36
	v_fma_f32 v33, v36, v34, -v37
	s_delay_alu instid0(VALU_DEP_1) | instskip(NEXT) | instid1(VALU_DEP_1)
	v_fmac_f32_e32 v33, v36, v32
	v_add_f32_e32 v38, v37, v33
	s_delay_alu instid0(VALU_DEP_1) | instskip(NEXT) | instid1(VALU_DEP_1)
	v_sub_f32_e32 v39, v35, v38
	v_sub_f32_e32 v35, v35, v39
	s_delay_alu instid0(VALU_DEP_1) | instskip(SKIP_1) | instid1(VALU_DEP_2)
	v_sub_f32_e32 v35, v35, v38
	v_sub_f32_e32 v7, v38, v37
	v_add_f32_e32 v5, v5, v35
	s_delay_alu instid0(VALU_DEP_2) | instskip(NEXT) | instid1(VALU_DEP_1)
	v_sub_f32_e32 v7, v7, v33
	v_add_f32_e32 v5, v7, v5
	s_delay_alu instid0(VALU_DEP_1) | instskip(NEXT) | instid1(VALU_DEP_1)
	v_add_f32_e32 v7, v39, v5
	v_mul_f32_e32 v33, v6, v7
	s_delay_alu instid0(VALU_DEP_1) | instskip(NEXT) | instid1(VALU_DEP_1)
	v_dual_sub_f32 v38, v39, v7 :: v_dual_mul_f32 v35, v34, v33
	v_add_f32_e32 v5, v5, v38
	s_delay_alu instid0(VALU_DEP_2) | instskip(NEXT) | instid1(VALU_DEP_1)
	v_fma_f32 v34, v33, v34, -v35
	v_fmac_f32_e32 v34, v33, v32
	s_delay_alu instid0(VALU_DEP_1) | instskip(NEXT) | instid1(VALU_DEP_1)
	v_add_f32_e32 v32, v35, v34
	v_sub_f32_e32 v37, v7, v32
	s_delay_alu instid0(VALU_DEP_1) | instskip(NEXT) | instid1(VALU_DEP_1)
	v_sub_f32_e32 v7, v7, v37
	v_sub_f32_e32 v7, v7, v32
	s_delay_alu instid0(VALU_DEP_1) | instskip(SKIP_2) | instid1(VALU_DEP_1)
	v_add_f32_e32 v5, v5, v7
	v_add_f32_e32 v7, v36, v33
	v_sub_f32_e32 v35, v32, v35
	v_sub_f32_e32 v32, v35, v34
	s_delay_alu instid0(VALU_DEP_1) | instskip(NEXT) | instid1(VALU_DEP_1)
	v_dual_add_f32 v5, v32, v5 :: v_dual_sub_f32 v32, v7, v36
	v_add_f32_e32 v5, v37, v5
	s_delay_alu instid0(VALU_DEP_1) | instskip(NEXT) | instid1(VALU_DEP_1)
	v_dual_sub_f32 v32, v33, v32 :: v_dual_mul_f32 v5, v6, v5
	v_add_f32_e32 v5, v32, v5
	s_delay_alu instid0(VALU_DEP_1) | instskip(NEXT) | instid1(VALU_DEP_1)
	v_add_f32_e32 v6, v7, v5
	v_mul_f32_e32 v32, v6, v6
	s_delay_alu instid0(VALU_DEP_1) | instskip(SKIP_1) | instid1(VALU_DEP_2)
	v_fmaak_f32 v33, s60, v32, 0x3ecc95a3
	v_mul_f32_e32 v34, v6, v32
	v_fmaak_f32 v32, v32, v33, 0x3f2aaada
	v_ldexp_f32 v33, v6, 1
	v_sub_f32_e32 v6, v6, v7
	s_delay_alu instid0(VALU_DEP_3) | instskip(SKIP_1) | instid1(VALU_DEP_2)
	v_mul_f32_e32 v32, v34, v32
	v_mul_f32_e32 v34, 0x3f317218, v4
	v_add_f32_e32 v7, v33, v32
	s_delay_alu instid0(VALU_DEP_1) | instskip(NEXT) | instid1(VALU_DEP_3)
	v_dual_sub_f32 v5, v5, v6 :: v_dual_sub_f32 v6, v7, v33
	v_fma_f32 v33, 0x3f317218, v4, -v34
	s_delay_alu instid0(VALU_DEP_2) | instskip(NEXT) | instid1(VALU_DEP_2)
	v_ldexp_f32 v5, v5, 1
	v_dual_sub_f32 v6, v32, v6 :: v_dual_fmac_f32 v33, 0xb102e308, v4
	s_delay_alu instid0(VALU_DEP_1) | instskip(NEXT) | instid1(VALU_DEP_1)
	v_dual_add_f32 v4, v5, v6 :: v_dual_add_f32 v5, v34, v33
	v_add_f32_e32 v6, v7, v4
	s_delay_alu instid0(VALU_DEP_1) | instskip(NEXT) | instid1(VALU_DEP_1)
	v_add_f32_e32 v32, v5, v6
	v_sub_f32_e32 v35, v32, v5
	s_delay_alu instid0(VALU_DEP_1) | instskip(SKIP_2) | instid1(VALU_DEP_2)
	v_sub_f32_e32 v36, v32, v35
	v_sub_f32_e32 v7, v6, v7
	;; [unrolled: 1-line block ×5, first 2 shown]
	s_delay_alu instid0(VALU_DEP_1) | instskip(NEXT) | instid1(VALU_DEP_1)
	v_sub_f32_e32 v33, v33, v34
	v_add_f32_e32 v7, v33, v4
	v_sub_f32_e32 v5, v5, v36
	s_delay_alu instid0(VALU_DEP_1) | instskip(NEXT) | instid1(VALU_DEP_3)
	v_add_f32_e32 v5, v6, v5
	v_sub_f32_e32 v6, v7, v33
	s_delay_alu instid0(VALU_DEP_1) | instskip(NEXT) | instid1(VALU_DEP_1)
	v_dual_sub_f32 v4, v4, v6 :: v_dual_add_f32 v5, v7, v5
	v_dual_sub_f32 v7, v7, v6 :: v_dual_add_f32 v34, v32, v5
	s_delay_alu instid0(VALU_DEP_1) | instskip(NEXT) | instid1(VALU_DEP_1)
	v_dual_sub_f32 v7, v33, v7 :: v_dual_sub_f32 v6, v34, v32
	v_dual_add_f32 v4, v4, v7 :: v_dual_sub_f32 v5, v5, v6
	s_delay_alu instid0(VALU_DEP_1) | instskip(NEXT) | instid1(VALU_DEP_1)
	v_add_f32_e32 v4, v4, v5
	v_add_f32_e32 v4, v34, v4
	s_delay_alu instid0(VALU_DEP_1)
	v_cndmask_b32_e32 v32, v4, v2, vcc_lo
.LBB102_30:                             ;   in Loop: Header=BB102_12 Depth=1
	s_or_b32 exec_lo, exec_lo, s17
	v_cvt_f32_f16_e32 v2, v3
	s_delay_alu instid0(VALU_DEP_1) | instskip(NEXT) | instid1(VALU_DEP_1)
	v_add_f32_e32 v33, s48, v2
	v_cmp_ge_f32_e32 vcc_lo, 0x41a00000, v33
	s_and_b32 s16, s56, vcc_lo
	s_delay_alu instid0(SALU_CYCLE_1)
	s_and_saveexec_b32 s17, s16
	s_cbranch_execz .LBB102_32
; %bb.31:                               ;   in Loop: Header=BB102_12 Depth=1
	v_mul_f32_e32 v2, 0x3fb8aa3b, v33
	v_cmp_ngt_f32_e32 vcc_lo, 0xc2ce8ed0, v33
	s_delay_alu instid0(VALU_DEP_2) | instskip(SKIP_1) | instid1(VALU_DEP_1)
	v_rndne_f32_e32 v4, v2
	v_fma_f32 v5, 0x3fb8aa3b, v33, -v2
	v_dual_sub_f32 v2, v2, v4 :: v_dual_fmac_f32 v5, 0x32a5705f, v33
	v_cvt_i32_f32_e32 v4, v4
	s_delay_alu instid0(VALU_DEP_2) | instskip(NEXT) | instid1(VALU_DEP_1)
	v_add_f32_e32 v2, v2, v5
	v_exp_f32_e32 v2, v2
	s_waitcnt_depctr 0xfff
	v_ldexp_f32 v2, v2, v4
	s_delay_alu instid0(VALU_DEP_1) | instskip(SKIP_1) | instid1(VALU_DEP_2)
	v_cndmask_b32_e32 v2, 0, v2, vcc_lo
	v_cmp_nlt_f32_e32 vcc_lo, 0x42b17218, v33
	v_cndmask_b32_e32 v2, 0x7f800000, v2, vcc_lo
	s_delay_alu instid0(VALU_DEP_1) | instskip(NEXT) | instid1(VALU_DEP_1)
	v_add_f32_e32 v6, 1.0, v2
	v_cvt_f64_f32_e32 v[4:5], v6
	s_delay_alu instid0(VALU_DEP_1) | instskip(SKIP_1) | instid1(VALU_DEP_1)
	v_frexp_exp_i32_f64_e32 v4, v[4:5]
	v_frexp_mant_f32_e32 v5, v6
	v_cmp_gt_f32_e32 vcc_lo, 0x3f2aaaab, v5
	v_add_f32_e32 v5, -1.0, v6
	s_delay_alu instid0(VALU_DEP_1) | instskip(SKIP_1) | instid1(VALU_DEP_2)
	v_sub_f32_e32 v33, v5, v6
	v_sub_f32_e32 v5, v2, v5
	v_add_f32_e32 v33, 1.0, v33
	s_delay_alu instid0(VALU_DEP_1) | instskip(SKIP_3) | instid1(VALU_DEP_2)
	v_add_f32_e32 v5, v5, v33
	v_cmp_gt_f32_e64 s16, 0x33800000, v2
	v_subrev_co_ci_u32_e32 v4, vcc_lo, 0, v4, vcc_lo
	v_cmp_eq_f32_e32 vcc_lo, 0x7f800000, v2
	v_sub_nc_u32_e32 v7, 0, v4
	v_cvt_f32_i32_e32 v4, v4
	s_or_b32 vcc_lo, s16, vcc_lo
	s_delay_alu instid0(VALU_DEP_2) | instskip(SKIP_1) | instid1(VALU_DEP_2)
	v_ldexp_f32 v6, v6, v7
	v_ldexp_f32 v5, v5, v7
	v_add_f32_e32 v34, 1.0, v6
	v_add_f32_e32 v7, -1.0, v6
	s_delay_alu instid0(VALU_DEP_1) | instskip(NEXT) | instid1(VALU_DEP_3)
	v_add_f32_e32 v35, 1.0, v7
	v_add_f32_e32 v33, -1.0, v34
	s_delay_alu instid0(VALU_DEP_1) | instskip(NEXT) | instid1(VALU_DEP_1)
	v_sub_f32_e32 v33, v6, v33
	v_dual_sub_f32 v6, v6, v35 :: v_dual_add_f32 v33, v5, v33
	s_delay_alu instid0(VALU_DEP_1) | instskip(NEXT) | instid1(VALU_DEP_2)
	v_add_f32_e32 v35, v34, v33
	v_add_f32_e32 v5, v5, v6
	s_delay_alu instid0(VALU_DEP_2) | instskip(SKIP_1) | instid1(VALU_DEP_1)
	v_rcp_f32_e32 v6, v35
	v_sub_f32_e32 v34, v34, v35
	v_dual_add_f32 v36, v7, v5 :: v_dual_add_f32 v33, v33, v34
	s_delay_alu instid0(VALU_DEP_1) | instskip(SKIP_2) | instid1(VALU_DEP_1)
	v_sub_f32_e32 v7, v7, v36
	s_waitcnt_depctr 0xfff
	v_mul_f32_e32 v37, v36, v6
	v_mul_f32_e32 v38, v35, v37
	s_delay_alu instid0(VALU_DEP_1) | instskip(NEXT) | instid1(VALU_DEP_1)
	v_fma_f32 v34, v37, v35, -v38
	v_fmac_f32_e32 v34, v37, v33
	s_delay_alu instid0(VALU_DEP_1) | instskip(NEXT) | instid1(VALU_DEP_1)
	v_add_f32_e32 v39, v38, v34
	v_sub_f32_e32 v40, v36, v39
	s_delay_alu instid0(VALU_DEP_1) | instskip(NEXT) | instid1(VALU_DEP_1)
	v_dual_sub_f32 v36, v36, v40 :: v_dual_add_f32 v5, v5, v7
	v_dual_sub_f32 v7, v39, v38 :: v_dual_sub_f32 v36, v36, v39
	s_delay_alu instid0(VALU_DEP_1) | instskip(NEXT) | instid1(VALU_DEP_2)
	v_sub_f32_e32 v7, v7, v34
	v_add_f32_e32 v5, v5, v36
	s_delay_alu instid0(VALU_DEP_1) | instskip(NEXT) | instid1(VALU_DEP_1)
	v_add_f32_e32 v5, v7, v5
	v_add_f32_e32 v7, v40, v5
	s_delay_alu instid0(VALU_DEP_1) | instskip(NEXT) | instid1(VALU_DEP_1)
	v_mul_f32_e32 v34, v6, v7
	v_dual_sub_f32 v39, v40, v7 :: v_dual_mul_f32 v36, v35, v34
	s_delay_alu instid0(VALU_DEP_1) | instskip(NEXT) | instid1(VALU_DEP_2)
	v_add_f32_e32 v5, v5, v39
	v_fma_f32 v35, v34, v35, -v36
	s_delay_alu instid0(VALU_DEP_1) | instskip(NEXT) | instid1(VALU_DEP_1)
	v_fmac_f32_e32 v35, v34, v33
	v_add_f32_e32 v33, v36, v35
	s_delay_alu instid0(VALU_DEP_1) | instskip(NEXT) | instid1(VALU_DEP_1)
	v_sub_f32_e32 v38, v7, v33
	v_dual_sub_f32 v36, v33, v36 :: v_dual_sub_f32 v7, v7, v38
	s_delay_alu instid0(VALU_DEP_1) | instskip(NEXT) | instid1(VALU_DEP_2)
	v_sub_f32_e32 v7, v7, v33
	v_sub_f32_e32 v33, v36, v35
	s_delay_alu instid0(VALU_DEP_2) | instskip(SKIP_1) | instid1(VALU_DEP_2)
	v_add_f32_e32 v5, v5, v7
	v_add_f32_e32 v7, v37, v34
	;; [unrolled: 1-line block ×3, first 2 shown]
	s_delay_alu instid0(VALU_DEP_2) | instskip(NEXT) | instid1(VALU_DEP_2)
	v_sub_f32_e32 v33, v7, v37
	v_add_f32_e32 v5, v38, v5
	s_delay_alu instid0(VALU_DEP_2) | instskip(NEXT) | instid1(VALU_DEP_2)
	v_sub_f32_e32 v33, v34, v33
	v_mul_f32_e32 v5, v6, v5
	s_delay_alu instid0(VALU_DEP_1) | instskip(NEXT) | instid1(VALU_DEP_1)
	v_add_f32_e32 v5, v33, v5
	v_add_f32_e32 v6, v7, v5
	s_delay_alu instid0(VALU_DEP_1) | instskip(NEXT) | instid1(VALU_DEP_1)
	v_mul_f32_e32 v33, v6, v6
	v_fmaak_f32 v34, s60, v33, 0x3ecc95a3
	v_mul_f32_e32 v35, v6, v33
	s_delay_alu instid0(VALU_DEP_2) | instskip(SKIP_1) | instid1(VALU_DEP_2)
	v_fmaak_f32 v33, v33, v34, 0x3f2aaada
	v_ldexp_f32 v34, v6, 1
	v_dual_sub_f32 v6, v6, v7 :: v_dual_mul_f32 v33, v35, v33
	v_mul_f32_e32 v35, 0x3f317218, v4
	s_delay_alu instid0(VALU_DEP_2) | instskip(NEXT) | instid1(VALU_DEP_3)
	v_sub_f32_e32 v5, v5, v6
	v_add_f32_e32 v7, v34, v33
	s_delay_alu instid0(VALU_DEP_2) | instskip(NEXT) | instid1(VALU_DEP_2)
	v_ldexp_f32 v5, v5, 1
	v_sub_f32_e32 v6, v7, v34
	v_fma_f32 v34, 0x3f317218, v4, -v35
	s_delay_alu instid0(VALU_DEP_2) | instskip(NEXT) | instid1(VALU_DEP_2)
	v_sub_f32_e32 v6, v33, v6
	v_fmac_f32_e32 v34, 0xb102e308, v4
	s_delay_alu instid0(VALU_DEP_2) | instskip(NEXT) | instid1(VALU_DEP_2)
	v_add_f32_e32 v4, v5, v6
	v_add_f32_e32 v5, v35, v34
	s_delay_alu instid0(VALU_DEP_1) | instskip(NEXT) | instid1(VALU_DEP_1)
	v_dual_add_f32 v6, v7, v4 :: v_dual_sub_f32 v35, v5, v35
	v_add_f32_e32 v33, v5, v6
	v_sub_f32_e32 v7, v6, v7
	s_delay_alu instid0(VALU_DEP_3) | instskip(NEXT) | instid1(VALU_DEP_3)
	v_sub_f32_e32 v34, v34, v35
	v_sub_f32_e32 v36, v33, v5
	s_delay_alu instid0(VALU_DEP_1) | instskip(SKIP_1) | instid1(VALU_DEP_2)
	v_dual_sub_f32 v4, v4, v7 :: v_dual_sub_f32 v37, v33, v36
	v_sub_f32_e32 v6, v6, v36
	v_add_f32_e32 v7, v34, v4
	s_delay_alu instid0(VALU_DEP_3) | instskip(NEXT) | instid1(VALU_DEP_1)
	v_sub_f32_e32 v5, v5, v37
	v_dual_add_f32 v5, v6, v5 :: v_dual_sub_f32 v6, v7, v34
	s_delay_alu instid0(VALU_DEP_1) | instskip(NEXT) | instid1(VALU_DEP_2)
	v_add_f32_e32 v5, v7, v5
	v_sub_f32_e32 v7, v7, v6
	s_delay_alu instid0(VALU_DEP_2) | instskip(NEXT) | instid1(VALU_DEP_1)
	v_dual_sub_f32 v4, v4, v6 :: v_dual_add_f32 v35, v33, v5
	v_dual_sub_f32 v7, v34, v7 :: v_dual_sub_f32 v6, v35, v33
	s_delay_alu instid0(VALU_DEP_1) | instskip(NEXT) | instid1(VALU_DEP_1)
	v_dual_add_f32 v4, v4, v7 :: v_dual_sub_f32 v5, v5, v6
	v_add_f32_e32 v4, v4, v5
	s_delay_alu instid0(VALU_DEP_1) | instskip(NEXT) | instid1(VALU_DEP_1)
	v_add_f32_e32 v4, v35, v4
	v_cndmask_b32_e32 v33, v4, v2, vcc_lo
.LBB102_32:                             ;   in Loop: Header=BB102_12 Depth=1
	s_or_b32 exec_lo, exec_lo, s17
	v_lshrrev_b32_e32 v2, 16, v3
	s_delay_alu instid0(VALU_DEP_1) | instskip(NEXT) | instid1(VALU_DEP_1)
	v_cvt_f32_f16_e32 v2, v2
	v_add_f32_e32 v34, s48, v2
	s_delay_alu instid0(VALU_DEP_1) | instskip(SKIP_1) | instid1(SALU_CYCLE_1)
	v_cmp_ge_f32_e32 vcc_lo, 0x41a00000, v34
	s_and_b32 s16, s56, vcc_lo
	s_and_saveexec_b32 s17, s16
	s_cbranch_execz .LBB102_34
; %bb.33:                               ;   in Loop: Header=BB102_12 Depth=1
	v_mul_f32_e32 v2, 0x3fb8aa3b, v34
	v_cmp_ngt_f32_e32 vcc_lo, 0xc2ce8ed0, v34
	s_delay_alu instid0(VALU_DEP_2) | instskip(SKIP_1) | instid1(VALU_DEP_2)
	v_rndne_f32_e32 v3, v2
	v_fma_f32 v4, 0x3fb8aa3b, v34, -v2
	v_sub_f32_e32 v2, v2, v3
	s_delay_alu instid0(VALU_DEP_2) | instskip(SKIP_1) | instid1(VALU_DEP_2)
	v_fmac_f32_e32 v4, 0x32a5705f, v34
	v_cvt_i32_f32_e32 v3, v3
	v_add_f32_e32 v2, v2, v4
	s_delay_alu instid0(VALU_DEP_1) | instskip(SKIP_2) | instid1(VALU_DEP_1)
	v_exp_f32_e32 v2, v2
	s_waitcnt_depctr 0xfff
	v_ldexp_f32 v2, v2, v3
	v_cndmask_b32_e32 v2, 0, v2, vcc_lo
	v_cmp_nlt_f32_e32 vcc_lo, 0x42b17218, v34
	s_delay_alu instid0(VALU_DEP_2) | instskip(NEXT) | instid1(VALU_DEP_1)
	v_cndmask_b32_e32 v4, 0x7f800000, v2, vcc_lo
	v_add_f32_e32 v5, 1.0, v4
	s_delay_alu instid0(VALU_DEP_1) | instskip(NEXT) | instid1(VALU_DEP_1)
	v_cvt_f64_f32_e32 v[2:3], v5
	v_frexp_exp_i32_f64_e32 v2, v[2:3]
	v_frexp_mant_f32_e32 v3, v5
	s_delay_alu instid0(VALU_DEP_1) | instskip(SKIP_1) | instid1(VALU_DEP_1)
	v_cmp_gt_f32_e32 vcc_lo, 0x3f2aaaab, v3
	v_add_f32_e32 v3, -1.0, v5
	v_sub_f32_e32 v7, v3, v5
	v_sub_f32_e32 v3, v4, v3
	s_delay_alu instid0(VALU_DEP_2) | instskip(NEXT) | instid1(VALU_DEP_1)
	v_add_f32_e32 v7, 1.0, v7
	v_add_f32_e32 v3, v3, v7
	v_cmp_gt_f32_e64 s16, 0x33800000, v4
	v_subrev_co_ci_u32_e32 v2, vcc_lo, 0, v2, vcc_lo
	v_cmp_eq_f32_e32 vcc_lo, 0x7f800000, v4
	s_delay_alu instid0(VALU_DEP_2) | instskip(SKIP_2) | instid1(VALU_DEP_2)
	v_sub_nc_u32_e32 v6, 0, v2
	v_cvt_f32_i32_e32 v2, v2
	s_or_b32 vcc_lo, s16, vcc_lo
	v_ldexp_f32 v5, v5, v6
	v_ldexp_f32 v3, v3, v6
	s_delay_alu instid0(VALU_DEP_2) | instskip(NEXT) | instid1(VALU_DEP_1)
	v_add_f32_e32 v34, 1.0, v5
	v_dual_add_f32 v6, -1.0, v5 :: v_dual_add_f32 v7, -1.0, v34
	s_delay_alu instid0(VALU_DEP_1) | instskip(NEXT) | instid1(VALU_DEP_2)
	v_add_f32_e32 v35, 1.0, v6
	v_sub_f32_e32 v7, v5, v7
	s_delay_alu instid0(VALU_DEP_2) | instskip(NEXT) | instid1(VALU_DEP_2)
	v_sub_f32_e32 v5, v5, v35
	v_add_f32_e32 v7, v3, v7
	s_delay_alu instid0(VALU_DEP_2) | instskip(NEXT) | instid1(VALU_DEP_1)
	v_add_f32_e32 v3, v3, v5
	v_add_f32_e32 v36, v6, v3
	s_delay_alu instid0(VALU_DEP_1) | instskip(NEXT) | instid1(VALU_DEP_4)
	v_sub_f32_e32 v6, v6, v36
	v_add_f32_e32 v35, v34, v7
	s_delay_alu instid0(VALU_DEP_1) | instskip(NEXT) | instid1(VALU_DEP_2)
	v_rcp_f32_e32 v5, v35
	v_dual_sub_f32 v34, v34, v35 :: v_dual_add_f32 v3, v3, v6
	s_delay_alu instid0(VALU_DEP_1) | instskip(SKIP_2) | instid1(VALU_DEP_1)
	v_add_f32_e32 v7, v7, v34
	s_waitcnt_depctr 0xfff
	v_mul_f32_e32 v37, v36, v5
	v_mul_f32_e32 v38, v35, v37
	s_delay_alu instid0(VALU_DEP_1) | instskip(NEXT) | instid1(VALU_DEP_1)
	v_fma_f32 v34, v37, v35, -v38
	v_fmac_f32_e32 v34, v37, v7
	s_delay_alu instid0(VALU_DEP_1) | instskip(NEXT) | instid1(VALU_DEP_1)
	v_add_f32_e32 v39, v38, v34
	v_sub_f32_e32 v40, v36, v39
	v_sub_f32_e32 v6, v39, v38
	s_delay_alu instid0(VALU_DEP_2) | instskip(NEXT) | instid1(VALU_DEP_1)
	v_sub_f32_e32 v36, v36, v40
	v_sub_f32_e32 v36, v36, v39
	s_delay_alu instid0(VALU_DEP_1) | instskip(NEXT) | instid1(VALU_DEP_1)
	v_dual_sub_f32 v6, v6, v34 :: v_dual_add_f32 v3, v3, v36
	v_add_f32_e32 v3, v6, v3
	s_delay_alu instid0(VALU_DEP_1) | instskip(NEXT) | instid1(VALU_DEP_1)
	v_add_f32_e32 v6, v40, v3
	v_mul_f32_e32 v34, v5, v6
	v_sub_f32_e32 v39, v40, v6
	s_delay_alu instid0(VALU_DEP_2) | instskip(NEXT) | instid1(VALU_DEP_2)
	v_mul_f32_e32 v36, v35, v34
	v_add_f32_e32 v3, v3, v39
	s_delay_alu instid0(VALU_DEP_2) | instskip(NEXT) | instid1(VALU_DEP_1)
	v_fma_f32 v35, v34, v35, -v36
	v_fmac_f32_e32 v35, v34, v7
	s_delay_alu instid0(VALU_DEP_1) | instskip(NEXT) | instid1(VALU_DEP_1)
	v_add_f32_e32 v7, v36, v35
	v_sub_f32_e32 v38, v6, v7
	s_delay_alu instid0(VALU_DEP_1) | instskip(NEXT) | instid1(VALU_DEP_1)
	v_sub_f32_e32 v6, v6, v38
	v_sub_f32_e32 v6, v6, v7
	s_delay_alu instid0(VALU_DEP_1) | instskip(SKIP_2) | instid1(VALU_DEP_1)
	v_add_f32_e32 v3, v3, v6
	v_add_f32_e32 v6, v37, v34
	v_sub_f32_e32 v36, v7, v36
	v_sub_f32_e32 v7, v36, v35
	s_delay_alu instid0(VALU_DEP_1) | instskip(NEXT) | instid1(VALU_DEP_4)
	v_add_f32_e32 v3, v7, v3
	v_sub_f32_e32 v7, v6, v37
	s_delay_alu instid0(VALU_DEP_2) | instskip(NEXT) | instid1(VALU_DEP_2)
	v_add_f32_e32 v3, v38, v3
	v_sub_f32_e32 v7, v34, v7
	s_delay_alu instid0(VALU_DEP_2) | instskip(NEXT) | instid1(VALU_DEP_1)
	v_mul_f32_e32 v3, v5, v3
	v_add_f32_e32 v3, v7, v3
	s_delay_alu instid0(VALU_DEP_1) | instskip(NEXT) | instid1(VALU_DEP_1)
	v_add_f32_e32 v5, v6, v3
	v_mul_f32_e32 v7, v5, v5
	s_delay_alu instid0(VALU_DEP_1) | instskip(SKIP_1) | instid1(VALU_DEP_2)
	v_fmaak_f32 v34, s60, v7, 0x3ecc95a3
	v_mul_f32_e32 v35, v5, v7
	v_fmaak_f32 v7, v7, v34, 0x3f2aaada
	v_ldexp_f32 v34, v5, 1
	v_sub_f32_e32 v5, v5, v6
	s_delay_alu instid0(VALU_DEP_3) | instskip(SKIP_1) | instid1(VALU_DEP_2)
	v_mul_f32_e32 v7, v35, v7
	v_mul_f32_e32 v35, 0x3f317218, v2
	v_dual_sub_f32 v3, v3, v5 :: v_dual_add_f32 v6, v34, v7
	s_delay_alu instid0(VALU_DEP_1) | instskip(NEXT) | instid1(VALU_DEP_2)
	v_ldexp_f32 v3, v3, 1
	v_sub_f32_e32 v5, v6, v34
	s_delay_alu instid0(VALU_DEP_4) | instskip(NEXT) | instid1(VALU_DEP_1)
	v_fma_f32 v34, 0x3f317218, v2, -v35
	v_dual_sub_f32 v5, v7, v5 :: v_dual_fmac_f32 v34, 0xb102e308, v2
	s_delay_alu instid0(VALU_DEP_1) | instskip(NEXT) | instid1(VALU_DEP_1)
	v_add_f32_e32 v2, v3, v5
	v_add_f32_e32 v5, v6, v2
	s_delay_alu instid0(VALU_DEP_1) | instskip(NEXT) | instid1(VALU_DEP_1)
	v_sub_f32_e32 v6, v5, v6
	v_sub_f32_e32 v2, v2, v6
	v_add_f32_e32 v3, v35, v34
	s_delay_alu instid0(VALU_DEP_1) | instskip(SKIP_1) | instid1(VALU_DEP_2)
	v_add_f32_e32 v7, v3, v5
	v_sub_f32_e32 v35, v3, v35
	v_sub_f32_e32 v36, v7, v3
	s_delay_alu instid0(VALU_DEP_1) | instskip(NEXT) | instid1(VALU_DEP_1)
	v_dual_sub_f32 v34, v34, v35 :: v_dual_sub_f32 v37, v7, v36
	v_dual_sub_f32 v5, v5, v36 :: v_dual_add_f32 v6, v34, v2
	s_delay_alu instid0(VALU_DEP_2) | instskip(NEXT) | instid1(VALU_DEP_1)
	v_sub_f32_e32 v3, v3, v37
	v_add_f32_e32 v3, v5, v3
	s_delay_alu instid0(VALU_DEP_3) | instskip(NEXT) | instid1(VALU_DEP_2)
	v_sub_f32_e32 v5, v6, v34
	v_add_f32_e32 v3, v6, v3
	s_delay_alu instid0(VALU_DEP_2) | instskip(NEXT) | instid1(VALU_DEP_2)
	v_sub_f32_e32 v6, v6, v5
	v_dual_sub_f32 v2, v2, v5 :: v_dual_add_f32 v35, v7, v3
	s_delay_alu instid0(VALU_DEP_1) | instskip(NEXT) | instid1(VALU_DEP_1)
	v_dual_sub_f32 v6, v34, v6 :: v_dual_sub_f32 v5, v35, v7
	v_dual_add_f32 v2, v2, v6 :: v_dual_sub_f32 v3, v3, v5
	s_delay_alu instid0(VALU_DEP_1) | instskip(NEXT) | instid1(VALU_DEP_1)
	v_add_f32_e32 v2, v2, v3
	v_add_f32_e32 v2, v35, v2
	s_delay_alu instid0(VALU_DEP_1)
	v_cndmask_b32_e32 v34, v2, v4, vcc_lo
.LBB102_34:                             ;   in Loop: Header=BB102_12 Depth=1
	s_or_b32 exec_lo, exec_lo, s17
	v_lshrrev_b32_e32 v2, 16, v0
	v_lshrrev_b32_e32 v3, 16, v1
	v_cvt_f32_f16_e32 v1, v1
	v_cvt_f32_f16_e32 v0, v0
	s_and_b32 vcc_lo, exec_lo, s57
	v_cvt_f32_f16_e32 v2, v2
	v_cvt_f32_f16_e32 v3, v3
	s_delay_alu instid0(VALU_DEP_3) | instskip(NEXT) | instid1(VALU_DEP_2)
	v_dual_mul_f32 v35, s49, v1 :: v_dual_mul_f32 v38, s49, v0
	v_dual_mul_f32 v36, s49, v2 :: v_dual_mul_f32 v37, s49, v3
	s_barrier
	buffer_gl0_inv
	s_cbranch_vccz .LBB102_82
; %bb.35:                               ;   in Loop: Header=BB102_12 Depth=1
	v_dual_mul_f32 v39, v34, v3 :: v_dual_mul_f32 v44, v33, v1
	v_add_co_u32 v3, s16, s27, v29
	s_delay_alu instid0(VALU_DEP_1) | instskip(SKIP_1) | instid1(VALU_DEP_1)
	v_add_co_ci_u32_e64 v4, null, s41, 0, s16
	v_add_co_u32 v5, s16, s45, v29
	v_add_co_ci_u32_e64 v6, null, s52, 0, s16
	s_delay_alu instid0(VALU_DEP_4) | instskip(NEXT) | instid1(VALU_DEP_4)
	v_add_co_u32 v40, vcc_lo, v3, v30
	v_add_co_ci_u32_e32 v41, vcc_lo, 0, v4, vcc_lo
	s_delay_alu instid0(VALU_DEP_4) | instskip(NEXT) | instid1(VALU_DEP_4)
	v_add_co_u32 v42, vcc_lo, v5, v30
	v_add_co_ci_u32_e32 v43, vcc_lo, 0, v6, vcc_lo
	v_cmp_gt_u32_e32 vcc_lo, s19, v8
	v_cmp_gt_u32_e64 s17, s19, v26
	v_cmp_gt_u32_e64 s18, s19, v27
	;; [unrolled: 1-line block ×3, first 2 shown]
	s_cmp_lg_u32 s62, 0
	v_dual_mul_f32 v45, v32, v2 :: v_dual_mul_f32 v46, v31, v0
	s_mov_b32 s28, 0
	s_cselect_b32 s25, -1, 0
	s_cmp_eq_u32 s62, s59
	s_mov_b32 s30, s28
	s_cselect_b32 s63, -1, 0
	s_or_b32 s16, s58, vcc_lo
	s_or_b32 s17, s58, s17
	s_or_b32 s18, s58, s18
	;; [unrolled: 1-line block ×3, first 2 shown]
	s_mov_b32 s34, s28
	s_mov_b32 s38, s28
	;; [unrolled: 1-line block ×4, first 2 shown]
	s_branch .LBB102_37
.LBB102_36:                             ;   in Loop: Header=BB102_37 Depth=2
	s_or_b32 exec_lo, exec_lo, s20
	v_cndmask_b32_e64 v2, v56, v7, s11
	v_cndmask_b32_e64 v3, v55, v6, s11
	s_add_i32 s64, s64, -1
	s_add_i32 s65, s65, 8
	s_add_i32 s38, s38, s26
	v_fma_f32 v2, v2, v52, v49
	v_mul_f32_e32 v3, v3, v52
	s_add_i32 s34, s34, s44
	s_add_i32 s30, s30, s40
	;; [unrolled: 1-line block ×3, first 2 shown]
	v_cndmask_b32_e64 v2, v2, v49, s10
	v_cndmask_b32_e64 v3, v3, v52, s10
	s_cmp_eq_u32 s64, 0
	s_waitcnt lgkmcnt(0)
	s_delay_alu instid0(VALU_DEP_1) | instskip(NEXT) | instid1(VALU_DEP_1)
	v_fmac_f32_e32 v2, v4, v3
	v_fmac_f32_e32 v47, v2, v53
	v_fma_mix_f32 v38, v2, v0, v38 op_sel_hi:[0,1,0]
	s_delay_alu instid0(VALU_DEP_2) | instskip(SKIP_1) | instid1(VALU_DEP_2)
	v_fmac_f32_e32 v48, v47, v54
	v_fma_mix_f32 v36, v47, v0, v36 op_sel:[0,1,0] op_sel_hi:[0,1,0]
	v_fmac_f32_e32 v50, v48, v51
	v_fma_mix_f32 v35, v48, v1, v35 op_sel_hi:[0,1,0]
	s_delay_alu instid0(VALU_DEP_2)
	v_fma_mix_f32 v37, v50, v1, v37 op_sel:[0,1,0] op_sel_hi:[0,1,0]
	s_cbranch_scc1 .LBB102_82
.LBB102_37:                             ;   Parent Loop BB102_12 Depth=1
                                        ; =>  This Inner Loop Header: Depth=2
	s_lshl_b64 s[20:21], s[28:29], 2
	s_mov_b32 s31, s29
	s_add_u32 s20, s50, s20
	s_addc_u32 s21, s51, s21
	v_dual_mov_b32 v2, 0 :: v_dual_mov_b32 v3, 0
	global_load_b32 v6, v12, s[20:21]
	s_lshl_b64 s[20:21], s[30:31], 1
	s_delay_alu instid0(SALU_CYCLE_1)
	v_add_co_u32 v0, vcc_lo, v40, s20
	v_add_co_ci_u32_e32 v1, vcc_lo, s21, v41, vcc_lo
	s_and_saveexec_b32 s20, s12
	s_cbranch_execnz .LBB102_49
; %bb.38:                               ;   in Loop: Header=BB102_37 Depth=2
	s_or_b32 exec_lo, exec_lo, s20
	s_and_saveexec_b32 s20, s13
	s_cbranch_execnz .LBB102_50
.LBB102_39:                             ;   in Loop: Header=BB102_37 Depth=2
	s_or_b32 exec_lo, exec_lo, s20
	v_mov_b32_e32 v4, 0
	s_and_saveexec_b32 s20, s14
	s_cbranch_execnz .LBB102_51
.LBB102_40:                             ;   in Loop: Header=BB102_37 Depth=2
	s_or_b32 exec_lo, exec_lo, s20
	s_and_saveexec_b32 s20, s15
	s_cbranch_execz .LBB102_42
.LBB102_41:                             ;   in Loop: Header=BB102_37 Depth=2
	global_load_u16 v0, v[0:1], off offset:192
	s_waitcnt vmcnt(0)
	v_lshl_or_b32 v4, v0, 16, v4
.LBB102_42:                             ;   in Loop: Header=BB102_37 Depth=2
	s_or_b32 exec_lo, exec_lo, s20
	s_waitcnt vmcnt(0)
	ds_store_b16 v14, v3
	ds_store_b16 v14, v2 offset:64
	ds_store_b16 v15, v4 offset:128
	ds_store_b16_d16_hi v16, v4 offset:192
	; wave barrier
	ds_load_b64 v[4:5], v17
	s_mov_b32 s35, s29
	v_dual_mov_b32 v2, 0 :: v_dual_mov_b32 v3, 0
	s_lshl_b64 s[20:21], s[34:35], 1
	s_delay_alu instid0(SALU_CYCLE_1)
	v_add_co_u32 v0, vcc_lo, v42, s20
	v_add_co_ci_u32_e32 v1, vcc_lo, s21, v43, vcc_lo
	s_and_saveexec_b32 s20, s12
	s_cbranch_execnz .LBB102_52
; %bb.43:                               ;   in Loop: Header=BB102_37 Depth=2
	s_or_b32 exec_lo, exec_lo, s20
	s_and_saveexec_b32 s20, s13
	s_cbranch_execnz .LBB102_53
.LBB102_44:                             ;   in Loop: Header=BB102_37 Depth=2
	s_or_b32 exec_lo, exec_lo, s20
	v_mov_b32_e32 v7, 0
	s_and_saveexec_b32 s20, s14
	s_cbranch_execnz .LBB102_54
.LBB102_45:                             ;   in Loop: Header=BB102_37 Depth=2
	s_or_b32 exec_lo, exec_lo, s20
	s_and_saveexec_b32 s20, s15
	s_cbranch_execz .LBB102_47
.LBB102_46:                             ;   in Loop: Header=BB102_37 Depth=2
	global_load_u16 v0, v[0:1], off offset:192
	s_waitcnt vmcnt(0)
	v_lshl_or_b32 v7, v0, 16, v7
.LBB102_47:                             ;   in Loop: Header=BB102_37 Depth=2
	s_or_b32 exec_lo, exec_lo, s20
	s_waitcnt vmcnt(0)
	ds_store_b16 v14, v3 offset:528
	ds_store_b16 v18, v2 offset:64
	;; [unrolled: 1-line block ×3, first 2 shown]
	ds_store_b16_d16_hi v20, v7 offset:192
	; wave barrier
	ds_load_b64 v[0:1], v17 offset:528
	s_and_not1_b32 vcc_lo, exec_lo, s25
	s_cbranch_vccnz .LBB102_55
; %bb.48:                               ;   in Loop: Header=BB102_37 Depth=2
	v_mov_b32_e32 v2, s65
	ds_load_b64 v[2:3], v2
	s_cbranch_execz .LBB102_56
	s_branch .LBB102_59
.LBB102_49:                             ;   in Loop: Header=BB102_37 Depth=2
	global_load_u16 v3, v[0:1], off
	s_or_b32 exec_lo, exec_lo, s20
	s_and_saveexec_b32 s20, s13
	s_cbranch_execz .LBB102_39
.LBB102_50:                             ;   in Loop: Header=BB102_37 Depth=2
	global_load_u16 v2, v[0:1], off offset:64
	s_or_b32 exec_lo, exec_lo, s20
	v_mov_b32_e32 v4, 0
	s_and_saveexec_b32 s20, s14
	s_cbranch_execz .LBB102_40
.LBB102_51:                             ;   in Loop: Header=BB102_37 Depth=2
	global_load_u16 v4, v[0:1], off offset:128
	s_or_b32 exec_lo, exec_lo, s20
	s_and_saveexec_b32 s20, s15
	s_cbranch_execnz .LBB102_41
	s_branch .LBB102_42
.LBB102_52:                             ;   in Loop: Header=BB102_37 Depth=2
	global_load_u16 v3, v[0:1], off
	s_or_b32 exec_lo, exec_lo, s20
	s_and_saveexec_b32 s20, s13
	s_cbranch_execz .LBB102_44
.LBB102_53:                             ;   in Loop: Header=BB102_37 Depth=2
	global_load_u16 v2, v[0:1], off offset:64
	s_or_b32 exec_lo, exec_lo, s20
	v_mov_b32_e32 v7, 0
	s_and_saveexec_b32 s20, s14
	s_cbranch_execz .LBB102_45
.LBB102_54:                             ;   in Loop: Header=BB102_37 Depth=2
	global_load_u16 v7, v[0:1], off offset:128
	s_or_b32 exec_lo, exec_lo, s20
	s_and_saveexec_b32 s20, s15
	s_cbranch_execnz .LBB102_46
	s_branch .LBB102_47
.LBB102_55:                             ;   in Loop: Header=BB102_37 Depth=2
                                        ; implicit-def: $vgpr2
.LBB102_56:                             ;   in Loop: Header=BB102_37 Depth=2
	s_waitcnt lgkmcnt(0)
	v_mov_b32_e32 v3, 0
	s_and_not1_b32 vcc_lo, exec_lo, s33
	s_cbranch_vccnz .LBB102_58
; %bb.57:                               ;   in Loop: Header=BB102_37 Depth=2
	s_mov_b32 s39, s29
	s_delay_alu instid0(SALU_CYCLE_1) | instskip(NEXT) | instid1(SALU_CYCLE_1)
	s_lshl_b64 s[20:21], s[38:39], 2
	s_add_u32 s20, s53, s20
	s_addc_u32 s21, s54, s21
	global_load_b32 v3, v12, s[20:21]
.LBB102_58:                             ;   in Loop: Header=BB102_37 Depth=2
	v_mov_b32_e32 v2, 1.0
.LBB102_59:                             ;   in Loop: Header=BB102_37 Depth=2
	s_waitcnt lgkmcnt(5)
	v_lshrrev_b32_e32 v7, 16, v4
	v_lshrrev_b32_e32 v47, 16, v5
	v_cvt_f32_f16_e32 v5, v5
	v_cvt_f32_f16_e32 v4, v4
	s_delay_alu instid0(VALU_DEP_4) | instskip(SKIP_2) | instid1(VALU_DEP_4)
	v_cvt_f32_f16_e32 v7, v7
	v_mul_f32_e32 v6, 0x3fb8aa3b, v6
	v_cvt_f32_f16_e32 v51, v47
	v_dual_mul_f32 v4, v46, v4 :: v_dual_mul_f32 v5, v44, v5
	s_delay_alu instid0(VALU_DEP_4) | instskip(NEXT) | instid1(VALU_DEP_4)
	v_mul_f32_e32 v7, v45, v7
	v_mul_f32_e32 v48, v6, v31
	s_delay_alu instid0(VALU_DEP_1) | instskip(SKIP_2) | instid1(VALU_DEP_2)
	v_cmp_gt_f32_e32 vcc_lo, 0xc2fc0000, v48
	v_cndmask_b32_e64 v48, 0, 0x42800000, vcc_lo
	v_cndmask_b32_e64 v53, 1.0, 0x1f800000, vcc_lo
	v_fmac_f32_e32 v48, v6, v31
	s_delay_alu instid0(VALU_DEP_1) | instskip(SKIP_2) | instid1(VALU_DEP_1)
	v_exp_f32_e32 v48, v48
	s_waitcnt_depctr 0xfff
	v_dual_mul_f32 v49, v6, v32 :: v_dual_mul_f32 v48, v48, v53
	v_cmp_gt_f32_e64 s20, 0xc2fc0000, v49
	v_mul_f32_e32 v49, v6, v34
	s_delay_alu instid0(VALU_DEP_2) | instskip(NEXT) | instid1(VALU_DEP_2)
	v_cndmask_b32_e64 v47, 0, 0x42800000, s20
	v_cmp_gt_f32_e64 s22, 0xc2fc0000, v49
	v_cndmask_b32_e64 v49, 0, v4, s16
	s_delay_alu instid0(VALU_DEP_2) | instskip(NEXT) | instid1(VALU_DEP_1)
	v_cndmask_b32_e64 v52, 0, 0x42800000, s22
	v_fmac_f32_e32 v52, v6, v34
	s_delay_alu instid0(VALU_DEP_1) | instskip(SKIP_3) | instid1(VALU_DEP_3)
	v_exp_f32_e32 v55, v52
	v_mul_f32_e32 v50, v6, v33
	v_cndmask_b32_e64 v52, 1.0, v48, s16
	v_cndmask_b32_e64 v48, 0, v5, s18
	v_cmp_gt_f32_e64 s21, 0xc2fc0000, v50
	s_delay_alu instid0(VALU_DEP_1) | instskip(NEXT) | instid1(VALU_DEP_1)
	v_cndmask_b32_e64 v50, 0, 0x42800000, s21
	v_fmac_f32_e32 v50, v6, v33
	s_delay_alu instid0(VALU_DEP_1)
	v_exp_f32_e32 v4, v50
	v_cndmask_b32_e64 v50, 1.0, 0x1f800000, s21
	v_fmac_f32_e32 v47, v6, v32
	v_cndmask_b32_e64 v6, 1.0, 0x1f800000, s20
	s_waitcnt_depctr 0xfff
	v_mul_f32_e32 v4, v4, v50
	v_exp_f32_e32 v47, v47
	s_delay_alu instid0(VALU_DEP_1)
	v_cndmask_b32_e64 v54, 1.0, v4, s18
	v_mul_f32_e32 v4, v39, v51
	s_waitcnt_depctr 0xfff
	v_mul_f32_e32 v6, v47, v6
	v_cndmask_b32_e64 v47, 0, v7, s17
	v_cndmask_b32_e64 v7, 1.0, 0x1f800000, s22
	v_cndmask_b32_e64 v50, 0, v4, s19
	s_delay_alu instid0(VALU_DEP_4) | instskip(NEXT) | instid1(VALU_DEP_1)
	v_cndmask_b32_e64 v53, 1.0, v6, s17
	v_dual_mul_f32 v5, v55, v7 :: v_dual_mul_f32 v6, v53, v52
	v_fma_f32 v7, v53, v49, v47
	s_delay_alu instid0(VALU_DEP_2) | instskip(NEXT) | instid1(VALU_DEP_3)
	v_cndmask_b32_e64 v51, 1.0, v5, s19
	v_mul_f32_e32 v4, v6, v54
	s_delay_alu instid0(VALU_DEP_3) | instskip(NEXT) | instid1(VALU_DEP_2)
	v_fma_f32 v5, v7, v54, v48
	v_mul_f32_e32 v4, v4, v51
	s_delay_alu instid0(VALU_DEP_2) | instskip(NEXT) | instid1(VALU_DEP_2)
	v_fma_f32 v5, v5, v51, v50
	v_mov_b32_dpp v7, v4 row_shr:1 row_mask:0xf bank_mask:0xf
	s_delay_alu instid0(VALU_DEP_2)
	v_mov_b32_dpp v6, v5 row_shr:1 row_mask:0xf bank_mask:0xf
	s_and_saveexec_b32 s20, s0
; %bb.60:                               ;   in Loop: Header=BB102_37 Depth=2
	s_delay_alu instid0(VALU_DEP_2) | instskip(NEXT) | instid1(VALU_DEP_1)
	v_mul_f32_e32 v7, v4, v7
	v_dual_fmac_f32 v5, v4, v6 :: v_dual_mov_b32 v4, v7
; %bb.61:                               ;   in Loop: Header=BB102_37 Depth=2
	s_or_b32 exec_lo, exec_lo, s20
	s_delay_alu instid0(VALU_DEP_1) | instskip(NEXT) | instid1(VALU_DEP_2)
	v_mov_b32_dpp v6, v4 row_shr:2 row_mask:0xf bank_mask:0xf
	v_mov_b32_dpp v7, v5 row_shr:2 row_mask:0xf bank_mask:0xf
	s_and_saveexec_b32 s20, s1
; %bb.62:                               ;   in Loop: Header=BB102_37 Depth=2
	s_delay_alu instid0(VALU_DEP_1) | instskip(NEXT) | instid1(VALU_DEP_3)
	v_fmac_f32_e32 v5, v4, v7
	v_mul_f32_e32 v4, v4, v6
; %bb.63:                               ;   in Loop: Header=BB102_37 Depth=2
	s_or_b32 exec_lo, exec_lo, s20
	s_delay_alu instid0(VALU_DEP_1) | instskip(NEXT) | instid1(VALU_DEP_3)
	v_mov_b32_dpp v6, v4 row_shr:4 row_mask:0xf bank_mask:0xf
	v_mov_b32_dpp v7, v5 row_shr:4 row_mask:0xf bank_mask:0xf
	s_and_saveexec_b32 s20, s2
; %bb.64:                               ;   in Loop: Header=BB102_37 Depth=2
	s_delay_alu instid0(VALU_DEP_1) | instskip(NEXT) | instid1(VALU_DEP_3)
	v_fmac_f32_e32 v5, v4, v7
	v_mul_f32_e32 v4, v4, v6
; %bb.65:                               ;   in Loop: Header=BB102_37 Depth=2
	s_or_b32 exec_lo, exec_lo, s20
	s_delay_alu instid0(VALU_DEP_1) | instskip(NEXT) | instid1(VALU_DEP_3)
	v_mov_b32_dpp v6, v4 row_shr:8 row_mask:0xf bank_mask:0xf
	v_mov_b32_dpp v7, v5 row_shr:8 row_mask:0xf bank_mask:0xf
	s_and_saveexec_b32 s20, s3
; %bb.66:                               ;   in Loop: Header=BB102_37 Depth=2
	s_delay_alu instid0(VALU_DEP_1) | instskip(NEXT) | instid1(VALU_DEP_3)
	v_fmac_f32_e32 v5, v4, v7
	v_mul_f32_e32 v4, v4, v6
; %bb.67:                               ;   in Loop: Header=BB102_37 Depth=2
	s_or_b32 exec_lo, exec_lo, s20
	ds_swizzle_b32 v7, v4 offset:swizzle(BROADCAST,32,15)
	ds_swizzle_b32 v6, v5 offset:swizzle(BROADCAST,32,15)
	s_and_saveexec_b32 s20, s4
	s_cbranch_execz .LBB102_69
; %bb.68:                               ;   in Loop: Header=BB102_37 Depth=2
	s_waitcnt lgkmcnt(1)
	v_mul_f32_e32 v7, v4, v7
	s_waitcnt lgkmcnt(0)
	s_delay_alu instid0(VALU_DEP_1)
	v_dual_fmac_f32 v5, v4, v6 :: v_dual_mov_b32 v4, v7
.LBB102_69:                             ;   in Loop: Header=BB102_37 Depth=2
	s_or_b32 exec_lo, exec_lo, s20
	s_and_saveexec_b32 s20, s5
	s_cbranch_execz .LBB102_71
; %bb.70:                               ;   in Loop: Header=BB102_37 Depth=2
	ds_store_b64 v21, v[4:5] offset:1056
.LBB102_71:                             ;   in Loop: Header=BB102_37 Depth=2
	s_or_b32 exec_lo, exec_lo, s20
	s_waitcnt vmcnt(0) lgkmcnt(0)
	s_waitcnt_vscnt null, 0x0
	s_barrier
	buffer_gl0_inv
	s_and_saveexec_b32 s20, s6
	s_cbranch_execz .LBB102_73
; %bb.72:                               ;   in Loop: Header=BB102_37 Depth=2
	ds_load_b64 v[6:7], v22 offset:1056
	s_waitcnt lgkmcnt(0)
	v_mov_b32_dpp v55, v6 row_shr:1 row_mask:0xf bank_mask:0xf
	v_mov_b32_dpp v56, v7 row_shr:1 row_mask:0xf bank_mask:0xf
	s_delay_alu instid0(VALU_DEP_2) | instskip(NEXT) | instid1(VALU_DEP_2)
	v_mul_f32_e32 v55, v6, v55
	v_fma_f32 v56, v6, v56, v7
	s_delay_alu instid0(VALU_DEP_2) | instskip(NEXT) | instid1(VALU_DEP_2)
	v_cndmask_b32_e64 v6, v55, v6, s7
	v_cndmask_b32_e64 v7, v56, v7, s7
	ds_store_b64 v22, v[6:7] offset:1056
.LBB102_73:                             ;   in Loop: Header=BB102_37 Depth=2
	s_or_b32 exec_lo, exec_lo, s20
	s_waitcnt lgkmcnt(0)
	s_barrier
	buffer_gl0_inv
                                        ; implicit-def: $vgpr7
	s_and_saveexec_b32 s20, s9
	s_cbranch_execz .LBB102_75
; %bb.74:                               ;   in Loop: Header=BB102_37 Depth=2
	ds_load_b64 v[6:7], v21 offset:1048
	s_waitcnt lgkmcnt(0)
	v_mul_f32_e32 v55, v4, v6
	s_delay_alu instid0(VALU_DEP_1)
	v_dual_fmac_f32 v5, v4, v7 :: v_dual_mov_b32 v4, v55
.LBB102_75:                             ;   in Loop: Header=BB102_37 Depth=2
	s_or_b32 exec_lo, exec_lo, s20
	ds_bpermute_b32 v55, v23, v4
	ds_bpermute_b32 v56, v23, v5
	s_and_saveexec_b32 s20, s8
	s_cbranch_execz .LBB102_79
; %bb.76:                               ;   in Loop: Header=BB102_37 Depth=2
	ds_load_b64 v[4:5], v12 offset:1064
	s_and_saveexec_b32 s21, s10
	s_cbranch_execz .LBB102_78
; %bb.77:                               ;   in Loop: Header=BB102_37 Depth=2
	ds_store_b64 v12, v[2:3] offset:1064
.LBB102_78:                             ;   in Loop: Header=BB102_37 Depth=2
	s_or_b32 exec_lo, exec_lo, s21
	s_waitcnt lgkmcnt(0)
	v_fmac_f32_e32 v5, v3, v4
	s_delay_alu instid0(VALU_DEP_1)
	v_dual_mul_f32 v2, v2, v4 :: v_dual_mov_b32 v3, v5
.LBB102_79:                             ;   in Loop: Header=BB102_37 Depth=2
	s_or_b32 exec_lo, exec_lo, s20
	s_waitcnt lgkmcnt(0)
	s_barrier
	buffer_gl0_inv
	ds_load_b32 v4, v12 offset:1068
	s_and_saveexec_b32 s20, s10
	s_cbranch_execz .LBB102_36
; %bb.80:                               ;   in Loop: Header=BB102_37 Depth=2
	v_mov_b32_e32 v5, s65
	s_and_not1_b32 vcc_lo, exec_lo, s63
	ds_store_b64 v5, v[2:3]
	s_cbranch_vccnz .LBB102_36
; %bb.81:                               ;   in Loop: Header=BB102_37 Depth=2
	s_mov_b32 s39, s29
	s_delay_alu instid0(SALU_CYCLE_1) | instskip(NEXT) | instid1(SALU_CYCLE_1)
	s_lshl_b64 s[66:67], s[38:39], 2
	s_add_u32 s66, s53, s66
	s_addc_u32 s67, s54, s67
	global_store_b32 v12, v3, s[66:67]
	s_branch .LBB102_36
.LBB102_82:                             ;   in Loop: Header=BB102_12 Depth=1
	v_cvt_f16_f32_e32 v0, v38
	s_delay_alu instid0(VALU_DEP_3) | instskip(NEXT) | instid1(VALU_DEP_3)
	v_cvt_f16_f32_e32 v1, v35
	v_cvt_f16_f32_e32 v2, v37
	;; [unrolled: 1-line block ×3, first 2 shown]
	s_waitcnt_vscnt null, 0x0
	s_barrier
	buffer_gl0_inv
	v_pack_b32_f16 v1, v1, v2
	v_pack_b32_f16 v0, v0, v3
	s_mov_b32 s25, s29
	s_delay_alu instid0(SALU_CYCLE_1)
	s_lshl_b64 s[16:17], s[24:25], 1
	ds_store_b64 v17, v[0:1]
	; wave barrier
	ds_load_u16 v4, v14 offset:64
	ds_load_u16 v3, v15 offset:128
	;; [unrolled: 1-line block ×3, first 2 shown]
	v_add_co_u32 v0, vcc_lo, v24, s16
	v_add_co_ci_u32_e32 v1, vcc_lo, s17, v25, vcc_lo
	s_and_saveexec_b32 s16, s12
	s_cbranch_execnz .LBB102_88
; %bb.83:                               ;   in Loop: Header=BB102_12 Depth=1
	s_or_b32 exec_lo, exec_lo, s16
	s_and_saveexec_b32 s12, s13
	s_cbranch_execnz .LBB102_89
.LBB102_84:                             ;   in Loop: Header=BB102_12 Depth=1
	s_or_b32 exec_lo, exec_lo, s12
	s_and_saveexec_b32 s12, s14
	s_cbranch_execnz .LBB102_90
.LBB102_85:                             ;   in Loop: Header=BB102_12 Depth=1
	s_or_b32 exec_lo, exec_lo, s12
	s_and_saveexec_b32 s12, s15
	s_cbranch_execz .LBB102_11
	s_branch .LBB102_91
.LBB102_86:                             ;   in Loop: Header=BB102_12 Depth=1
	global_load_u16 v6, v[2:3], off offset:64
	s_or_b32 exec_lo, exec_lo, s16
	s_and_saveexec_b32 s16, s14
	s_cbranch_execz .LBB102_24
.LBB102_87:                             ;   in Loop: Header=BB102_12 Depth=1
	global_load_u16 v5, v[2:3], off offset:128
	s_or_b32 exec_lo, exec_lo, s16
	v_mov_b32_e32 v7, 0
	s_and_saveexec_b32 s16, s15
	s_cbranch_execnz .LBB102_25
	s_branch .LBB102_26
.LBB102_88:                             ;   in Loop: Header=BB102_12 Depth=1
	ds_load_u16 v5, v14
	s_waitcnt lgkmcnt(0)
	global_store_b16 v[0:1], v5, off
	s_or_b32 exec_lo, exec_lo, s16
	s_and_saveexec_b32 s12, s13
	s_cbranch_execz .LBB102_84
.LBB102_89:                             ;   in Loop: Header=BB102_12 Depth=1
	s_waitcnt lgkmcnt(2)
	global_store_b16 v[0:1], v4, off offset:64
	s_or_b32 exec_lo, exec_lo, s12
	s_and_saveexec_b32 s12, s14
	s_cbranch_execz .LBB102_85
.LBB102_90:                             ;   in Loop: Header=BB102_12 Depth=1
	s_waitcnt lgkmcnt(1)
	global_store_b16 v[0:1], v3, off offset:128
	s_or_b32 exec_lo, exec_lo, s12
	s_and_saveexec_b32 s12, s15
	s_cbranch_execz .LBB102_11
.LBB102_91:                             ;   in Loop: Header=BB102_12 Depth=1
	s_waitcnt lgkmcnt(0)
	global_store_b16 v[0:1], v2, off offset:192
	s_branch .LBB102_11
.LBB102_92:
	s_nop 0
	s_sendmsg sendmsg(MSG_DEALLOC_VGPRS)
	s_endpgm
	.section	.rodata,"a",@progbits
	.p2align	6, 0x0
	.amdhsa_kernel _Z25selective_scan_fwd_kernelI32Selective_Scan_fwd_kernel_traitsILi64ELi4ELi1ELb0ELb1ELb1ELb0ELb1EN3c104HalfEffEEv13SSMParamsBase
		.amdhsa_group_segment_fixed_size 0
		.amdhsa_private_segment_fixed_size 0
		.amdhsa_kernarg_size 248
		.amdhsa_user_sgpr_count 14
		.amdhsa_user_sgpr_dispatch_ptr 0
		.amdhsa_user_sgpr_queue_ptr 0
		.amdhsa_user_sgpr_kernarg_segment_ptr 1
		.amdhsa_user_sgpr_dispatch_id 0
		.amdhsa_user_sgpr_private_segment_size 0
		.amdhsa_wavefront_size32 1
		.amdhsa_uses_dynamic_stack 0
		.amdhsa_enable_private_segment 0
		.amdhsa_system_sgpr_workgroup_id_x 1
		.amdhsa_system_sgpr_workgroup_id_y 1
		.amdhsa_system_sgpr_workgroup_id_z 0
		.amdhsa_system_sgpr_workgroup_info 0
		.amdhsa_system_vgpr_workitem_id 0
		.amdhsa_next_free_vgpr 57
		.amdhsa_next_free_sgpr 68
		.amdhsa_reserve_vcc 1
		.amdhsa_float_round_mode_32 0
		.amdhsa_float_round_mode_16_64 0
		.amdhsa_float_denorm_mode_32 3
		.amdhsa_float_denorm_mode_16_64 3
		.amdhsa_dx10_clamp 1
		.amdhsa_ieee_mode 1
		.amdhsa_fp16_overflow 0
		.amdhsa_workgroup_processor_mode 1
		.amdhsa_memory_ordered 1
		.amdhsa_forward_progress 0
		.amdhsa_shared_vgpr_count 0
		.amdhsa_exception_fp_ieee_invalid_op 0
		.amdhsa_exception_fp_denorm_src 0
		.amdhsa_exception_fp_ieee_div_zero 0
		.amdhsa_exception_fp_ieee_overflow 0
		.amdhsa_exception_fp_ieee_underflow 0
		.amdhsa_exception_fp_ieee_inexact 0
		.amdhsa_exception_int_div_zero 0
	.end_amdhsa_kernel
	.section	.text._Z25selective_scan_fwd_kernelI32Selective_Scan_fwd_kernel_traitsILi64ELi4ELi1ELb0ELb1ELb1ELb0ELb1EN3c104HalfEffEEv13SSMParamsBase,"axG",@progbits,_Z25selective_scan_fwd_kernelI32Selective_Scan_fwd_kernel_traitsILi64ELi4ELi1ELb0ELb1ELb1ELb0ELb1EN3c104HalfEffEEv13SSMParamsBase,comdat
.Lfunc_end102:
	.size	_Z25selective_scan_fwd_kernelI32Selective_Scan_fwd_kernel_traitsILi64ELi4ELi1ELb0ELb1ELb1ELb0ELb1EN3c104HalfEffEEv13SSMParamsBase, .Lfunc_end102-_Z25selective_scan_fwd_kernelI32Selective_Scan_fwd_kernel_traitsILi64ELi4ELi1ELb0ELb1ELb1ELb0ELb1EN3c104HalfEffEEv13SSMParamsBase
                                        ; -- End function
	.section	.AMDGPU.csdata,"",@progbits
; Kernel info:
; codeLenInByte = 7004
; NumSgprs: 70
; NumVgprs: 57
; ScratchSize: 0
; MemoryBound: 0
; FloatMode: 240
; IeeeMode: 1
; LDSByteSize: 0 bytes/workgroup (compile time only)
; SGPRBlocks: 8
; VGPRBlocks: 7
; NumSGPRsForWavesPerEU: 70
; NumVGPRsForWavesPerEU: 57
; Occupancy: 16
; WaveLimiterHint : 1
; COMPUTE_PGM_RSRC2:SCRATCH_EN: 0
; COMPUTE_PGM_RSRC2:USER_SGPR: 14
; COMPUTE_PGM_RSRC2:TRAP_HANDLER: 0
; COMPUTE_PGM_RSRC2:TGID_X_EN: 1
; COMPUTE_PGM_RSRC2:TGID_Y_EN: 1
; COMPUTE_PGM_RSRC2:TGID_Z_EN: 0
; COMPUTE_PGM_RSRC2:TIDIG_COMP_CNT: 0
	.section	.text._Z25selective_scan_fwd_kernelI32Selective_Scan_fwd_kernel_traitsILi64ELi4ELi1ELb0ELb1ELb1ELb0ELb0EN3c104HalfEffEEv13SSMParamsBase,"axG",@progbits,_Z25selective_scan_fwd_kernelI32Selective_Scan_fwd_kernel_traitsILi64ELi4ELi1ELb0ELb1ELb1ELb0ELb0EN3c104HalfEffEEv13SSMParamsBase,comdat
	.protected	_Z25selective_scan_fwd_kernelI32Selective_Scan_fwd_kernel_traitsILi64ELi4ELi1ELb0ELb1ELb1ELb0ELb0EN3c104HalfEffEEv13SSMParamsBase ; -- Begin function _Z25selective_scan_fwd_kernelI32Selective_Scan_fwd_kernel_traitsILi64ELi4ELi1ELb0ELb1ELb1ELb0ELb0EN3c104HalfEffEEv13SSMParamsBase
	.globl	_Z25selective_scan_fwd_kernelI32Selective_Scan_fwd_kernel_traitsILi64ELi4ELi1ELb0ELb1ELb1ELb0ELb0EN3c104HalfEffEEv13SSMParamsBase
	.p2align	8
	.type	_Z25selective_scan_fwd_kernelI32Selective_Scan_fwd_kernel_traitsILi64ELi4ELi1ELb0ELb1ELb1ELb0ELb0EN3c104HalfEffEEv13SSMParamsBase,@function
_Z25selective_scan_fwd_kernelI32Selective_Scan_fwd_kernel_traitsILi64ELi4ELi1ELb0ELb1ELb1ELb0ELb0EN3c104HalfEffEEv13SSMParamsBase: ; @_Z25selective_scan_fwd_kernelI32Selective_Scan_fwd_kernel_traitsILi64ELi4ELi1ELb0ELb1ELb1ELb0ELb0EN3c104HalfEffEEv13SSMParamsBase
; %bb.0:
	s_clause 0x1
	s_load_b32 s9, s[0:1], 0x18
	s_load_b128 s[4:7], s[0:1], 0xe8
	s_mov_b32 s12, s15
	s_mov_b32 s33, 0
	s_waitcnt lgkmcnt(0)
	s_abs_i32 s8, s9
	s_cmp_eq_u64 s[6:7], 0
	v_cvt_f32_u32_e32 v1, s8
	s_delay_alu instid0(VALU_DEP_1) | instskip(SKIP_2) | instid1(VALU_DEP_1)
	v_rcp_iflag_f32_e32 v1, v1
	s_waitcnt_depctr 0xfff
	v_mul_f32_e32 v1, 0x4f7ffffe, v1
	v_cvt_u32_f32_e32 v1, v1
	s_delay_alu instid0(VALU_DEP_1)
	v_readfirstlane_b32 s10, v1
	s_cbranch_scc1 .LBB103_2
; %bb.1:
	v_mov_b32_e32 v1, 0
	s_ashr_i32 s3, s14, 31
	s_add_u32 s2, s6, s14
	s_addc_u32 s3, s7, s3
	global_load_u8 v1, v1, s[2:3]
	s_waitcnt vmcnt(0)
	v_and_b32_e32 v1, 1, v1
	s_delay_alu instid0(VALU_DEP_1)
	v_cmp_eq_u32_e64 s33, 1, v1
.LBB103_2:
	s_load_b64 s[6:7], s[0:1], 0x20
	s_cmp_eq_u64 s[4:5], 0
	s_cbranch_scc1 .LBB103_4
; %bb.3:
	s_ashr_i32 s15, s14, 31
	s_delay_alu instid0(SALU_CYCLE_1) | instskip(NEXT) | instid1(SALU_CYCLE_1)
	s_lshl_b64 s[2:3], s[14:15], 2
	s_add_u32 s2, s4, s2
	s_addc_u32 s3, s5, s3
	s_load_b32 s2, s[2:3], 0x0
	s_waitcnt lgkmcnt(0)
	s_ashr_i32 s3, s2, 31
	s_delay_alu instid0(SALU_CYCLE_1)
	s_cmp_eq_u64 s[6:7], s[2:3]
	s_cbranch_scc0 .LBB103_5
	s_branch .LBB103_92
.LBB103_4:
	s_mov_b32 s2, s14
	s_delay_alu instid0(SALU_CYCLE_1)
	s_ashr_i32 s3, s2, 31
	s_waitcnt lgkmcnt(0)
	s_cmp_eq_u64 s[6:7], s[2:3]
	s_cbranch_scc1 .LBB103_92
.LBB103_5:
	s_clause 0x1
	s_load_b512 s[16:31], s[0:1], 0x88
	s_load_b64 s[34:35], s[0:1], 0x8
	s_mov_b32 s48, 0
	s_mov_b32 s49, 0
	s_waitcnt lgkmcnt(0)
	s_cmp_eq_u64 s[22:23], 0
	s_cbranch_scc1 .LBB103_7
; %bb.6:
	s_ashr_i32 s13, s12, 31
	s_delay_alu instid0(SALU_CYCLE_1) | instskip(NEXT) | instid1(SALU_CYCLE_1)
	s_lshl_b64 s[4:5], s[12:13], 2
	s_add_u32 s4, s22, s4
	s_addc_u32 s5, s23, s5
	s_load_b32 s49, s[4:5], 0x0
.LBB103_7:
	s_cmp_eq_u64 s[28:29], 0
	s_cbranch_scc1 .LBB103_9
; %bb.8:
	s_ashr_i32 s13, s12, 31
	s_delay_alu instid0(SALU_CYCLE_1) | instskip(NEXT) | instid1(SALU_CYCLE_1)
	s_lshl_b64 s[4:5], s[12:13], 2
	s_add_u32 s4, s28, s4
	s_addc_u32 s5, s29, s5
	s_load_b32 s48, s[4:5], 0x0
.LBB103_9:
	s_cmp_lt_i32 s34, 1
	s_cbranch_scc1 .LBB103_92
; %bb.10:
	s_sub_i32 s3, 0, s8
	s_clause 0x1
	s_load_b64 s[4:5], s[0:1], 0x5c
	s_load_b128 s[44:47], s[0:1], 0x4c
	s_mul_i32 s3, s3, s10
	s_abs_i32 s6, s12
	s_mul_hi_u32 s3, s10, s3
	s_ashr_i32 s9, s9, 31
	s_add_i32 s10, s10, s3
	s_ashr_i32 s3, s12, 31
	s_mul_hi_u32 s7, s6, s10
	s_xor_b32 s3, s3, s9
	s_mul_i32 s10, s7, s8
	s_add_i32 s9, s7, 1
	s_sub_i32 s6, s6, s10
	s_load_b256 s[36:43], s[0:1], 0x2c
	s_sub_i32 s10, s6, s8
	s_cmp_ge_u32 s6, s8
	s_mov_b32 s29, 0
	s_cselect_b32 s7, s9, s7
	s_cselect_b32 s6, s10, s6
	s_add_i32 s9, s7, 1
	s_cmp_ge_u32 s6, s8
	s_waitcnt lgkmcnt(0)
	s_mul_i32 s28, s46, s14
	s_cselect_b32 s6, s9, s7
	v_lshlrev_b32_e32 v8, 2, v0
	s_xor_b32 s8, s6, s3
	s_lshl_b64 s[6:7], s[28:29], 1
	s_sub_i32 s3, s8, s3
	s_mul_i32 s28, s47, s12
	s_add_u32 s8, s24, s6
	s_addc_u32 s9, s25, s7
	s_lshl_b64 s[6:7], s[28:29], 1
	s_mul_i32 s28, s4, s14
	s_add_u32 s23, s8, s6
	s_addc_u32 s46, s9, s7
	s_lshl_b64 s[6:7], s[28:29], 1
	s_mul_i32 s28, s5, s12
	s_add_u32 s6, s26, s6
	s_addc_u32 s7, s27, s7
	s_lshl_b64 s[4:5], s[28:29], 1
	s_mul_i32 s28, s36, s12
	s_load_b128 s[24:27], s[0:1], 0x7c
	s_add_u32 s47, s6, s4
	s_addc_u32 s36, s7, s5
	s_load_b64 s[6:7], s[0:1], 0xc8
	s_lshl_b64 s[4:5], s[28:29], 2
	s_mul_i32 s28, s38, s14
	s_add_u32 s50, s16, s4
	s_addc_u32 s51, s17, s5
	s_lshl_b64 s[4:5], s[28:29], 1
	s_mul_i32 s28, s3, s41
	s_add_u32 s8, s18, s4
	v_mbcnt_lo_u32_b32 v1, -1, 0
	v_and_b32_e32 v2, 0x80, v8
	v_dual_mov_b32 v12, 0 :: v_dual_and_b32 v3, 32, v0
	s_addc_u32 s9, s19, s5
	s_lshl_b64 s[4:5], s[28:29], 1
	s_load_b64 s[10:11], s[0:1], 0x6c
	s_waitcnt lgkmcnt(0)
	s_add_u32 s27, s8, s4
	s_addc_u32 s41, s9, s5
	s_load_b32 s9, s[0:1], 0x28
	v_or_b32_e32 v9, v1, v2
	v_or_b32_e32 v4, v1, v3
	s_mul_i32 s28, s42, s14
	v_lshrrev_b32_e32 v5, 5, v2
	s_lshl_b64 s[4:5], s[28:29], 1
	s_mul_i32 s28, s3, s45
	v_or_b32_e32 v11, 0x60, v9
	v_lshrrev_b32_e32 v14, 3, v4
	s_add_u32 s8, s20, s4
	s_addc_u32 s3, s21, s5
	s_lshl_b64 s[4:5], s[28:29], 1
	s_mul_i32 s28, s2, s24
	s_add_u32 s45, s8, s4
	s_addc_u32 s52, s3, s5
	s_lshl_b64 s[0:1], s[28:29], 2
	v_or_b32_e32 v10, 64, v9
	v_lshrrev_b32_e32 v7, 5, v11
	v_and_b32_e32 v16, 6, v14
	s_mul_i32 s28, s25, s12
	s_add_u32 s2, s6, s0
	s_addc_u32 s3, s7, s1
	s_lshl_b64 s[0:1], s[28:29], 2
	v_lshrrev_b32_e32 v6, 5, v10
	s_add_u32 s53, s2, s0
	v_and_b32_e32 v7, 6, v7
	v_lshl_add_u32 v4, v4, 2, v16
	s_addc_u32 s54, s3, s1
	s_add_i32 s0, s34, 0x7ff
	v_add_lshl_u32 v5, v5, v9, 1
	s_lshr_b32 s55, s0, 11
	s_waitcnt lgkmcnt(0)
	s_bitcmp1_b32 s9, 0
	v_add_lshl_u32 v6, v6, v9, 1
	v_add_lshl_u32 v7, v7, v9, 1
	v_lshl_add_u32 v17, v4, 1, 0
	v_and_b32_e32 v4, 15, v1
	s_cselect_b32 s56, -1, 0
	s_cmp_gt_i32 s35, 0
	v_or_b32_e32 v3, 31, v3
	s_cselect_b32 s57, -1, 0
	s_add_i32 s0, 0, 0x210
	s_and_b32 s1, s34, 0xff
	v_add_nc_u32_e32 v18, s0, v5
	v_add_nc_u32_e32 v19, s0, v6
	s_cmp_eq_u32 s1, 0
	v_add_nc_u32_e32 v20, s0, v7
	v_cmp_ne_u32_e64 s0, 0, v4
	v_cmp_lt_u32_e64 s1, 1, v4
	v_cmp_lt_u32_e64 s2, 3, v4
	;; [unrolled: 1-line block ×3, first 2 shown]
	v_add_nc_u32_e32 v4, -1, v1
	s_mul_i32 s28, s10, s14
	s_cselect_b32 s58, -1, 0
	s_lshl_b64 s[14:15], s[28:29], 1
	s_add_i32 s59, s55, -1
	v_cmp_gt_i32_e32 vcc_lo, 0, v4
	s_mul_i32 s28, s11, s12
	v_add_nc_u32_e32 v14, 0, v5
	v_lshrrev_b32_e32 v5, 2, v0
	v_cmp_eq_u32_e64 s5, v3, v0
	v_cndmask_b32_e32 v4, v4, v1, vcc_lo
	v_and_b32_e32 v3, 1, v1
	v_cmp_gt_u32_e64 s6, 2, v0
	v_lshl_add_u32 v22, v0, 3, 0
	v_cmp_gt_u32_e64 s8, 32, v0
	v_cmp_lt_u32_e64 s9, 31, v0
	v_cmp_eq_u32_e64 s10, 0, v0
	s_add_u32 s14, s30, s14
	v_lshlrev_b32_e32 v0, 1, v1
	s_addc_u32 s11, s31, s15
	s_lshl_b64 s[12:13], s[28:29], 1
	v_cmp_eq_u32_e64 s7, 0, v3
	s_add_u32 s12, s14, s12
	s_addc_u32 s11, s11, s13
	v_lshlrev_b32_e32 v3, 1, v2
	v_add_co_u32 v0, s12, s12, v0
	v_add_nc_u32_e32 v15, 0, v6
	v_and_b32_e32 v6, 16, v1
	v_and_b32_e32 v5, 8, v5
	v_lshlrev_b32_e32 v23, 2, v4
	v_add_co_ci_u32_e64 v4, null, s11, 0, s12
	v_add_co_u32 v24, vcc_lo, v0, v3
	v_or_b32_e32 v13, 32, v9
	v_add_nc_u32_e32 v16, 0, v7
	v_cmp_ne_u32_e64 s4, 0, v6
	v_add_nc_u32_e32 v21, 0, v5
	v_cmp_eq_u32_e64 s11, 0, v1
	v_add_co_ci_u32_e32 v25, vcc_lo, 0, v4, vcc_lo
	v_or_b32_e32 v26, 1, v8
	v_or_b32_e32 v27, 2, v8
	;; [unrolled: 1-line block ×3, first 2 shown]
	v_lshlrev_b32_e32 v29, 1, v1
	v_lshlrev_b32_e32 v30, 1, v2
	s_mov_b32 s60, 0x3e9b6dac
	s_add_i32 s61, 0, 0x430
	s_mov_b32 s62, 0
	s_branch .LBB103_12
.LBB103_11:                             ;   in Loop: Header=BB103_12 Depth=1
	s_or_b32 exec_lo, exec_lo, s12
	s_add_u32 s47, s47, 0x200
	s_addc_u32 s36, s36, 0
	s_add_u32 s23, s23, 0x200
	s_addc_u32 s46, s46, 0
	;; [unrolled: 2-line block ×4, first 2 shown]
	s_add_i32 s62, s62, 1
	s_delay_alu instid0(SALU_CYCLE_1)
	s_cmp_eq_u32 s62, s55
	s_cbranch_scc1 .LBB103_92
.LBB103_12:                             ; =>This Loop Header: Depth=1
                                        ;     Child Loop BB103_37 Depth 2
	v_add_co_u32 v0, s12, s23, v29
	s_delay_alu instid0(VALU_DEP_1) | instskip(SKIP_1) | instid1(VALU_DEP_2)
	v_add_co_ci_u32_e64 v1, null, s46, 0, s12
	s_lshl_b32 s24, s62, 8
	v_add_co_u32 v0, vcc_lo, v0, v30
	s_sub_i32 s19, s34, s24
	s_delay_alu instid0(VALU_DEP_2)
	v_add_co_ci_u32_e32 v1, vcc_lo, 0, v1, vcc_lo
	v_cmp_gt_u32_e64 s12, s19, v9
	s_waitcnt lgkmcnt(0)
	v_mov_b32_e32 v2, 0
	s_waitcnt_vscnt null, 0x0
	s_barrier
	buffer_gl0_inv
	s_and_saveexec_b32 s13, s12
	s_cbranch_execz .LBB103_14
; %bb.13:                               ;   in Loop: Header=BB103_12 Depth=1
	global_load_u16 v2, v[0:1], off
.LBB103_14:                             ;   in Loop: Header=BB103_12 Depth=1
	s_or_b32 exec_lo, exec_lo, s13
	v_cmp_gt_u32_e64 s13, s19, v13
	v_mov_b32_e32 v3, 0
	v_mov_b32_e32 v5, 0
	s_delay_alu instid0(VALU_DEP_3)
	s_and_saveexec_b32 s14, s13
	s_cbranch_execz .LBB103_16
; %bb.15:                               ;   in Loop: Header=BB103_12 Depth=1
	global_load_u16 v5, v[0:1], off offset:64
.LBB103_16:                             ;   in Loop: Header=BB103_12 Depth=1
	s_or_b32 exec_lo, exec_lo, s14
	v_cmp_gt_u32_e64 s14, s19, v10
	s_delay_alu instid0(VALU_DEP_1)
	s_and_saveexec_b32 s15, s14
	s_cbranch_execz .LBB103_18
; %bb.17:                               ;   in Loop: Header=BB103_12 Depth=1
	global_load_u16 v3, v[0:1], off offset:128
.LBB103_18:                             ;   in Loop: Header=BB103_12 Depth=1
	s_or_b32 exec_lo, exec_lo, s15
	v_cmp_gt_u32_e64 s15, s19, v11
	v_mov_b32_e32 v4, 0
	v_mov_b32_e32 v6, 0
	s_delay_alu instid0(VALU_DEP_3)
	s_and_saveexec_b32 s16, s15
	s_cbranch_execz .LBB103_20
; %bb.19:                               ;   in Loop: Header=BB103_12 Depth=1
	global_load_u16 v6, v[0:1], off offset:192
.LBB103_20:                             ;   in Loop: Header=BB103_12 Depth=1
	s_or_b32 exec_lo, exec_lo, s16
	s_waitcnt vmcnt(0)
	ds_store_b16 v14, v2
	ds_store_b16 v14, v5 offset:64
	ds_store_b16 v15, v3 offset:128
	ds_store_b16 v16, v6 offset:192
	; wave barrier
	ds_load_b64 v[0:1], v17
	v_add_co_u32 v2, s16, s47, v29
	s_delay_alu instid0(VALU_DEP_1) | instskip(SKIP_1) | instid1(VALU_DEP_2)
	v_add_co_ci_u32_e64 v3, null, s36, 0, s16
	s_waitcnt lgkmcnt(0)
	v_add_co_u32 v2, vcc_lo, v2, v30
	s_delay_alu instid0(VALU_DEP_2)
	v_add_co_ci_u32_e32 v3, vcc_lo, 0, v3, vcc_lo
	s_barrier
	buffer_gl0_inv
	s_and_saveexec_b32 s16, s12
	s_cbranch_execz .LBB103_22
; %bb.21:                               ;   in Loop: Header=BB103_12 Depth=1
	global_load_u16 v4, v[2:3], off
.LBB103_22:                             ;   in Loop: Header=BB103_12 Depth=1
	s_or_b32 exec_lo, exec_lo, s16
	v_dual_mov_b32 v5, 0 :: v_dual_mov_b32 v6, 0
	s_and_saveexec_b32 s16, s13
	s_cbranch_execnz .LBB103_86
; %bb.23:                               ;   in Loop: Header=BB103_12 Depth=1
	s_or_b32 exec_lo, exec_lo, s16
	s_and_saveexec_b32 s16, s14
	s_cbranch_execnz .LBB103_87
.LBB103_24:                             ;   in Loop: Header=BB103_12 Depth=1
	s_or_b32 exec_lo, exec_lo, s16
	v_mov_b32_e32 v7, 0
	s_and_saveexec_b32 s16, s15
	s_cbranch_execz .LBB103_26
.LBB103_25:                             ;   in Loop: Header=BB103_12 Depth=1
	global_load_u16 v7, v[2:3], off offset:192
.LBB103_26:                             ;   in Loop: Header=BB103_12 Depth=1
	s_or_b32 exec_lo, exec_lo, s16
	s_waitcnt vmcnt(0)
	ds_store_b16 v14, v4
	ds_store_b16 v14, v6 offset:64
	ds_store_b16 v15, v5 offset:128
	ds_store_b16 v16, v7 offset:192
	; wave barrier
	ds_load_b64 v[2:3], v17
	s_waitcnt lgkmcnt(0)
	v_cvt_f32_f16_e32 v4, v2
	s_delay_alu instid0(VALU_DEP_1) | instskip(NEXT) | instid1(VALU_DEP_1)
	v_add_f32_e32 v31, s48, v4
	v_cmp_ge_f32_e32 vcc_lo, 0x41a00000, v31
	s_and_b32 s16, s56, vcc_lo
	s_delay_alu instid0(SALU_CYCLE_1)
	s_and_saveexec_b32 s17, s16
	s_cbranch_execz .LBB103_28
; %bb.27:                               ;   in Loop: Header=BB103_12 Depth=1
	v_mul_f32_e32 v4, 0x3fb8aa3b, v31
	v_cmp_ngt_f32_e32 vcc_lo, 0xc2ce8ed0, v31
	s_delay_alu instid0(VALU_DEP_2) | instskip(SKIP_1) | instid1(VALU_DEP_2)
	v_rndne_f32_e32 v5, v4
	v_fma_f32 v6, 0x3fb8aa3b, v31, -v4
	v_sub_f32_e32 v4, v4, v5
	s_delay_alu instid0(VALU_DEP_2) | instskip(SKIP_1) | instid1(VALU_DEP_2)
	v_fmac_f32_e32 v6, 0x32a5705f, v31
	v_cvt_i32_f32_e32 v5, v5
	v_add_f32_e32 v4, v4, v6
	s_delay_alu instid0(VALU_DEP_1) | instskip(SKIP_2) | instid1(VALU_DEP_1)
	v_exp_f32_e32 v4, v4
	s_waitcnt_depctr 0xfff
	v_ldexp_f32 v4, v4, v5
	v_cndmask_b32_e32 v4, 0, v4, vcc_lo
	v_cmp_nlt_f32_e32 vcc_lo, 0x42b17218, v31
	s_delay_alu instid0(VALU_DEP_2) | instskip(NEXT) | instid1(VALU_DEP_1)
	v_cndmask_b32_e32 v6, 0x7f800000, v4, vcc_lo
	v_add_f32_e32 v7, 1.0, v6
	s_delay_alu instid0(VALU_DEP_1) | instskip(NEXT) | instid1(VALU_DEP_1)
	v_cvt_f64_f32_e32 v[4:5], v7
	v_frexp_exp_i32_f64_e32 v4, v[4:5]
	v_frexp_mant_f32_e32 v5, v7
	s_delay_alu instid0(VALU_DEP_1) | instskip(SKIP_1) | instid1(VALU_DEP_1)
	v_cmp_gt_f32_e32 vcc_lo, 0x3f2aaaab, v5
	v_add_f32_e32 v5, -1.0, v7
	v_dual_sub_f32 v32, v5, v7 :: v_dual_sub_f32 v5, v6, v5
	s_delay_alu instid0(VALU_DEP_1) | instskip(NEXT) | instid1(VALU_DEP_1)
	v_add_f32_e32 v32, 1.0, v32
	v_add_f32_e32 v5, v5, v32
	v_subrev_co_ci_u32_e32 v4, vcc_lo, 0, v4, vcc_lo
	s_delay_alu instid0(VALU_DEP_1) | instskip(SKIP_1) | instid1(VALU_DEP_2)
	v_sub_nc_u32_e32 v31, 0, v4
	v_cvt_f32_i32_e32 v4, v4
	v_ldexp_f32 v7, v7, v31
	v_ldexp_f32 v5, v5, v31
	s_delay_alu instid0(VALU_DEP_2) | instskip(SKIP_3) | instid1(VALU_DEP_4)
	v_add_f32_e32 v33, 1.0, v7
	v_add_f32_e32 v31, -1.0, v7
	v_cmp_eq_f32_e32 vcc_lo, 0x7f800000, v6
	v_cmp_gt_f32_e64 s16, 0x33800000, v6
	v_add_f32_e32 v32, -1.0, v33
	s_delay_alu instid0(VALU_DEP_4) | instskip(NEXT) | instid1(VALU_DEP_3)
	v_add_f32_e32 v34, 1.0, v31
	s_or_b32 vcc_lo, s16, vcc_lo
	s_delay_alu instid0(VALU_DEP_2) | instskip(NEXT) | instid1(VALU_DEP_1)
	v_sub_f32_e32 v32, v7, v32
	v_dual_sub_f32 v7, v7, v34 :: v_dual_add_f32 v32, v5, v32
	s_delay_alu instid0(VALU_DEP_1) | instskip(NEXT) | instid1(VALU_DEP_1)
	v_add_f32_e32 v5, v5, v7
	v_dual_add_f32 v35, v31, v5 :: v_dual_add_f32 v34, v33, v32
	s_delay_alu instid0(VALU_DEP_1) | instskip(NEXT) | instid1(VALU_DEP_2)
	v_sub_f32_e32 v31, v31, v35
	v_rcp_f32_e32 v7, v34
	v_sub_f32_e32 v33, v33, v34
	s_delay_alu instid0(VALU_DEP_1) | instskip(SKIP_2) | instid1(VALU_DEP_1)
	v_dual_add_f32 v5, v5, v31 :: v_dual_add_f32 v32, v32, v33
	s_waitcnt_depctr 0xfff
	v_mul_f32_e32 v36, v35, v7
	v_mul_f32_e32 v37, v34, v36
	s_delay_alu instid0(VALU_DEP_1) | instskip(NEXT) | instid1(VALU_DEP_1)
	v_fma_f32 v33, v36, v34, -v37
	v_fmac_f32_e32 v33, v36, v32
	s_delay_alu instid0(VALU_DEP_1) | instskip(NEXT) | instid1(VALU_DEP_1)
	v_add_f32_e32 v38, v37, v33
	v_sub_f32_e32 v39, v35, v38
	s_delay_alu instid0(VALU_DEP_1) | instskip(SKIP_1) | instid1(VALU_DEP_2)
	v_sub_f32_e32 v35, v35, v39
	v_sub_f32_e32 v31, v38, v37
	v_sub_f32_e32 v35, v35, v38
	s_delay_alu instid0(VALU_DEP_2) | instskip(NEXT) | instid1(VALU_DEP_2)
	v_sub_f32_e32 v31, v31, v33
	v_add_f32_e32 v5, v5, v35
	s_delay_alu instid0(VALU_DEP_1) | instskip(NEXT) | instid1(VALU_DEP_1)
	v_add_f32_e32 v5, v31, v5
	v_add_f32_e32 v31, v39, v5
	s_delay_alu instid0(VALU_DEP_1) | instskip(NEXT) | instid1(VALU_DEP_1)
	v_mul_f32_e32 v33, v7, v31
	v_dual_sub_f32 v38, v39, v31 :: v_dual_mul_f32 v35, v34, v33
	s_delay_alu instid0(VALU_DEP_1) | instskip(NEXT) | instid1(VALU_DEP_2)
	v_add_f32_e32 v5, v5, v38
	v_fma_f32 v34, v33, v34, -v35
	s_delay_alu instid0(VALU_DEP_1) | instskip(NEXT) | instid1(VALU_DEP_1)
	v_fmac_f32_e32 v34, v33, v32
	v_add_f32_e32 v32, v35, v34
	s_delay_alu instid0(VALU_DEP_1) | instskip(SKIP_1) | instid1(VALU_DEP_2)
	v_sub_f32_e32 v37, v31, v32
	v_sub_f32_e32 v35, v32, v35
	;; [unrolled: 1-line block ×3, first 2 shown]
	s_delay_alu instid0(VALU_DEP_1) | instskip(NEXT) | instid1(VALU_DEP_1)
	v_sub_f32_e32 v31, v31, v32
	v_dual_sub_f32 v32, v35, v34 :: v_dual_add_f32 v5, v5, v31
	v_add_f32_e32 v31, v36, v33
	s_delay_alu instid0(VALU_DEP_1) | instskip(NEXT) | instid1(VALU_DEP_1)
	v_dual_add_f32 v5, v32, v5 :: v_dual_sub_f32 v32, v31, v36
	v_add_f32_e32 v5, v37, v5
	s_delay_alu instid0(VALU_DEP_1) | instskip(NEXT) | instid1(VALU_DEP_1)
	v_dual_sub_f32 v32, v33, v32 :: v_dual_mul_f32 v5, v7, v5
	v_add_f32_e32 v5, v32, v5
	s_delay_alu instid0(VALU_DEP_1) | instskip(NEXT) | instid1(VALU_DEP_1)
	v_add_f32_e32 v7, v31, v5
	v_mul_f32_e32 v32, v7, v7
	s_delay_alu instid0(VALU_DEP_1) | instskip(SKIP_1) | instid1(VALU_DEP_2)
	v_fmaak_f32 v33, s60, v32, 0x3ecc95a3
	v_mul_f32_e32 v34, v7, v32
	v_fmaak_f32 v32, v32, v33, 0x3f2aaada
	v_ldexp_f32 v33, v7, 1
	s_delay_alu instid0(VALU_DEP_2) | instskip(NEXT) | instid1(VALU_DEP_1)
	v_dual_sub_f32 v7, v7, v31 :: v_dual_mul_f32 v32, v34, v32
	v_dual_mul_f32 v34, 0x3f317218, v4 :: v_dual_sub_f32 v5, v5, v7
	s_delay_alu instid0(VALU_DEP_2) | instskip(NEXT) | instid1(VALU_DEP_2)
	v_add_f32_e32 v31, v33, v32
	v_ldexp_f32 v5, v5, 1
	s_delay_alu instid0(VALU_DEP_2) | instskip(NEXT) | instid1(VALU_DEP_4)
	v_sub_f32_e32 v7, v31, v33
	v_fma_f32 v33, 0x3f317218, v4, -v34
	s_delay_alu instid0(VALU_DEP_2) | instskip(NEXT) | instid1(VALU_DEP_1)
	v_sub_f32_e32 v7, v32, v7
	v_dual_fmac_f32 v33, 0xb102e308, v4 :: v_dual_add_f32 v4, v5, v7
	s_delay_alu instid0(VALU_DEP_1) | instskip(NEXT) | instid1(VALU_DEP_1)
	v_add_f32_e32 v5, v34, v33
	v_dual_add_f32 v7, v31, v4 :: v_dual_sub_f32 v34, v5, v34
	s_delay_alu instid0(VALU_DEP_1) | instskip(SKIP_1) | instid1(VALU_DEP_3)
	v_add_f32_e32 v32, v5, v7
	v_sub_f32_e32 v31, v7, v31
	v_sub_f32_e32 v33, v33, v34
	s_delay_alu instid0(VALU_DEP_3) | instskip(NEXT) | instid1(VALU_DEP_3)
	v_sub_f32_e32 v35, v32, v5
	v_sub_f32_e32 v4, v4, v31
	s_delay_alu instid0(VALU_DEP_2) | instskip(SKIP_1) | instid1(VALU_DEP_3)
	v_sub_f32_e32 v36, v32, v35
	v_sub_f32_e32 v7, v7, v35
	v_add_f32_e32 v31, v33, v4
	s_delay_alu instid0(VALU_DEP_3) | instskip(NEXT) | instid1(VALU_DEP_1)
	v_sub_f32_e32 v5, v5, v36
	v_add_f32_e32 v5, v7, v5
	s_delay_alu instid0(VALU_DEP_3) | instskip(NEXT) | instid1(VALU_DEP_1)
	v_sub_f32_e32 v7, v31, v33
	v_dual_add_f32 v5, v31, v5 :: v_dual_sub_f32 v4, v4, v7
	s_delay_alu instid0(VALU_DEP_1) | instskip(NEXT) | instid1(VALU_DEP_1)
	v_dual_sub_f32 v31, v31, v7 :: v_dual_add_f32 v34, v32, v5
	v_sub_f32_e32 v31, v33, v31
	s_delay_alu instid0(VALU_DEP_1) | instskip(NEXT) | instid1(VALU_DEP_1)
	v_dual_sub_f32 v7, v34, v32 :: v_dual_add_f32 v4, v4, v31
	v_sub_f32_e32 v5, v5, v7
	s_delay_alu instid0(VALU_DEP_1) | instskip(NEXT) | instid1(VALU_DEP_1)
	v_add_f32_e32 v4, v4, v5
	v_add_f32_e32 v4, v34, v4
	s_delay_alu instid0(VALU_DEP_1)
	v_cndmask_b32_e32 v31, v4, v6, vcc_lo
.LBB103_28:                             ;   in Loop: Header=BB103_12 Depth=1
	s_or_b32 exec_lo, exec_lo, s17
	v_lshrrev_b32_e32 v2, 16, v2
	s_delay_alu instid0(VALU_DEP_1) | instskip(NEXT) | instid1(VALU_DEP_1)
	v_cvt_f32_f16_e32 v2, v2
	v_add_f32_e32 v32, s48, v2
	s_delay_alu instid0(VALU_DEP_1) | instskip(SKIP_1) | instid1(SALU_CYCLE_1)
	v_cmp_ge_f32_e32 vcc_lo, 0x41a00000, v32
	s_and_b32 s16, s56, vcc_lo
	s_and_saveexec_b32 s17, s16
	s_cbranch_execz .LBB103_30
; %bb.29:                               ;   in Loop: Header=BB103_12 Depth=1
	v_mul_f32_e32 v2, 0x3fb8aa3b, v32
	v_cmp_ngt_f32_e32 vcc_lo, 0xc2ce8ed0, v32
	s_delay_alu instid0(VALU_DEP_2) | instskip(SKIP_1) | instid1(VALU_DEP_2)
	v_rndne_f32_e32 v4, v2
	v_fma_f32 v5, 0x3fb8aa3b, v32, -v2
	v_sub_f32_e32 v2, v2, v4
	s_delay_alu instid0(VALU_DEP_2) | instskip(SKIP_1) | instid1(VALU_DEP_2)
	v_fmac_f32_e32 v5, 0x32a5705f, v32
	v_cvt_i32_f32_e32 v4, v4
	v_add_f32_e32 v2, v2, v5
	s_delay_alu instid0(VALU_DEP_1) | instskip(SKIP_2) | instid1(VALU_DEP_1)
	v_exp_f32_e32 v2, v2
	s_waitcnt_depctr 0xfff
	v_ldexp_f32 v2, v2, v4
	v_cndmask_b32_e32 v2, 0, v2, vcc_lo
	v_cmp_nlt_f32_e32 vcc_lo, 0x42b17218, v32
	s_delay_alu instid0(VALU_DEP_2) | instskip(NEXT) | instid1(VALU_DEP_1)
	v_cndmask_b32_e32 v2, 0x7f800000, v2, vcc_lo
	v_add_f32_e32 v6, 1.0, v2
	s_delay_alu instid0(VALU_DEP_1) | instskip(NEXT) | instid1(VALU_DEP_1)
	v_cvt_f64_f32_e32 v[4:5], v6
	v_frexp_exp_i32_f64_e32 v4, v[4:5]
	v_frexp_mant_f32_e32 v5, v6
	s_delay_alu instid0(VALU_DEP_1) | instskip(SKIP_1) | instid1(VALU_DEP_1)
	v_cmp_gt_f32_e32 vcc_lo, 0x3f2aaaab, v5
	v_add_f32_e32 v5, -1.0, v6
	v_dual_sub_f32 v32, v5, v6 :: v_dual_sub_f32 v5, v2, v5
	v_subrev_co_ci_u32_e32 v4, vcc_lo, 0, v4, vcc_lo
	s_delay_alu instid0(VALU_DEP_1) | instskip(SKIP_1) | instid1(VALU_DEP_2)
	v_sub_nc_u32_e32 v7, 0, v4
	v_cvt_f32_i32_e32 v4, v4
	v_ldexp_f32 v6, v6, v7
	s_delay_alu instid0(VALU_DEP_1) | instskip(NEXT) | instid1(VALU_DEP_1)
	v_dual_add_f32 v32, 1.0, v32 :: v_dual_add_f32 v33, 1.0, v6
	v_add_f32_e32 v5, v5, v32
	s_delay_alu instid0(VALU_DEP_1) | instskip(NEXT) | instid1(VALU_DEP_3)
	v_ldexp_f32 v5, v5, v7
	v_dual_add_f32 v7, -1.0, v6 :: v_dual_add_f32 v32, -1.0, v33
	s_delay_alu instid0(VALU_DEP_1) | instskip(NEXT) | instid1(VALU_DEP_2)
	v_add_f32_e32 v34, 1.0, v7
	v_sub_f32_e32 v32, v6, v32
	s_delay_alu instid0(VALU_DEP_2) | instskip(NEXT) | instid1(VALU_DEP_2)
	v_sub_f32_e32 v6, v6, v34
	v_add_f32_e32 v32, v5, v32
	s_delay_alu instid0(VALU_DEP_2) | instskip(NEXT) | instid1(VALU_DEP_1)
	v_add_f32_e32 v5, v5, v6
	v_dual_add_f32 v35, v7, v5 :: v_dual_add_f32 v34, v33, v32
	v_cmp_eq_f32_e32 vcc_lo, 0x7f800000, v2
	v_cmp_gt_f32_e64 s16, 0x33800000, v2
	s_delay_alu instid0(VALU_DEP_3) | instskip(NEXT) | instid1(VALU_DEP_4)
	v_sub_f32_e32 v7, v7, v35
	v_rcp_f32_e32 v6, v34
	v_sub_f32_e32 v33, v33, v34
	s_delay_alu instid0(VALU_DEP_3) | instskip(NEXT) | instid1(VALU_DEP_1)
	s_or_b32 vcc_lo, s16, vcc_lo
	v_dual_add_f32 v5, v5, v7 :: v_dual_add_f32 v32, v32, v33
	s_waitcnt_depctr 0xfff
	v_mul_f32_e32 v36, v35, v6
	s_delay_alu instid0(VALU_DEP_1) | instskip(NEXT) | instid1(VALU_DEP_1)
	v_mul_f32_e32 v37, v34, v36
	v_fma_f32 v33, v36, v34, -v37
	s_delay_alu instid0(VALU_DEP_1) | instskip(NEXT) | instid1(VALU_DEP_1)
	v_fmac_f32_e32 v33, v36, v32
	v_add_f32_e32 v38, v37, v33
	s_delay_alu instid0(VALU_DEP_1) | instskip(NEXT) | instid1(VALU_DEP_1)
	v_sub_f32_e32 v39, v35, v38
	v_sub_f32_e32 v35, v35, v39
	s_delay_alu instid0(VALU_DEP_1) | instskip(SKIP_1) | instid1(VALU_DEP_2)
	v_sub_f32_e32 v35, v35, v38
	v_sub_f32_e32 v7, v38, v37
	v_add_f32_e32 v5, v5, v35
	s_delay_alu instid0(VALU_DEP_2) | instskip(NEXT) | instid1(VALU_DEP_1)
	v_sub_f32_e32 v7, v7, v33
	v_add_f32_e32 v5, v7, v5
	s_delay_alu instid0(VALU_DEP_1) | instskip(NEXT) | instid1(VALU_DEP_1)
	v_add_f32_e32 v7, v39, v5
	v_mul_f32_e32 v33, v6, v7
	s_delay_alu instid0(VALU_DEP_1) | instskip(NEXT) | instid1(VALU_DEP_1)
	v_dual_sub_f32 v38, v39, v7 :: v_dual_mul_f32 v35, v34, v33
	v_add_f32_e32 v5, v5, v38
	s_delay_alu instid0(VALU_DEP_2) | instskip(NEXT) | instid1(VALU_DEP_1)
	v_fma_f32 v34, v33, v34, -v35
	v_fmac_f32_e32 v34, v33, v32
	s_delay_alu instid0(VALU_DEP_1) | instskip(NEXT) | instid1(VALU_DEP_1)
	v_add_f32_e32 v32, v35, v34
	v_sub_f32_e32 v37, v7, v32
	s_delay_alu instid0(VALU_DEP_1) | instskip(NEXT) | instid1(VALU_DEP_1)
	v_sub_f32_e32 v7, v7, v37
	v_sub_f32_e32 v7, v7, v32
	s_delay_alu instid0(VALU_DEP_1) | instskip(SKIP_2) | instid1(VALU_DEP_1)
	v_add_f32_e32 v5, v5, v7
	v_add_f32_e32 v7, v36, v33
	v_sub_f32_e32 v35, v32, v35
	v_sub_f32_e32 v32, v35, v34
	s_delay_alu instid0(VALU_DEP_1) | instskip(NEXT) | instid1(VALU_DEP_1)
	v_dual_add_f32 v5, v32, v5 :: v_dual_sub_f32 v32, v7, v36
	v_add_f32_e32 v5, v37, v5
	s_delay_alu instid0(VALU_DEP_1) | instskip(NEXT) | instid1(VALU_DEP_1)
	v_dual_sub_f32 v32, v33, v32 :: v_dual_mul_f32 v5, v6, v5
	v_add_f32_e32 v5, v32, v5
	s_delay_alu instid0(VALU_DEP_1) | instskip(NEXT) | instid1(VALU_DEP_1)
	v_add_f32_e32 v6, v7, v5
	v_mul_f32_e32 v32, v6, v6
	s_delay_alu instid0(VALU_DEP_1) | instskip(SKIP_1) | instid1(VALU_DEP_2)
	v_fmaak_f32 v33, s60, v32, 0x3ecc95a3
	v_mul_f32_e32 v34, v6, v32
	v_fmaak_f32 v32, v32, v33, 0x3f2aaada
	v_ldexp_f32 v33, v6, 1
	v_sub_f32_e32 v6, v6, v7
	s_delay_alu instid0(VALU_DEP_3) | instskip(SKIP_1) | instid1(VALU_DEP_2)
	v_mul_f32_e32 v32, v34, v32
	v_mul_f32_e32 v34, 0x3f317218, v4
	v_add_f32_e32 v7, v33, v32
	s_delay_alu instid0(VALU_DEP_1) | instskip(NEXT) | instid1(VALU_DEP_3)
	v_dual_sub_f32 v5, v5, v6 :: v_dual_sub_f32 v6, v7, v33
	v_fma_f32 v33, 0x3f317218, v4, -v34
	s_delay_alu instid0(VALU_DEP_2) | instskip(NEXT) | instid1(VALU_DEP_2)
	v_ldexp_f32 v5, v5, 1
	v_dual_sub_f32 v6, v32, v6 :: v_dual_fmac_f32 v33, 0xb102e308, v4
	s_delay_alu instid0(VALU_DEP_1) | instskip(NEXT) | instid1(VALU_DEP_1)
	v_dual_add_f32 v4, v5, v6 :: v_dual_add_f32 v5, v34, v33
	v_add_f32_e32 v6, v7, v4
	s_delay_alu instid0(VALU_DEP_1) | instskip(NEXT) | instid1(VALU_DEP_1)
	v_add_f32_e32 v32, v5, v6
	v_sub_f32_e32 v35, v32, v5
	s_delay_alu instid0(VALU_DEP_1) | instskip(SKIP_2) | instid1(VALU_DEP_2)
	v_sub_f32_e32 v36, v32, v35
	v_sub_f32_e32 v7, v6, v7
	;; [unrolled: 1-line block ×5, first 2 shown]
	s_delay_alu instid0(VALU_DEP_1) | instskip(NEXT) | instid1(VALU_DEP_1)
	v_sub_f32_e32 v33, v33, v34
	v_add_f32_e32 v7, v33, v4
	v_sub_f32_e32 v5, v5, v36
	s_delay_alu instid0(VALU_DEP_1) | instskip(NEXT) | instid1(VALU_DEP_3)
	v_add_f32_e32 v5, v6, v5
	v_sub_f32_e32 v6, v7, v33
	s_delay_alu instid0(VALU_DEP_1) | instskip(NEXT) | instid1(VALU_DEP_1)
	v_dual_sub_f32 v4, v4, v6 :: v_dual_add_f32 v5, v7, v5
	v_dual_sub_f32 v7, v7, v6 :: v_dual_add_f32 v34, v32, v5
	s_delay_alu instid0(VALU_DEP_1) | instskip(NEXT) | instid1(VALU_DEP_1)
	v_dual_sub_f32 v7, v33, v7 :: v_dual_sub_f32 v6, v34, v32
	v_dual_add_f32 v4, v4, v7 :: v_dual_sub_f32 v5, v5, v6
	s_delay_alu instid0(VALU_DEP_1) | instskip(NEXT) | instid1(VALU_DEP_1)
	v_add_f32_e32 v4, v4, v5
	v_add_f32_e32 v4, v34, v4
	s_delay_alu instid0(VALU_DEP_1)
	v_cndmask_b32_e32 v32, v4, v2, vcc_lo
.LBB103_30:                             ;   in Loop: Header=BB103_12 Depth=1
	s_or_b32 exec_lo, exec_lo, s17
	v_cvt_f32_f16_e32 v2, v3
	s_delay_alu instid0(VALU_DEP_1) | instskip(NEXT) | instid1(VALU_DEP_1)
	v_add_f32_e32 v33, s48, v2
	v_cmp_ge_f32_e32 vcc_lo, 0x41a00000, v33
	s_and_b32 s16, s56, vcc_lo
	s_delay_alu instid0(SALU_CYCLE_1)
	s_and_saveexec_b32 s17, s16
	s_cbranch_execz .LBB103_32
; %bb.31:                               ;   in Loop: Header=BB103_12 Depth=1
	v_mul_f32_e32 v2, 0x3fb8aa3b, v33
	v_cmp_ngt_f32_e32 vcc_lo, 0xc2ce8ed0, v33
	s_delay_alu instid0(VALU_DEP_2) | instskip(SKIP_1) | instid1(VALU_DEP_1)
	v_rndne_f32_e32 v4, v2
	v_fma_f32 v5, 0x3fb8aa3b, v33, -v2
	v_dual_sub_f32 v2, v2, v4 :: v_dual_fmac_f32 v5, 0x32a5705f, v33
	v_cvt_i32_f32_e32 v4, v4
	s_delay_alu instid0(VALU_DEP_2) | instskip(NEXT) | instid1(VALU_DEP_1)
	v_add_f32_e32 v2, v2, v5
	v_exp_f32_e32 v2, v2
	s_waitcnt_depctr 0xfff
	v_ldexp_f32 v2, v2, v4
	s_delay_alu instid0(VALU_DEP_1) | instskip(SKIP_1) | instid1(VALU_DEP_2)
	v_cndmask_b32_e32 v2, 0, v2, vcc_lo
	v_cmp_nlt_f32_e32 vcc_lo, 0x42b17218, v33
	v_cndmask_b32_e32 v2, 0x7f800000, v2, vcc_lo
	s_delay_alu instid0(VALU_DEP_1) | instskip(NEXT) | instid1(VALU_DEP_1)
	v_add_f32_e32 v6, 1.0, v2
	v_cvt_f64_f32_e32 v[4:5], v6
	s_delay_alu instid0(VALU_DEP_1) | instskip(SKIP_1) | instid1(VALU_DEP_1)
	v_frexp_exp_i32_f64_e32 v4, v[4:5]
	v_frexp_mant_f32_e32 v5, v6
	v_cmp_gt_f32_e32 vcc_lo, 0x3f2aaaab, v5
	v_add_f32_e32 v5, -1.0, v6
	s_delay_alu instid0(VALU_DEP_1) | instskip(SKIP_1) | instid1(VALU_DEP_2)
	v_sub_f32_e32 v33, v5, v6
	v_sub_f32_e32 v5, v2, v5
	v_add_f32_e32 v33, 1.0, v33
	s_delay_alu instid0(VALU_DEP_1) | instskip(SKIP_3) | instid1(VALU_DEP_2)
	v_add_f32_e32 v5, v5, v33
	v_cmp_gt_f32_e64 s16, 0x33800000, v2
	v_subrev_co_ci_u32_e32 v4, vcc_lo, 0, v4, vcc_lo
	v_cmp_eq_f32_e32 vcc_lo, 0x7f800000, v2
	v_sub_nc_u32_e32 v7, 0, v4
	v_cvt_f32_i32_e32 v4, v4
	s_or_b32 vcc_lo, s16, vcc_lo
	s_delay_alu instid0(VALU_DEP_2) | instskip(SKIP_1) | instid1(VALU_DEP_2)
	v_ldexp_f32 v6, v6, v7
	v_ldexp_f32 v5, v5, v7
	v_add_f32_e32 v34, 1.0, v6
	v_add_f32_e32 v7, -1.0, v6
	s_delay_alu instid0(VALU_DEP_1) | instskip(NEXT) | instid1(VALU_DEP_3)
	v_add_f32_e32 v35, 1.0, v7
	v_add_f32_e32 v33, -1.0, v34
	s_delay_alu instid0(VALU_DEP_1) | instskip(NEXT) | instid1(VALU_DEP_1)
	v_sub_f32_e32 v33, v6, v33
	v_dual_sub_f32 v6, v6, v35 :: v_dual_add_f32 v33, v5, v33
	s_delay_alu instid0(VALU_DEP_1) | instskip(NEXT) | instid1(VALU_DEP_2)
	v_add_f32_e32 v35, v34, v33
	v_add_f32_e32 v5, v5, v6
	s_delay_alu instid0(VALU_DEP_2) | instskip(SKIP_1) | instid1(VALU_DEP_1)
	v_rcp_f32_e32 v6, v35
	v_sub_f32_e32 v34, v34, v35
	v_dual_add_f32 v36, v7, v5 :: v_dual_add_f32 v33, v33, v34
	s_delay_alu instid0(VALU_DEP_1) | instskip(SKIP_2) | instid1(VALU_DEP_1)
	v_sub_f32_e32 v7, v7, v36
	s_waitcnt_depctr 0xfff
	v_mul_f32_e32 v37, v36, v6
	v_mul_f32_e32 v38, v35, v37
	s_delay_alu instid0(VALU_DEP_1) | instskip(NEXT) | instid1(VALU_DEP_1)
	v_fma_f32 v34, v37, v35, -v38
	v_fmac_f32_e32 v34, v37, v33
	s_delay_alu instid0(VALU_DEP_1) | instskip(NEXT) | instid1(VALU_DEP_1)
	v_add_f32_e32 v39, v38, v34
	v_sub_f32_e32 v40, v36, v39
	s_delay_alu instid0(VALU_DEP_1) | instskip(NEXT) | instid1(VALU_DEP_1)
	v_dual_sub_f32 v36, v36, v40 :: v_dual_add_f32 v5, v5, v7
	v_dual_sub_f32 v7, v39, v38 :: v_dual_sub_f32 v36, v36, v39
	s_delay_alu instid0(VALU_DEP_1) | instskip(NEXT) | instid1(VALU_DEP_2)
	v_sub_f32_e32 v7, v7, v34
	v_add_f32_e32 v5, v5, v36
	s_delay_alu instid0(VALU_DEP_1) | instskip(NEXT) | instid1(VALU_DEP_1)
	v_add_f32_e32 v5, v7, v5
	v_add_f32_e32 v7, v40, v5
	s_delay_alu instid0(VALU_DEP_1) | instskip(NEXT) | instid1(VALU_DEP_1)
	v_mul_f32_e32 v34, v6, v7
	v_dual_sub_f32 v39, v40, v7 :: v_dual_mul_f32 v36, v35, v34
	s_delay_alu instid0(VALU_DEP_1) | instskip(NEXT) | instid1(VALU_DEP_2)
	v_add_f32_e32 v5, v5, v39
	v_fma_f32 v35, v34, v35, -v36
	s_delay_alu instid0(VALU_DEP_1) | instskip(NEXT) | instid1(VALU_DEP_1)
	v_fmac_f32_e32 v35, v34, v33
	v_add_f32_e32 v33, v36, v35
	s_delay_alu instid0(VALU_DEP_1) | instskip(NEXT) | instid1(VALU_DEP_1)
	v_sub_f32_e32 v38, v7, v33
	v_dual_sub_f32 v36, v33, v36 :: v_dual_sub_f32 v7, v7, v38
	s_delay_alu instid0(VALU_DEP_1) | instskip(NEXT) | instid1(VALU_DEP_2)
	v_sub_f32_e32 v7, v7, v33
	v_sub_f32_e32 v33, v36, v35
	s_delay_alu instid0(VALU_DEP_2) | instskip(SKIP_1) | instid1(VALU_DEP_2)
	v_add_f32_e32 v5, v5, v7
	v_add_f32_e32 v7, v37, v34
	;; [unrolled: 1-line block ×3, first 2 shown]
	s_delay_alu instid0(VALU_DEP_2) | instskip(NEXT) | instid1(VALU_DEP_2)
	v_sub_f32_e32 v33, v7, v37
	v_add_f32_e32 v5, v38, v5
	s_delay_alu instid0(VALU_DEP_2) | instskip(NEXT) | instid1(VALU_DEP_2)
	v_sub_f32_e32 v33, v34, v33
	v_mul_f32_e32 v5, v6, v5
	s_delay_alu instid0(VALU_DEP_1) | instskip(NEXT) | instid1(VALU_DEP_1)
	v_add_f32_e32 v5, v33, v5
	v_add_f32_e32 v6, v7, v5
	s_delay_alu instid0(VALU_DEP_1) | instskip(NEXT) | instid1(VALU_DEP_1)
	v_mul_f32_e32 v33, v6, v6
	v_fmaak_f32 v34, s60, v33, 0x3ecc95a3
	v_mul_f32_e32 v35, v6, v33
	s_delay_alu instid0(VALU_DEP_2) | instskip(SKIP_1) | instid1(VALU_DEP_2)
	v_fmaak_f32 v33, v33, v34, 0x3f2aaada
	v_ldexp_f32 v34, v6, 1
	v_dual_sub_f32 v6, v6, v7 :: v_dual_mul_f32 v33, v35, v33
	v_mul_f32_e32 v35, 0x3f317218, v4
	s_delay_alu instid0(VALU_DEP_2) | instskip(NEXT) | instid1(VALU_DEP_3)
	v_sub_f32_e32 v5, v5, v6
	v_add_f32_e32 v7, v34, v33
	s_delay_alu instid0(VALU_DEP_2) | instskip(NEXT) | instid1(VALU_DEP_2)
	v_ldexp_f32 v5, v5, 1
	v_sub_f32_e32 v6, v7, v34
	v_fma_f32 v34, 0x3f317218, v4, -v35
	s_delay_alu instid0(VALU_DEP_2) | instskip(NEXT) | instid1(VALU_DEP_2)
	v_sub_f32_e32 v6, v33, v6
	v_fmac_f32_e32 v34, 0xb102e308, v4
	s_delay_alu instid0(VALU_DEP_2) | instskip(NEXT) | instid1(VALU_DEP_2)
	v_add_f32_e32 v4, v5, v6
	v_add_f32_e32 v5, v35, v34
	s_delay_alu instid0(VALU_DEP_1) | instskip(NEXT) | instid1(VALU_DEP_1)
	v_dual_add_f32 v6, v7, v4 :: v_dual_sub_f32 v35, v5, v35
	v_add_f32_e32 v33, v5, v6
	v_sub_f32_e32 v7, v6, v7
	s_delay_alu instid0(VALU_DEP_3) | instskip(NEXT) | instid1(VALU_DEP_3)
	v_sub_f32_e32 v34, v34, v35
	v_sub_f32_e32 v36, v33, v5
	s_delay_alu instid0(VALU_DEP_1) | instskip(SKIP_1) | instid1(VALU_DEP_2)
	v_dual_sub_f32 v4, v4, v7 :: v_dual_sub_f32 v37, v33, v36
	v_sub_f32_e32 v6, v6, v36
	v_add_f32_e32 v7, v34, v4
	s_delay_alu instid0(VALU_DEP_3) | instskip(NEXT) | instid1(VALU_DEP_1)
	v_sub_f32_e32 v5, v5, v37
	v_dual_add_f32 v5, v6, v5 :: v_dual_sub_f32 v6, v7, v34
	s_delay_alu instid0(VALU_DEP_1) | instskip(NEXT) | instid1(VALU_DEP_2)
	v_add_f32_e32 v5, v7, v5
	v_sub_f32_e32 v7, v7, v6
	s_delay_alu instid0(VALU_DEP_2) | instskip(NEXT) | instid1(VALU_DEP_1)
	v_dual_sub_f32 v4, v4, v6 :: v_dual_add_f32 v35, v33, v5
	v_dual_sub_f32 v7, v34, v7 :: v_dual_sub_f32 v6, v35, v33
	s_delay_alu instid0(VALU_DEP_1) | instskip(NEXT) | instid1(VALU_DEP_1)
	v_dual_add_f32 v4, v4, v7 :: v_dual_sub_f32 v5, v5, v6
	v_add_f32_e32 v4, v4, v5
	s_delay_alu instid0(VALU_DEP_1) | instskip(NEXT) | instid1(VALU_DEP_1)
	v_add_f32_e32 v4, v35, v4
	v_cndmask_b32_e32 v33, v4, v2, vcc_lo
.LBB103_32:                             ;   in Loop: Header=BB103_12 Depth=1
	s_or_b32 exec_lo, exec_lo, s17
	v_lshrrev_b32_e32 v2, 16, v3
	s_delay_alu instid0(VALU_DEP_1) | instskip(NEXT) | instid1(VALU_DEP_1)
	v_cvt_f32_f16_e32 v2, v2
	v_add_f32_e32 v34, s48, v2
	s_delay_alu instid0(VALU_DEP_1) | instskip(SKIP_1) | instid1(SALU_CYCLE_1)
	v_cmp_ge_f32_e32 vcc_lo, 0x41a00000, v34
	s_and_b32 s16, s56, vcc_lo
	s_and_saveexec_b32 s17, s16
	s_cbranch_execz .LBB103_34
; %bb.33:                               ;   in Loop: Header=BB103_12 Depth=1
	v_mul_f32_e32 v2, 0x3fb8aa3b, v34
	v_cmp_ngt_f32_e32 vcc_lo, 0xc2ce8ed0, v34
	s_delay_alu instid0(VALU_DEP_2) | instskip(SKIP_1) | instid1(VALU_DEP_2)
	v_rndne_f32_e32 v3, v2
	v_fma_f32 v4, 0x3fb8aa3b, v34, -v2
	v_sub_f32_e32 v2, v2, v3
	s_delay_alu instid0(VALU_DEP_2) | instskip(SKIP_1) | instid1(VALU_DEP_2)
	v_fmac_f32_e32 v4, 0x32a5705f, v34
	v_cvt_i32_f32_e32 v3, v3
	v_add_f32_e32 v2, v2, v4
	s_delay_alu instid0(VALU_DEP_1) | instskip(SKIP_2) | instid1(VALU_DEP_1)
	v_exp_f32_e32 v2, v2
	s_waitcnt_depctr 0xfff
	v_ldexp_f32 v2, v2, v3
	v_cndmask_b32_e32 v2, 0, v2, vcc_lo
	v_cmp_nlt_f32_e32 vcc_lo, 0x42b17218, v34
	s_delay_alu instid0(VALU_DEP_2) | instskip(NEXT) | instid1(VALU_DEP_1)
	v_cndmask_b32_e32 v4, 0x7f800000, v2, vcc_lo
	v_add_f32_e32 v5, 1.0, v4
	s_delay_alu instid0(VALU_DEP_1) | instskip(NEXT) | instid1(VALU_DEP_1)
	v_cvt_f64_f32_e32 v[2:3], v5
	v_frexp_exp_i32_f64_e32 v2, v[2:3]
	v_frexp_mant_f32_e32 v3, v5
	s_delay_alu instid0(VALU_DEP_1) | instskip(SKIP_1) | instid1(VALU_DEP_1)
	v_cmp_gt_f32_e32 vcc_lo, 0x3f2aaaab, v3
	v_add_f32_e32 v3, -1.0, v5
	v_sub_f32_e32 v7, v3, v5
	v_sub_f32_e32 v3, v4, v3
	s_delay_alu instid0(VALU_DEP_2) | instskip(NEXT) | instid1(VALU_DEP_1)
	v_add_f32_e32 v7, 1.0, v7
	v_add_f32_e32 v3, v3, v7
	v_cmp_gt_f32_e64 s16, 0x33800000, v4
	v_subrev_co_ci_u32_e32 v2, vcc_lo, 0, v2, vcc_lo
	v_cmp_eq_f32_e32 vcc_lo, 0x7f800000, v4
	s_delay_alu instid0(VALU_DEP_2) | instskip(SKIP_2) | instid1(VALU_DEP_2)
	v_sub_nc_u32_e32 v6, 0, v2
	v_cvt_f32_i32_e32 v2, v2
	s_or_b32 vcc_lo, s16, vcc_lo
	v_ldexp_f32 v5, v5, v6
	v_ldexp_f32 v3, v3, v6
	s_delay_alu instid0(VALU_DEP_2) | instskip(NEXT) | instid1(VALU_DEP_1)
	v_add_f32_e32 v34, 1.0, v5
	v_dual_add_f32 v6, -1.0, v5 :: v_dual_add_f32 v7, -1.0, v34
	s_delay_alu instid0(VALU_DEP_1) | instskip(NEXT) | instid1(VALU_DEP_2)
	v_add_f32_e32 v35, 1.0, v6
	v_sub_f32_e32 v7, v5, v7
	s_delay_alu instid0(VALU_DEP_2) | instskip(NEXT) | instid1(VALU_DEP_2)
	v_sub_f32_e32 v5, v5, v35
	v_add_f32_e32 v7, v3, v7
	s_delay_alu instid0(VALU_DEP_2) | instskip(NEXT) | instid1(VALU_DEP_1)
	v_add_f32_e32 v3, v3, v5
	v_add_f32_e32 v36, v6, v3
	s_delay_alu instid0(VALU_DEP_1) | instskip(NEXT) | instid1(VALU_DEP_4)
	v_sub_f32_e32 v6, v6, v36
	v_add_f32_e32 v35, v34, v7
	s_delay_alu instid0(VALU_DEP_1) | instskip(NEXT) | instid1(VALU_DEP_2)
	v_rcp_f32_e32 v5, v35
	v_dual_sub_f32 v34, v34, v35 :: v_dual_add_f32 v3, v3, v6
	s_delay_alu instid0(VALU_DEP_1) | instskip(SKIP_2) | instid1(VALU_DEP_1)
	v_add_f32_e32 v7, v7, v34
	s_waitcnt_depctr 0xfff
	v_mul_f32_e32 v37, v36, v5
	v_mul_f32_e32 v38, v35, v37
	s_delay_alu instid0(VALU_DEP_1) | instskip(NEXT) | instid1(VALU_DEP_1)
	v_fma_f32 v34, v37, v35, -v38
	v_fmac_f32_e32 v34, v37, v7
	s_delay_alu instid0(VALU_DEP_1) | instskip(NEXT) | instid1(VALU_DEP_1)
	v_add_f32_e32 v39, v38, v34
	v_sub_f32_e32 v40, v36, v39
	v_sub_f32_e32 v6, v39, v38
	s_delay_alu instid0(VALU_DEP_2) | instskip(NEXT) | instid1(VALU_DEP_1)
	v_sub_f32_e32 v36, v36, v40
	v_sub_f32_e32 v36, v36, v39
	s_delay_alu instid0(VALU_DEP_1) | instskip(NEXT) | instid1(VALU_DEP_1)
	v_dual_sub_f32 v6, v6, v34 :: v_dual_add_f32 v3, v3, v36
	v_add_f32_e32 v3, v6, v3
	s_delay_alu instid0(VALU_DEP_1) | instskip(NEXT) | instid1(VALU_DEP_1)
	v_add_f32_e32 v6, v40, v3
	v_mul_f32_e32 v34, v5, v6
	v_sub_f32_e32 v39, v40, v6
	s_delay_alu instid0(VALU_DEP_2) | instskip(NEXT) | instid1(VALU_DEP_2)
	v_mul_f32_e32 v36, v35, v34
	v_add_f32_e32 v3, v3, v39
	s_delay_alu instid0(VALU_DEP_2) | instskip(NEXT) | instid1(VALU_DEP_1)
	v_fma_f32 v35, v34, v35, -v36
	v_fmac_f32_e32 v35, v34, v7
	s_delay_alu instid0(VALU_DEP_1) | instskip(NEXT) | instid1(VALU_DEP_1)
	v_add_f32_e32 v7, v36, v35
	v_sub_f32_e32 v38, v6, v7
	s_delay_alu instid0(VALU_DEP_1) | instskip(NEXT) | instid1(VALU_DEP_1)
	v_sub_f32_e32 v6, v6, v38
	v_sub_f32_e32 v6, v6, v7
	s_delay_alu instid0(VALU_DEP_1) | instskip(SKIP_2) | instid1(VALU_DEP_1)
	v_add_f32_e32 v3, v3, v6
	v_add_f32_e32 v6, v37, v34
	v_sub_f32_e32 v36, v7, v36
	v_sub_f32_e32 v7, v36, v35
	s_delay_alu instid0(VALU_DEP_1) | instskip(NEXT) | instid1(VALU_DEP_4)
	v_add_f32_e32 v3, v7, v3
	v_sub_f32_e32 v7, v6, v37
	s_delay_alu instid0(VALU_DEP_2) | instskip(NEXT) | instid1(VALU_DEP_2)
	v_add_f32_e32 v3, v38, v3
	v_sub_f32_e32 v7, v34, v7
	s_delay_alu instid0(VALU_DEP_2) | instskip(NEXT) | instid1(VALU_DEP_1)
	v_mul_f32_e32 v3, v5, v3
	v_add_f32_e32 v3, v7, v3
	s_delay_alu instid0(VALU_DEP_1) | instskip(NEXT) | instid1(VALU_DEP_1)
	v_add_f32_e32 v5, v6, v3
	v_mul_f32_e32 v7, v5, v5
	s_delay_alu instid0(VALU_DEP_1) | instskip(SKIP_1) | instid1(VALU_DEP_2)
	v_fmaak_f32 v34, s60, v7, 0x3ecc95a3
	v_mul_f32_e32 v35, v5, v7
	v_fmaak_f32 v7, v7, v34, 0x3f2aaada
	v_ldexp_f32 v34, v5, 1
	v_sub_f32_e32 v5, v5, v6
	s_delay_alu instid0(VALU_DEP_3) | instskip(SKIP_1) | instid1(VALU_DEP_2)
	v_mul_f32_e32 v7, v35, v7
	v_mul_f32_e32 v35, 0x3f317218, v2
	v_dual_sub_f32 v3, v3, v5 :: v_dual_add_f32 v6, v34, v7
	s_delay_alu instid0(VALU_DEP_1) | instskip(NEXT) | instid1(VALU_DEP_2)
	v_ldexp_f32 v3, v3, 1
	v_sub_f32_e32 v5, v6, v34
	s_delay_alu instid0(VALU_DEP_4) | instskip(NEXT) | instid1(VALU_DEP_1)
	v_fma_f32 v34, 0x3f317218, v2, -v35
	v_dual_sub_f32 v5, v7, v5 :: v_dual_fmac_f32 v34, 0xb102e308, v2
	s_delay_alu instid0(VALU_DEP_1) | instskip(NEXT) | instid1(VALU_DEP_1)
	v_add_f32_e32 v2, v3, v5
	v_add_f32_e32 v5, v6, v2
	s_delay_alu instid0(VALU_DEP_1) | instskip(NEXT) | instid1(VALU_DEP_1)
	v_sub_f32_e32 v6, v5, v6
	v_sub_f32_e32 v2, v2, v6
	v_add_f32_e32 v3, v35, v34
	s_delay_alu instid0(VALU_DEP_1) | instskip(SKIP_1) | instid1(VALU_DEP_2)
	v_add_f32_e32 v7, v3, v5
	v_sub_f32_e32 v35, v3, v35
	v_sub_f32_e32 v36, v7, v3
	s_delay_alu instid0(VALU_DEP_1) | instskip(NEXT) | instid1(VALU_DEP_1)
	v_dual_sub_f32 v34, v34, v35 :: v_dual_sub_f32 v37, v7, v36
	v_dual_sub_f32 v5, v5, v36 :: v_dual_add_f32 v6, v34, v2
	s_delay_alu instid0(VALU_DEP_2) | instskip(NEXT) | instid1(VALU_DEP_1)
	v_sub_f32_e32 v3, v3, v37
	v_add_f32_e32 v3, v5, v3
	s_delay_alu instid0(VALU_DEP_3) | instskip(NEXT) | instid1(VALU_DEP_2)
	v_sub_f32_e32 v5, v6, v34
	v_add_f32_e32 v3, v6, v3
	s_delay_alu instid0(VALU_DEP_2) | instskip(NEXT) | instid1(VALU_DEP_2)
	v_sub_f32_e32 v6, v6, v5
	v_dual_sub_f32 v2, v2, v5 :: v_dual_add_f32 v35, v7, v3
	s_delay_alu instid0(VALU_DEP_1) | instskip(NEXT) | instid1(VALU_DEP_1)
	v_dual_sub_f32 v6, v34, v6 :: v_dual_sub_f32 v5, v35, v7
	v_dual_add_f32 v2, v2, v6 :: v_dual_sub_f32 v3, v3, v5
	s_delay_alu instid0(VALU_DEP_1) | instskip(NEXT) | instid1(VALU_DEP_1)
	v_add_f32_e32 v2, v2, v3
	v_add_f32_e32 v2, v35, v2
	s_delay_alu instid0(VALU_DEP_1)
	v_cndmask_b32_e32 v34, v2, v4, vcc_lo
.LBB103_34:                             ;   in Loop: Header=BB103_12 Depth=1
	s_or_b32 exec_lo, exec_lo, s17
	v_lshrrev_b32_e32 v2, 16, v0
	v_lshrrev_b32_e32 v3, 16, v1
	v_cvt_f32_f16_e32 v1, v1
	v_cvt_f32_f16_e32 v0, v0
	s_and_b32 vcc_lo, exec_lo, s57
	v_cvt_f32_f16_e32 v2, v2
	v_cvt_f32_f16_e32 v3, v3
	s_delay_alu instid0(VALU_DEP_3) | instskip(NEXT) | instid1(VALU_DEP_2)
	v_dual_mul_f32 v35, s49, v1 :: v_dual_mul_f32 v38, s49, v0
	v_dual_mul_f32 v36, s49, v2 :: v_dual_mul_f32 v37, s49, v3
	s_barrier
	buffer_gl0_inv
	s_cbranch_vccz .LBB103_82
; %bb.35:                               ;   in Loop: Header=BB103_12 Depth=1
	v_dual_mul_f32 v39, v34, v3 :: v_dual_mul_f32 v44, v33, v1
	v_add_co_u32 v3, s16, s27, v29
	s_delay_alu instid0(VALU_DEP_1) | instskip(SKIP_1) | instid1(VALU_DEP_1)
	v_add_co_ci_u32_e64 v4, null, s41, 0, s16
	v_add_co_u32 v5, s16, s45, v29
	v_add_co_ci_u32_e64 v6, null, s52, 0, s16
	s_delay_alu instid0(VALU_DEP_4) | instskip(NEXT) | instid1(VALU_DEP_4)
	v_add_co_u32 v40, vcc_lo, v3, v30
	v_add_co_ci_u32_e32 v41, vcc_lo, 0, v4, vcc_lo
	s_delay_alu instid0(VALU_DEP_4) | instskip(NEXT) | instid1(VALU_DEP_4)
	v_add_co_u32 v42, vcc_lo, v5, v30
	v_add_co_ci_u32_e32 v43, vcc_lo, 0, v6, vcc_lo
	v_cmp_gt_u32_e32 vcc_lo, s19, v8
	v_cmp_gt_u32_e64 s17, s19, v26
	v_cmp_gt_u32_e64 s18, s19, v27
	;; [unrolled: 1-line block ×3, first 2 shown]
	s_cmp_lg_u32 s62, 0
	v_dual_mul_f32 v45, v32, v2 :: v_dual_mul_f32 v46, v31, v0
	s_mov_b32 s28, 0
	s_cselect_b32 s25, -1, 0
	s_cmp_eq_u32 s62, s59
	s_mov_b32 s30, s28
	s_cselect_b32 s63, -1, 0
	s_or_b32 s16, s58, vcc_lo
	s_or_b32 s17, s58, s17
	s_or_b32 s18, s58, s18
	;; [unrolled: 1-line block ×3, first 2 shown]
	s_mov_b32 s38, s28
	s_mov_b32 s42, s28
	;; [unrolled: 1-line block ×4, first 2 shown]
	s_branch .LBB103_37
.LBB103_36:                             ;   in Loop: Header=BB103_37 Depth=2
	s_or_b32 exec_lo, exec_lo, s20
	v_cndmask_b32_e64 v2, v56, v7, s11
	v_cndmask_b32_e64 v3, v55, v6, s11
	s_add_i32 s64, s64, -1
	s_add_i32 s65, s65, 8
	s_add_i32 s42, s42, s26
	v_fma_f32 v2, v2, v52, v49
	v_mul_f32_e32 v3, v3, v52
	s_add_i32 s38, s38, s44
	s_add_i32 s30, s30, s40
	;; [unrolled: 1-line block ×3, first 2 shown]
	v_cndmask_b32_e64 v2, v2, v49, s10
	v_cndmask_b32_e64 v3, v3, v52, s10
	s_cmp_eq_u32 s64, 0
	s_waitcnt lgkmcnt(0)
	s_delay_alu instid0(VALU_DEP_1) | instskip(NEXT) | instid1(VALU_DEP_1)
	v_fmac_f32_e32 v2, v4, v3
	v_fmac_f32_e32 v47, v2, v53
	v_fma_mix_f32 v38, v2, v0, v38 op_sel_hi:[0,1,0]
	s_delay_alu instid0(VALU_DEP_2) | instskip(SKIP_1) | instid1(VALU_DEP_2)
	v_fmac_f32_e32 v48, v47, v54
	v_fma_mix_f32 v36, v47, v0, v36 op_sel:[0,1,0] op_sel_hi:[0,1,0]
	v_fmac_f32_e32 v50, v48, v51
	v_fma_mix_f32 v35, v48, v1, v35 op_sel_hi:[0,1,0]
	s_delay_alu instid0(VALU_DEP_2)
	v_fma_mix_f32 v37, v50, v1, v37 op_sel:[0,1,0] op_sel_hi:[0,1,0]
	s_cbranch_scc1 .LBB103_82
.LBB103_37:                             ;   Parent Loop BB103_12 Depth=1
                                        ; =>  This Inner Loop Header: Depth=2
	s_lshl_b64 s[20:21], s[28:29], 2
	s_mov_b32 s31, s29
	s_add_u32 s20, s50, s20
	s_addc_u32 s21, s51, s21
	v_dual_mov_b32 v2, 0 :: v_dual_mov_b32 v3, 0
	global_load_b32 v6, v12, s[20:21]
	s_lshl_b64 s[20:21], s[30:31], 1
	s_delay_alu instid0(SALU_CYCLE_1)
	v_add_co_u32 v0, vcc_lo, v40, s20
	v_add_co_ci_u32_e32 v1, vcc_lo, s21, v41, vcc_lo
	s_and_saveexec_b32 s20, s12
	s_cbranch_execnz .LBB103_49
; %bb.38:                               ;   in Loop: Header=BB103_37 Depth=2
	s_or_b32 exec_lo, exec_lo, s20
	s_and_saveexec_b32 s20, s13
	s_cbranch_execnz .LBB103_50
.LBB103_39:                             ;   in Loop: Header=BB103_37 Depth=2
	s_or_b32 exec_lo, exec_lo, s20
	v_mov_b32_e32 v4, 0
	s_and_saveexec_b32 s20, s14
	s_cbranch_execnz .LBB103_51
.LBB103_40:                             ;   in Loop: Header=BB103_37 Depth=2
	s_or_b32 exec_lo, exec_lo, s20
	s_and_saveexec_b32 s20, s15
	s_cbranch_execz .LBB103_42
.LBB103_41:                             ;   in Loop: Header=BB103_37 Depth=2
	global_load_u16 v0, v[0:1], off offset:192
	s_waitcnt vmcnt(0)
	v_lshl_or_b32 v4, v0, 16, v4
.LBB103_42:                             ;   in Loop: Header=BB103_37 Depth=2
	s_or_b32 exec_lo, exec_lo, s20
	s_waitcnt vmcnt(0)
	ds_store_b16 v14, v3
	ds_store_b16 v14, v2 offset:64
	ds_store_b16 v15, v4 offset:128
	ds_store_b16_d16_hi v16, v4 offset:192
	; wave barrier
	ds_load_b64 v[4:5], v17
	s_mov_b32 s39, s29
	v_dual_mov_b32 v2, 0 :: v_dual_mov_b32 v3, 0
	s_lshl_b64 s[20:21], s[38:39], 1
	s_delay_alu instid0(SALU_CYCLE_1)
	v_add_co_u32 v0, vcc_lo, v42, s20
	v_add_co_ci_u32_e32 v1, vcc_lo, s21, v43, vcc_lo
	s_and_saveexec_b32 s20, s12
	s_cbranch_execnz .LBB103_52
; %bb.43:                               ;   in Loop: Header=BB103_37 Depth=2
	s_or_b32 exec_lo, exec_lo, s20
	s_and_saveexec_b32 s20, s13
	s_cbranch_execnz .LBB103_53
.LBB103_44:                             ;   in Loop: Header=BB103_37 Depth=2
	s_or_b32 exec_lo, exec_lo, s20
	v_mov_b32_e32 v7, 0
	s_and_saveexec_b32 s20, s14
	s_cbranch_execnz .LBB103_54
.LBB103_45:                             ;   in Loop: Header=BB103_37 Depth=2
	s_or_b32 exec_lo, exec_lo, s20
	s_and_saveexec_b32 s20, s15
	s_cbranch_execz .LBB103_47
.LBB103_46:                             ;   in Loop: Header=BB103_37 Depth=2
	global_load_u16 v0, v[0:1], off offset:192
	s_waitcnt vmcnt(0)
	v_lshl_or_b32 v7, v0, 16, v7
.LBB103_47:                             ;   in Loop: Header=BB103_37 Depth=2
	s_or_b32 exec_lo, exec_lo, s20
	s_waitcnt vmcnt(0)
	ds_store_b16 v14, v3 offset:528
	ds_store_b16 v18, v2 offset:64
	ds_store_b16 v19, v7 offset:128
	ds_store_b16_d16_hi v20, v7 offset:192
	; wave barrier
	ds_load_b64 v[0:1], v17 offset:528
	s_and_not1_b32 vcc_lo, exec_lo, s25
	s_cbranch_vccnz .LBB103_55
; %bb.48:                               ;   in Loop: Header=BB103_37 Depth=2
	v_mov_b32_e32 v2, s65
	ds_load_b64 v[2:3], v2
	s_cbranch_execz .LBB103_56
	s_branch .LBB103_59
.LBB103_49:                             ;   in Loop: Header=BB103_37 Depth=2
	global_load_u16 v3, v[0:1], off
	s_or_b32 exec_lo, exec_lo, s20
	s_and_saveexec_b32 s20, s13
	s_cbranch_execz .LBB103_39
.LBB103_50:                             ;   in Loop: Header=BB103_37 Depth=2
	global_load_u16 v2, v[0:1], off offset:64
	s_or_b32 exec_lo, exec_lo, s20
	v_mov_b32_e32 v4, 0
	s_and_saveexec_b32 s20, s14
	s_cbranch_execz .LBB103_40
.LBB103_51:                             ;   in Loop: Header=BB103_37 Depth=2
	global_load_u16 v4, v[0:1], off offset:128
	s_or_b32 exec_lo, exec_lo, s20
	s_and_saveexec_b32 s20, s15
	s_cbranch_execnz .LBB103_41
	s_branch .LBB103_42
.LBB103_52:                             ;   in Loop: Header=BB103_37 Depth=2
	global_load_u16 v3, v[0:1], off
	s_or_b32 exec_lo, exec_lo, s20
	s_and_saveexec_b32 s20, s13
	s_cbranch_execz .LBB103_44
.LBB103_53:                             ;   in Loop: Header=BB103_37 Depth=2
	global_load_u16 v2, v[0:1], off offset:64
	s_or_b32 exec_lo, exec_lo, s20
	v_mov_b32_e32 v7, 0
	s_and_saveexec_b32 s20, s14
	s_cbranch_execz .LBB103_45
.LBB103_54:                             ;   in Loop: Header=BB103_37 Depth=2
	global_load_u16 v7, v[0:1], off offset:128
	s_or_b32 exec_lo, exec_lo, s20
	s_and_saveexec_b32 s20, s15
	s_cbranch_execnz .LBB103_46
	s_branch .LBB103_47
.LBB103_55:                             ;   in Loop: Header=BB103_37 Depth=2
                                        ; implicit-def: $vgpr2
.LBB103_56:                             ;   in Loop: Header=BB103_37 Depth=2
	s_waitcnt lgkmcnt(0)
	v_mov_b32_e32 v3, 0
	s_and_not1_b32 vcc_lo, exec_lo, s33
	s_cbranch_vccnz .LBB103_58
; %bb.57:                               ;   in Loop: Header=BB103_37 Depth=2
	s_mov_b32 s43, s29
	s_delay_alu instid0(SALU_CYCLE_1) | instskip(NEXT) | instid1(SALU_CYCLE_1)
	s_lshl_b64 s[20:21], s[42:43], 2
	s_add_u32 s20, s53, s20
	s_addc_u32 s21, s54, s21
	global_load_b32 v3, v12, s[20:21]
.LBB103_58:                             ;   in Loop: Header=BB103_37 Depth=2
	v_mov_b32_e32 v2, 1.0
.LBB103_59:                             ;   in Loop: Header=BB103_37 Depth=2
	s_waitcnt lgkmcnt(5)
	v_lshrrev_b32_e32 v7, 16, v4
	v_lshrrev_b32_e32 v47, 16, v5
	v_cvt_f32_f16_e32 v5, v5
	v_cvt_f32_f16_e32 v4, v4
	s_delay_alu instid0(VALU_DEP_4) | instskip(SKIP_2) | instid1(VALU_DEP_4)
	v_cvt_f32_f16_e32 v7, v7
	v_mul_f32_e32 v6, 0x3fb8aa3b, v6
	v_cvt_f32_f16_e32 v51, v47
	v_dual_mul_f32 v4, v46, v4 :: v_dual_mul_f32 v5, v44, v5
	s_delay_alu instid0(VALU_DEP_4) | instskip(NEXT) | instid1(VALU_DEP_4)
	v_mul_f32_e32 v7, v45, v7
	v_mul_f32_e32 v48, v6, v31
	s_delay_alu instid0(VALU_DEP_1) | instskip(SKIP_2) | instid1(VALU_DEP_2)
	v_cmp_gt_f32_e32 vcc_lo, 0xc2fc0000, v48
	v_cndmask_b32_e64 v48, 0, 0x42800000, vcc_lo
	v_cndmask_b32_e64 v53, 1.0, 0x1f800000, vcc_lo
	v_fmac_f32_e32 v48, v6, v31
	s_delay_alu instid0(VALU_DEP_1) | instskip(SKIP_2) | instid1(VALU_DEP_1)
	v_exp_f32_e32 v48, v48
	s_waitcnt_depctr 0xfff
	v_dual_mul_f32 v49, v6, v32 :: v_dual_mul_f32 v48, v48, v53
	v_cmp_gt_f32_e64 s20, 0xc2fc0000, v49
	v_mul_f32_e32 v49, v6, v34
	s_delay_alu instid0(VALU_DEP_2) | instskip(NEXT) | instid1(VALU_DEP_2)
	v_cndmask_b32_e64 v47, 0, 0x42800000, s20
	v_cmp_gt_f32_e64 s22, 0xc2fc0000, v49
	v_cndmask_b32_e64 v49, 0, v4, s16
	s_delay_alu instid0(VALU_DEP_2) | instskip(NEXT) | instid1(VALU_DEP_1)
	v_cndmask_b32_e64 v52, 0, 0x42800000, s22
	v_fmac_f32_e32 v52, v6, v34
	s_delay_alu instid0(VALU_DEP_1) | instskip(SKIP_3) | instid1(VALU_DEP_3)
	v_exp_f32_e32 v55, v52
	v_mul_f32_e32 v50, v6, v33
	v_cndmask_b32_e64 v52, 1.0, v48, s16
	v_cndmask_b32_e64 v48, 0, v5, s18
	v_cmp_gt_f32_e64 s21, 0xc2fc0000, v50
	s_delay_alu instid0(VALU_DEP_1) | instskip(NEXT) | instid1(VALU_DEP_1)
	v_cndmask_b32_e64 v50, 0, 0x42800000, s21
	v_fmac_f32_e32 v50, v6, v33
	s_delay_alu instid0(VALU_DEP_1)
	v_exp_f32_e32 v4, v50
	v_cndmask_b32_e64 v50, 1.0, 0x1f800000, s21
	v_fmac_f32_e32 v47, v6, v32
	v_cndmask_b32_e64 v6, 1.0, 0x1f800000, s20
	s_waitcnt_depctr 0xfff
	v_mul_f32_e32 v4, v4, v50
	v_exp_f32_e32 v47, v47
	s_delay_alu instid0(VALU_DEP_1)
	v_cndmask_b32_e64 v54, 1.0, v4, s18
	v_mul_f32_e32 v4, v39, v51
	s_waitcnt_depctr 0xfff
	v_mul_f32_e32 v6, v47, v6
	v_cndmask_b32_e64 v47, 0, v7, s17
	v_cndmask_b32_e64 v7, 1.0, 0x1f800000, s22
	v_cndmask_b32_e64 v50, 0, v4, s19
	s_delay_alu instid0(VALU_DEP_4) | instskip(NEXT) | instid1(VALU_DEP_1)
	v_cndmask_b32_e64 v53, 1.0, v6, s17
	v_dual_mul_f32 v5, v55, v7 :: v_dual_mul_f32 v6, v53, v52
	v_fma_f32 v7, v53, v49, v47
	s_delay_alu instid0(VALU_DEP_2) | instskip(NEXT) | instid1(VALU_DEP_3)
	v_cndmask_b32_e64 v51, 1.0, v5, s19
	v_mul_f32_e32 v4, v6, v54
	s_delay_alu instid0(VALU_DEP_3) | instskip(NEXT) | instid1(VALU_DEP_2)
	v_fma_f32 v5, v7, v54, v48
	v_mul_f32_e32 v4, v4, v51
	s_delay_alu instid0(VALU_DEP_2) | instskip(NEXT) | instid1(VALU_DEP_2)
	v_fma_f32 v5, v5, v51, v50
	v_mov_b32_dpp v7, v4 row_shr:1 row_mask:0xf bank_mask:0xf
	s_delay_alu instid0(VALU_DEP_2)
	v_mov_b32_dpp v6, v5 row_shr:1 row_mask:0xf bank_mask:0xf
	s_and_saveexec_b32 s20, s0
; %bb.60:                               ;   in Loop: Header=BB103_37 Depth=2
	s_delay_alu instid0(VALU_DEP_2) | instskip(NEXT) | instid1(VALU_DEP_1)
	v_mul_f32_e32 v7, v4, v7
	v_dual_fmac_f32 v5, v4, v6 :: v_dual_mov_b32 v4, v7
; %bb.61:                               ;   in Loop: Header=BB103_37 Depth=2
	s_or_b32 exec_lo, exec_lo, s20
	s_delay_alu instid0(VALU_DEP_1) | instskip(NEXT) | instid1(VALU_DEP_2)
	v_mov_b32_dpp v6, v4 row_shr:2 row_mask:0xf bank_mask:0xf
	v_mov_b32_dpp v7, v5 row_shr:2 row_mask:0xf bank_mask:0xf
	s_and_saveexec_b32 s20, s1
; %bb.62:                               ;   in Loop: Header=BB103_37 Depth=2
	s_delay_alu instid0(VALU_DEP_1) | instskip(NEXT) | instid1(VALU_DEP_3)
	v_fmac_f32_e32 v5, v4, v7
	v_mul_f32_e32 v4, v4, v6
; %bb.63:                               ;   in Loop: Header=BB103_37 Depth=2
	s_or_b32 exec_lo, exec_lo, s20
	s_delay_alu instid0(VALU_DEP_1) | instskip(NEXT) | instid1(VALU_DEP_3)
	v_mov_b32_dpp v6, v4 row_shr:4 row_mask:0xf bank_mask:0xf
	v_mov_b32_dpp v7, v5 row_shr:4 row_mask:0xf bank_mask:0xf
	s_and_saveexec_b32 s20, s2
; %bb.64:                               ;   in Loop: Header=BB103_37 Depth=2
	s_delay_alu instid0(VALU_DEP_1) | instskip(NEXT) | instid1(VALU_DEP_3)
	v_fmac_f32_e32 v5, v4, v7
	v_mul_f32_e32 v4, v4, v6
; %bb.65:                               ;   in Loop: Header=BB103_37 Depth=2
	s_or_b32 exec_lo, exec_lo, s20
	s_delay_alu instid0(VALU_DEP_1) | instskip(NEXT) | instid1(VALU_DEP_3)
	v_mov_b32_dpp v6, v4 row_shr:8 row_mask:0xf bank_mask:0xf
	v_mov_b32_dpp v7, v5 row_shr:8 row_mask:0xf bank_mask:0xf
	s_and_saveexec_b32 s20, s3
; %bb.66:                               ;   in Loop: Header=BB103_37 Depth=2
	s_delay_alu instid0(VALU_DEP_1) | instskip(NEXT) | instid1(VALU_DEP_3)
	v_fmac_f32_e32 v5, v4, v7
	v_mul_f32_e32 v4, v4, v6
; %bb.67:                               ;   in Loop: Header=BB103_37 Depth=2
	s_or_b32 exec_lo, exec_lo, s20
	ds_swizzle_b32 v7, v4 offset:swizzle(BROADCAST,32,15)
	ds_swizzle_b32 v6, v5 offset:swizzle(BROADCAST,32,15)
	s_and_saveexec_b32 s20, s4
	s_cbranch_execz .LBB103_69
; %bb.68:                               ;   in Loop: Header=BB103_37 Depth=2
	s_waitcnt lgkmcnt(1)
	v_mul_f32_e32 v7, v4, v7
	s_waitcnt lgkmcnt(0)
	s_delay_alu instid0(VALU_DEP_1)
	v_dual_fmac_f32 v5, v4, v6 :: v_dual_mov_b32 v4, v7
.LBB103_69:                             ;   in Loop: Header=BB103_37 Depth=2
	s_or_b32 exec_lo, exec_lo, s20
	s_and_saveexec_b32 s20, s5
	s_cbranch_execz .LBB103_71
; %bb.70:                               ;   in Loop: Header=BB103_37 Depth=2
	ds_store_b64 v21, v[4:5] offset:1056
.LBB103_71:                             ;   in Loop: Header=BB103_37 Depth=2
	s_or_b32 exec_lo, exec_lo, s20
	s_waitcnt vmcnt(0) lgkmcnt(0)
	s_waitcnt_vscnt null, 0x0
	s_barrier
	buffer_gl0_inv
	s_and_saveexec_b32 s20, s6
	s_cbranch_execz .LBB103_73
; %bb.72:                               ;   in Loop: Header=BB103_37 Depth=2
	ds_load_b64 v[6:7], v22 offset:1056
	s_waitcnt lgkmcnt(0)
	v_mov_b32_dpp v55, v6 row_shr:1 row_mask:0xf bank_mask:0xf
	v_mov_b32_dpp v56, v7 row_shr:1 row_mask:0xf bank_mask:0xf
	s_delay_alu instid0(VALU_DEP_2) | instskip(NEXT) | instid1(VALU_DEP_2)
	v_mul_f32_e32 v55, v6, v55
	v_fma_f32 v56, v6, v56, v7
	s_delay_alu instid0(VALU_DEP_2) | instskip(NEXT) | instid1(VALU_DEP_2)
	v_cndmask_b32_e64 v6, v55, v6, s7
	v_cndmask_b32_e64 v7, v56, v7, s7
	ds_store_b64 v22, v[6:7] offset:1056
.LBB103_73:                             ;   in Loop: Header=BB103_37 Depth=2
	s_or_b32 exec_lo, exec_lo, s20
	s_waitcnt lgkmcnt(0)
	s_barrier
	buffer_gl0_inv
                                        ; implicit-def: $vgpr7
	s_and_saveexec_b32 s20, s9
	s_cbranch_execz .LBB103_75
; %bb.74:                               ;   in Loop: Header=BB103_37 Depth=2
	ds_load_b64 v[6:7], v21 offset:1048
	s_waitcnt lgkmcnt(0)
	v_mul_f32_e32 v55, v4, v6
	s_delay_alu instid0(VALU_DEP_1)
	v_dual_fmac_f32 v5, v4, v7 :: v_dual_mov_b32 v4, v55
.LBB103_75:                             ;   in Loop: Header=BB103_37 Depth=2
	s_or_b32 exec_lo, exec_lo, s20
	ds_bpermute_b32 v55, v23, v4
	ds_bpermute_b32 v56, v23, v5
	s_and_saveexec_b32 s20, s8
	s_cbranch_execz .LBB103_79
; %bb.76:                               ;   in Loop: Header=BB103_37 Depth=2
	ds_load_b64 v[4:5], v12 offset:1064
	s_and_saveexec_b32 s21, s10
	s_cbranch_execz .LBB103_78
; %bb.77:                               ;   in Loop: Header=BB103_37 Depth=2
	ds_store_b64 v12, v[2:3] offset:1064
.LBB103_78:                             ;   in Loop: Header=BB103_37 Depth=2
	s_or_b32 exec_lo, exec_lo, s21
	s_waitcnt lgkmcnt(0)
	v_fmac_f32_e32 v5, v3, v4
	s_delay_alu instid0(VALU_DEP_1)
	v_dual_mul_f32 v2, v2, v4 :: v_dual_mov_b32 v3, v5
.LBB103_79:                             ;   in Loop: Header=BB103_37 Depth=2
	s_or_b32 exec_lo, exec_lo, s20
	s_waitcnt lgkmcnt(0)
	s_barrier
	buffer_gl0_inv
	ds_load_b32 v4, v12 offset:1068
	s_and_saveexec_b32 s20, s10
	s_cbranch_execz .LBB103_36
; %bb.80:                               ;   in Loop: Header=BB103_37 Depth=2
	v_mov_b32_e32 v5, s65
	s_and_not1_b32 vcc_lo, exec_lo, s63
	ds_store_b64 v5, v[2:3]
	s_cbranch_vccnz .LBB103_36
; %bb.81:                               ;   in Loop: Header=BB103_37 Depth=2
	s_mov_b32 s43, s29
	s_delay_alu instid0(SALU_CYCLE_1) | instskip(NEXT) | instid1(SALU_CYCLE_1)
	s_lshl_b64 s[66:67], s[42:43], 2
	s_add_u32 s66, s53, s66
	s_addc_u32 s67, s54, s67
	global_store_b32 v12, v3, s[66:67]
	s_branch .LBB103_36
.LBB103_82:                             ;   in Loop: Header=BB103_12 Depth=1
	v_cvt_f16_f32_e32 v0, v38
	s_delay_alu instid0(VALU_DEP_3) | instskip(NEXT) | instid1(VALU_DEP_3)
	v_cvt_f16_f32_e32 v1, v35
	v_cvt_f16_f32_e32 v2, v37
	;; [unrolled: 1-line block ×3, first 2 shown]
	s_waitcnt_vscnt null, 0x0
	s_barrier
	buffer_gl0_inv
	v_pack_b32_f16 v1, v1, v2
	v_pack_b32_f16 v0, v0, v3
	s_mov_b32 s25, s29
	s_delay_alu instid0(SALU_CYCLE_1)
	s_lshl_b64 s[16:17], s[24:25], 1
	ds_store_b64 v17, v[0:1]
	; wave barrier
	ds_load_u16 v4, v14 offset:64
	ds_load_u16 v3, v15 offset:128
	;; [unrolled: 1-line block ×3, first 2 shown]
	v_add_co_u32 v0, vcc_lo, v24, s16
	v_add_co_ci_u32_e32 v1, vcc_lo, s17, v25, vcc_lo
	s_and_saveexec_b32 s16, s12
	s_cbranch_execnz .LBB103_88
; %bb.83:                               ;   in Loop: Header=BB103_12 Depth=1
	s_or_b32 exec_lo, exec_lo, s16
	s_and_saveexec_b32 s12, s13
	s_cbranch_execnz .LBB103_89
.LBB103_84:                             ;   in Loop: Header=BB103_12 Depth=1
	s_or_b32 exec_lo, exec_lo, s12
	s_and_saveexec_b32 s12, s14
	s_cbranch_execnz .LBB103_90
.LBB103_85:                             ;   in Loop: Header=BB103_12 Depth=1
	s_or_b32 exec_lo, exec_lo, s12
	s_and_saveexec_b32 s12, s15
	s_cbranch_execz .LBB103_11
	s_branch .LBB103_91
.LBB103_86:                             ;   in Loop: Header=BB103_12 Depth=1
	global_load_u16 v6, v[2:3], off offset:64
	s_or_b32 exec_lo, exec_lo, s16
	s_and_saveexec_b32 s16, s14
	s_cbranch_execz .LBB103_24
.LBB103_87:                             ;   in Loop: Header=BB103_12 Depth=1
	global_load_u16 v5, v[2:3], off offset:128
	s_or_b32 exec_lo, exec_lo, s16
	v_mov_b32_e32 v7, 0
	s_and_saveexec_b32 s16, s15
	s_cbranch_execnz .LBB103_25
	s_branch .LBB103_26
.LBB103_88:                             ;   in Loop: Header=BB103_12 Depth=1
	ds_load_u16 v5, v14
	s_waitcnt lgkmcnt(0)
	global_store_b16 v[0:1], v5, off
	s_or_b32 exec_lo, exec_lo, s16
	s_and_saveexec_b32 s12, s13
	s_cbranch_execz .LBB103_84
.LBB103_89:                             ;   in Loop: Header=BB103_12 Depth=1
	s_waitcnt lgkmcnt(2)
	global_store_b16 v[0:1], v4, off offset:64
	s_or_b32 exec_lo, exec_lo, s12
	s_and_saveexec_b32 s12, s14
	s_cbranch_execz .LBB103_85
.LBB103_90:                             ;   in Loop: Header=BB103_12 Depth=1
	s_waitcnt lgkmcnt(1)
	global_store_b16 v[0:1], v3, off offset:128
	s_or_b32 exec_lo, exec_lo, s12
	s_and_saveexec_b32 s12, s15
	s_cbranch_execz .LBB103_11
.LBB103_91:                             ;   in Loop: Header=BB103_12 Depth=1
	s_waitcnt lgkmcnt(0)
	global_store_b16 v[0:1], v2, off offset:192
	s_branch .LBB103_11
.LBB103_92:
	s_nop 0
	s_sendmsg sendmsg(MSG_DEALLOC_VGPRS)
	s_endpgm
	.section	.rodata,"a",@progbits
	.p2align	6, 0x0
	.amdhsa_kernel _Z25selective_scan_fwd_kernelI32Selective_Scan_fwd_kernel_traitsILi64ELi4ELi1ELb0ELb1ELb1ELb0ELb0EN3c104HalfEffEEv13SSMParamsBase
		.amdhsa_group_segment_fixed_size 0
		.amdhsa_private_segment_fixed_size 0
		.amdhsa_kernarg_size 248
		.amdhsa_user_sgpr_count 14
		.amdhsa_user_sgpr_dispatch_ptr 0
		.amdhsa_user_sgpr_queue_ptr 0
		.amdhsa_user_sgpr_kernarg_segment_ptr 1
		.amdhsa_user_sgpr_dispatch_id 0
		.amdhsa_user_sgpr_private_segment_size 0
		.amdhsa_wavefront_size32 1
		.amdhsa_uses_dynamic_stack 0
		.amdhsa_enable_private_segment 0
		.amdhsa_system_sgpr_workgroup_id_x 1
		.amdhsa_system_sgpr_workgroup_id_y 1
		.amdhsa_system_sgpr_workgroup_id_z 0
		.amdhsa_system_sgpr_workgroup_info 0
		.amdhsa_system_vgpr_workitem_id 0
		.amdhsa_next_free_vgpr 57
		.amdhsa_next_free_sgpr 68
		.amdhsa_reserve_vcc 1
		.amdhsa_float_round_mode_32 0
		.amdhsa_float_round_mode_16_64 0
		.amdhsa_float_denorm_mode_32 3
		.amdhsa_float_denorm_mode_16_64 3
		.amdhsa_dx10_clamp 1
		.amdhsa_ieee_mode 1
		.amdhsa_fp16_overflow 0
		.amdhsa_workgroup_processor_mode 1
		.amdhsa_memory_ordered 1
		.amdhsa_forward_progress 0
		.amdhsa_shared_vgpr_count 0
		.amdhsa_exception_fp_ieee_invalid_op 0
		.amdhsa_exception_fp_denorm_src 0
		.amdhsa_exception_fp_ieee_div_zero 0
		.amdhsa_exception_fp_ieee_overflow 0
		.amdhsa_exception_fp_ieee_underflow 0
		.amdhsa_exception_fp_ieee_inexact 0
		.amdhsa_exception_int_div_zero 0
	.end_amdhsa_kernel
	.section	.text._Z25selective_scan_fwd_kernelI32Selective_Scan_fwd_kernel_traitsILi64ELi4ELi1ELb0ELb1ELb1ELb0ELb0EN3c104HalfEffEEv13SSMParamsBase,"axG",@progbits,_Z25selective_scan_fwd_kernelI32Selective_Scan_fwd_kernel_traitsILi64ELi4ELi1ELb0ELb1ELb1ELb0ELb0EN3c104HalfEffEEv13SSMParamsBase,comdat
.Lfunc_end103:
	.size	_Z25selective_scan_fwd_kernelI32Selective_Scan_fwd_kernel_traitsILi64ELi4ELi1ELb0ELb1ELb1ELb0ELb0EN3c104HalfEffEEv13SSMParamsBase, .Lfunc_end103-_Z25selective_scan_fwd_kernelI32Selective_Scan_fwd_kernel_traitsILi64ELi4ELi1ELb0ELb1ELb1ELb0ELb0EN3c104HalfEffEEv13SSMParamsBase
                                        ; -- End function
	.section	.AMDGPU.csdata,"",@progbits
; Kernel info:
; codeLenInByte = 7004
; NumSgprs: 70
; NumVgprs: 57
; ScratchSize: 0
; MemoryBound: 0
; FloatMode: 240
; IeeeMode: 1
; LDSByteSize: 0 bytes/workgroup (compile time only)
; SGPRBlocks: 8
; VGPRBlocks: 7
; NumSGPRsForWavesPerEU: 70
; NumVGPRsForWavesPerEU: 57
; Occupancy: 16
; WaveLimiterHint : 0
; COMPUTE_PGM_RSRC2:SCRATCH_EN: 0
; COMPUTE_PGM_RSRC2:USER_SGPR: 14
; COMPUTE_PGM_RSRC2:TRAP_HANDLER: 0
; COMPUTE_PGM_RSRC2:TGID_X_EN: 1
; COMPUTE_PGM_RSRC2:TGID_Y_EN: 1
; COMPUTE_PGM_RSRC2:TGID_Z_EN: 0
; COMPUTE_PGM_RSRC2:TIDIG_COMP_CNT: 0
	.section	.text._Z25selective_scan_fwd_kernelI32Selective_Scan_fwd_kernel_traitsILi64ELi8ELi1ELb1ELb1ELb1ELb1ELb1EN3c104HalfEffEEv13SSMParamsBase,"axG",@progbits,_Z25selective_scan_fwd_kernelI32Selective_Scan_fwd_kernel_traitsILi64ELi8ELi1ELb1ELb1ELb1ELb1ELb1EN3c104HalfEffEEv13SSMParamsBase,comdat
	.protected	_Z25selective_scan_fwd_kernelI32Selective_Scan_fwd_kernel_traitsILi64ELi8ELi1ELb1ELb1ELb1ELb1ELb1EN3c104HalfEffEEv13SSMParamsBase ; -- Begin function _Z25selective_scan_fwd_kernelI32Selective_Scan_fwd_kernel_traitsILi64ELi8ELi1ELb1ELb1ELb1ELb1ELb1EN3c104HalfEffEEv13SSMParamsBase
	.globl	_Z25selective_scan_fwd_kernelI32Selective_Scan_fwd_kernel_traitsILi64ELi8ELi1ELb1ELb1ELb1ELb1ELb1EN3c104HalfEffEEv13SSMParamsBase
	.p2align	8
	.type	_Z25selective_scan_fwd_kernelI32Selective_Scan_fwd_kernel_traitsILi64ELi8ELi1ELb1ELb1ELb1ELb1ELb1EN3c104HalfEffEEv13SSMParamsBase,@function
_Z25selective_scan_fwd_kernelI32Selective_Scan_fwd_kernel_traitsILi64ELi8ELi1ELb1ELb1ELb1ELb1ELb1EN3c104HalfEffEEv13SSMParamsBase: ; @_Z25selective_scan_fwd_kernelI32Selective_Scan_fwd_kernel_traitsILi64ELi8ELi1ELb1ELb1ELb1ELb1ELb1EN3c104HalfEffEEv13SSMParamsBase
; %bb.0:
	s_clause 0x2
	s_load_b32 s11, s[0:1], 0x18
	s_load_b256 s[52:59], s[0:1], 0xc8
	s_load_b128 s[4:7], s[0:1], 0xe8
	s_mov_b32 s12, s15
	s_ashr_i32 s15, s14, 31
	s_mov_b32 s33, 0
	s_lshl_b64 s[8:9], s[14:15], 2
	s_waitcnt lgkmcnt(0)
	s_abs_i32 s10, s11
	s_add_u32 s2, s58, s8
	v_cvt_f32_u32_e32 v1, s10
	s_addc_u32 s3, s59, s9
	s_cmp_eq_u64 s[6:7], 0
	s_delay_alu instid0(VALU_DEP_1) | instskip(SKIP_2) | instid1(VALU_DEP_1)
	v_rcp_iflag_f32_e32 v1, v1
	s_waitcnt_depctr 0xfff
	v_mul_f32_e32 v1, 0x4f7ffffe, v1
	v_cvt_u32_f32_e32 v1, v1
	s_delay_alu instid0(VALU_DEP_1)
	v_readfirstlane_b32 s34, v1
	s_cbranch_scc1 .LBB104_2
; %bb.1:
	v_mov_b32_e32 v1, 0
	s_add_u32 s6, s6, s14
	s_addc_u32 s7, s7, s15
	global_load_u8 v1, v1, s[6:7]
	s_waitcnt vmcnt(0)
	v_and_b32_e32 v1, 1, v1
	s_delay_alu instid0(VALU_DEP_1)
	v_cmp_eq_u32_e64 s33, 1, v1
.LBB104_2:
	s_load_b64 s[6:7], s[0:1], 0x20
	s_cmp_eq_u64 s[4:5], 0
	s_cbranch_scc1 .LBB104_4
; %bb.3:
	s_add_u32 s4, s4, s8
	s_addc_u32 s5, s5, s9
	s_load_b32 s14, s[4:5], 0x0
	s_waitcnt lgkmcnt(0)
	s_ashr_i32 s15, s14, 31
.LBB104_4:
	s_waitcnt lgkmcnt(0)
	s_cmp_eq_u64 s[6:7], s[14:15]
	s_cbranch_scc1 .LBB104_172
; %bb.5:
	s_load_b512 s[16:31], s[0:1], 0x88
	s_load_b64 s[58:59], s[2:3], 0x0
	s_mov_b32 s60, 0
	s_mov_b32 s61, 0
	s_waitcnt lgkmcnt(0)
	s_cmp_eq_u64 s[22:23], 0
	s_cbranch_scc1 .LBB104_7
; %bb.6:
	s_ashr_i32 s13, s12, 31
	s_delay_alu instid0(SALU_CYCLE_1) | instskip(NEXT) | instid1(SALU_CYCLE_1)
	s_lshl_b64 s[2:3], s[12:13], 2
	s_add_u32 s2, s22, s2
	s_addc_u32 s3, s23, s3
	s_load_b32 s61, s[2:3], 0x0
.LBB104_7:
	s_cmp_eq_u64 s[28:29], 0
	s_cbranch_scc1 .LBB104_9
; %bb.8:
	s_ashr_i32 s13, s12, 31
	s_delay_alu instid0(SALU_CYCLE_1) | instskip(NEXT) | instid1(SALU_CYCLE_1)
	s_lshl_b64 s[2:3], s[12:13], 2
	s_add_u32 s2, s28, s2
	s_addc_u32 s3, s29, s3
	s_load_b32 s60, s[2:3], 0x0
.LBB104_9:
	s_sub_i32 s29, s59, s58
	s_delay_alu instid0(SALU_CYCLE_1)
	s_cmp_lt_i32 s29, 1
	s_cbranch_scc1 .LBB104_172
; %bb.10:
	s_sub_i32 s2, 0, s10
	s_load_b256 s[36:43], s[0:1], 0x4c
	s_mul_i32 s2, s2, s34
	s_abs_i32 s3, s12
	s_mul_hi_u32 s2, s34, s2
	s_ashr_i32 s5, s11, 31
	s_add_i32 s34, s34, s2
	s_ashr_i32 s2, s12, 31
	s_mul_hi_u32 s4, s3, s34
	s_xor_b32 s5, s2, s5
	s_mul_i32 s6, s4, s10
	s_load_b256 s[44:51], s[0:1], 0x2c
	s_sub_i32 s2, s3, s6
	s_add_i32 s3, s4, 1
	s_sub_i32 s6, s2, s10
	s_cmp_ge_u32 s2, s10
	s_mov_b32 s35, 0
	s_cselect_b32 s3, s3, s4
	s_cselect_b32 s2, s6, s2
	s_add_i32 s4, s3, 1
	s_cmp_ge_u32 s2, s10
	s_waitcnt lgkmcnt(0)
	s_mul_i32 s34, s58, s38
	s_cselect_b32 s4, s4, s3
	s_lshl_b64 s[2:3], s[34:35], 1
	s_xor_b32 s4, s4, s5
	s_mul_i32 s34, s39, s12
	s_sub_i32 s6, s4, s5
	s_add_u32 s4, s24, s2
	s_addc_u32 s5, s25, s3
	s_lshl_b64 s[2:3], s[34:35], 1
	s_mul_i32 s34, s58, s40
	s_add_u32 s47, s4, s2
	s_addc_u32 s51, s5, s3
	s_lshl_b64 s[2:3], s[34:35], 1
	s_mul_i32 s34, s41, s12
	;; [unrolled: 4-line block ×4, first 2 shown]
	s_add_u32 s62, s16, s2
	s_addc_u32 s63, s17, s3
	s_load_b64 s[2:3], s[0:1], 0x7c
	s_lshl_b64 s[4:5], s[34:35], 1
	s_mul_i32 s34, s6, s49
	s_add_u32 s7, s18, s4
	s_addc_u32 s8, s19, s5
	s_load_b128 s[16:19], s[0:1], 0x6c
	s_lshl_b64 s[4:5], s[34:35], 1
	s_mul_i32 s34, s58, s50
	s_add_u32 s46, s7, s4
	v_dual_mov_b32 v13, 0 :: v_dual_lshlrev_b32 v10, 3, v0
	s_addc_u32 s49, s8, s5
	s_lshl_b64 s[4:5], s[34:35], 1
	s_mul_i32 s34, s6, s37
	s_add_u32 s7, s20, s4
	s_addc_u32 s6, s21, s5
	s_lshl_b64 s[4:5], s[34:35], 1
	v_mbcnt_lo_u32_b32 v1, -1, 0
	v_and_b32_e32 v2, 0x100, v10
	s_add_u32 s50, s7, s4
	s_waitcnt lgkmcnt(0)
	s_mul_i32 s34, s14, s2
	s_addc_u32 s64, s6, s5
	s_lshl_b64 s[4:5], s[34:35], 2
	s_load_b32 s37, s[0:1], 0x84
	s_add_u32 s4, s52, s4
	s_clause 0x1
	s_load_b32 s52, s[0:1], 0xc
	s_load_b32 s0, s[0:1], 0x28
	v_or_b32_e32 v11, v1, v2
	s_mul_i32 s34, s3, s12
	s_addc_u32 s5, s53, s5
	s_lshl_b64 s[2:3], s[34:35], 2
	v_and_b32_e32 v6, 32, v0
	v_or_b32_e32 v12, 0x60, v11
	v_or_b32_e32 v17, 0xa0, v11
	;; [unrolled: 1-line block ×3, first 2 shown]
	s_add_u32 s53, s4, s2
	v_or_b32_e32 v15, 64, v11
	v_lshrrev_b32_e32 v3, 5, v12
	v_or_b32_e32 v16, 0x80, v11
	v_or_b32_e32 v18, 0xc0, v11
	v_lshrrev_b32_e32 v7, 5, v17
	v_lshrrev_b32_e32 v24, 5, v19
	v_and_b32_e32 v3, 10, v3
	s_addc_u32 s65, s5, s3
	s_add_i32 s1, s29, 0x7ff
	v_lshrrev_b32_e32 v4, 5, v2
	s_lshr_b32 s66, s1, 11
	s_waitcnt lgkmcnt(0)
	s_bitcmp1_b32 s0, 0
	v_lshrrev_b32_e32 v5, 5, v15
	v_add_lshl_u32 v3, v3, v11, 1
	v_lshrrev_b32_e32 v8, 5, v16
	v_or_b32_e32 v9, v1, v6
	v_and_b32_e32 v7, 12, v7
	v_lshrrev_b32_e32 v23, 5, v18
	v_and_b32_e32 v26, 14, v24
	s_cselect_b32 s67, -1, 0
	s_cmp_gt_i32 s52, 0
	v_add_lshl_u32 v4, v4, v11, 1
	s_cselect_b32 s68, -1, 0
	s_add_i32 s0, 0, 0x420
	v_add_lshl_u32 v5, v5, v11, 1
	v_add_nc_u32_e32 v22, 0, v3
	v_add_lshl_u32 v8, v8, v11, 1
	v_lshrrev_b32_e32 v25, 2, v9
	v_add_lshl_u32 v7, v7, v11, 1
	v_add_lshl_u32 v33, v23, v11, 1
	;; [unrolled: 1-line block ×3, first 2 shown]
	v_add_nc_u32_e32 v30, s0, v3
	v_and_b32_e32 v3, 15, v1
	s_and_b32 s1, s29, 0x1ff
	v_and_b32_e32 v27, 14, v25
	v_add_nc_u32_e32 v25, 0, v33
	v_add_nc_u32_e32 v26, 0, v34
	;; [unrolled: 1-line block ×7, first 2 shown]
	s_cmp_eq_u32 s1, 0
	v_add_nc_u32_e32 v34, s0, v34
	v_cmp_ne_u32_e64 s0, 0, v3
	v_cmp_lt_u32_e64 s1, 1, v3
	v_cmp_lt_u32_e64 s2, 3, v3
	v_cmp_lt_u32_e64 s3, 7, v3
	v_add_nc_u32_e32 v3, -1, v1
	v_add_nc_u32_e32 v20, 0, v4
	v_lshrrev_b32_e32 v4, 2, v0
	s_mul_i32 s34, s58, s16
	v_or_b32_e32 v6, 31, v6
	v_cmp_gt_i32_e32 vcc_lo, 0, v3
	s_cselect_b32 s69, -1, 0
	s_lshl_b64 s[14:15], s[34:35], 1
	v_and_b32_e32 v4, 8, v4
	s_add_i32 s70, s66, -1
	v_cndmask_b32_e32 v3, v3, v1, vcc_lo
	s_mul_i32 s34, s17, s12
	s_add_u32 s13, s30, s14
	s_addc_u32 s16, s31, s15
	s_lshl_b64 s[14:15], s[34:35], 1
	v_cmp_eq_u32_e64 s5, v6, v0
	v_cmp_gt_u32_e64 s6, 2, v0
	v_cmp_gt_u32_e64 s8, 32, v0
	v_cmp_lt_u32_e64 s9, 31, v0
	v_cmp_eq_u32_e64 s10, 0, v0
	s_mul_i32 s34, s58, s42
	v_lshlrev_b32_e32 v0, 1, v1
	s_add_u32 s13, s13, s14
	v_add_nc_u32_e32 v35, 0, v4
	v_and_b32_e32 v4, 1, v1
	s_addc_u32 s16, s16, s15
	s_lshl_b64 s[14:15], s[34:35], 1
	v_add_nc_u32_e32 v21, 0, v5
	v_and_b32_e32 v5, 16, v1
	s_mul_i32 s34, s43, s12
	s_add_u32 s17, s54, s14
	v_lshlrev_b32_e32 v37, 2, v3
	s_addc_u32 s20, s55, s15
	s_lshl_b64 s[14:15], s[34:35], 1
	v_add_co_u32 v3, s13, s13, v0
	s_mul_i32 s34, s58, s18
	v_cmp_eq_u32_e64 s7, 0, v4
	v_add_co_ci_u32_e64 v4, null, s16, 0, s13
	s_add_u32 s16, s17, s14
	v_cmp_ne_u32_e64 s4, 0, v5
	s_addc_u32 s17, s20, s15
	s_lshl_b64 s[14:15], s[34:35], 1
	v_lshlrev_b32_e32 v5, 1, v2
	s_mul_i32 s34, s19, s12
	s_add_u32 s14, s56, s14
	s_addc_u32 s15, s57, s15
	s_lshl_b64 s[12:13], s[34:35], 1
	v_add_co_u32 v38, vcc_lo, v3, v5
	s_add_u32 s12, s14, s12
	v_add_co_u32 v3, s14, s16, v0
	v_add_co_ci_u32_e32 v39, vcc_lo, 0, v4, vcc_lo
	v_add_co_ci_u32_e64 v4, null, s17, 0, s14
	s_addc_u32 s13, s15, s13
	v_add_co_u32 v0, s12, s12, v0
	v_lshl_add_u32 v9, v9, 3, v27
	v_add_co_ci_u32_e64 v6, null, s13, 0, s12
	v_add_co_u32 v40, vcc_lo, v3, v5
	v_add_co_ci_u32_e32 v41, vcc_lo, 0, v4, vcc_lo
	v_add_co_u32 v42, vcc_lo, v0, v5
	v_or_b32_e32 v14, 32, v11
	v_add_nc_u32_e32 v23, 0, v8
	v_add_nc_u32_e32 v24, 0, v7
	v_lshl_add_u32 v27, v9, 1, 0
	v_add_nc_u32_e32 v36, 0, v10
	v_cmp_eq_u32_e64 s11, 0, v1
	v_add_co_ci_u32_e32 v43, vcc_lo, 0, v6, vcc_lo
	v_or_b32_e32 v44, 1, v10
	v_or_b32_e32 v45, 2, v10
	;; [unrolled: 1-line block ×7, first 2 shown]
	v_lshlrev_b32_e32 v51, 1, v1
	v_lshlrev_b32_e32 v52, 1, v2
	s_mov_b32 s54, 0x3e9b6dac
	s_add_i32 s55, 0, 0x850
	s_mov_b32 s56, 0xbfb8aa3b
	s_mov_b32 s57, 0xb2a5705f
	;; [unrolled: 1-line block ×3, first 2 shown]
	s_branch .LBB104_12
.LBB104_11:                             ;   in Loop: Header=BB104_12 Depth=1
	s_or_b32 exec_lo, exec_lo, s12
	s_add_u32 s59, s59, 0x400
	s_addc_u32 s44, s44, 0
	s_add_u32 s47, s47, 0x400
	s_addc_u32 s51, s51, 0
	s_add_u32 s46, s46, 0x400
	s_addc_u32 s49, s49, 0
	s_add_u32 s50, s50, 0x400
	s_addc_u32 s64, s64, 0
	s_add_i32 s58, s58, 1
	s_delay_alu instid0(SALU_CYCLE_1)
	s_cmp_lg_u32 s58, s66
	s_cbranch_scc0 .LBB104_172
.LBB104_12:                             ; =>This Loop Header: Depth=1
                                        ;     Child Loop BB104_61 Depth 2
	v_add_co_u32 v0, s12, s47, v51
	s_delay_alu instid0(VALU_DEP_1) | instskip(SKIP_1) | instid1(VALU_DEP_2)
	v_add_co_ci_u32_e64 v1, null, s51, 0, s12
	s_lshl_b32 s30, s58, 9
	v_add_co_u32 v0, vcc_lo, v0, v52
	s_sub_i32 s23, s29, s30
	s_delay_alu instid0(VALU_DEP_2)
	v_add_co_ci_u32_e32 v1, vcc_lo, 0, v1, vcc_lo
	v_cmp_gt_u32_e64 s12, s23, v11
	s_waitcnt lgkmcnt(0)
	v_mov_b32_e32 v2, 0
	s_waitcnt_vscnt null, 0x0
	s_barrier
	buffer_gl0_inv
	s_and_saveexec_b32 s13, s12
	s_cbranch_execz .LBB104_14
; %bb.13:                               ;   in Loop: Header=BB104_12 Depth=1
	global_load_u16 v2, v[0:1], off
.LBB104_14:                             ;   in Loop: Header=BB104_12 Depth=1
	s_or_b32 exec_lo, exec_lo, s13
	v_cmp_gt_u32_e64 s13, s23, v14
	v_dual_mov_b32 v3, 0 :: v_dual_mov_b32 v4, 0
	s_delay_alu instid0(VALU_DEP_2)
	s_and_saveexec_b32 s14, s13
	s_cbranch_execz .LBB104_16
; %bb.15:                               ;   in Loop: Header=BB104_12 Depth=1
	global_load_u16 v4, v[0:1], off offset:64
.LBB104_16:                             ;   in Loop: Header=BB104_12 Depth=1
	s_or_b32 exec_lo, exec_lo, s14
	v_cmp_gt_u32_e64 s14, s23, v15
	s_delay_alu instid0(VALU_DEP_1)
	s_and_saveexec_b32 s15, s14
	s_cbranch_execz .LBB104_18
; %bb.17:                               ;   in Loop: Header=BB104_12 Depth=1
	global_load_u16 v3, v[0:1], off offset:128
.LBB104_18:                             ;   in Loop: Header=BB104_12 Depth=1
	s_or_b32 exec_lo, exec_lo, s15
	v_cmp_gt_u32_e64 s15, s23, v12
	v_mov_b32_e32 v5, 0
	v_mov_b32_e32 v7, 0
	s_delay_alu instid0(VALU_DEP_3)
	s_and_saveexec_b32 s16, s15
	s_cbranch_execz .LBB104_20
; %bb.19:                               ;   in Loop: Header=BB104_12 Depth=1
	global_load_u16 v7, v[0:1], off offset:192
.LBB104_20:                             ;   in Loop: Header=BB104_12 Depth=1
	s_or_b32 exec_lo, exec_lo, s16
	v_cmp_gt_u32_e64 s16, s23, v16
	s_delay_alu instid0(VALU_DEP_1)
	s_and_saveexec_b32 s17, s16
	s_cbranch_execz .LBB104_22
; %bb.21:                               ;   in Loop: Header=BB104_12 Depth=1
	global_load_u16 v5, v[0:1], off offset:256
.LBB104_22:                             ;   in Loop: Header=BB104_12 Depth=1
	s_or_b32 exec_lo, exec_lo, s17
	v_cmp_gt_u32_e64 s17, s23, v17
	v_dual_mov_b32 v8, 0 :: v_dual_mov_b32 v9, 0
	s_delay_alu instid0(VALU_DEP_2)
	s_and_saveexec_b32 s18, s17
	s_cbranch_execz .LBB104_24
; %bb.23:                               ;   in Loop: Header=BB104_12 Depth=1
	global_load_u16 v9, v[0:1], off offset:320
.LBB104_24:                             ;   in Loop: Header=BB104_12 Depth=1
	s_or_b32 exec_lo, exec_lo, s18
	v_cmp_gt_u32_e64 s18, s23, v18
	s_delay_alu instid0(VALU_DEP_1)
	s_and_saveexec_b32 s19, s18
	s_cbranch_execz .LBB104_26
; %bb.25:                               ;   in Loop: Header=BB104_12 Depth=1
	global_load_u16 v8, v[0:1], off offset:384
.LBB104_26:                             ;   in Loop: Header=BB104_12 Depth=1
	s_or_b32 exec_lo, exec_lo, s19
	v_cmp_gt_u32_e64 s19, s23, v19
	v_dual_mov_b32 v6, 0 :: v_dual_mov_b32 v53, 0
	s_delay_alu instid0(VALU_DEP_2)
	s_and_saveexec_b32 s20, s19
	s_cbranch_execz .LBB104_28
; %bb.27:                               ;   in Loop: Header=BB104_12 Depth=1
	global_load_u16 v53, v[0:1], off offset:448
.LBB104_28:                             ;   in Loop: Header=BB104_12 Depth=1
	s_or_b32 exec_lo, exec_lo, s20
	s_waitcnt vmcnt(0)
	ds_store_b16 v20, v2
	ds_store_b16 v20, v4 offset:64
	ds_store_b16 v21, v3 offset:128
	;; [unrolled: 1-line block ×7, first 2 shown]
	; wave barrier
	ds_load_b128 v[0:3], v27
	v_add_co_u32 v4, s20, s59, v51
	s_delay_alu instid0(VALU_DEP_1) | instskip(SKIP_1) | instid1(VALU_DEP_2)
	v_add_co_ci_u32_e64 v5, null, s44, 0, s20
	s_waitcnt lgkmcnt(0)
	v_add_co_u32 v4, vcc_lo, v4, v52
	s_delay_alu instid0(VALU_DEP_2)
	v_add_co_ci_u32_e32 v5, vcc_lo, 0, v5, vcc_lo
	s_barrier
	buffer_gl0_inv
	s_and_saveexec_b32 s20, s12
	s_cbranch_execz .LBB104_30
; %bb.29:                               ;   in Loop: Header=BB104_12 Depth=1
	global_load_u16 v6, v[4:5], off
.LBB104_30:                             ;   in Loop: Header=BB104_12 Depth=1
	s_or_b32 exec_lo, exec_lo, s20
	v_dual_mov_b32 v7, 0 :: v_dual_mov_b32 v8, 0
	s_and_saveexec_b32 s20, s13
	s_cbranch_execz .LBB104_32
; %bb.31:                               ;   in Loop: Header=BB104_12 Depth=1
	global_load_u16 v8, v[4:5], off offset:64
.LBB104_32:                             ;   in Loop: Header=BB104_12 Depth=1
	s_or_b32 exec_lo, exec_lo, s20
	s_and_saveexec_b32 s20, s14
	s_cbranch_execz .LBB104_34
; %bb.33:                               ;   in Loop: Header=BB104_12 Depth=1
	global_load_u16 v7, v[4:5], off offset:128
.LBB104_34:                             ;   in Loop: Header=BB104_12 Depth=1
	s_or_b32 exec_lo, exec_lo, s20
	v_mov_b32_e32 v9, 0
	v_mov_b32_e32 v53, 0
	s_and_saveexec_b32 s20, s15
	s_cbranch_execz .LBB104_36
; %bb.35:                               ;   in Loop: Header=BB104_12 Depth=1
	global_load_u16 v53, v[4:5], off offset:192
.LBB104_36:                             ;   in Loop: Header=BB104_12 Depth=1
	s_or_b32 exec_lo, exec_lo, s20
	s_and_saveexec_b32 s20, s16
	s_cbranch_execz .LBB104_38
; %bb.37:                               ;   in Loop: Header=BB104_12 Depth=1
	global_load_u16 v9, v[4:5], off offset:256
.LBB104_38:                             ;   in Loop: Header=BB104_12 Depth=1
	s_or_b32 exec_lo, exec_lo, s20
	v_dual_mov_b32 v54, 0 :: v_dual_mov_b32 v55, 0
	s_and_saveexec_b32 s20, s17
	s_cbranch_execnz .LBB104_155
; %bb.39:                               ;   in Loop: Header=BB104_12 Depth=1
	s_or_b32 exec_lo, exec_lo, s20
	s_and_saveexec_b32 s20, s18
	s_cbranch_execnz .LBB104_156
.LBB104_40:                             ;   in Loop: Header=BB104_12 Depth=1
	s_or_b32 exec_lo, exec_lo, s20
	v_mov_b32_e32 v56, 0
	s_and_saveexec_b32 s20, s19
	s_cbranch_execz .LBB104_42
.LBB104_41:                             ;   in Loop: Header=BB104_12 Depth=1
	global_load_u16 v56, v[4:5], off offset:448
.LBB104_42:                             ;   in Loop: Header=BB104_12 Depth=1
	s_or_b32 exec_lo, exec_lo, s20
	s_waitcnt vmcnt(0)
	ds_store_b16 v20, v6
	ds_store_b16 v20, v8 offset:64
	ds_store_b16 v21, v7 offset:128
	ds_store_b16 v22, v53 offset:192
	ds_store_b16 v23, v9 offset:256
	ds_store_b16 v24, v55 offset:320
	ds_store_b16 v25, v54 offset:384
	ds_store_b16 v26, v56 offset:448
	; wave barrier
	ds_load_b128 v[4:7], v27
	s_waitcnt lgkmcnt(0)
	v_cvt_f32_f16_e32 v8, v4
	s_delay_alu instid0(VALU_DEP_1) | instskip(NEXT) | instid1(VALU_DEP_1)
	v_add_f32_e32 v53, s60, v8
	v_cmp_ge_f32_e32 vcc_lo, 0x41a00000, v53
	s_and_b32 s20, s67, vcc_lo
	s_delay_alu instid0(SALU_CYCLE_1)
	s_and_saveexec_b32 s21, s20
	s_cbranch_execz .LBB104_44
; %bb.43:                               ;   in Loop: Header=BB104_12 Depth=1
	v_mul_f32_e32 v8, 0x3fb8aa3b, v53
	v_cmp_ngt_f32_e32 vcc_lo, 0xc2ce8ed0, v53
	s_delay_alu instid0(VALU_DEP_2) | instskip(SKIP_1) | instid1(VALU_DEP_2)
	v_rndne_f32_e32 v9, v8
	v_fma_f32 v54, 0x3fb8aa3b, v53, -v8
	v_sub_f32_e32 v8, v8, v9
	s_delay_alu instid0(VALU_DEP_2) | instskip(SKIP_1) | instid1(VALU_DEP_2)
	v_fmac_f32_e32 v54, 0x32a5705f, v53
	v_cvt_i32_f32_e32 v9, v9
	v_add_f32_e32 v8, v8, v54
	s_delay_alu instid0(VALU_DEP_1) | instskip(SKIP_2) | instid1(VALU_DEP_1)
	v_exp_f32_e32 v8, v8
	s_waitcnt_depctr 0xfff
	v_ldexp_f32 v8, v8, v9
	v_cndmask_b32_e32 v8, 0, v8, vcc_lo
	v_cmp_nlt_f32_e32 vcc_lo, 0x42b17218, v53
	s_delay_alu instid0(VALU_DEP_2) | instskip(NEXT) | instid1(VALU_DEP_1)
	v_cndmask_b32_e32 v53, 0x7f800000, v8, vcc_lo
	v_add_f32_e32 v54, 1.0, v53
	s_delay_alu instid0(VALU_DEP_1) | instskip(NEXT) | instid1(VALU_DEP_1)
	v_cvt_f64_f32_e32 v[8:9], v54
	v_frexp_exp_i32_f64_e32 v8, v[8:9]
	v_frexp_mant_f32_e32 v9, v54
	s_delay_alu instid0(VALU_DEP_1) | instskip(SKIP_1) | instid1(VALU_DEP_1)
	v_cmp_gt_f32_e32 vcc_lo, 0x3f2aaaab, v9
	v_add_f32_e32 v9, -1.0, v54
	v_sub_f32_e32 v56, v9, v54
	v_sub_f32_e32 v9, v53, v9
	v_cmp_gt_f32_e64 s20, 0x33800000, v53
	s_delay_alu instid0(VALU_DEP_3) | instskip(NEXT) | instid1(VALU_DEP_1)
	v_add_f32_e32 v56, 1.0, v56
	v_add_f32_e32 v9, v9, v56
	v_subrev_co_ci_u32_e32 v8, vcc_lo, 0, v8, vcc_lo
	v_cmp_eq_f32_e32 vcc_lo, 0x7f800000, v53
	s_delay_alu instid0(VALU_DEP_2) | instskip(SKIP_2) | instid1(VALU_DEP_2)
	v_sub_nc_u32_e32 v55, 0, v8
	v_cvt_f32_i32_e32 v8, v8
	s_or_b32 vcc_lo, s20, vcc_lo
	v_ldexp_f32 v54, v54, v55
	v_ldexp_f32 v9, v9, v55
	s_delay_alu instid0(VALU_DEP_2) | instskip(NEXT) | instid1(VALU_DEP_1)
	v_add_f32_e32 v57, 1.0, v54
	v_dual_add_f32 v55, -1.0, v54 :: v_dual_add_f32 v56, -1.0, v57
	s_delay_alu instid0(VALU_DEP_1) | instskip(NEXT) | instid1(VALU_DEP_2)
	v_add_f32_e32 v58, 1.0, v55
	v_sub_f32_e32 v56, v54, v56
	s_delay_alu instid0(VALU_DEP_2) | instskip(NEXT) | instid1(VALU_DEP_2)
	v_sub_f32_e32 v54, v54, v58
	v_add_f32_e32 v56, v9, v56
	s_delay_alu instid0(VALU_DEP_2) | instskip(NEXT) | instid1(VALU_DEP_1)
	v_add_f32_e32 v9, v9, v54
	v_dual_add_f32 v59, v55, v9 :: v_dual_add_f32 v58, v57, v56
	s_delay_alu instid0(VALU_DEP_1) | instskip(NEXT) | instid1(VALU_DEP_2)
	v_sub_f32_e32 v55, v55, v59
	v_rcp_f32_e32 v54, v58
	v_sub_f32_e32 v57, v57, v58
	s_delay_alu instid0(VALU_DEP_1) | instskip(SKIP_2) | instid1(VALU_DEP_1)
	v_dual_add_f32 v9, v9, v55 :: v_dual_add_f32 v56, v56, v57
	s_waitcnt_depctr 0xfff
	v_mul_f32_e32 v60, v59, v54
	v_mul_f32_e32 v61, v58, v60
	s_delay_alu instid0(VALU_DEP_1) | instskip(NEXT) | instid1(VALU_DEP_1)
	v_fma_f32 v57, v60, v58, -v61
	v_fmac_f32_e32 v57, v60, v56
	s_delay_alu instid0(VALU_DEP_1) | instskip(NEXT) | instid1(VALU_DEP_1)
	v_add_f32_e32 v62, v61, v57
	v_sub_f32_e32 v63, v59, v62
	s_delay_alu instid0(VALU_DEP_1) | instskip(NEXT) | instid1(VALU_DEP_1)
	v_sub_f32_e32 v59, v59, v63
	v_sub_f32_e32 v59, v59, v62
	;; [unrolled: 1-line block ×3, first 2 shown]
	s_delay_alu instid0(VALU_DEP_2) | instskip(NEXT) | instid1(VALU_DEP_2)
	v_add_f32_e32 v9, v9, v59
	v_sub_f32_e32 v55, v55, v57
	s_delay_alu instid0(VALU_DEP_1) | instskip(NEXT) | instid1(VALU_DEP_1)
	v_add_f32_e32 v9, v55, v9
	v_add_f32_e32 v55, v63, v9
	s_delay_alu instid0(VALU_DEP_1) | instskip(NEXT) | instid1(VALU_DEP_1)
	v_mul_f32_e32 v57, v54, v55
	v_dual_sub_f32 v62, v63, v55 :: v_dual_mul_f32 v59, v58, v57
	s_delay_alu instid0(VALU_DEP_1) | instskip(NEXT) | instid1(VALU_DEP_2)
	v_add_f32_e32 v9, v9, v62
	v_fma_f32 v58, v57, v58, -v59
	s_delay_alu instid0(VALU_DEP_1) | instskip(NEXT) | instid1(VALU_DEP_1)
	v_fmac_f32_e32 v58, v57, v56
	v_add_f32_e32 v56, v59, v58
	s_delay_alu instid0(VALU_DEP_1) | instskip(NEXT) | instid1(VALU_DEP_1)
	v_sub_f32_e32 v61, v55, v56
	v_sub_f32_e32 v55, v55, v61
	s_delay_alu instid0(VALU_DEP_1) | instskip(NEXT) | instid1(VALU_DEP_1)
	v_sub_f32_e32 v55, v55, v56
	v_add_f32_e32 v9, v9, v55
	v_add_f32_e32 v55, v60, v57
	v_sub_f32_e32 v59, v56, v59
	s_delay_alu instid0(VALU_DEP_1) | instskip(NEXT) | instid1(VALU_DEP_1)
	v_sub_f32_e32 v56, v59, v58
	v_dual_add_f32 v9, v56, v9 :: v_dual_sub_f32 v56, v55, v60
	s_delay_alu instid0(VALU_DEP_1) | instskip(NEXT) | instid1(VALU_DEP_1)
	v_add_f32_e32 v9, v61, v9
	v_dual_sub_f32 v56, v57, v56 :: v_dual_mul_f32 v9, v54, v9
	s_delay_alu instid0(VALU_DEP_1) | instskip(NEXT) | instid1(VALU_DEP_1)
	v_add_f32_e32 v9, v56, v9
	v_add_f32_e32 v54, v55, v9
	s_delay_alu instid0(VALU_DEP_1) | instskip(NEXT) | instid1(VALU_DEP_1)
	v_mul_f32_e32 v56, v54, v54
	v_fmaak_f32 v57, s54, v56, 0x3ecc95a3
	v_mul_f32_e32 v58, v54, v56
	s_delay_alu instid0(VALU_DEP_2) | instskip(SKIP_2) | instid1(VALU_DEP_3)
	v_fmaak_f32 v56, v56, v57, 0x3f2aaada
	v_ldexp_f32 v57, v54, 1
	v_sub_f32_e32 v54, v54, v55
	v_mul_f32_e32 v56, v58, v56
	v_mul_f32_e32 v58, 0x3f317218, v8
	s_delay_alu instid0(VALU_DEP_2) | instskip(NEXT) | instid1(VALU_DEP_1)
	v_add_f32_e32 v55, v57, v56
	v_dual_sub_f32 v9, v9, v54 :: v_dual_sub_f32 v54, v55, v57
	s_delay_alu instid0(VALU_DEP_3) | instskip(NEXT) | instid1(VALU_DEP_2)
	v_fma_f32 v57, 0x3f317218, v8, -v58
	v_ldexp_f32 v9, v9, 1
	s_delay_alu instid0(VALU_DEP_2) | instskip(NEXT) | instid1(VALU_DEP_1)
	v_dual_sub_f32 v54, v56, v54 :: v_dual_fmac_f32 v57, 0xb102e308, v8
	v_dual_add_f32 v8, v9, v54 :: v_dual_add_f32 v9, v58, v57
	s_delay_alu instid0(VALU_DEP_1) | instskip(NEXT) | instid1(VALU_DEP_1)
	v_add_f32_e32 v54, v55, v8
	v_add_f32_e32 v56, v9, v54
	s_delay_alu instid0(VALU_DEP_1) | instskip(NEXT) | instid1(VALU_DEP_1)
	v_sub_f32_e32 v59, v56, v9
	v_sub_f32_e32 v60, v56, v59
	;; [unrolled: 1-line block ×4, first 2 shown]
	s_delay_alu instid0(VALU_DEP_2) | instskip(SKIP_1) | instid1(VALU_DEP_1)
	v_sub_f32_e32 v8, v8, v55
	v_sub_f32_e32 v58, v9, v58
	;; [unrolled: 1-line block ×3, first 2 shown]
	s_delay_alu instid0(VALU_DEP_1) | instskip(SKIP_1) | instid1(VALU_DEP_1)
	v_add_f32_e32 v55, v57, v8
	v_sub_f32_e32 v9, v9, v60
	v_add_f32_e32 v9, v54, v9
	s_delay_alu instid0(VALU_DEP_3) | instskip(NEXT) | instid1(VALU_DEP_1)
	v_sub_f32_e32 v54, v55, v57
	v_dual_sub_f32 v8, v8, v54 :: v_dual_add_f32 v9, v55, v9
	s_delay_alu instid0(VALU_DEP_1) | instskip(NEXT) | instid1(VALU_DEP_1)
	v_dual_sub_f32 v55, v55, v54 :: v_dual_add_f32 v58, v56, v9
	v_dual_sub_f32 v55, v57, v55 :: v_dual_sub_f32 v54, v58, v56
	s_delay_alu instid0(VALU_DEP_1) | instskip(NEXT) | instid1(VALU_DEP_1)
	v_dual_add_f32 v8, v8, v55 :: v_dual_sub_f32 v9, v9, v54
	v_add_f32_e32 v8, v8, v9
	s_delay_alu instid0(VALU_DEP_1) | instskip(NEXT) | instid1(VALU_DEP_1)
	v_add_f32_e32 v8, v58, v8
	v_cndmask_b32_e32 v53, v8, v53, vcc_lo
.LBB104_44:                             ;   in Loop: Header=BB104_12 Depth=1
	s_or_b32 exec_lo, exec_lo, s21
	v_lshrrev_b32_e32 v4, 16, v4
	s_delay_alu instid0(VALU_DEP_1) | instskip(NEXT) | instid1(VALU_DEP_1)
	v_cvt_f32_f16_e32 v4, v4
	v_add_f32_e32 v54, s60, v4
	s_delay_alu instid0(VALU_DEP_1) | instskip(SKIP_1) | instid1(SALU_CYCLE_1)
	v_cmp_ge_f32_e32 vcc_lo, 0x41a00000, v54
	s_and_b32 s20, s67, vcc_lo
	s_and_saveexec_b32 s21, s20
	s_cbranch_execz .LBB104_46
; %bb.45:                               ;   in Loop: Header=BB104_12 Depth=1
	v_mul_f32_e32 v4, 0x3fb8aa3b, v54
	v_cmp_ngt_f32_e32 vcc_lo, 0xc2ce8ed0, v54
	s_delay_alu instid0(VALU_DEP_2) | instskip(SKIP_1) | instid1(VALU_DEP_1)
	v_rndne_f32_e32 v8, v4
	v_fma_f32 v9, 0x3fb8aa3b, v54, -v4
	v_dual_sub_f32 v4, v4, v8 :: v_dual_fmac_f32 v9, 0x32a5705f, v54
	v_cvt_i32_f32_e32 v8, v8
	s_delay_alu instid0(VALU_DEP_2) | instskip(NEXT) | instid1(VALU_DEP_1)
	v_add_f32_e32 v4, v4, v9
	v_exp_f32_e32 v4, v4
	s_waitcnt_depctr 0xfff
	v_ldexp_f32 v4, v4, v8
	s_delay_alu instid0(VALU_DEP_1) | instskip(SKIP_1) | instid1(VALU_DEP_2)
	v_cndmask_b32_e32 v4, 0, v4, vcc_lo
	v_cmp_nlt_f32_e32 vcc_lo, 0x42b17218, v54
	v_cndmask_b32_e32 v4, 0x7f800000, v4, vcc_lo
	s_delay_alu instid0(VALU_DEP_1) | instskip(NEXT) | instid1(VALU_DEP_1)
	v_add_f32_e32 v54, 1.0, v4
	v_cvt_f64_f32_e32 v[8:9], v54
	s_delay_alu instid0(VALU_DEP_1) | instskip(SKIP_1) | instid1(VALU_DEP_1)
	v_frexp_exp_i32_f64_e32 v8, v[8:9]
	v_frexp_mant_f32_e32 v9, v54
	v_cmp_gt_f32_e32 vcc_lo, 0x3f2aaaab, v9
	v_add_f32_e32 v9, -1.0, v54
	s_delay_alu instid0(VALU_DEP_1) | instskip(NEXT) | instid1(VALU_DEP_1)
	v_dual_sub_f32 v56, v9, v54 :: v_dual_sub_f32 v9, v4, v9
	v_add_f32_e32 v56, 1.0, v56
	s_delay_alu instid0(VALU_DEP_1) | instskip(SKIP_1) | instid1(VALU_DEP_1)
	v_add_f32_e32 v9, v9, v56
	v_subrev_co_ci_u32_e32 v8, vcc_lo, 0, v8, vcc_lo
	v_sub_nc_u32_e32 v55, 0, v8
	v_cvt_f32_i32_e32 v8, v8
	s_delay_alu instid0(VALU_DEP_2) | instskip(SKIP_1) | instid1(VALU_DEP_2)
	v_ldexp_f32 v54, v54, v55
	v_ldexp_f32 v9, v9, v55
	v_add_f32_e32 v57, 1.0, v54
	v_add_f32_e32 v55, -1.0, v54
	v_cmp_eq_f32_e32 vcc_lo, 0x7f800000, v4
	v_cmp_gt_f32_e64 s20, 0x33800000, v4
	s_delay_alu instid0(VALU_DEP_4) | instskip(NEXT) | instid1(VALU_DEP_4)
	v_add_f32_e32 v56, -1.0, v57
	v_add_f32_e32 v58, 1.0, v55
	s_delay_alu instid0(VALU_DEP_3) | instskip(NEXT) | instid1(VALU_DEP_2)
	s_or_b32 vcc_lo, s20, vcc_lo
	v_sub_f32_e32 v56, v54, v56
	s_delay_alu instid0(VALU_DEP_2) | instskip(NEXT) | instid1(VALU_DEP_2)
	v_sub_f32_e32 v54, v54, v58
	v_add_f32_e32 v56, v9, v56
	s_delay_alu instid0(VALU_DEP_2) | instskip(NEXT) | instid1(VALU_DEP_1)
	v_add_f32_e32 v9, v9, v54
	v_add_f32_e32 v59, v55, v9
	s_delay_alu instid0(VALU_DEP_1) | instskip(NEXT) | instid1(VALU_DEP_1)
	v_dual_sub_f32 v55, v55, v59 :: v_dual_add_f32 v58, v57, v56
	v_add_f32_e32 v9, v9, v55
	s_delay_alu instid0(VALU_DEP_2) | instskip(SKIP_1) | instid1(VALU_DEP_1)
	v_rcp_f32_e32 v54, v58
	v_sub_f32_e32 v57, v57, v58
	v_add_f32_e32 v56, v56, v57
	s_waitcnt_depctr 0xfff
	v_mul_f32_e32 v60, v59, v54
	s_delay_alu instid0(VALU_DEP_1) | instskip(NEXT) | instid1(VALU_DEP_1)
	v_mul_f32_e32 v61, v58, v60
	v_fma_f32 v57, v60, v58, -v61
	s_delay_alu instid0(VALU_DEP_1) | instskip(NEXT) | instid1(VALU_DEP_1)
	v_fmac_f32_e32 v57, v60, v56
	v_add_f32_e32 v62, v61, v57
	s_delay_alu instid0(VALU_DEP_1) | instskip(SKIP_1) | instid1(VALU_DEP_2)
	v_sub_f32_e32 v63, v59, v62
	v_sub_f32_e32 v55, v62, v61
	;; [unrolled: 1-line block ×3, first 2 shown]
	s_delay_alu instid0(VALU_DEP_2) | instskip(NEXT) | instid1(VALU_DEP_2)
	v_sub_f32_e32 v55, v55, v57
	v_sub_f32_e32 v59, v59, v62
	s_delay_alu instid0(VALU_DEP_1) | instskip(NEXT) | instid1(VALU_DEP_1)
	v_add_f32_e32 v9, v9, v59
	v_add_f32_e32 v9, v55, v9
	s_delay_alu instid0(VALU_DEP_1) | instskip(NEXT) | instid1(VALU_DEP_1)
	v_add_f32_e32 v55, v63, v9
	v_mul_f32_e32 v57, v54, v55
	s_delay_alu instid0(VALU_DEP_1) | instskip(NEXT) | instid1(VALU_DEP_1)
	v_dual_sub_f32 v62, v63, v55 :: v_dual_mul_f32 v59, v58, v57
	v_add_f32_e32 v9, v9, v62
	s_delay_alu instid0(VALU_DEP_2) | instskip(NEXT) | instid1(VALU_DEP_1)
	v_fma_f32 v58, v57, v58, -v59
	v_fmac_f32_e32 v58, v57, v56
	s_delay_alu instid0(VALU_DEP_1) | instskip(NEXT) | instid1(VALU_DEP_1)
	v_add_f32_e32 v56, v59, v58
	v_sub_f32_e32 v61, v55, v56
	s_delay_alu instid0(VALU_DEP_1) | instskip(NEXT) | instid1(VALU_DEP_1)
	v_sub_f32_e32 v55, v55, v61
	v_sub_f32_e32 v55, v55, v56
	s_delay_alu instid0(VALU_DEP_1) | instskip(SKIP_2) | instid1(VALU_DEP_1)
	v_add_f32_e32 v9, v9, v55
	v_add_f32_e32 v55, v60, v57
	v_sub_f32_e32 v59, v56, v59
	v_sub_f32_e32 v56, v59, v58
	s_delay_alu instid0(VALU_DEP_1) | instskip(NEXT) | instid1(VALU_DEP_1)
	v_dual_add_f32 v9, v56, v9 :: v_dual_sub_f32 v56, v55, v60
	v_add_f32_e32 v9, v61, v9
	s_delay_alu instid0(VALU_DEP_1) | instskip(NEXT) | instid1(VALU_DEP_1)
	v_dual_sub_f32 v56, v57, v56 :: v_dual_mul_f32 v9, v54, v9
	v_add_f32_e32 v9, v56, v9
	s_delay_alu instid0(VALU_DEP_1) | instskip(NEXT) | instid1(VALU_DEP_1)
	v_add_f32_e32 v54, v55, v9
	v_mul_f32_e32 v56, v54, v54
	s_delay_alu instid0(VALU_DEP_1) | instskip(SKIP_1) | instid1(VALU_DEP_2)
	v_fmaak_f32 v57, s54, v56, 0x3ecc95a3
	v_mul_f32_e32 v58, v54, v56
	v_fmaak_f32 v56, v56, v57, 0x3f2aaada
	v_ldexp_f32 v57, v54, 1
	v_sub_f32_e32 v54, v54, v55
	s_delay_alu instid0(VALU_DEP_3) | instskip(SKIP_1) | instid1(VALU_DEP_2)
	v_mul_f32_e32 v56, v58, v56
	v_mul_f32_e32 v58, 0x3f317218, v8
	v_add_f32_e32 v55, v57, v56
	s_delay_alu instid0(VALU_DEP_1) | instskip(NEXT) | instid1(VALU_DEP_3)
	v_dual_sub_f32 v9, v9, v54 :: v_dual_sub_f32 v54, v55, v57
	v_fma_f32 v57, 0x3f317218, v8, -v58
	s_delay_alu instid0(VALU_DEP_2) | instskip(NEXT) | instid1(VALU_DEP_2)
	v_ldexp_f32 v9, v9, 1
	v_dual_sub_f32 v54, v56, v54 :: v_dual_fmac_f32 v57, 0xb102e308, v8
	s_delay_alu instid0(VALU_DEP_1) | instskip(NEXT) | instid1(VALU_DEP_1)
	v_dual_add_f32 v8, v9, v54 :: v_dual_add_f32 v9, v58, v57
	v_add_f32_e32 v54, v55, v8
	s_delay_alu instid0(VALU_DEP_1) | instskip(NEXT) | instid1(VALU_DEP_1)
	v_add_f32_e32 v56, v9, v54
	v_sub_f32_e32 v59, v56, v9
	s_delay_alu instid0(VALU_DEP_1) | instskip(SKIP_2) | instid1(VALU_DEP_2)
	v_sub_f32_e32 v60, v56, v59
	v_sub_f32_e32 v55, v54, v55
	;; [unrolled: 1-line block ×5, first 2 shown]
	s_delay_alu instid0(VALU_DEP_1) | instskip(NEXT) | instid1(VALU_DEP_1)
	v_sub_f32_e32 v57, v57, v58
	v_add_f32_e32 v55, v57, v8
	v_sub_f32_e32 v9, v9, v60
	s_delay_alu instid0(VALU_DEP_1) | instskip(NEXT) | instid1(VALU_DEP_3)
	v_add_f32_e32 v9, v54, v9
	v_sub_f32_e32 v54, v55, v57
	s_delay_alu instid0(VALU_DEP_1) | instskip(NEXT) | instid1(VALU_DEP_1)
	v_dual_sub_f32 v8, v8, v54 :: v_dual_add_f32 v9, v55, v9
	v_dual_sub_f32 v55, v55, v54 :: v_dual_add_f32 v58, v56, v9
	s_delay_alu instid0(VALU_DEP_1) | instskip(NEXT) | instid1(VALU_DEP_1)
	v_dual_sub_f32 v55, v57, v55 :: v_dual_sub_f32 v54, v58, v56
	v_dual_add_f32 v8, v8, v55 :: v_dual_sub_f32 v9, v9, v54
	s_delay_alu instid0(VALU_DEP_1) | instskip(NEXT) | instid1(VALU_DEP_1)
	v_add_f32_e32 v8, v8, v9
	v_add_f32_e32 v8, v58, v8
	s_delay_alu instid0(VALU_DEP_1)
	v_cndmask_b32_e32 v54, v8, v4, vcc_lo
.LBB104_46:                             ;   in Loop: Header=BB104_12 Depth=1
	s_or_b32 exec_lo, exec_lo, s21
	v_cvt_f32_f16_e32 v4, v5
	s_delay_alu instid0(VALU_DEP_1) | instskip(NEXT) | instid1(VALU_DEP_1)
	v_add_f32_e32 v55, s60, v4
	v_cmp_ge_f32_e32 vcc_lo, 0x41a00000, v55
	s_and_b32 s20, s67, vcc_lo
	s_delay_alu instid0(SALU_CYCLE_1)
	s_and_saveexec_b32 s21, s20
	s_cbranch_execz .LBB104_48
; %bb.47:                               ;   in Loop: Header=BB104_12 Depth=1
	v_mul_f32_e32 v4, 0x3fb8aa3b, v55
	v_cmp_ngt_f32_e32 vcc_lo, 0xc2ce8ed0, v55
	s_delay_alu instid0(VALU_DEP_2) | instskip(SKIP_1) | instid1(VALU_DEP_1)
	v_rndne_f32_e32 v8, v4
	v_fma_f32 v9, 0x3fb8aa3b, v55, -v4
	v_dual_sub_f32 v4, v4, v8 :: v_dual_fmac_f32 v9, 0x32a5705f, v55
	v_cvt_i32_f32_e32 v8, v8
	s_delay_alu instid0(VALU_DEP_2) | instskip(NEXT) | instid1(VALU_DEP_1)
	v_add_f32_e32 v4, v4, v9
	v_exp_f32_e32 v4, v4
	s_waitcnt_depctr 0xfff
	v_ldexp_f32 v4, v4, v8
	s_delay_alu instid0(VALU_DEP_1) | instskip(SKIP_1) | instid1(VALU_DEP_2)
	v_cndmask_b32_e32 v4, 0, v4, vcc_lo
	v_cmp_nlt_f32_e32 vcc_lo, 0x42b17218, v55
	v_cndmask_b32_e32 v4, 0x7f800000, v4, vcc_lo
	s_delay_alu instid0(VALU_DEP_1) | instskip(NEXT) | instid1(VALU_DEP_1)
	v_add_f32_e32 v55, 1.0, v4
	v_cvt_f64_f32_e32 v[8:9], v55
	s_delay_alu instid0(VALU_DEP_1) | instskip(SKIP_1) | instid1(VALU_DEP_1)
	v_frexp_exp_i32_f64_e32 v8, v[8:9]
	v_frexp_mant_f32_e32 v9, v55
	v_cmp_gt_f32_e32 vcc_lo, 0x3f2aaaab, v9
	v_add_f32_e32 v9, -1.0, v55
	s_delay_alu instid0(VALU_DEP_1) | instskip(NEXT) | instid1(VALU_DEP_1)
	v_sub_f32_e32 v57, v9, v55
	v_add_f32_e32 v57, 1.0, v57
	v_subrev_co_ci_u32_e32 v8, vcc_lo, 0, v8, vcc_lo
	s_delay_alu instid0(VALU_DEP_1) | instskip(SKIP_1) | instid1(VALU_DEP_2)
	v_sub_nc_u32_e32 v56, 0, v8
	v_cvt_f32_i32_e32 v8, v8
	v_ldexp_f32 v55, v55, v56
	s_delay_alu instid0(VALU_DEP_1) | instskip(NEXT) | instid1(VALU_DEP_1)
	v_dual_sub_f32 v9, v4, v9 :: v_dual_add_f32 v58, 1.0, v55
	v_add_f32_e32 v9, v9, v57
	v_cmp_eq_f32_e32 vcc_lo, 0x7f800000, v4
	v_cmp_gt_f32_e64 s20, 0x33800000, v4
	s_delay_alu instid0(VALU_DEP_4) | instskip(NEXT) | instid1(VALU_DEP_4)
	v_add_f32_e32 v57, -1.0, v58
	v_ldexp_f32 v9, v9, v56
	v_add_f32_e32 v56, -1.0, v55
	s_delay_alu instid0(VALU_DEP_4) | instskip(NEXT) | instid1(VALU_DEP_3)
	s_or_b32 vcc_lo, s20, vcc_lo
	v_sub_f32_e32 v57, v55, v57
	s_delay_alu instid0(VALU_DEP_2) | instskip(NEXT) | instid1(VALU_DEP_2)
	v_add_f32_e32 v59, 1.0, v56
	v_add_f32_e32 v57, v9, v57
	s_delay_alu instid0(VALU_DEP_2) | instskip(NEXT) | instid1(VALU_DEP_1)
	v_sub_f32_e32 v55, v55, v59
	v_add_f32_e32 v9, v9, v55
	s_delay_alu instid0(VALU_DEP_1) | instskip(NEXT) | instid1(VALU_DEP_1)
	v_add_f32_e32 v60, v56, v9
	v_dual_add_f32 v59, v58, v57 :: v_dual_sub_f32 v56, v56, v60
	s_delay_alu instid0(VALU_DEP_1) | instskip(SKIP_1) | instid1(VALU_DEP_1)
	v_rcp_f32_e32 v55, v59
	v_sub_f32_e32 v58, v58, v59
	v_add_f32_e32 v57, v57, v58
	s_waitcnt_depctr 0xfff
	v_mul_f32_e32 v61, v60, v55
	s_delay_alu instid0(VALU_DEP_1) | instskip(NEXT) | instid1(VALU_DEP_1)
	v_mul_f32_e32 v62, v59, v61
	v_fma_f32 v58, v61, v59, -v62
	s_delay_alu instid0(VALU_DEP_1) | instskip(SKIP_1) | instid1(VALU_DEP_2)
	v_fmac_f32_e32 v58, v61, v57
	v_add_f32_e32 v9, v9, v56
	v_add_f32_e32 v63, v62, v58
	s_delay_alu instid0(VALU_DEP_1) | instskip(SKIP_1) | instid1(VALU_DEP_2)
	v_sub_f32_e32 v64, v60, v63
	v_sub_f32_e32 v56, v63, v62
	;; [unrolled: 1-line block ×3, first 2 shown]
	s_delay_alu instid0(VALU_DEP_2) | instskip(NEXT) | instid1(VALU_DEP_2)
	v_sub_f32_e32 v56, v56, v58
	v_sub_f32_e32 v60, v60, v63
	s_delay_alu instid0(VALU_DEP_1) | instskip(NEXT) | instid1(VALU_DEP_1)
	v_add_f32_e32 v9, v9, v60
	v_add_f32_e32 v9, v56, v9
	s_delay_alu instid0(VALU_DEP_1) | instskip(NEXT) | instid1(VALU_DEP_1)
	v_add_f32_e32 v56, v64, v9
	v_mul_f32_e32 v58, v55, v56
	s_delay_alu instid0(VALU_DEP_1) | instskip(NEXT) | instid1(VALU_DEP_1)
	v_dual_sub_f32 v63, v64, v56 :: v_dual_mul_f32 v60, v59, v58
	v_add_f32_e32 v9, v9, v63
	s_delay_alu instid0(VALU_DEP_2) | instskip(NEXT) | instid1(VALU_DEP_1)
	v_fma_f32 v59, v58, v59, -v60
	v_fmac_f32_e32 v59, v58, v57
	s_delay_alu instid0(VALU_DEP_1) | instskip(NEXT) | instid1(VALU_DEP_1)
	v_add_f32_e32 v57, v60, v59
	v_sub_f32_e32 v62, v56, v57
	s_delay_alu instid0(VALU_DEP_1) | instskip(NEXT) | instid1(VALU_DEP_1)
	v_sub_f32_e32 v56, v56, v62
	v_sub_f32_e32 v56, v56, v57
	s_delay_alu instid0(VALU_DEP_1) | instskip(SKIP_2) | instid1(VALU_DEP_1)
	v_add_f32_e32 v9, v9, v56
	v_add_f32_e32 v56, v61, v58
	v_sub_f32_e32 v60, v57, v60
	v_sub_f32_e32 v57, v60, v59
	s_delay_alu instid0(VALU_DEP_1) | instskip(NEXT) | instid1(VALU_DEP_4)
	v_add_f32_e32 v9, v57, v9
	v_sub_f32_e32 v57, v56, v61
	s_delay_alu instid0(VALU_DEP_2) | instskip(NEXT) | instid1(VALU_DEP_2)
	v_add_f32_e32 v9, v62, v9
	v_sub_f32_e32 v57, v58, v57
	s_delay_alu instid0(VALU_DEP_2) | instskip(NEXT) | instid1(VALU_DEP_1)
	v_mul_f32_e32 v9, v55, v9
	v_add_f32_e32 v9, v57, v9
	s_delay_alu instid0(VALU_DEP_1) | instskip(NEXT) | instid1(VALU_DEP_1)
	v_add_f32_e32 v55, v56, v9
	v_mul_f32_e32 v57, v55, v55
	s_delay_alu instid0(VALU_DEP_1) | instskip(SKIP_1) | instid1(VALU_DEP_2)
	v_fmaak_f32 v58, s54, v57, 0x3ecc95a3
	v_mul_f32_e32 v59, v55, v57
	v_fmaak_f32 v57, v57, v58, 0x3f2aaada
	v_ldexp_f32 v58, v55, 1
	v_sub_f32_e32 v55, v55, v56
	s_delay_alu instid0(VALU_DEP_3) | instskip(SKIP_1) | instid1(VALU_DEP_2)
	v_mul_f32_e32 v57, v59, v57
	v_mul_f32_e32 v59, 0x3f317218, v8
	v_dual_sub_f32 v9, v9, v55 :: v_dual_add_f32 v56, v58, v57
	s_delay_alu instid0(VALU_DEP_1) | instskip(NEXT) | instid1(VALU_DEP_2)
	v_ldexp_f32 v9, v9, 1
	v_sub_f32_e32 v55, v56, v58
	s_delay_alu instid0(VALU_DEP_4) | instskip(NEXT) | instid1(VALU_DEP_1)
	v_fma_f32 v58, 0x3f317218, v8, -v59
	v_dual_sub_f32 v55, v57, v55 :: v_dual_fmac_f32 v58, 0xb102e308, v8
	s_delay_alu instid0(VALU_DEP_1) | instskip(NEXT) | instid1(VALU_DEP_1)
	v_dual_add_f32 v8, v9, v55 :: v_dual_add_f32 v9, v59, v58
	v_add_f32_e32 v55, v56, v8
	s_delay_alu instid0(VALU_DEP_2) | instskip(NEXT) | instid1(VALU_DEP_2)
	v_sub_f32_e32 v59, v9, v59
	v_dual_add_f32 v57, v9, v55 :: v_dual_sub_f32 v56, v55, v56
	s_delay_alu instid0(VALU_DEP_2) | instskip(NEXT) | instid1(VALU_DEP_2)
	v_sub_f32_e32 v58, v58, v59
	v_sub_f32_e32 v60, v57, v9
	s_delay_alu instid0(VALU_DEP_3) | instskip(NEXT) | instid1(VALU_DEP_2)
	v_sub_f32_e32 v8, v8, v56
	v_sub_f32_e32 v61, v57, v60
	;; [unrolled: 1-line block ×3, first 2 shown]
	s_delay_alu instid0(VALU_DEP_2) | instskip(NEXT) | instid1(VALU_DEP_1)
	v_dual_add_f32 v56, v58, v8 :: v_dual_sub_f32 v9, v9, v61
	v_add_f32_e32 v9, v55, v9
	s_delay_alu instid0(VALU_DEP_2) | instskip(NEXT) | instid1(VALU_DEP_2)
	v_sub_f32_e32 v55, v56, v58
	v_add_f32_e32 v9, v56, v9
	s_delay_alu instid0(VALU_DEP_2) | instskip(NEXT) | instid1(VALU_DEP_2)
	v_sub_f32_e32 v56, v56, v55
	v_dual_sub_f32 v8, v8, v55 :: v_dual_add_f32 v59, v57, v9
	s_delay_alu instid0(VALU_DEP_1) | instskip(NEXT) | instid1(VALU_DEP_1)
	v_dual_sub_f32 v56, v58, v56 :: v_dual_sub_f32 v55, v59, v57
	v_dual_add_f32 v8, v8, v56 :: v_dual_sub_f32 v9, v9, v55
	s_delay_alu instid0(VALU_DEP_1) | instskip(NEXT) | instid1(VALU_DEP_1)
	v_add_f32_e32 v8, v8, v9
	v_add_f32_e32 v8, v59, v8
	s_delay_alu instid0(VALU_DEP_1)
	v_cndmask_b32_e32 v55, v8, v4, vcc_lo
.LBB104_48:                             ;   in Loop: Header=BB104_12 Depth=1
	s_or_b32 exec_lo, exec_lo, s21
	v_lshrrev_b32_e32 v4, 16, v5
	s_delay_alu instid0(VALU_DEP_1) | instskip(NEXT) | instid1(VALU_DEP_1)
	v_cvt_f32_f16_e32 v4, v4
	v_add_f32_e32 v56, s60, v4
	s_delay_alu instid0(VALU_DEP_1) | instskip(SKIP_1) | instid1(SALU_CYCLE_1)
	v_cmp_ge_f32_e32 vcc_lo, 0x41a00000, v56
	s_and_b32 s20, s67, vcc_lo
	s_and_saveexec_b32 s21, s20
	s_cbranch_execz .LBB104_50
; %bb.49:                               ;   in Loop: Header=BB104_12 Depth=1
	v_mul_f32_e32 v4, 0x3fb8aa3b, v56
	v_cmp_ngt_f32_e32 vcc_lo, 0xc2ce8ed0, v56
	s_delay_alu instid0(VALU_DEP_2) | instskip(SKIP_1) | instid1(VALU_DEP_2)
	v_rndne_f32_e32 v5, v4
	v_fma_f32 v8, 0x3fb8aa3b, v56, -v4
	v_sub_f32_e32 v4, v4, v5
	s_delay_alu instid0(VALU_DEP_2) | instskip(SKIP_1) | instid1(VALU_DEP_2)
	v_fmac_f32_e32 v8, 0x32a5705f, v56
	v_cvt_i32_f32_e32 v5, v5
	v_add_f32_e32 v4, v4, v8
	s_delay_alu instid0(VALU_DEP_1) | instskip(SKIP_2) | instid1(VALU_DEP_1)
	v_exp_f32_e32 v4, v4
	s_waitcnt_depctr 0xfff
	v_ldexp_f32 v4, v4, v5
	v_cndmask_b32_e32 v4, 0, v4, vcc_lo
	v_cmp_nlt_f32_e32 vcc_lo, 0x42b17218, v56
	s_delay_alu instid0(VALU_DEP_2) | instskip(NEXT) | instid1(VALU_DEP_1)
	v_cndmask_b32_e32 v8, 0x7f800000, v4, vcc_lo
	v_add_f32_e32 v9, 1.0, v8
	s_delay_alu instid0(VALU_DEP_1) | instskip(NEXT) | instid1(VALU_DEP_1)
	v_cvt_f64_f32_e32 v[4:5], v9
	v_frexp_exp_i32_f64_e32 v4, v[4:5]
	v_frexp_mant_f32_e32 v5, v9
	s_delay_alu instid0(VALU_DEP_1) | instskip(SKIP_1) | instid1(VALU_DEP_1)
	v_cmp_gt_f32_e32 vcc_lo, 0x3f2aaaab, v5
	v_add_f32_e32 v5, -1.0, v9
	v_sub_f32_e32 v57, v5, v9
	v_sub_f32_e32 v5, v8, v5
	s_delay_alu instid0(VALU_DEP_2) | instskip(NEXT) | instid1(VALU_DEP_1)
	v_add_f32_e32 v57, 1.0, v57
	v_add_f32_e32 v5, v5, v57
	v_cmp_gt_f32_e64 s20, 0x33800000, v8
	v_subrev_co_ci_u32_e32 v4, vcc_lo, 0, v4, vcc_lo
	v_cmp_eq_f32_e32 vcc_lo, 0x7f800000, v8
	s_delay_alu instid0(VALU_DEP_2) | instskip(SKIP_2) | instid1(VALU_DEP_2)
	v_sub_nc_u32_e32 v56, 0, v4
	v_cvt_f32_i32_e32 v4, v4
	s_or_b32 vcc_lo, s20, vcc_lo
	v_ldexp_f32 v9, v9, v56
	v_ldexp_f32 v5, v5, v56
	s_delay_alu instid0(VALU_DEP_2) | instskip(NEXT) | instid1(VALU_DEP_1)
	v_add_f32_e32 v56, -1.0, v9
	v_dual_add_f32 v58, 1.0, v9 :: v_dual_add_f32 v59, 1.0, v56
	s_delay_alu instid0(VALU_DEP_1) | instskip(NEXT) | instid1(VALU_DEP_1)
	v_add_f32_e32 v57, -1.0, v58
	v_sub_f32_e32 v57, v9, v57
	s_delay_alu instid0(VALU_DEP_3) | instskip(NEXT) | instid1(VALU_DEP_2)
	v_sub_f32_e32 v9, v9, v59
	v_add_f32_e32 v57, v5, v57
	s_delay_alu instid0(VALU_DEP_2) | instskip(NEXT) | instid1(VALU_DEP_1)
	v_add_f32_e32 v5, v5, v9
	v_add_f32_e32 v60, v56, v5
	s_delay_alu instid0(VALU_DEP_1) | instskip(NEXT) | instid1(VALU_DEP_1)
	v_dual_add_f32 v59, v58, v57 :: v_dual_sub_f32 v56, v56, v60
	v_rcp_f32_e32 v9, v59
	v_sub_f32_e32 v58, v58, v59
	s_delay_alu instid0(VALU_DEP_1) | instskip(SKIP_2) | instid1(VALU_DEP_1)
	v_add_f32_e32 v57, v57, v58
	s_waitcnt_depctr 0xfff
	v_mul_f32_e32 v61, v60, v9
	v_mul_f32_e32 v62, v59, v61
	s_delay_alu instid0(VALU_DEP_1) | instskip(NEXT) | instid1(VALU_DEP_1)
	v_fma_f32 v58, v61, v59, -v62
	v_fmac_f32_e32 v58, v61, v57
	s_delay_alu instid0(VALU_DEP_1) | instskip(NEXT) | instid1(VALU_DEP_1)
	v_add_f32_e32 v63, v62, v58
	v_sub_f32_e32 v64, v60, v63
	s_delay_alu instid0(VALU_DEP_1) | instskip(SKIP_1) | instid1(VALU_DEP_2)
	v_sub_f32_e32 v60, v60, v64
	v_dual_add_f32 v5, v5, v56 :: v_dual_sub_f32 v56, v63, v62
	v_sub_f32_e32 v60, v60, v63
	s_delay_alu instid0(VALU_DEP_1) | instskip(NEXT) | instid1(VALU_DEP_1)
	v_dual_sub_f32 v56, v56, v58 :: v_dual_add_f32 v5, v5, v60
	v_add_f32_e32 v5, v56, v5
	s_delay_alu instid0(VALU_DEP_1) | instskip(NEXT) | instid1(VALU_DEP_1)
	v_add_f32_e32 v56, v64, v5
	v_mul_f32_e32 v58, v9, v56
	s_delay_alu instid0(VALU_DEP_1) | instskip(NEXT) | instid1(VALU_DEP_1)
	v_dual_sub_f32 v63, v64, v56 :: v_dual_mul_f32 v60, v59, v58
	v_add_f32_e32 v5, v5, v63
	s_delay_alu instid0(VALU_DEP_2) | instskip(NEXT) | instid1(VALU_DEP_1)
	v_fma_f32 v59, v58, v59, -v60
	v_fmac_f32_e32 v59, v58, v57
	s_delay_alu instid0(VALU_DEP_1) | instskip(NEXT) | instid1(VALU_DEP_1)
	v_add_f32_e32 v57, v60, v59
	v_sub_f32_e32 v62, v56, v57
	s_delay_alu instid0(VALU_DEP_1) | instskip(NEXT) | instid1(VALU_DEP_1)
	v_sub_f32_e32 v56, v56, v62
	v_sub_f32_e32 v56, v56, v57
	s_delay_alu instid0(VALU_DEP_1) | instskip(SKIP_2) | instid1(VALU_DEP_1)
	v_add_f32_e32 v5, v5, v56
	v_add_f32_e32 v56, v61, v58
	v_sub_f32_e32 v60, v57, v60
	v_sub_f32_e32 v57, v60, v59
	s_delay_alu instid0(VALU_DEP_1) | instskip(NEXT) | instid1(VALU_DEP_4)
	v_add_f32_e32 v5, v57, v5
	v_sub_f32_e32 v57, v56, v61
	s_delay_alu instid0(VALU_DEP_2) | instskip(NEXT) | instid1(VALU_DEP_2)
	v_add_f32_e32 v5, v62, v5
	v_sub_f32_e32 v57, v58, v57
	s_delay_alu instid0(VALU_DEP_2) | instskip(NEXT) | instid1(VALU_DEP_1)
	v_mul_f32_e32 v5, v9, v5
	v_add_f32_e32 v5, v57, v5
	s_delay_alu instid0(VALU_DEP_1) | instskip(NEXT) | instid1(VALU_DEP_1)
	v_add_f32_e32 v9, v56, v5
	v_mul_f32_e32 v57, v9, v9
	s_delay_alu instid0(VALU_DEP_1) | instskip(SKIP_1) | instid1(VALU_DEP_2)
	v_fmaak_f32 v58, s54, v57, 0x3ecc95a3
	v_mul_f32_e32 v59, v9, v57
	v_fmaak_f32 v57, v57, v58, 0x3f2aaada
	v_ldexp_f32 v58, v9, 1
	s_delay_alu instid0(VALU_DEP_2) | instskip(NEXT) | instid1(VALU_DEP_1)
	v_mul_f32_e32 v57, v59, v57
	v_dual_sub_f32 v9, v9, v56 :: v_dual_add_f32 v56, v58, v57
	s_delay_alu instid0(VALU_DEP_1) | instskip(NEXT) | instid1(VALU_DEP_2)
	v_sub_f32_e32 v5, v5, v9
	v_sub_f32_e32 v9, v56, v58
	s_delay_alu instid0(VALU_DEP_2) | instskip(NEXT) | instid1(VALU_DEP_2)
	v_ldexp_f32 v5, v5, 1
	v_sub_f32_e32 v9, v57, v9
	v_mul_f32_e32 v59, 0x3f317218, v4
	s_delay_alu instid0(VALU_DEP_1) | instskip(NEXT) | instid1(VALU_DEP_1)
	v_fma_f32 v58, 0x3f317218, v4, -v59
	v_fmac_f32_e32 v58, 0xb102e308, v4
	s_delay_alu instid0(VALU_DEP_1) | instskip(NEXT) | instid1(VALU_DEP_1)
	v_dual_add_f32 v4, v5, v9 :: v_dual_add_f32 v5, v59, v58
	v_add_f32_e32 v9, v56, v4
	s_delay_alu instid0(VALU_DEP_1) | instskip(SKIP_1) | instid1(VALU_DEP_2)
	v_add_f32_e32 v57, v5, v9
	v_sub_f32_e32 v56, v9, v56
	v_sub_f32_e32 v60, v57, v5
	s_delay_alu instid0(VALU_DEP_2) | instskip(NEXT) | instid1(VALU_DEP_2)
	v_dual_sub_f32 v4, v4, v56 :: v_dual_sub_f32 v59, v5, v59
	v_sub_f32_e32 v61, v57, v60
	s_delay_alu instid0(VALU_DEP_2) | instskip(NEXT) | instid1(VALU_DEP_1)
	v_dual_sub_f32 v9, v9, v60 :: v_dual_sub_f32 v58, v58, v59
	v_dual_sub_f32 v5, v5, v61 :: v_dual_add_f32 v56, v58, v4
	s_delay_alu instid0(VALU_DEP_1) | instskip(NEXT) | instid1(VALU_DEP_2)
	v_add_f32_e32 v5, v9, v5
	v_sub_f32_e32 v9, v56, v58
	s_delay_alu instid0(VALU_DEP_2) | instskip(NEXT) | instid1(VALU_DEP_2)
	v_add_f32_e32 v5, v56, v5
	v_sub_f32_e32 v56, v56, v9
	v_sub_f32_e32 v4, v4, v9
	s_delay_alu instid0(VALU_DEP_2) | instskip(NEXT) | instid1(VALU_DEP_1)
	v_dual_add_f32 v59, v57, v5 :: v_dual_sub_f32 v56, v58, v56
	v_dual_sub_f32 v9, v59, v57 :: v_dual_add_f32 v4, v4, v56
	s_delay_alu instid0(VALU_DEP_1) | instskip(NEXT) | instid1(VALU_DEP_1)
	v_sub_f32_e32 v5, v5, v9
	v_add_f32_e32 v4, v4, v5
	s_delay_alu instid0(VALU_DEP_1) | instskip(NEXT) | instid1(VALU_DEP_1)
	v_add_f32_e32 v4, v59, v4
	v_cndmask_b32_e32 v56, v4, v8, vcc_lo
.LBB104_50:                             ;   in Loop: Header=BB104_12 Depth=1
	s_or_b32 exec_lo, exec_lo, s21
	v_cvt_f32_f16_e32 v4, v6
	s_delay_alu instid0(VALU_DEP_1) | instskip(NEXT) | instid1(VALU_DEP_1)
	v_add_f32_e32 v65, s60, v4
	v_cmp_ge_f32_e32 vcc_lo, 0x41a00000, v65
	s_and_b32 s20, s67, vcc_lo
	s_delay_alu instid0(SALU_CYCLE_1)
	s_and_saveexec_b32 s21, s20
	s_cbranch_execz .LBB104_52
; %bb.51:                               ;   in Loop: Header=BB104_12 Depth=1
	v_mul_f32_e32 v4, 0x3fb8aa3b, v65
	v_cmp_ngt_f32_e32 vcc_lo, 0xc2ce8ed0, v65
	s_delay_alu instid0(VALU_DEP_2) | instskip(SKIP_1) | instid1(VALU_DEP_2)
	v_rndne_f32_e32 v5, v4
	v_fma_f32 v8, 0x3fb8aa3b, v65, -v4
	v_sub_f32_e32 v4, v4, v5
	s_delay_alu instid0(VALU_DEP_2) | instskip(SKIP_1) | instid1(VALU_DEP_2)
	v_fmac_f32_e32 v8, 0x32a5705f, v65
	v_cvt_i32_f32_e32 v5, v5
	v_add_f32_e32 v4, v4, v8
	s_delay_alu instid0(VALU_DEP_1) | instskip(SKIP_2) | instid1(VALU_DEP_1)
	v_exp_f32_e32 v4, v4
	s_waitcnt_depctr 0xfff
	v_ldexp_f32 v4, v4, v5
	v_cndmask_b32_e32 v4, 0, v4, vcc_lo
	v_cmp_nlt_f32_e32 vcc_lo, 0x42b17218, v65
	s_delay_alu instid0(VALU_DEP_2) | instskip(NEXT) | instid1(VALU_DEP_1)
	v_cndmask_b32_e32 v8, 0x7f800000, v4, vcc_lo
	v_add_f32_e32 v9, 1.0, v8
	s_delay_alu instid0(VALU_DEP_1) | instskip(NEXT) | instid1(VALU_DEP_1)
	v_cvt_f64_f32_e32 v[4:5], v9
	v_frexp_exp_i32_f64_e32 v4, v[4:5]
	v_frexp_mant_f32_e32 v5, v9
	s_delay_alu instid0(VALU_DEP_1) | instskip(SKIP_1) | instid1(VALU_DEP_1)
	v_cmp_gt_f32_e32 vcc_lo, 0x3f2aaaab, v5
	v_add_f32_e32 v5, -1.0, v9
	v_sub_f32_e32 v58, v5, v9
	v_subrev_co_ci_u32_e32 v4, vcc_lo, 0, v4, vcc_lo
	s_delay_alu instid0(VALU_DEP_1) | instskip(SKIP_1) | instid1(VALU_DEP_2)
	v_sub_nc_u32_e32 v57, 0, v4
	v_cvt_f32_i32_e32 v4, v4
	v_ldexp_f32 v9, v9, v57
	s_delay_alu instid0(VALU_DEP_1) | instskip(SKIP_3) | instid1(VALU_DEP_3)
	v_dual_add_f32 v58, 1.0, v58 :: v_dual_add_f32 v59, 1.0, v9
	v_sub_f32_e32 v5, v8, v5
	v_cmp_eq_f32_e32 vcc_lo, 0x7f800000, v8
	v_cmp_gt_f32_e64 s20, 0x33800000, v8
	v_add_f32_e32 v5, v5, v58
	s_delay_alu instid0(VALU_DEP_2) | instskip(NEXT) | instid1(VALU_DEP_1)
	s_or_b32 vcc_lo, s20, vcc_lo
	v_ldexp_f32 v5, v5, v57
	v_dual_add_f32 v57, -1.0, v9 :: v_dual_add_f32 v58, -1.0, v59
	s_delay_alu instid0(VALU_DEP_1) | instskip(NEXT) | instid1(VALU_DEP_2)
	v_add_f32_e32 v60, 1.0, v57
	v_sub_f32_e32 v58, v9, v58
	s_delay_alu instid0(VALU_DEP_2) | instskip(NEXT) | instid1(VALU_DEP_2)
	v_sub_f32_e32 v9, v9, v60
	v_add_f32_e32 v58, v5, v58
	s_delay_alu instid0(VALU_DEP_1) | instskip(NEXT) | instid1(VALU_DEP_1)
	v_dual_add_f32 v5, v5, v9 :: v_dual_add_f32 v60, v59, v58
	v_add_f32_e32 v61, v57, v5
	s_delay_alu instid0(VALU_DEP_2) | instskip(SKIP_1) | instid1(VALU_DEP_1)
	v_rcp_f32_e32 v9, v60
	v_sub_f32_e32 v59, v59, v60
	v_dual_sub_f32 v57, v57, v61 :: v_dual_add_f32 v58, v58, v59
	s_delay_alu instid0(VALU_DEP_1) | instskip(SKIP_2) | instid1(VALU_DEP_1)
	v_add_f32_e32 v5, v5, v57
	s_waitcnt_depctr 0xfff
	v_mul_f32_e32 v62, v61, v9
	v_mul_f32_e32 v63, v60, v62
	s_delay_alu instid0(VALU_DEP_1) | instskip(NEXT) | instid1(VALU_DEP_1)
	v_fma_f32 v59, v62, v60, -v63
	v_fmac_f32_e32 v59, v62, v58
	s_delay_alu instid0(VALU_DEP_1) | instskip(NEXT) | instid1(VALU_DEP_1)
	v_add_f32_e32 v64, v63, v59
	v_sub_f32_e32 v65, v61, v64
	v_sub_f32_e32 v57, v64, v63
	s_delay_alu instid0(VALU_DEP_2) | instskip(NEXT) | instid1(VALU_DEP_2)
	v_sub_f32_e32 v61, v61, v65
	v_sub_f32_e32 v57, v57, v59
	s_delay_alu instid0(VALU_DEP_2) | instskip(NEXT) | instid1(VALU_DEP_1)
	v_sub_f32_e32 v61, v61, v64
	v_add_f32_e32 v5, v5, v61
	s_delay_alu instid0(VALU_DEP_1) | instskip(NEXT) | instid1(VALU_DEP_1)
	v_add_f32_e32 v5, v57, v5
	v_add_f32_e32 v57, v65, v5
	s_delay_alu instid0(VALU_DEP_1) | instskip(NEXT) | instid1(VALU_DEP_1)
	v_mul_f32_e32 v59, v9, v57
	v_mul_f32_e32 v61, v60, v59
	s_delay_alu instid0(VALU_DEP_1) | instskip(NEXT) | instid1(VALU_DEP_1)
	v_fma_f32 v60, v59, v60, -v61
	v_fmac_f32_e32 v60, v59, v58
	v_sub_f32_e32 v64, v65, v57
	s_delay_alu instid0(VALU_DEP_2) | instskip(NEXT) | instid1(VALU_DEP_2)
	v_add_f32_e32 v58, v61, v60
	v_add_f32_e32 v5, v5, v64
	s_delay_alu instid0(VALU_DEP_2) | instskip(NEXT) | instid1(VALU_DEP_1)
	v_sub_f32_e32 v63, v57, v58
	v_sub_f32_e32 v57, v57, v63
	s_delay_alu instid0(VALU_DEP_1) | instskip(NEXT) | instid1(VALU_DEP_1)
	v_sub_f32_e32 v57, v57, v58
	v_add_f32_e32 v5, v5, v57
	v_add_f32_e32 v57, v62, v59
	v_sub_f32_e32 v61, v58, v61
	s_delay_alu instid0(VALU_DEP_1) | instskip(NEXT) | instid1(VALU_DEP_1)
	v_sub_f32_e32 v58, v61, v60
	v_dual_add_f32 v5, v58, v5 :: v_dual_sub_f32 v58, v57, v62
	s_delay_alu instid0(VALU_DEP_1) | instskip(NEXT) | instid1(VALU_DEP_1)
	v_add_f32_e32 v5, v63, v5
	v_dual_sub_f32 v58, v59, v58 :: v_dual_mul_f32 v5, v9, v5
	s_delay_alu instid0(VALU_DEP_1) | instskip(NEXT) | instid1(VALU_DEP_1)
	v_add_f32_e32 v5, v58, v5
	v_add_f32_e32 v9, v57, v5
	s_delay_alu instid0(VALU_DEP_1) | instskip(NEXT) | instid1(VALU_DEP_1)
	v_mul_f32_e32 v58, v9, v9
	v_fmaak_f32 v59, s54, v58, 0x3ecc95a3
	v_mul_f32_e32 v60, v9, v58
	s_delay_alu instid0(VALU_DEP_2) | instskip(SKIP_1) | instid1(VALU_DEP_2)
	v_fmaak_f32 v58, v58, v59, 0x3f2aaada
	v_ldexp_f32 v59, v9, 1
	v_dual_sub_f32 v9, v9, v57 :: v_dual_mul_f32 v58, v60, v58
	s_delay_alu instid0(VALU_DEP_1) | instskip(NEXT) | instid1(VALU_DEP_2)
	v_dual_mul_f32 v60, 0x3f317218, v4 :: v_dual_sub_f32 v5, v5, v9
	v_add_f32_e32 v57, v59, v58
	s_delay_alu instid0(VALU_DEP_2) | instskip(NEXT) | instid1(VALU_DEP_2)
	v_ldexp_f32 v5, v5, 1
	v_sub_f32_e32 v9, v57, v59
	s_delay_alu instid0(VALU_DEP_4) | instskip(NEXT) | instid1(VALU_DEP_2)
	v_fma_f32 v59, 0x3f317218, v4, -v60
	v_sub_f32_e32 v9, v58, v9
	s_delay_alu instid0(VALU_DEP_1) | instskip(NEXT) | instid1(VALU_DEP_1)
	v_dual_fmac_f32 v59, 0xb102e308, v4 :: v_dual_add_f32 v4, v5, v9
	v_add_f32_e32 v5, v60, v59
	s_delay_alu instid0(VALU_DEP_2) | instskip(NEXT) | instid1(VALU_DEP_2)
	v_add_f32_e32 v9, v57, v4
	v_sub_f32_e32 v60, v5, v60
	s_delay_alu instid0(VALU_DEP_1) | instskip(SKIP_1) | instid1(VALU_DEP_2)
	v_dual_add_f32 v58, v5, v9 :: v_dual_sub_f32 v59, v59, v60
	v_sub_f32_e32 v57, v9, v57
	v_sub_f32_e32 v61, v58, v5
	s_delay_alu instid0(VALU_DEP_2) | instskip(NEXT) | instid1(VALU_DEP_2)
	v_sub_f32_e32 v4, v4, v57
	v_sub_f32_e32 v62, v58, v61
	;; [unrolled: 1-line block ×3, first 2 shown]
	s_delay_alu instid0(VALU_DEP_3) | instskip(NEXT) | instid1(VALU_DEP_3)
	v_add_f32_e32 v57, v59, v4
	v_sub_f32_e32 v5, v5, v62
	s_delay_alu instid0(VALU_DEP_1) | instskip(NEXT) | instid1(VALU_DEP_3)
	v_add_f32_e32 v5, v9, v5
	v_sub_f32_e32 v9, v57, v59
	s_delay_alu instid0(VALU_DEP_2) | instskip(NEXT) | instid1(VALU_DEP_2)
	v_add_f32_e32 v5, v57, v5
	v_sub_f32_e32 v57, v57, v9
	v_sub_f32_e32 v4, v4, v9
	s_delay_alu instid0(VALU_DEP_3) | instskip(NEXT) | instid1(VALU_DEP_3)
	v_add_f32_e32 v60, v58, v5
	v_sub_f32_e32 v57, v59, v57
	s_delay_alu instid0(VALU_DEP_2) | instskip(NEXT) | instid1(VALU_DEP_2)
	v_sub_f32_e32 v9, v60, v58
	v_add_f32_e32 v4, v4, v57
	s_delay_alu instid0(VALU_DEP_2) | instskip(NEXT) | instid1(VALU_DEP_1)
	v_sub_f32_e32 v5, v5, v9
	v_add_f32_e32 v4, v4, v5
	s_delay_alu instid0(VALU_DEP_1) | instskip(NEXT) | instid1(VALU_DEP_1)
	v_add_f32_e32 v4, v60, v4
	v_cndmask_b32_e32 v65, v4, v8, vcc_lo
.LBB104_52:                             ;   in Loop: Header=BB104_12 Depth=1
	s_or_b32 exec_lo, exec_lo, s21
	v_lshrrev_b32_e32 v4, 16, v6
	s_delay_alu instid0(VALU_DEP_1) | instskip(NEXT) | instid1(VALU_DEP_1)
	v_cvt_f32_f16_e32 v4, v4
	v_add_f32_e32 v66, s60, v4
	s_delay_alu instid0(VALU_DEP_1) | instskip(SKIP_1) | instid1(SALU_CYCLE_1)
	v_cmp_ge_f32_e32 vcc_lo, 0x41a00000, v66
	s_and_b32 s20, s67, vcc_lo
	s_and_saveexec_b32 s21, s20
	s_cbranch_execz .LBB104_54
; %bb.53:                               ;   in Loop: Header=BB104_12 Depth=1
	v_mul_f32_e32 v4, 0x3fb8aa3b, v66
	v_cmp_ngt_f32_e32 vcc_lo, 0xc2ce8ed0, v66
	s_delay_alu instid0(VALU_DEP_2) | instskip(SKIP_1) | instid1(VALU_DEP_2)
	v_rndne_f32_e32 v5, v4
	v_fma_f32 v6, 0x3fb8aa3b, v66, -v4
	v_sub_f32_e32 v4, v4, v5
	s_delay_alu instid0(VALU_DEP_2) | instskip(SKIP_1) | instid1(VALU_DEP_2)
	v_fmac_f32_e32 v6, 0x32a5705f, v66
	v_cvt_i32_f32_e32 v5, v5
	v_add_f32_e32 v4, v4, v6
	s_delay_alu instid0(VALU_DEP_1) | instskip(SKIP_2) | instid1(VALU_DEP_1)
	v_exp_f32_e32 v4, v4
	s_waitcnt_depctr 0xfff
	v_ldexp_f32 v4, v4, v5
	v_cndmask_b32_e32 v4, 0, v4, vcc_lo
	v_cmp_nlt_f32_e32 vcc_lo, 0x42b17218, v66
	s_delay_alu instid0(VALU_DEP_2) | instskip(NEXT) | instid1(VALU_DEP_1)
	v_cndmask_b32_e32 v6, 0x7f800000, v4, vcc_lo
	v_add_f32_e32 v8, 1.0, v6
	s_delay_alu instid0(VALU_DEP_1) | instskip(NEXT) | instid1(VALU_DEP_1)
	v_cvt_f64_f32_e32 v[4:5], v8
	v_frexp_exp_i32_f64_e32 v4, v[4:5]
	v_frexp_mant_f32_e32 v5, v8
	s_delay_alu instid0(VALU_DEP_1) | instskip(SKIP_1) | instid1(VALU_DEP_1)
	v_cmp_gt_f32_e32 vcc_lo, 0x3f2aaaab, v5
	v_add_f32_e32 v5, -1.0, v8
	v_sub_f32_e32 v57, v5, v8
	v_sub_f32_e32 v5, v6, v5
	s_delay_alu instid0(VALU_DEP_2) | instskip(NEXT) | instid1(VALU_DEP_1)
	v_add_f32_e32 v57, 1.0, v57
	v_add_f32_e32 v5, v5, v57
	v_subrev_co_ci_u32_e32 v4, vcc_lo, 0, v4, vcc_lo
	s_delay_alu instid0(VALU_DEP_1) | instskip(SKIP_1) | instid1(VALU_DEP_2)
	v_sub_nc_u32_e32 v9, 0, v4
	v_cvt_f32_i32_e32 v4, v4
	v_ldexp_f32 v8, v8, v9
	v_ldexp_f32 v5, v5, v9
	s_delay_alu instid0(VALU_DEP_2) | instskip(SKIP_1) | instid1(VALU_DEP_2)
	v_add_f32_e32 v58, 1.0, v8
	v_add_f32_e32 v9, -1.0, v8
	v_add_f32_e32 v57, -1.0, v58
	s_delay_alu instid0(VALU_DEP_2) | instskip(SKIP_2) | instid1(VALU_DEP_4)
	v_add_f32_e32 v59, 1.0, v9
	v_cmp_eq_f32_e32 vcc_lo, 0x7f800000, v6
	v_cmp_gt_f32_e64 s20, 0x33800000, v6
	v_sub_f32_e32 v57, v8, v57
	s_delay_alu instid0(VALU_DEP_4) | instskip(NEXT) | instid1(VALU_DEP_3)
	v_sub_f32_e32 v8, v8, v59
	s_or_b32 vcc_lo, s20, vcc_lo
	s_delay_alu instid0(VALU_DEP_2) | instskip(NEXT) | instid1(VALU_DEP_2)
	v_add_f32_e32 v57, v5, v57
	v_add_f32_e32 v5, v5, v8
	s_delay_alu instid0(VALU_DEP_1) | instskip(NEXT) | instid1(VALU_DEP_3)
	v_add_f32_e32 v60, v9, v5
	v_add_f32_e32 v59, v58, v57
	s_delay_alu instid0(VALU_DEP_1) | instskip(SKIP_1) | instid1(VALU_DEP_1)
	v_rcp_f32_e32 v8, v59
	v_sub_f32_e32 v58, v58, v59
	v_add_f32_e32 v57, v57, v58
	s_waitcnt_depctr 0xfff
	v_mul_f32_e32 v61, v60, v8
	s_delay_alu instid0(VALU_DEP_1) | instskip(NEXT) | instid1(VALU_DEP_1)
	v_mul_f32_e32 v62, v59, v61
	v_fma_f32 v58, v61, v59, -v62
	s_delay_alu instid0(VALU_DEP_1) | instskip(NEXT) | instid1(VALU_DEP_1)
	v_fmac_f32_e32 v58, v61, v57
	v_add_f32_e32 v63, v62, v58
	s_delay_alu instid0(VALU_DEP_1) | instskip(NEXT) | instid1(VALU_DEP_1)
	v_dual_sub_f32 v9, v9, v60 :: v_dual_sub_f32 v64, v60, v63
	v_sub_f32_e32 v60, v60, v64
	s_delay_alu instid0(VALU_DEP_1) | instskip(SKIP_1) | instid1(VALU_DEP_2)
	v_dual_sub_f32 v60, v60, v63 :: v_dual_add_f32 v5, v5, v9
	v_sub_f32_e32 v9, v63, v62
	v_add_f32_e32 v5, v5, v60
	s_delay_alu instid0(VALU_DEP_2) | instskip(NEXT) | instid1(VALU_DEP_1)
	v_sub_f32_e32 v9, v9, v58
	v_add_f32_e32 v5, v9, v5
	s_delay_alu instid0(VALU_DEP_1) | instskip(NEXT) | instid1(VALU_DEP_1)
	v_add_f32_e32 v9, v64, v5
	v_mul_f32_e32 v58, v8, v9
	s_delay_alu instid0(VALU_DEP_1) | instskip(NEXT) | instid1(VALU_DEP_1)
	v_mul_f32_e32 v60, v59, v58
	v_fma_f32 v59, v58, v59, -v60
	s_delay_alu instid0(VALU_DEP_1) | instskip(NEXT) | instid1(VALU_DEP_1)
	v_fmac_f32_e32 v59, v58, v57
	v_add_f32_e32 v57, v60, v59
	s_delay_alu instid0(VALU_DEP_1) | instskip(SKIP_2) | instid1(VALU_DEP_2)
	v_sub_f32_e32 v60, v57, v60
	v_sub_f32_e32 v62, v9, v57
	;; [unrolled: 1-line block ×4, first 2 shown]
	s_delay_alu instid0(VALU_DEP_2) | instskip(NEXT) | instid1(VALU_DEP_2)
	v_add_f32_e32 v5, v5, v63
	v_sub_f32_e32 v9, v9, v57
	v_sub_f32_e32 v57, v60, v59
	s_delay_alu instid0(VALU_DEP_2) | instskip(SKIP_1) | instid1(VALU_DEP_2)
	v_add_f32_e32 v5, v5, v9
	v_add_f32_e32 v9, v61, v58
	;; [unrolled: 1-line block ×3, first 2 shown]
	s_delay_alu instid0(VALU_DEP_2) | instskip(NEXT) | instid1(VALU_DEP_2)
	v_sub_f32_e32 v57, v9, v61
	v_add_f32_e32 v5, v62, v5
	s_delay_alu instid0(VALU_DEP_2) | instskip(NEXT) | instid1(VALU_DEP_2)
	v_sub_f32_e32 v57, v58, v57
	v_mul_f32_e32 v5, v8, v5
	s_delay_alu instid0(VALU_DEP_1) | instskip(NEXT) | instid1(VALU_DEP_1)
	v_add_f32_e32 v5, v57, v5
	v_add_f32_e32 v8, v9, v5
	s_delay_alu instid0(VALU_DEP_1) | instskip(NEXT) | instid1(VALU_DEP_1)
	v_mul_f32_e32 v57, v8, v8
	v_fmaak_f32 v58, s54, v57, 0x3ecc95a3
	v_mul_f32_e32 v59, v8, v57
	s_delay_alu instid0(VALU_DEP_2) | instskip(SKIP_2) | instid1(VALU_DEP_3)
	v_fmaak_f32 v57, v57, v58, 0x3f2aaada
	v_ldexp_f32 v58, v8, 1
	v_sub_f32_e32 v8, v8, v9
	v_mul_f32_e32 v57, v59, v57
	v_mul_f32_e32 v59, 0x3f317218, v4
	s_delay_alu instid0(VALU_DEP_3) | instskip(NEXT) | instid1(VALU_DEP_3)
	v_sub_f32_e32 v5, v5, v8
	v_add_f32_e32 v9, v58, v57
	s_delay_alu instid0(VALU_DEP_2) | instskip(NEXT) | instid1(VALU_DEP_2)
	v_ldexp_f32 v5, v5, 1
	v_sub_f32_e32 v8, v9, v58
	v_fma_f32 v58, 0x3f317218, v4, -v59
	s_delay_alu instid0(VALU_DEP_2) | instskip(NEXT) | instid1(VALU_DEP_2)
	v_sub_f32_e32 v8, v57, v8
	v_fmac_f32_e32 v58, 0xb102e308, v4
	s_delay_alu instid0(VALU_DEP_1) | instskip(NEXT) | instid1(VALU_DEP_1)
	v_dual_add_f32 v4, v5, v8 :: v_dual_add_f32 v5, v59, v58
	v_add_f32_e32 v8, v9, v4
	s_delay_alu instid0(VALU_DEP_1) | instskip(SKIP_1) | instid1(VALU_DEP_2)
	v_add_f32_e32 v57, v5, v8
	v_sub_f32_e32 v9, v8, v9
	v_sub_f32_e32 v60, v57, v5
	s_delay_alu instid0(VALU_DEP_2) | instskip(NEXT) | instid1(VALU_DEP_1)
	v_dual_sub_f32 v59, v5, v59 :: v_dual_sub_f32 v4, v4, v9
	v_dual_sub_f32 v61, v57, v60 :: v_dual_sub_f32 v58, v58, v59
	s_delay_alu instid0(VALU_DEP_1) | instskip(NEXT) | instid1(VALU_DEP_2)
	v_dual_sub_f32 v8, v8, v60 :: v_dual_sub_f32 v5, v5, v61
	v_add_f32_e32 v9, v58, v4
	s_delay_alu instid0(VALU_DEP_1) | instskip(NEXT) | instid1(VALU_DEP_1)
	v_dual_add_f32 v5, v8, v5 :: v_dual_sub_f32 v8, v9, v58
	v_add_f32_e32 v5, v9, v5
	s_delay_alu instid0(VALU_DEP_2) | instskip(NEXT) | instid1(VALU_DEP_2)
	v_sub_f32_e32 v9, v9, v8
	v_dual_sub_f32 v4, v4, v8 :: v_dual_add_f32 v59, v57, v5
	s_delay_alu instid0(VALU_DEP_2) | instskip(NEXT) | instid1(VALU_DEP_2)
	v_sub_f32_e32 v9, v58, v9
	v_sub_f32_e32 v8, v59, v57
	s_delay_alu instid0(VALU_DEP_1) | instskip(NEXT) | instid1(VALU_DEP_1)
	v_dual_add_f32 v4, v4, v9 :: v_dual_sub_f32 v5, v5, v8
	v_add_f32_e32 v4, v4, v5
	s_delay_alu instid0(VALU_DEP_1) | instskip(NEXT) | instid1(VALU_DEP_1)
	v_add_f32_e32 v4, v59, v4
	v_cndmask_b32_e32 v66, v4, v6, vcc_lo
.LBB104_54:                             ;   in Loop: Header=BB104_12 Depth=1
	s_or_b32 exec_lo, exec_lo, s21
	v_cvt_f32_f16_e32 v4, v7
	s_delay_alu instid0(VALU_DEP_1) | instskip(NEXT) | instid1(VALU_DEP_1)
	v_add_f32_e32 v67, s60, v4
	v_cmp_ge_f32_e32 vcc_lo, 0x41a00000, v67
	s_and_b32 s20, s67, vcc_lo
	s_delay_alu instid0(SALU_CYCLE_1)
	s_and_saveexec_b32 s21, s20
	s_cbranch_execz .LBB104_56
; %bb.55:                               ;   in Loop: Header=BB104_12 Depth=1
	v_mul_f32_e32 v4, 0x3fb8aa3b, v67
	v_cmp_ngt_f32_e32 vcc_lo, 0xc2ce8ed0, v67
	s_delay_alu instid0(VALU_DEP_2) | instskip(SKIP_1) | instid1(VALU_DEP_2)
	v_rndne_f32_e32 v5, v4
	v_fma_f32 v6, 0x3fb8aa3b, v67, -v4
	v_sub_f32_e32 v4, v4, v5
	s_delay_alu instid0(VALU_DEP_2) | instskip(SKIP_1) | instid1(VALU_DEP_2)
	v_fmac_f32_e32 v6, 0x32a5705f, v67
	v_cvt_i32_f32_e32 v5, v5
	v_add_f32_e32 v4, v4, v6
	s_delay_alu instid0(VALU_DEP_1) | instskip(SKIP_2) | instid1(VALU_DEP_1)
	v_exp_f32_e32 v4, v4
	s_waitcnt_depctr 0xfff
	v_ldexp_f32 v4, v4, v5
	v_cndmask_b32_e32 v4, 0, v4, vcc_lo
	v_cmp_nlt_f32_e32 vcc_lo, 0x42b17218, v67
	s_delay_alu instid0(VALU_DEP_2) | instskip(NEXT) | instid1(VALU_DEP_1)
	v_cndmask_b32_e32 v6, 0x7f800000, v4, vcc_lo
	v_add_f32_e32 v8, 1.0, v6
	s_delay_alu instid0(VALU_DEP_1) | instskip(NEXT) | instid1(VALU_DEP_1)
	v_cvt_f64_f32_e32 v[4:5], v8
	v_frexp_exp_i32_f64_e32 v4, v[4:5]
	v_frexp_mant_f32_e32 v5, v8
	s_delay_alu instid0(VALU_DEP_1) | instskip(SKIP_1) | instid1(VALU_DEP_1)
	v_cmp_gt_f32_e32 vcc_lo, 0x3f2aaaab, v5
	v_add_f32_e32 v5, -1.0, v8
	v_sub_f32_e32 v57, v5, v8
	v_sub_f32_e32 v5, v6, v5
	s_delay_alu instid0(VALU_DEP_2) | instskip(NEXT) | instid1(VALU_DEP_1)
	v_add_f32_e32 v57, 1.0, v57
	v_add_f32_e32 v5, v5, v57
	v_subrev_co_ci_u32_e32 v4, vcc_lo, 0, v4, vcc_lo
	s_delay_alu instid0(VALU_DEP_1) | instskip(SKIP_1) | instid1(VALU_DEP_2)
	v_sub_nc_u32_e32 v9, 0, v4
	v_cvt_f32_i32_e32 v4, v4
	v_ldexp_f32 v8, v8, v9
	v_ldexp_f32 v5, v5, v9
	s_delay_alu instid0(VALU_DEP_2) | instskip(SKIP_1) | instid1(VALU_DEP_2)
	v_add_f32_e32 v58, 1.0, v8
	v_add_f32_e32 v9, -1.0, v8
	v_add_f32_e32 v57, -1.0, v58
	s_delay_alu instid0(VALU_DEP_2) | instskip(SKIP_2) | instid1(VALU_DEP_4)
	v_add_f32_e32 v59, 1.0, v9
	v_cmp_eq_f32_e32 vcc_lo, 0x7f800000, v6
	v_cmp_gt_f32_e64 s20, 0x33800000, v6
	v_sub_f32_e32 v57, v8, v57
	s_delay_alu instid0(VALU_DEP_4) | instskip(NEXT) | instid1(VALU_DEP_3)
	v_sub_f32_e32 v8, v8, v59
	s_or_b32 vcc_lo, s20, vcc_lo
	s_delay_alu instid0(VALU_DEP_2) | instskip(NEXT) | instid1(VALU_DEP_2)
	v_add_f32_e32 v57, v5, v57
	v_add_f32_e32 v5, v5, v8
	s_delay_alu instid0(VALU_DEP_1) | instskip(NEXT) | instid1(VALU_DEP_3)
	v_add_f32_e32 v60, v9, v5
	v_add_f32_e32 v59, v58, v57
	s_delay_alu instid0(VALU_DEP_1) | instskip(SKIP_1) | instid1(VALU_DEP_1)
	v_rcp_f32_e32 v8, v59
	v_sub_f32_e32 v58, v58, v59
	v_add_f32_e32 v57, v57, v58
	s_waitcnt_depctr 0xfff
	v_mul_f32_e32 v61, v60, v8
	s_delay_alu instid0(VALU_DEP_1) | instskip(NEXT) | instid1(VALU_DEP_1)
	v_mul_f32_e32 v62, v59, v61
	v_fma_f32 v58, v61, v59, -v62
	s_delay_alu instid0(VALU_DEP_1) | instskip(NEXT) | instid1(VALU_DEP_1)
	v_fmac_f32_e32 v58, v61, v57
	v_add_f32_e32 v63, v62, v58
	s_delay_alu instid0(VALU_DEP_1) | instskip(NEXT) | instid1(VALU_DEP_1)
	v_dual_sub_f32 v9, v9, v60 :: v_dual_sub_f32 v64, v60, v63
	v_sub_f32_e32 v60, v60, v64
	s_delay_alu instid0(VALU_DEP_1) | instskip(SKIP_1) | instid1(VALU_DEP_2)
	v_dual_sub_f32 v60, v60, v63 :: v_dual_add_f32 v5, v5, v9
	v_sub_f32_e32 v9, v63, v62
	v_add_f32_e32 v5, v5, v60
	s_delay_alu instid0(VALU_DEP_2) | instskip(NEXT) | instid1(VALU_DEP_1)
	v_sub_f32_e32 v9, v9, v58
	v_add_f32_e32 v5, v9, v5
	s_delay_alu instid0(VALU_DEP_1) | instskip(NEXT) | instid1(VALU_DEP_1)
	v_add_f32_e32 v9, v64, v5
	v_mul_f32_e32 v58, v8, v9
	s_delay_alu instid0(VALU_DEP_1) | instskip(NEXT) | instid1(VALU_DEP_1)
	v_mul_f32_e32 v60, v59, v58
	v_fma_f32 v59, v58, v59, -v60
	s_delay_alu instid0(VALU_DEP_1) | instskip(NEXT) | instid1(VALU_DEP_1)
	v_fmac_f32_e32 v59, v58, v57
	v_add_f32_e32 v57, v60, v59
	s_delay_alu instid0(VALU_DEP_1) | instskip(SKIP_2) | instid1(VALU_DEP_2)
	v_sub_f32_e32 v60, v57, v60
	v_sub_f32_e32 v62, v9, v57
	;; [unrolled: 1-line block ×4, first 2 shown]
	s_delay_alu instid0(VALU_DEP_2) | instskip(NEXT) | instid1(VALU_DEP_2)
	v_add_f32_e32 v5, v5, v63
	v_sub_f32_e32 v9, v9, v57
	v_sub_f32_e32 v57, v60, v59
	s_delay_alu instid0(VALU_DEP_2) | instskip(SKIP_1) | instid1(VALU_DEP_2)
	v_add_f32_e32 v5, v5, v9
	v_add_f32_e32 v9, v61, v58
	v_add_f32_e32 v5, v57, v5
	s_delay_alu instid0(VALU_DEP_2) | instskip(NEXT) | instid1(VALU_DEP_2)
	v_sub_f32_e32 v57, v9, v61
	v_add_f32_e32 v5, v62, v5
	s_delay_alu instid0(VALU_DEP_2) | instskip(NEXT) | instid1(VALU_DEP_2)
	v_sub_f32_e32 v57, v58, v57
	v_mul_f32_e32 v5, v8, v5
	s_delay_alu instid0(VALU_DEP_1) | instskip(NEXT) | instid1(VALU_DEP_1)
	v_add_f32_e32 v5, v57, v5
	v_add_f32_e32 v8, v9, v5
	s_delay_alu instid0(VALU_DEP_1) | instskip(NEXT) | instid1(VALU_DEP_1)
	v_mul_f32_e32 v57, v8, v8
	v_fmaak_f32 v58, s54, v57, 0x3ecc95a3
	v_mul_f32_e32 v59, v8, v57
	s_delay_alu instid0(VALU_DEP_2) | instskip(SKIP_2) | instid1(VALU_DEP_3)
	v_fmaak_f32 v57, v57, v58, 0x3f2aaada
	v_ldexp_f32 v58, v8, 1
	v_sub_f32_e32 v8, v8, v9
	v_mul_f32_e32 v57, v59, v57
	v_mul_f32_e32 v59, 0x3f317218, v4
	s_delay_alu instid0(VALU_DEP_3) | instskip(NEXT) | instid1(VALU_DEP_3)
	v_sub_f32_e32 v5, v5, v8
	v_add_f32_e32 v9, v58, v57
	s_delay_alu instid0(VALU_DEP_2) | instskip(NEXT) | instid1(VALU_DEP_2)
	v_ldexp_f32 v5, v5, 1
	v_sub_f32_e32 v8, v9, v58
	v_fma_f32 v58, 0x3f317218, v4, -v59
	s_delay_alu instid0(VALU_DEP_2) | instskip(NEXT) | instid1(VALU_DEP_2)
	v_sub_f32_e32 v8, v57, v8
	v_fmac_f32_e32 v58, 0xb102e308, v4
	s_delay_alu instid0(VALU_DEP_1) | instskip(NEXT) | instid1(VALU_DEP_1)
	v_dual_add_f32 v4, v5, v8 :: v_dual_add_f32 v5, v59, v58
	v_add_f32_e32 v8, v9, v4
	s_delay_alu instid0(VALU_DEP_1) | instskip(SKIP_1) | instid1(VALU_DEP_2)
	v_add_f32_e32 v57, v5, v8
	v_sub_f32_e32 v9, v8, v9
	v_sub_f32_e32 v60, v57, v5
	s_delay_alu instid0(VALU_DEP_2) | instskip(NEXT) | instid1(VALU_DEP_1)
	v_dual_sub_f32 v59, v5, v59 :: v_dual_sub_f32 v4, v4, v9
	v_dual_sub_f32 v61, v57, v60 :: v_dual_sub_f32 v58, v58, v59
	s_delay_alu instid0(VALU_DEP_1) | instskip(NEXT) | instid1(VALU_DEP_2)
	v_dual_sub_f32 v8, v8, v60 :: v_dual_sub_f32 v5, v5, v61
	v_add_f32_e32 v9, v58, v4
	s_delay_alu instid0(VALU_DEP_1) | instskip(NEXT) | instid1(VALU_DEP_1)
	v_dual_add_f32 v5, v8, v5 :: v_dual_sub_f32 v8, v9, v58
	v_add_f32_e32 v5, v9, v5
	s_delay_alu instid0(VALU_DEP_2) | instskip(NEXT) | instid1(VALU_DEP_2)
	v_sub_f32_e32 v9, v9, v8
	v_dual_sub_f32 v4, v4, v8 :: v_dual_add_f32 v59, v57, v5
	s_delay_alu instid0(VALU_DEP_2) | instskip(NEXT) | instid1(VALU_DEP_2)
	v_sub_f32_e32 v9, v58, v9
	v_sub_f32_e32 v8, v59, v57
	s_delay_alu instid0(VALU_DEP_1) | instskip(NEXT) | instid1(VALU_DEP_1)
	v_dual_add_f32 v4, v4, v9 :: v_dual_sub_f32 v5, v5, v8
	v_add_f32_e32 v4, v4, v5
	s_delay_alu instid0(VALU_DEP_1) | instskip(NEXT) | instid1(VALU_DEP_1)
	v_add_f32_e32 v4, v59, v4
	v_cndmask_b32_e32 v67, v4, v6, vcc_lo
.LBB104_56:                             ;   in Loop: Header=BB104_12 Depth=1
	s_or_b32 exec_lo, exec_lo, s21
	v_lshrrev_b32_e32 v4, 16, v7
	s_delay_alu instid0(VALU_DEP_1) | instskip(NEXT) | instid1(VALU_DEP_1)
	v_cvt_f32_f16_e32 v4, v4
	v_add_f32_e32 v68, s60, v4
	s_delay_alu instid0(VALU_DEP_1) | instskip(SKIP_1) | instid1(SALU_CYCLE_1)
	v_cmp_ge_f32_e32 vcc_lo, 0x41a00000, v68
	s_and_b32 s20, s67, vcc_lo
	s_and_saveexec_b32 s21, s20
	s_cbranch_execz .LBB104_58
; %bb.57:                               ;   in Loop: Header=BB104_12 Depth=1
	v_mul_f32_e32 v4, 0x3fb8aa3b, v68
	v_cmp_ngt_f32_e32 vcc_lo, 0xc2ce8ed0, v68
	s_delay_alu instid0(VALU_DEP_2) | instskip(SKIP_1) | instid1(VALU_DEP_2)
	v_rndne_f32_e32 v5, v4
	v_fma_f32 v6, 0x3fb8aa3b, v68, -v4
	v_sub_f32_e32 v4, v4, v5
	s_delay_alu instid0(VALU_DEP_2) | instskip(SKIP_1) | instid1(VALU_DEP_2)
	v_fmac_f32_e32 v6, 0x32a5705f, v68
	v_cvt_i32_f32_e32 v5, v5
	v_add_f32_e32 v4, v4, v6
	s_delay_alu instid0(VALU_DEP_1) | instskip(SKIP_2) | instid1(VALU_DEP_1)
	v_exp_f32_e32 v4, v4
	s_waitcnt_depctr 0xfff
	v_ldexp_f32 v4, v4, v5
	v_cndmask_b32_e32 v4, 0, v4, vcc_lo
	v_cmp_nlt_f32_e32 vcc_lo, 0x42b17218, v68
	s_delay_alu instid0(VALU_DEP_2) | instskip(NEXT) | instid1(VALU_DEP_1)
	v_cndmask_b32_e32 v6, 0x7f800000, v4, vcc_lo
	v_add_f32_e32 v7, 1.0, v6
	s_delay_alu instid0(VALU_DEP_1) | instskip(NEXT) | instid1(VALU_DEP_1)
	v_cvt_f64_f32_e32 v[4:5], v7
	v_frexp_exp_i32_f64_e32 v4, v[4:5]
	v_frexp_mant_f32_e32 v5, v7
	s_delay_alu instid0(VALU_DEP_1) | instskip(SKIP_1) | instid1(VALU_DEP_1)
	v_cmp_gt_f32_e32 vcc_lo, 0x3f2aaaab, v5
	v_add_f32_e32 v5, -1.0, v7
	v_sub_f32_e32 v9, v5, v7
	s_delay_alu instid0(VALU_DEP_1) | instskip(SKIP_1) | instid1(VALU_DEP_1)
	v_add_f32_e32 v9, 1.0, v9
	v_subrev_co_ci_u32_e32 v4, vcc_lo, 0, v4, vcc_lo
	v_sub_nc_u32_e32 v8, 0, v4
	v_cvt_f32_i32_e32 v4, v4
	s_delay_alu instid0(VALU_DEP_2) | instskip(NEXT) | instid1(VALU_DEP_1)
	v_ldexp_f32 v7, v7, v8
	v_add_f32_e32 v57, 1.0, v7
	v_sub_f32_e32 v5, v6, v5
	v_cmp_eq_f32_e32 vcc_lo, 0x7f800000, v6
	v_cmp_gt_f32_e64 s20, 0x33800000, v6
	s_delay_alu instid0(VALU_DEP_3) | instskip(NEXT) | instid1(VALU_DEP_2)
	v_add_f32_e32 v5, v5, v9
	s_or_b32 vcc_lo, s20, vcc_lo
	s_delay_alu instid0(VALU_DEP_1) | instskip(SKIP_1) | instid1(VALU_DEP_1)
	v_ldexp_f32 v5, v5, v8
	v_dual_add_f32 v8, -1.0, v7 :: v_dual_add_f32 v9, -1.0, v57
	v_dual_add_f32 v58, 1.0, v8 :: v_dual_sub_f32 v9, v7, v9
	s_delay_alu instid0(VALU_DEP_1) | instskip(NEXT) | instid1(VALU_DEP_1)
	v_add_f32_e32 v9, v5, v9
	v_dual_sub_f32 v7, v7, v58 :: v_dual_add_f32 v58, v57, v9
	s_delay_alu instid0(VALU_DEP_1) | instskip(NEXT) | instid1(VALU_DEP_2)
	v_add_f32_e32 v5, v5, v7
	v_rcp_f32_e32 v7, v58
	s_delay_alu instid0(VALU_DEP_1) | instskip(NEXT) | instid1(VALU_DEP_1)
	v_add_f32_e32 v59, v8, v5
	v_dual_sub_f32 v57, v57, v58 :: v_dual_sub_f32 v8, v8, v59
	s_waitcnt_depctr 0xfff
	v_dual_mul_f32 v60, v59, v7 :: v_dual_add_f32 v9, v9, v57
	v_add_f32_e32 v5, v5, v8
	s_delay_alu instid0(VALU_DEP_2) | instskip(NEXT) | instid1(VALU_DEP_1)
	v_mul_f32_e32 v61, v58, v60
	v_fma_f32 v57, v60, v58, -v61
	s_delay_alu instid0(VALU_DEP_1) | instskip(NEXT) | instid1(VALU_DEP_1)
	v_fmac_f32_e32 v57, v60, v9
	v_add_f32_e32 v62, v61, v57
	s_delay_alu instid0(VALU_DEP_1) | instskip(NEXT) | instid1(VALU_DEP_1)
	v_sub_f32_e32 v63, v59, v62
	v_dual_sub_f32 v59, v59, v63 :: v_dual_sub_f32 v8, v62, v61
	s_delay_alu instid0(VALU_DEP_1) | instskip(NEXT) | instid1(VALU_DEP_1)
	v_dual_sub_f32 v59, v59, v62 :: v_dual_sub_f32 v8, v8, v57
	v_add_f32_e32 v5, v5, v59
	s_delay_alu instid0(VALU_DEP_1) | instskip(NEXT) | instid1(VALU_DEP_1)
	v_add_f32_e32 v5, v8, v5
	v_add_f32_e32 v8, v63, v5
	s_delay_alu instid0(VALU_DEP_1) | instskip(NEXT) | instid1(VALU_DEP_1)
	v_mul_f32_e32 v57, v7, v8
	v_mul_f32_e32 v59, v58, v57
	s_delay_alu instid0(VALU_DEP_1) | instskip(NEXT) | instid1(VALU_DEP_1)
	v_fma_f32 v58, v57, v58, -v59
	v_fmac_f32_e32 v58, v57, v9
	v_sub_f32_e32 v62, v63, v8
	s_delay_alu instid0(VALU_DEP_2) | instskip(NEXT) | instid1(VALU_DEP_2)
	v_add_f32_e32 v9, v59, v58
	v_add_f32_e32 v5, v5, v62
	s_delay_alu instid0(VALU_DEP_2) | instskip(NEXT) | instid1(VALU_DEP_1)
	v_sub_f32_e32 v61, v8, v9
	v_dual_sub_f32 v59, v9, v59 :: v_dual_sub_f32 v8, v8, v61
	s_delay_alu instid0(VALU_DEP_1) | instskip(NEXT) | instid1(VALU_DEP_1)
	v_dual_sub_f32 v8, v8, v9 :: v_dual_sub_f32 v9, v59, v58
	v_dual_add_f32 v5, v5, v8 :: v_dual_add_f32 v8, v60, v57
	s_delay_alu instid0(VALU_DEP_1) | instskip(NEXT) | instid1(VALU_DEP_2)
	v_add_f32_e32 v5, v9, v5
	v_sub_f32_e32 v9, v8, v60
	s_delay_alu instid0(VALU_DEP_2) | instskip(NEXT) | instid1(VALU_DEP_2)
	v_add_f32_e32 v5, v61, v5
	v_sub_f32_e32 v9, v57, v9
	s_delay_alu instid0(VALU_DEP_2) | instskip(NEXT) | instid1(VALU_DEP_1)
	v_mul_f32_e32 v5, v7, v5
	v_add_f32_e32 v5, v9, v5
	s_delay_alu instid0(VALU_DEP_1) | instskip(NEXT) | instid1(VALU_DEP_1)
	v_add_f32_e32 v7, v8, v5
	v_mul_f32_e32 v9, v7, v7
	s_delay_alu instid0(VALU_DEP_1) | instskip(SKIP_1) | instid1(VALU_DEP_2)
	v_fmaak_f32 v57, s54, v9, 0x3ecc95a3
	v_mul_f32_e32 v58, v7, v9
	v_fmaak_f32 v9, v9, v57, 0x3f2aaada
	v_ldexp_f32 v57, v7, 1
	s_delay_alu instid0(VALU_DEP_2) | instskip(SKIP_2) | instid1(VALU_DEP_3)
	v_mul_f32_e32 v9, v58, v9
	v_sub_f32_e32 v7, v7, v8
	v_mul_f32_e32 v58, 0x3f317218, v4
	v_add_f32_e32 v8, v57, v9
	s_delay_alu instid0(VALU_DEP_3) | instskip(NEXT) | instid1(VALU_DEP_2)
	v_sub_f32_e32 v5, v5, v7
	v_sub_f32_e32 v7, v8, v57
	s_delay_alu instid0(VALU_DEP_4) | instskip(NEXT) | instid1(VALU_DEP_3)
	v_fma_f32 v57, 0x3f317218, v4, -v58
	v_ldexp_f32 v5, v5, 1
	s_delay_alu instid0(VALU_DEP_3) | instskip(NEXT) | instid1(VALU_DEP_1)
	v_sub_f32_e32 v7, v9, v7
	v_dual_fmac_f32 v57, 0xb102e308, v4 :: v_dual_add_f32 v4, v5, v7
	s_delay_alu instid0(VALU_DEP_1) | instskip(NEXT) | instid1(VALU_DEP_1)
	v_add_f32_e32 v5, v58, v57
	v_dual_add_f32 v7, v8, v4 :: v_dual_sub_f32 v58, v5, v58
	s_delay_alu instid0(VALU_DEP_1) | instskip(NEXT) | instid1(VALU_DEP_2)
	v_dual_add_f32 v9, v5, v7 :: v_dual_sub_f32 v8, v7, v8
	v_sub_f32_e32 v57, v57, v58
	s_delay_alu instid0(VALU_DEP_2) | instskip(NEXT) | instid1(VALU_DEP_1)
	v_dual_sub_f32 v59, v9, v5 :: v_dual_sub_f32 v4, v4, v8
	v_sub_f32_e32 v60, v9, v59
	s_delay_alu instid0(VALU_DEP_2) | instskip(NEXT) | instid1(VALU_DEP_2)
	v_dual_sub_f32 v7, v7, v59 :: v_dual_add_f32 v8, v57, v4
	v_sub_f32_e32 v5, v5, v60
	s_delay_alu instid0(VALU_DEP_1) | instskip(NEXT) | instid1(VALU_DEP_3)
	v_add_f32_e32 v5, v7, v5
	v_sub_f32_e32 v7, v8, v57
	s_delay_alu instid0(VALU_DEP_2) | instskip(NEXT) | instid1(VALU_DEP_2)
	v_add_f32_e32 v5, v8, v5
	v_sub_f32_e32 v8, v8, v7
	v_sub_f32_e32 v4, v4, v7
	s_delay_alu instid0(VALU_DEP_3) | instskip(NEXT) | instid1(VALU_DEP_1)
	v_add_f32_e32 v58, v9, v5
	v_dual_sub_f32 v8, v57, v8 :: v_dual_sub_f32 v7, v58, v9
	s_delay_alu instid0(VALU_DEP_1) | instskip(NEXT) | instid1(VALU_DEP_1)
	v_dual_add_f32 v4, v4, v8 :: v_dual_sub_f32 v5, v5, v7
	v_add_f32_e32 v4, v4, v5
	s_delay_alu instid0(VALU_DEP_1) | instskip(NEXT) | instid1(VALU_DEP_1)
	v_add_f32_e32 v4, v58, v4
	v_cndmask_b32_e32 v68, v4, v6, vcc_lo
.LBB104_58:                             ;   in Loop: Header=BB104_12 Depth=1
	s_or_b32 exec_lo, exec_lo, s21
	v_lshrrev_b32_e32 v5, 16, v2
	v_lshrrev_b32_e32 v6, 16, v3
	v_lshrrev_b32_e32 v8, 16, v1
	v_lshrrev_b32_e32 v9, 16, v0
	v_cvt_f32_f16_e32 v4, v3
	v_cvt_f32_f16_e32 v2, v2
	;; [unrolled: 1-line block ×8, first 2 shown]
	v_dual_mul_f32 v60, s61, v4 :: v_dual_mul_f32 v57, s61, v3
	v_dual_mul_f32 v62, s61, v2 :: v_dual_mul_f32 v59, s61, v5
	s_delay_alu instid0(VALU_DEP_4) | instskip(NEXT) | instid1(VALU_DEP_4)
	v_dual_mul_f32 v63, s61, v1 :: v_dual_mul_f32 v58, s61, v6
	v_dual_mul_f32 v64, s61, v0 :: v_dual_mul_f32 v61, s61, v7
	s_and_b32 vcc_lo, exec_lo, s68
	s_barrier
	buffer_gl0_inv
	s_cbranch_vccz .LBB104_122
; %bb.59:                               ;   in Loop: Header=BB104_12 Depth=1
	v_dual_mul_f32 v69, v68, v7 :: v_dual_mul_f32 v74, v67, v4
	v_add_co_u32 v7, s20, s46, v51
	s_delay_alu instid0(VALU_DEP_1) | instskip(SKIP_1) | instid1(VALU_DEP_1)
	v_add_co_ci_u32_e64 v8, null, s49, 0, s20
	v_add_co_u32 v9, s20, s50, v51
	v_add_co_ci_u32_e64 v73, null, s64, 0, s20
	s_delay_alu instid0(VALU_DEP_4) | instskip(NEXT) | instid1(VALU_DEP_4)
	v_add_co_u32 v70, vcc_lo, v7, v52
	v_add_co_ci_u32_e32 v71, vcc_lo, 0, v8, vcc_lo
	s_delay_alu instid0(VALU_DEP_4) | instskip(NEXT) | instid1(VALU_DEP_4)
	v_add_co_u32 v72, vcc_lo, v9, v52
	v_add_co_ci_u32_e32 v73, vcc_lo, 0, v73, vcc_lo
	v_cmp_gt_u32_e32 vcc_lo, s23, v10
	s_cmp_lg_u32 s58, 0
	v_cmp_gt_u32_e64 s21, s23, v44
	s_cselect_b32 s31, -1, 0
	s_cmp_eq_u32 s58, s70
	v_cmp_gt_u32_e64 s22, s23, v45
	s_cselect_b32 s71, -1, 0
	s_or_b32 s20, s69, vcc_lo
	v_cmp_gt_u32_e32 vcc_lo, s23, v46
	v_cmp_gt_u32_e64 s24, s23, v47
	v_cmp_gt_u32_e64 s25, s23, v48
	;; [unrolled: 1-line block ×4, first 2 shown]
	v_dual_mul_f32 v75, v66, v3 :: v_dual_mul_f32 v76, v65, v2
	v_dual_mul_f32 v77, v56, v5 :: v_dual_mul_f32 v80, v53, v0
	;; [unrolled: 1-line block ×3, first 2 shown]
	s_mov_b32 s34, 0
	s_or_b32 s21, s69, s21
	s_or_b32 s22, s69, s22
	s_or_b32 s23, s69, vcc_lo
	s_or_b32 s24, s69, s24
	s_or_b32 s25, s69, s25
	;; [unrolled: 1-line block ×4, first 2 shown]
	s_mov_b32 s38, s34
	s_mov_b32 s40, s34
	;; [unrolled: 1-line block ×5, first 2 shown]
	s_branch .LBB104_61
.LBB104_60:                             ;   in Loop: Header=BB104_61 Depth=2
	s_or_b32 exec_lo, exec_lo, s28
	v_cndmask_b32_e64 v5, v98, v7, s11
	v_cndmask_b32_e64 v6, v97, v6, s11
	s_add_i32 s72, s72, -1
	s_add_i32 s73, s73, 8
	s_add_i32 s42, s42, s37
	v_fma_f32 v5, v5, v84, v82
	v_mul_f32_e32 v6, v6, v84
	s_add_i32 s40, s40, s36
	s_add_i32 s38, s38, s48
	;; [unrolled: 1-line block ×3, first 2 shown]
	v_cndmask_b32_e64 v5, v5, v82, s10
	v_cndmask_b32_e64 v6, v6, v84, s10
	s_cmp_eq_u32 s72, 0
	s_waitcnt lgkmcnt(0)
	s_delay_alu instid0(VALU_DEP_1) | instskip(NEXT) | instid1(VALU_DEP_1)
	v_fmac_f32_e32 v5, v4, v6
	v_fmac_f32_e32 v81, v5, v86
	v_fma_mix_f32 v64, v5, v0, v64 op_sel_hi:[0,1,0]
	s_delay_alu instid0(VALU_DEP_2) | instskip(SKIP_1) | instid1(VALU_DEP_2)
	v_fmac_f32_e32 v83, v81, v88
	v_fma_mix_f32 v58, v81, v0, v58 op_sel:[0,1,0] op_sel_hi:[0,1,0]
	v_fmac_f32_e32 v85, v83, v90
	v_fma_mix_f32 v63, v83, v1, v63 op_sel_hi:[0,1,0]
	s_delay_alu instid0(VALU_DEP_2) | instskip(SKIP_1) | instid1(VALU_DEP_2)
	v_fmac_f32_e32 v87, v85, v91
	v_fma_mix_f32 v59, v85, v1, v59 op_sel:[0,1,0] op_sel_hi:[0,1,0]
	;; [unrolled: 5-line block ×3, first 2 shown]
	v_fmac_f32_e32 v93, v92, v95
	v_fma_mix_f32 v60, v92, v3, v60 op_sel_hi:[0,1,0]
	s_delay_alu instid0(VALU_DEP_2)
	v_fma_mix_f32 v61, v93, v3, v61 op_sel:[0,1,0] op_sel_hi:[0,1,0]
	s_cbranch_scc1 .LBB104_122
.LBB104_61:                             ;   Parent Loop BB104_12 Depth=1
                                        ; =>  This Inner Loop Header: Depth=2
	s_lshl_b64 s[74:75], s[34:35], 2
	s_mov_b32 s39, s35
	s_add_u32 s74, s62, s74
	s_addc_u32 s75, s63, s75
	v_dual_mov_b32 v2, 0 :: v_dual_mov_b32 v3, 0
	global_load_b32 v81, v13, s[74:75]
	s_lshl_b64 s[74:75], s[38:39], 1
	s_delay_alu instid0(SALU_CYCLE_1)
	v_add_co_u32 v0, vcc_lo, v70, s74
	v_add_co_ci_u32_e32 v1, vcc_lo, s75, v71, vcc_lo
	s_and_saveexec_b32 s28, s12
	s_cbranch_execnz .LBB104_81
; %bb.62:                               ;   in Loop: Header=BB104_61 Depth=2
	s_or_b32 exec_lo, exec_lo, s28
	s_and_saveexec_b32 s28, s13
	s_cbranch_execnz .LBB104_82
.LBB104_63:                             ;   in Loop: Header=BB104_61 Depth=2
	s_or_b32 exec_lo, exec_lo, s28
	v_mov_b32_e32 v4, 0
	s_and_saveexec_b32 s28, s14
	s_cbranch_execnz .LBB104_83
.LBB104_64:                             ;   in Loop: Header=BB104_61 Depth=2
	s_or_b32 exec_lo, exec_lo, s28
	s_and_saveexec_b32 s28, s15
	s_cbranch_execnz .LBB104_84
.LBB104_65:                             ;   in Loop: Header=BB104_61 Depth=2
	s_or_b32 exec_lo, exec_lo, s28
	v_mov_b32_e32 v5, 0
	s_and_saveexec_b32 s28, s16
	s_cbranch_execnz .LBB104_85
.LBB104_66:                             ;   in Loop: Header=BB104_61 Depth=2
	s_or_b32 exec_lo, exec_lo, s28
	s_and_saveexec_b32 s28, s17
	s_cbranch_execnz .LBB104_86
.LBB104_67:                             ;   in Loop: Header=BB104_61 Depth=2
	s_or_b32 exec_lo, exec_lo, s28
	v_mov_b32_e32 v6, 0
	s_and_saveexec_b32 s28, s18
	s_cbranch_execnz .LBB104_87
.LBB104_68:                             ;   in Loop: Header=BB104_61 Depth=2
	s_or_b32 exec_lo, exec_lo, s28
	s_and_saveexec_b32 s28, s19
	s_cbranch_execz .LBB104_70
.LBB104_69:                             ;   in Loop: Header=BB104_61 Depth=2
	global_load_u16 v0, v[0:1], off offset:448
	s_waitcnt vmcnt(0)
	v_lshl_or_b32 v6, v0, 16, v6
.LBB104_70:                             ;   in Loop: Header=BB104_61 Depth=2
	s_or_b32 exec_lo, exec_lo, s28
	s_waitcnt vmcnt(0)
	ds_store_b16 v20, v3
	ds_store_b16 v20, v2 offset:64
	ds_store_b16 v21, v4 offset:128
	ds_store_b16_d16_hi v22, v4 offset:192
	ds_store_b16 v23, v5 offset:256
	ds_store_b16_d16_hi v24, v5 offset:320
	;; [unrolled: 2-line block ×3, first 2 shown]
	; wave barrier
	ds_load_b128 v[4:7], v27
	s_mov_b32 s41, s35
	v_dual_mov_b32 v2, 0 :: v_dual_mov_b32 v3, 0
	s_lshl_b64 s[74:75], s[40:41], 1
	s_delay_alu instid0(SALU_CYCLE_1)
	v_add_co_u32 v0, vcc_lo, v72, s74
	v_add_co_ci_u32_e32 v1, vcc_lo, s75, v73, vcc_lo
	s_and_saveexec_b32 s28, s12
	s_cbranch_execnz .LBB104_88
; %bb.71:                               ;   in Loop: Header=BB104_61 Depth=2
	s_or_b32 exec_lo, exec_lo, s28
	s_and_saveexec_b32 s28, s13
	s_cbranch_execnz .LBB104_89
.LBB104_72:                             ;   in Loop: Header=BB104_61 Depth=2
	s_or_b32 exec_lo, exec_lo, s28
	v_mov_b32_e32 v8, 0
	s_and_saveexec_b32 s28, s14
	s_cbranch_execnz .LBB104_90
.LBB104_73:                             ;   in Loop: Header=BB104_61 Depth=2
	s_or_b32 exec_lo, exec_lo, s28
	s_and_saveexec_b32 s28, s15
	s_cbranch_execnz .LBB104_91
.LBB104_74:                             ;   in Loop: Header=BB104_61 Depth=2
	s_or_b32 exec_lo, exec_lo, s28
	v_mov_b32_e32 v9, 0
	s_and_saveexec_b32 s28, s16
	s_cbranch_execnz .LBB104_92
.LBB104_75:                             ;   in Loop: Header=BB104_61 Depth=2
	s_or_b32 exec_lo, exec_lo, s28
	s_and_saveexec_b32 s28, s17
	s_cbranch_execnz .LBB104_93
.LBB104_76:                             ;   in Loop: Header=BB104_61 Depth=2
	s_or_b32 exec_lo, exec_lo, s28
	v_mov_b32_e32 v82, 0
	s_and_saveexec_b32 s28, s18
	s_cbranch_execnz .LBB104_94
.LBB104_77:                             ;   in Loop: Header=BB104_61 Depth=2
	s_or_b32 exec_lo, exec_lo, s28
	s_and_saveexec_b32 s28, s19
	s_cbranch_execz .LBB104_79
.LBB104_78:                             ;   in Loop: Header=BB104_61 Depth=2
	global_load_u16 v0, v[0:1], off offset:448
	s_waitcnt vmcnt(0)
	v_lshl_or_b32 v82, v0, 16, v82
.LBB104_79:                             ;   in Loop: Header=BB104_61 Depth=2
	s_or_b32 exec_lo, exec_lo, s28
	s_waitcnt vmcnt(0)
	ds_store_b16 v20, v3 offset:1056
	ds_store_b16 v28, v2 offset:64
	;; [unrolled: 1-line block ×3, first 2 shown]
	ds_store_b16_d16_hi v30, v8 offset:192
	ds_store_b16 v31, v9 offset:256
	ds_store_b16_d16_hi v32, v9 offset:320
	ds_store_b16 v33, v82 offset:384
	ds_store_b16_d16_hi v34, v82 offset:448
	; wave barrier
	ds_load_b128 v[0:3], v27 offset:1056
	s_and_not1_b32 vcc_lo, exec_lo, s31
	s_cbranch_vccnz .LBB104_95
; %bb.80:                               ;   in Loop: Header=BB104_61 Depth=2
	v_mov_b32_e32 v8, s73
	ds_load_b64 v[8:9], v8
	s_cbranch_execz .LBB104_96
	s_branch .LBB104_99
.LBB104_81:                             ;   in Loop: Header=BB104_61 Depth=2
	global_load_u16 v3, v[0:1], off
	s_or_b32 exec_lo, exec_lo, s28
	s_and_saveexec_b32 s28, s13
	s_cbranch_execz .LBB104_63
.LBB104_82:                             ;   in Loop: Header=BB104_61 Depth=2
	global_load_u16 v2, v[0:1], off offset:64
	s_or_b32 exec_lo, exec_lo, s28
	v_mov_b32_e32 v4, 0
	s_and_saveexec_b32 s28, s14
	s_cbranch_execz .LBB104_64
.LBB104_83:                             ;   in Loop: Header=BB104_61 Depth=2
	global_load_u16 v4, v[0:1], off offset:128
	s_or_b32 exec_lo, exec_lo, s28
	s_and_saveexec_b32 s28, s15
	s_cbranch_execz .LBB104_65
.LBB104_84:                             ;   in Loop: Header=BB104_61 Depth=2
	global_load_u16 v5, v[0:1], off offset:192
	s_waitcnt vmcnt(0)
	v_lshl_or_b32 v4, v5, 16, v4
	s_or_b32 exec_lo, exec_lo, s28
	v_mov_b32_e32 v5, 0
	s_and_saveexec_b32 s28, s16
	s_cbranch_execz .LBB104_66
.LBB104_85:                             ;   in Loop: Header=BB104_61 Depth=2
	global_load_u16 v5, v[0:1], off offset:256
	s_or_b32 exec_lo, exec_lo, s28
	s_and_saveexec_b32 s28, s17
	s_cbranch_execz .LBB104_67
.LBB104_86:                             ;   in Loop: Header=BB104_61 Depth=2
	global_load_u16 v6, v[0:1], off offset:320
	s_waitcnt vmcnt(0)
	v_lshl_or_b32 v5, v6, 16, v5
	s_or_b32 exec_lo, exec_lo, s28
	v_mov_b32_e32 v6, 0
	s_and_saveexec_b32 s28, s18
	s_cbranch_execz .LBB104_68
.LBB104_87:                             ;   in Loop: Header=BB104_61 Depth=2
	global_load_u16 v6, v[0:1], off offset:384
	s_or_b32 exec_lo, exec_lo, s28
	s_and_saveexec_b32 s28, s19
	s_cbranch_execnz .LBB104_69
	s_branch .LBB104_70
.LBB104_88:                             ;   in Loop: Header=BB104_61 Depth=2
	global_load_u16 v3, v[0:1], off
	s_or_b32 exec_lo, exec_lo, s28
	s_and_saveexec_b32 s28, s13
	s_cbranch_execz .LBB104_72
.LBB104_89:                             ;   in Loop: Header=BB104_61 Depth=2
	global_load_u16 v2, v[0:1], off offset:64
	s_or_b32 exec_lo, exec_lo, s28
	v_mov_b32_e32 v8, 0
	s_and_saveexec_b32 s28, s14
	s_cbranch_execz .LBB104_73
.LBB104_90:                             ;   in Loop: Header=BB104_61 Depth=2
	global_load_u16 v8, v[0:1], off offset:128
	s_or_b32 exec_lo, exec_lo, s28
	s_and_saveexec_b32 s28, s15
	s_cbranch_execz .LBB104_74
.LBB104_91:                             ;   in Loop: Header=BB104_61 Depth=2
	global_load_u16 v9, v[0:1], off offset:192
	s_waitcnt vmcnt(0)
	v_lshl_or_b32 v8, v9, 16, v8
	s_or_b32 exec_lo, exec_lo, s28
	v_mov_b32_e32 v9, 0
	s_and_saveexec_b32 s28, s16
	s_cbranch_execz .LBB104_75
.LBB104_92:                             ;   in Loop: Header=BB104_61 Depth=2
	global_load_u16 v9, v[0:1], off offset:256
	s_or_b32 exec_lo, exec_lo, s28
	s_and_saveexec_b32 s28, s17
	s_cbranch_execz .LBB104_76
.LBB104_93:                             ;   in Loop: Header=BB104_61 Depth=2
	global_load_u16 v82, v[0:1], off offset:320
	s_waitcnt vmcnt(0)
	v_lshl_or_b32 v9, v82, 16, v9
	s_or_b32 exec_lo, exec_lo, s28
	v_mov_b32_e32 v82, 0
	s_and_saveexec_b32 s28, s18
	s_cbranch_execz .LBB104_77
.LBB104_94:                             ;   in Loop: Header=BB104_61 Depth=2
	global_load_u16 v82, v[0:1], off offset:384
	s_or_b32 exec_lo, exec_lo, s28
	s_and_saveexec_b32 s28, s19
	s_cbranch_execnz .LBB104_78
	s_branch .LBB104_79
.LBB104_95:                             ;   in Loop: Header=BB104_61 Depth=2
                                        ; implicit-def: $vgpr8
.LBB104_96:                             ;   in Loop: Header=BB104_61 Depth=2
	s_waitcnt lgkmcnt(0)
	v_mov_b32_e32 v9, 0
	s_and_not1_b32 vcc_lo, exec_lo, s33
	s_cbranch_vccnz .LBB104_98
; %bb.97:                               ;   in Loop: Header=BB104_61 Depth=2
	s_mov_b32 s43, s35
	s_delay_alu instid0(SALU_CYCLE_1) | instskip(NEXT) | instid1(SALU_CYCLE_1)
	s_lshl_b64 s[74:75], s[42:43], 2
	s_add_u32 s74, s53, s74
	s_addc_u32 s75, s65, s75
	global_load_b32 v9, v13, s[74:75]
.LBB104_98:                             ;   in Loop: Header=BB104_61 Depth=2
	v_mov_b32_e32 v8, 1.0
.LBB104_99:                             ;   in Loop: Header=BB104_61 Depth=2
	s_waitcnt lgkmcnt(9)
	v_lshrrev_b32_e32 v82, 16, v5
	v_lshrrev_b32_e32 v85, 16, v7
	v_cvt_f32_f16_e32 v7, v7
	v_lshrrev_b32_e32 v83, 16, v6
	v_cvt_f32_f16_e32 v5, v5
	v_cvt_f32_f16_e32 v87, v82
	v_mul_f32_e32 v92, 0x3fb8aa3b, v81
	v_cvt_f32_f16_e32 v93, v85
	v_lshrrev_b32_e32 v81, 16, v4
	v_cvt_f32_f16_e32 v4, v4
	s_delay_alu instid0(VALU_DEP_4)
	v_dual_mul_f32 v87, v77, v87 :: v_dual_mul_f32 v84, v92, v53
	v_mul_f32_e32 v7, v74, v7
	v_cvt_f32_f16_e32 v89, v83
	v_cvt_f32_f16_e32 v81, v81
	v_mul_f32_e32 v83, v92, v55
	v_cmp_gt_f32_e32 vcc_lo, 0xc2fc0000, v84
	v_mul_f32_e32 v4, v80, v4
	v_cvt_f32_f16_e32 v6, v6
	v_mul_f32_e32 v95, v92, v68
	v_mul_f32_e32 v5, v78, v5
	v_cndmask_b32_e64 v84, 0, 0x42800000, vcc_lo
	v_cndmask_b32_e64 v85, 1.0, 0x1f800000, vcc_lo
	v_dual_mul_f32 v6, v76, v6 :: v_dual_mul_f32 v89, v75, v89
	v_mul_f32_e32 v93, v69, v93
	s_delay_alu instid0(VALU_DEP_4) | instskip(NEXT) | instid1(VALU_DEP_3)
	v_fmac_f32_e32 v84, v92, v53
	v_cndmask_b32_e64 v89, 0, v89, s25
	s_delay_alu instid0(VALU_DEP_3) | instskip(NEXT) | instid1(VALU_DEP_3)
	v_cndmask_b32_e64 v93, 0, v93, s27
	v_exp_f32_e32 v82, v84
	s_waitcnt_depctr 0xfff
	v_dual_mul_f32 v86, v92, v54 :: v_dual_mul_f32 v85, v82, v85
	s_delay_alu instid0(VALU_DEP_1) | instskip(SKIP_3) | instid1(VALU_DEP_4)
	v_cmp_gt_f32_e64 s28, 0xc2fc0000, v86
	v_cndmask_b32_e64 v82, 0, v4, s20
	v_mul_f32_e32 v4, v79, v81
	v_cmp_gt_f32_e32 vcc_lo, 0xc2fc0000, v83
	v_cndmask_b32_e64 v86, 0, 0x42800000, s28
	v_cndmask_b32_e64 v88, 1.0, 0x1f800000, s28
	s_delay_alu instid0(VALU_DEP_4) | instskip(SKIP_1) | instid1(VALU_DEP_4)
	v_cndmask_b32_e64 v81, 0, v4, s21
	v_cndmask_b32_e64 v83, 0, 0x42800000, vcc_lo
	v_fmac_f32_e32 v86, v92, v54
	s_delay_alu instid0(VALU_DEP_1) | instskip(SKIP_1) | instid1(VALU_DEP_1)
	v_exp_f32_e32 v84, v86
	v_mul_f32_e32 v86, v92, v56
	v_cmp_gt_f32_e64 s28, 0xc2fc0000, v86
	s_waitcnt_depctr 0xfff
	v_mul_f32_e32 v88, v84, v88
	v_cndmask_b32_e64 v84, 1.0, v85, s20
	v_cndmask_b32_e64 v85, 0, 0x42800000, s28
	s_delay_alu instid0(VALU_DEP_3) | instskip(SKIP_1) | instid1(VALU_DEP_3)
	v_cndmask_b32_e64 v86, 1.0, v88, s21
	v_cndmask_b32_e64 v88, 1.0, 0x1f800000, vcc_lo
	v_fmac_f32_e32 v85, v92, v56
	s_delay_alu instid0(VALU_DEP_1) | instskip(SKIP_1) | instid1(VALU_DEP_1)
	v_exp_f32_e32 v85, v85
	v_fmac_f32_e32 v83, v92, v55
	v_exp_f32_e32 v4, v83
	v_mul_f32_e32 v83, v92, v65
	s_delay_alu instid0(VALU_DEP_1)
	v_cmp_gt_f32_e32 vcc_lo, 0xc2fc0000, v83
	v_cndmask_b32_e64 v83, 0, v5, s22
	v_cndmask_b32_e64 v5, 1.0, 0x1f800000, s28
	s_waitcnt_depctr 0xfff
	v_mul_f32_e32 v4, v4, v88
	v_cndmask_b32_e64 v90, 0, 0x42800000, vcc_lo
	s_delay_alu instid0(VALU_DEP_2) | instskip(SKIP_1) | instid1(VALU_DEP_3)
	v_cndmask_b32_e64 v88, 1.0, v4, s22
	v_mul_f32_e32 v91, v92, v66
	v_fmac_f32_e32 v90, v92, v65
	v_mul_f32_e32 v4, v85, v5
	v_cndmask_b32_e64 v5, 1.0, 0x1f800000, vcc_lo
	v_cndmask_b32_e64 v85, 0, v87, s23
	v_cmp_gt_f32_e64 s28, 0xc2fc0000, v91
	v_exp_f32_e32 v94, v90
	v_cndmask_b32_e64 v90, 1.0, v4, s23
	v_cndmask_b32_e64 v87, 0, v6, s24
	s_delay_alu instid0(VALU_DEP_3) | instskip(SKIP_3) | instid1(VALU_DEP_4)
	v_cndmask_b32_e64 v91, 0, 0x42800000, s28
	v_cndmask_b32_e64 v6, 1.0, 0x1f800000, s28
	v_cmp_gt_f32_e64 s28, 0xc2fc0000, v95
	v_fma_f32 v95, v86, v82, v81
	v_fmac_f32_e32 v91, v92, v66
	s_delay_alu instid0(TRANS32_DEP_1) | instskip(NEXT) | instid1(VALU_DEP_2)
	v_mul_f32_e32 v5, v94, v5
	v_exp_f32_e32 v4, v91
	v_mul_f32_e32 v91, v92, v67
	s_delay_alu instid0(VALU_DEP_1) | instskip(NEXT) | instid1(VALU_DEP_3)
	v_cmp_gt_f32_e32 vcc_lo, 0xc2fc0000, v91
	v_cndmask_b32_e64 v91, 1.0, v5, s24
	v_cndmask_b32_e64 v5, 0, 0x42800000, s28
	s_waitcnt_depctr 0xfff
	v_mul_f32_e32 v4, v4, v6
	v_cndmask_b32_e64 v94, 0, 0x42800000, vcc_lo
	v_mul_f32_e32 v6, v86, v84
	v_fmac_f32_e32 v5, v92, v68
	s_delay_alu instid0(VALU_DEP_4) | instskip(NEXT) | instid1(VALU_DEP_4)
	v_cndmask_b32_e64 v96, 1.0, v4, s25
	v_fmac_f32_e32 v94, v92, v67
	s_delay_alu instid0(VALU_DEP_4)
	v_mul_f32_e32 v4, v6, v88
	v_fma_f32 v6, v95, v88, v83
	v_cndmask_b32_e64 v92, 1.0, 0x1f800000, vcc_lo
	v_exp_f32_e32 v5, v5
	v_exp_f32_e32 v94, v94
	v_mul_f32_e32 v4, v4, v90
	v_fma_f32 v6, v6, v90, v85
	s_delay_alu instid0(VALU_DEP_2) | instskip(NEXT) | instid1(VALU_DEP_2)
	v_mul_f32_e32 v4, v4, v91
	v_fma_f32 v6, v6, v91, v87
	s_waitcnt_depctr 0xfff
	v_mul_f32_e32 v94, v94, v92
	v_cndmask_b32_e64 v92, 0, v7, s26
	v_cndmask_b32_e64 v7, 1.0, 0x1f800000, s28
	v_mul_f32_e32 v4, v4, v96
	v_fma_f32 v6, v6, v96, v89
	v_cndmask_b32_e64 v94, 1.0, v94, s26
	s_delay_alu instid0(VALU_DEP_1) | instskip(NEXT) | instid1(VALU_DEP_1)
	v_dual_mul_f32 v5, v5, v7 :: v_dual_mul_f32 v4, v4, v94
	v_cndmask_b32_e64 v95, 1.0, v5, s27
	s_delay_alu instid0(VALU_DEP_4) | instskip(NEXT) | instid1(VALU_DEP_2)
	v_fma_f32 v5, v6, v94, v92
	v_mul_f32_e32 v4, v4, v95
	s_delay_alu instid0(VALU_DEP_2) | instskip(NEXT) | instid1(VALU_DEP_2)
	v_fma_f32 v5, v5, v95, v93
	v_mov_b32_dpp v7, v4 row_shr:1 row_mask:0xf bank_mask:0xf
	s_delay_alu instid0(VALU_DEP_2)
	v_mov_b32_dpp v6, v5 row_shr:1 row_mask:0xf bank_mask:0xf
	s_and_saveexec_b32 s28, s0
; %bb.100:                              ;   in Loop: Header=BB104_61 Depth=2
	s_delay_alu instid0(VALU_DEP_2) | instskip(NEXT) | instid1(VALU_DEP_1)
	v_mul_f32_e32 v7, v4, v7
	v_dual_fmac_f32 v5, v4, v6 :: v_dual_mov_b32 v4, v7
; %bb.101:                              ;   in Loop: Header=BB104_61 Depth=2
	s_or_b32 exec_lo, exec_lo, s28
	s_delay_alu instid0(VALU_DEP_1) | instskip(NEXT) | instid1(VALU_DEP_2)
	v_mov_b32_dpp v6, v4 row_shr:2 row_mask:0xf bank_mask:0xf
	v_mov_b32_dpp v7, v5 row_shr:2 row_mask:0xf bank_mask:0xf
	s_and_saveexec_b32 s28, s1
; %bb.102:                              ;   in Loop: Header=BB104_61 Depth=2
	s_delay_alu instid0(VALU_DEP_1) | instskip(NEXT) | instid1(VALU_DEP_3)
	v_fmac_f32_e32 v5, v4, v7
	v_mul_f32_e32 v4, v4, v6
; %bb.103:                              ;   in Loop: Header=BB104_61 Depth=2
	s_or_b32 exec_lo, exec_lo, s28
	s_delay_alu instid0(VALU_DEP_1) | instskip(NEXT) | instid1(VALU_DEP_3)
	v_mov_b32_dpp v6, v4 row_shr:4 row_mask:0xf bank_mask:0xf
	v_mov_b32_dpp v7, v5 row_shr:4 row_mask:0xf bank_mask:0xf
	s_and_saveexec_b32 s28, s2
; %bb.104:                              ;   in Loop: Header=BB104_61 Depth=2
	s_delay_alu instid0(VALU_DEP_1) | instskip(NEXT) | instid1(VALU_DEP_3)
	v_fmac_f32_e32 v5, v4, v7
	v_mul_f32_e32 v4, v4, v6
; %bb.105:                              ;   in Loop: Header=BB104_61 Depth=2
	s_or_b32 exec_lo, exec_lo, s28
	s_delay_alu instid0(VALU_DEP_1) | instskip(NEXT) | instid1(VALU_DEP_3)
	v_mov_b32_dpp v6, v4 row_shr:8 row_mask:0xf bank_mask:0xf
	v_mov_b32_dpp v7, v5 row_shr:8 row_mask:0xf bank_mask:0xf
	s_and_saveexec_b32 s28, s3
; %bb.106:                              ;   in Loop: Header=BB104_61 Depth=2
	s_delay_alu instid0(VALU_DEP_1) | instskip(NEXT) | instid1(VALU_DEP_3)
	v_fmac_f32_e32 v5, v4, v7
	v_mul_f32_e32 v4, v4, v6
; %bb.107:                              ;   in Loop: Header=BB104_61 Depth=2
	s_or_b32 exec_lo, exec_lo, s28
	ds_swizzle_b32 v7, v4 offset:swizzle(BROADCAST,32,15)
	ds_swizzle_b32 v6, v5 offset:swizzle(BROADCAST,32,15)
	s_and_saveexec_b32 s28, s4
	s_cbranch_execz .LBB104_109
; %bb.108:                              ;   in Loop: Header=BB104_61 Depth=2
	s_waitcnt lgkmcnt(1)
	v_mul_f32_e32 v7, v4, v7
	s_waitcnt lgkmcnt(0)
	s_delay_alu instid0(VALU_DEP_1)
	v_dual_fmac_f32 v5, v4, v6 :: v_dual_mov_b32 v4, v7
.LBB104_109:                            ;   in Loop: Header=BB104_61 Depth=2
	s_or_b32 exec_lo, exec_lo, s28
	s_and_saveexec_b32 s28, s5
	s_cbranch_execz .LBB104_111
; %bb.110:                              ;   in Loop: Header=BB104_61 Depth=2
	ds_store_b64 v35, v[4:5] offset:2112
.LBB104_111:                            ;   in Loop: Header=BB104_61 Depth=2
	s_or_b32 exec_lo, exec_lo, s28
	s_waitcnt vmcnt(0) lgkmcnt(0)
	s_waitcnt_vscnt null, 0x0
	s_barrier
	buffer_gl0_inv
	s_and_saveexec_b32 s28, s6
	s_cbranch_execz .LBB104_113
; %bb.112:                              ;   in Loop: Header=BB104_61 Depth=2
	ds_load_b64 v[6:7], v36 offset:2112
	s_waitcnt lgkmcnt(0)
	v_mov_b32_dpp v97, v6 row_shr:1 row_mask:0xf bank_mask:0xf
	v_mov_b32_dpp v98, v7 row_shr:1 row_mask:0xf bank_mask:0xf
	s_delay_alu instid0(VALU_DEP_2) | instskip(NEXT) | instid1(VALU_DEP_2)
	v_mul_f32_e32 v97, v6, v97
	v_fma_f32 v98, v6, v98, v7
	s_delay_alu instid0(VALU_DEP_2) | instskip(NEXT) | instid1(VALU_DEP_2)
	v_cndmask_b32_e64 v6, v97, v6, s7
	v_cndmask_b32_e64 v7, v98, v7, s7
	ds_store_b64 v36, v[6:7] offset:2112
.LBB104_113:                            ;   in Loop: Header=BB104_61 Depth=2
	s_or_b32 exec_lo, exec_lo, s28
	s_waitcnt lgkmcnt(0)
	s_barrier
	buffer_gl0_inv
                                        ; implicit-def: $vgpr7
	s_and_saveexec_b32 s28, s9
	s_cbranch_execz .LBB104_115
; %bb.114:                              ;   in Loop: Header=BB104_61 Depth=2
	ds_load_b64 v[6:7], v35 offset:2104
	s_waitcnt lgkmcnt(0)
	v_mul_f32_e32 v97, v4, v6
	s_delay_alu instid0(VALU_DEP_1)
	v_dual_fmac_f32 v5, v4, v7 :: v_dual_mov_b32 v4, v97
.LBB104_115:                            ;   in Loop: Header=BB104_61 Depth=2
	s_or_b32 exec_lo, exec_lo, s28
	ds_bpermute_b32 v97, v37, v4
	ds_bpermute_b32 v98, v37, v5
	s_and_saveexec_b32 s28, s8
	s_cbranch_execz .LBB104_119
; %bb.116:                              ;   in Loop: Header=BB104_61 Depth=2
	ds_load_b64 v[4:5], v13 offset:2120
	s_and_saveexec_b32 s39, s10
	s_cbranch_execz .LBB104_118
; %bb.117:                              ;   in Loop: Header=BB104_61 Depth=2
	ds_store_b64 v13, v[8:9] offset:2120
.LBB104_118:                            ;   in Loop: Header=BB104_61 Depth=2
	s_or_b32 exec_lo, exec_lo, s39
	s_waitcnt lgkmcnt(0)
	v_fmac_f32_e32 v5, v9, v4
	s_delay_alu instid0(VALU_DEP_1)
	v_dual_mul_f32 v8, v8, v4 :: v_dual_mov_b32 v9, v5
.LBB104_119:                            ;   in Loop: Header=BB104_61 Depth=2
	s_or_b32 exec_lo, exec_lo, s28
	s_waitcnt lgkmcnt(0)
	s_barrier
	buffer_gl0_inv
	ds_load_b32 v4, v13 offset:2124
	s_and_saveexec_b32 s28, s10
	s_cbranch_execz .LBB104_60
; %bb.120:                              ;   in Loop: Header=BB104_61 Depth=2
	v_mov_b32_e32 v5, s73
	s_and_not1_b32 vcc_lo, exec_lo, s71
	ds_store_b64 v5, v[8:9]
	s_cbranch_vccnz .LBB104_60
; %bb.121:                              ;   in Loop: Header=BB104_61 Depth=2
	s_mov_b32 s43, s35
	s_delay_alu instid0(SALU_CYCLE_1) | instskip(NEXT) | instid1(SALU_CYCLE_1)
	s_lshl_b64 s[74:75], s[42:43], 2
	s_add_u32 s74, s53, s74
	s_addc_u32 s75, s65, s75
	global_store_b32 v13, v9, s[74:75]
	s_branch .LBB104_60
.LBB104_122:                            ;   in Loop: Header=BB104_12 Depth=1
	v_cvt_f16_f32_e32 v0, v64
	v_cvt_f16_f32_e32 v1, v63
	;; [unrolled: 1-line block ×8, first 2 shown]
	s_waitcnt_vscnt null, 0x0
	v_pack_b32_f16 v3, v3, v4
	v_pack_b32_f16 v2, v2, v5
	;; [unrolled: 1-line block ×4, first 2 shown]
	s_barrier
	buffer_gl0_inv
	s_mov_b32 s31, s35
	ds_store_b128 v27, v[0:3]
	; wave barrier
	ds_load_u16 v8, v20 offset:64
	ds_load_u16 v7, v21 offset:128
	;; [unrolled: 1-line block ×7, first 2 shown]
	s_lshl_b64 s[24:25], s[30:31], 1
	s_delay_alu instid0(SALU_CYCLE_1)
	v_add_co_u32 v0, vcc_lo, v38, s24
	v_add_co_ci_u32_e32 v1, vcc_lo, s25, v39, vcc_lo
	s_and_saveexec_b32 s20, s12
	s_cbranch_execnz .LBB104_157
; %bb.123:                              ;   in Loop: Header=BB104_12 Depth=1
	s_or_b32 exec_lo, exec_lo, s20
	s_and_saveexec_b32 s20, s13
	s_cbranch_execnz .LBB104_158
.LBB104_124:                            ;   in Loop: Header=BB104_12 Depth=1
	s_or_b32 exec_lo, exec_lo, s20
	s_and_saveexec_b32 s20, s14
	s_cbranch_execnz .LBB104_159
.LBB104_125:                            ;   in Loop: Header=BB104_12 Depth=1
	s_or_b32 exec_lo, exec_lo, s20
	s_and_saveexec_b32 s20, s15
	s_cbranch_execnz .LBB104_160
.LBB104_126:                            ;   in Loop: Header=BB104_12 Depth=1
	s_or_b32 exec_lo, exec_lo, s20
	s_and_saveexec_b32 s20, s16
	s_cbranch_execnz .LBB104_161
.LBB104_127:                            ;   in Loop: Header=BB104_12 Depth=1
	s_or_b32 exec_lo, exec_lo, s20
	s_and_saveexec_b32 s20, s17
	s_cbranch_execnz .LBB104_162
.LBB104_128:                            ;   in Loop: Header=BB104_12 Depth=1
	s_or_b32 exec_lo, exec_lo, s20
	s_and_saveexec_b32 s20, s18
	s_cbranch_execnz .LBB104_163
.LBB104_129:                            ;   in Loop: Header=BB104_12 Depth=1
	s_or_b32 exec_lo, exec_lo, s20
	s_and_saveexec_b32 s20, s19
	s_cbranch_execz .LBB104_131
.LBB104_130:                            ;   in Loop: Header=BB104_12 Depth=1
	s_waitcnt lgkmcnt(0)
	global_store_b16 v[0:1], v2, off offset:448
.LBB104_131:                            ;   in Loop: Header=BB104_12 Depth=1
	s_or_b32 exec_lo, exec_lo, s20
	v_add_co_u32 v0, vcc_lo, v40, s24
	v_add_co_ci_u32_e32 v1, vcc_lo, s25, v41, vcc_lo
	s_waitcnt lgkmcnt(0)
	v_dual_mov_b32 v2, 0 :: v_dual_mov_b32 v3, 0
	s_waitcnt_vscnt null, 0x0
	s_barrier
	buffer_gl0_inv
	s_and_saveexec_b32 s20, s12
	s_cbranch_execz .LBB104_133
; %bb.132:                              ;   in Loop: Header=BB104_12 Depth=1
	global_load_u16 v3, v[0:1], off
.LBB104_133:                            ;   in Loop: Header=BB104_12 Depth=1
	s_or_b32 exec_lo, exec_lo, s20
	s_and_saveexec_b32 s20, s13
	s_cbranch_execz .LBB104_135
; %bb.134:                              ;   in Loop: Header=BB104_12 Depth=1
	global_load_u16 v2, v[0:1], off offset:64
.LBB104_135:                            ;   in Loop: Header=BB104_12 Depth=1
	s_or_b32 exec_lo, exec_lo, s20
	v_dual_mov_b32 v4, 0 :: v_dual_mov_b32 v5, 0
	s_and_saveexec_b32 s20, s14
	s_cbranch_execz .LBB104_137
; %bb.136:                              ;   in Loop: Header=BB104_12 Depth=1
	global_load_u16 v5, v[0:1], off offset:128
.LBB104_137:                            ;   in Loop: Header=BB104_12 Depth=1
	s_or_b32 exec_lo, exec_lo, s20
	s_and_saveexec_b32 s20, s15
	s_cbranch_execz .LBB104_139
; %bb.138:                              ;   in Loop: Header=BB104_12 Depth=1
	global_load_u16 v4, v[0:1], off offset:192
.LBB104_139:                            ;   in Loop: Header=BB104_12 Depth=1
	s_or_b32 exec_lo, exec_lo, s20
	v_dual_mov_b32 v6, 0 :: v_dual_mov_b32 v7, 0
	s_and_saveexec_b32 s20, s16
	s_cbranch_execz .LBB104_141
; %bb.140:                              ;   in Loop: Header=BB104_12 Depth=1
	global_load_u16 v7, v[0:1], off offset:256
.LBB104_141:                            ;   in Loop: Header=BB104_12 Depth=1
	;; [unrolled: 13-line block ×3, first 2 shown]
	s_or_b32 exec_lo, exec_lo, s20
	s_and_saveexec_b32 s20, s19
	s_cbranch_execz .LBB104_147
; %bb.146:                              ;   in Loop: Header=BB104_12 Depth=1
	global_load_u16 v8, v[0:1], off offset:448
.LBB104_147:                            ;   in Loop: Header=BB104_12 Depth=1
	s_or_b32 exec_lo, exec_lo, s20
	s_waitcnt vmcnt(0)
	ds_store_b16 v20, v3
	ds_store_b16 v20, v2 offset:64
	ds_store_b16 v21, v5 offset:128
	;; [unrolled: 1-line block ×7, first 2 shown]
	; wave barrier
	ds_load_b128 v[0:3], v27
	s_waitcnt lgkmcnt(0)
	s_barrier
	buffer_gl0_inv
	v_cvt_f32_f16_e32 v6, v1
	v_lshrrev_b32_e32 v4, 16, v0
	v_cvt_f32_f16_e32 v7, v0
	v_lshrrev_b32_e32 v5, 16, v1
	s_delay_alu instid0(VALU_DEP_4) | instskip(NEXT) | instid1(VALU_DEP_4)
	v_mul_f32_e32 v8, 0xbfb8aa3b, v6
	v_cvt_f32_f16_e32 v4, v4
	s_delay_alu instid0(VALU_DEP_4) | instskip(NEXT) | instid1(VALU_DEP_4)
	v_mul_f32_e32 v9, 0xbfb8aa3b, v7
	v_cvt_f32_f16_e32 v5, v5
	v_cmp_nlt_f32_e32 vcc_lo, 0x42ce8ed0, v6
	v_rndne_f32_e32 v55, v8
	v_fma_mix_f32 v56, v1, s56, -v8 op_sel_hi:[1,0,0]
	s_delay_alu instid0(VALU_DEP_4)
	v_dual_mul_f32 v53, 0xbfb8aa3b, v4 :: v_dual_mul_f32 v54, 0xbfb8aa3b, v5
	v_rndne_f32_e32 v65, v9
	v_fma_mix_f32 v66, v0, s56, -v9 op_sel_hi:[1,0,0]
	v_sub_f32_e32 v8, v8, v55
	v_fma_mix_f32 v56, v1, s57, v56 op_sel_hi:[1,0,0]
	v_rndne_f32_e32 v67, v53
	v_sub_f32_e32 v9, v9, v65
	v_fma_mix_f32 v68, v0, s56, -v53 op_sel:[1,0,0] op_sel_hi:[1,0,0]
	v_fma_mix_f32 v66, v0, s57, v66 op_sel_hi:[1,0,0]
	v_add_f32_e32 v8, v8, v56
	v_rndne_f32_e32 v69, v54
	v_fma_mix_f32 v70, v1, s56, -v54 op_sel:[1,0,0] op_sel_hi:[1,0,0]
	v_sub_f32_e32 v53, v53, v67
	v_fma_mix_f32 v0, v0, s57, v68 op_sel:[1,0,0] op_sel_hi:[1,0,0]
	s_delay_alu instid0(VALU_DEP_4) | instskip(SKIP_2) | instid1(VALU_DEP_3)
	v_dual_add_f32 v9, v9, v66 :: v_dual_sub_f32 v54, v54, v69
	v_exp_f32_e32 v8, v8
	v_fma_mix_f32 v1, v1, s57, v70 op_sel:[1,0,0] op_sel_hi:[1,0,0]
	v_add_f32_e32 v0, v53, v0
	s_delay_alu instid0(VALU_DEP_3)
	v_exp_f32_e32 v9, v9
	v_cvt_i32_f32_e32 v55, v55
	v_cvt_i32_f32_e32 v56, v65
	v_add_f32_e32 v1, v54, v1
	v_exp_f32_e32 v0, v0
	v_cvt_i32_f32_e32 v65, v67
	v_cvt_i32_f32_e32 v66, v69
	v_ldexp_f32 v8, v8, v55
	v_exp_f32_e32 v1, v1
	v_lshrrev_b32_e32 v54, 16, v2
	v_ldexp_f32 v9, v9, v56
	v_cvt_f32_f16_e32 v67, v3
	v_cndmask_b32_e32 v8, 0, v8, vcc_lo
	v_cmp_nlt_f32_e32 vcc_lo, 0x42ce8ed0, v7
	v_ldexp_f32 v0, v0, v65
	v_cvt_f32_f16_e32 v54, v54
	v_lshrrev_b32_e32 v53, 16, v3
	v_cndmask_b32_e32 v9, 0, v9, vcc_lo
	v_cmp_nlt_f32_e32 vcc_lo, 0x42ce8ed0, v4
	v_ldexp_f32 v1, v1, v66
	s_delay_alu instid0(VALU_DEP_4) | instskip(SKIP_2) | instid1(VALU_DEP_4)
	v_cvt_f32_f16_e32 v53, v53
	v_cndmask_b32_e32 v0, 0, v0, vcc_lo
	v_cmp_nlt_f32_e32 vcc_lo, 0x42ce8ed0, v5
	v_cndmask_b32_e32 v1, 0, v1, vcc_lo
	v_cmp_ngt_f32_e32 vcc_lo, 0xc2b17218, v6
	v_cndmask_b32_e32 v8, 0x7f800000, v8, vcc_lo
	v_cmp_ngt_f32_e32 vcc_lo, 0xc2b17218, v4
	;; [unrolled: 2-line block ×4, first 2 shown]
	s_delay_alu instid0(VALU_DEP_2) | instskip(SKIP_1) | instid1(VALU_DEP_2)
	v_dual_add_f32 v1, 1.0, v1 :: v_dual_add_f32 v8, 1.0, v8
	v_cndmask_b32_e32 v9, 0x7f800000, v9, vcc_lo
	v_div_scale_f32 v65, null, v1, v1, v5
	s_delay_alu instid0(VALU_DEP_3) | instskip(NEXT) | instid1(VALU_DEP_3)
	v_div_scale_f32 v55, null, v8, v8, v6
	v_dual_add_f32 v9, 1.0, v9 :: v_dual_add_f32 v0, 1.0, v0
	s_delay_alu instid0(VALU_DEP_3) | instskip(NEXT) | instid1(VALU_DEP_2)
	v_rcp_f32_e32 v69, v65
	v_rcp_f32_e32 v66, v55
	v_div_scale_f32 v70, s20, v6, v8, v6
	s_delay_alu instid0(VALU_DEP_2) | instskip(SKIP_2) | instid1(VALU_DEP_3)
	v_div_scale_f32 v56, null, v0, v0, v4
	v_div_scale_f32 v76, s21, v5, v1, v5
	v_div_scale_f32 v72, vcc_lo, v4, v0, v4
	v_rcp_f32_e32 v68, v56
	s_waitcnt_depctr 0xfff
	v_fma_f32 v73, -v55, v66, 1.0
	v_fma_f32 v75, -v65, v69, 1.0
	v_div_scale_f32 v71, null, v9, v9, v7
	s_delay_alu instid0(VALU_DEP_2) | instskip(SKIP_2) | instid1(VALU_DEP_3)
	v_dual_fmac_f32 v66, v73, v66 :: v_dual_fmac_f32 v69, v75, v69
	v_mul_f32_e32 v73, 0xbfb8aa3b, v54
	v_fma_f32 v74, -v56, v68, 1.0
	v_dual_mul_f32 v75, v70, v66 :: v_dual_mul_f32 v78, v76, v69
	s_delay_alu instid0(VALU_DEP_3) | instskip(SKIP_1) | instid1(VALU_DEP_4)
	v_rndne_f32_e32 v80, v73
	v_fma_mix_f32 v84, v2, s56, -v73 op_sel:[1,0,0] op_sel_hi:[1,0,0]
	v_fmac_f32_e32 v68, v74, v68
	s_delay_alu instid0(VALU_DEP_4) | instskip(SKIP_2) | instid1(VALU_DEP_3)
	v_fma_f32 v81, -v55, v75, v70
	v_fma_f32 v83, -v65, v78, v76
	v_rcp_f32_e32 v74, v71
	v_mul_f32_e32 v77, v72, v68
	s_delay_alu instid0(VALU_DEP_2) | instskip(NEXT) | instid1(VALU_DEP_2)
	v_dual_fmac_f32 v75, v81, v66 :: v_dual_fmac_f32 v78, v83, v69
	v_fma_f32 v82, -v56, v77, v72
	s_delay_alu instid0(VALU_DEP_2)
	v_fma_f32 v65, -v65, v78, v76
	v_mul_f32_e32 v76, 0xbfb8aa3b, v67
	s_waitcnt_depctr 0xfff
	v_fma_f32 v85, -v71, v74, 1.0
	v_fmac_f32_e32 v77, v82, v68
	v_mul_f32_e32 v79, 0xbfb8aa3b, v53
	v_fma_f32 v55, -v55, v75, v70
	v_fma_mix_f32 v70, v2, s57, v84 op_sel:[1,0,0] op_sel_hi:[1,0,0]
	v_fmac_f32_e32 v74, v85, v74
	v_fma_f32 v56, -v56, v77, v72
	v_rndne_f32_e32 v72, v79
	s_delay_alu instid0(VALU_DEP_2)
	v_div_fmas_f32 v56, v56, v68, v77
	s_mov_b32 vcc_lo, s21
	v_fma_mix_f32 v68, v3, s56, -v79 op_sel:[1,0,0] op_sel_hi:[1,0,0]
	v_div_fmas_f32 v65, v65, v69, v78
	s_mov_b32 vcc_lo, s20
	v_div_fixup_f32 v4, v56, v0, v4
	v_div_fmas_f32 v55, v55, v66, v75
	v_cvt_f32_f16_e32 v66, v2
	v_fma_mix_f32 v68, v3, s57, v68 op_sel:[1,0,0] op_sel_hi:[1,0,0]
	v_fma_mix_f32 v75, v3, s56, -v76 op_sel_hi:[1,0,0]
	v_cmp_nlt_f32_e32 vcc_lo, 0x42ce8ed0, v54
	v_div_fixup_f32 v5, v65, v1, v5
	v_mul_f32_e32 v77, 0xbfb8aa3b, v66
	v_div_fixup_f32 v0, v55, v8, v6
	v_fma_mix_f32 v3, v3, s57, v75 op_sel_hi:[1,0,0]
	s_delay_alu instid0(VALU_DEP_3) | instskip(NEXT) | instid1(VALU_DEP_1)
	v_fma_mix_f32 v78, v2, s56, -v77 op_sel_hi:[1,0,0]
	v_fma_mix_f32 v2, v2, s57, v78 op_sel_hi:[1,0,0]
	v_sub_f32_e32 v73, v73, v80
	s_delay_alu instid0(VALU_DEP_1) | instskip(SKIP_2) | instid1(VALU_DEP_3)
	v_dual_add_f32 v69, v73, v70 :: v_dual_sub_f32 v70, v79, v72
	v_rndne_f32_e32 v73, v76
	v_cvt_i32_f32_e32 v72, v72
	v_exp_f32_e32 v69, v69
	s_delay_alu instid0(VALU_DEP_3) | instskip(SKIP_3) | instid1(VALU_DEP_4)
	v_add_f32_e32 v68, v70, v68
	v_cvt_i32_f32_e32 v70, v80
	v_rndne_f32_e32 v75, v77
	v_sub_f32_e32 v76, v76, v73
	v_exp_f32_e32 v68, v68
	s_waitcnt_depctr 0xfff
	v_ldexp_f32 v69, v69, v70
	s_delay_alu instid0(VALU_DEP_1) | instskip(SKIP_2) | instid1(VALU_DEP_3)
	v_dual_sub_f32 v70, v77, v75 :: v_dual_cndmask_b32 v69, 0, v69
	v_cmp_ngt_f32_e32 vcc_lo, 0xc2b17218, v54
	v_ldexp_f32 v68, v68, v72
	v_add_f32_e32 v2, v70, v2
	v_cvt_i32_f32_e32 v70, v73
	v_cndmask_b32_e32 v69, 0x7f800000, v69, vcc_lo
	v_cmp_nlt_f32_e32 vcc_lo, 0x42ce8ed0, v53
	v_add_f32_e32 v3, v76, v3
	v_exp_f32_e32 v2, v2
	v_cndmask_b32_e32 v68, 0, v68, vcc_lo
	s_delay_alu instid0(VALU_DEP_2) | instskip(SKIP_4) | instid1(VALU_DEP_1)
	v_exp_f32_e32 v3, v3
	v_cmp_nlt_f32_e32 vcc_lo, 0x42ce8ed0, v67
	s_waitcnt_depctr 0xfff
	v_ldexp_f32 v3, v3, v70
	v_cvt_i32_f32_e32 v70, v75
	v_ldexp_f32 v2, v2, v70
	s_delay_alu instid0(VALU_DEP_3) | instskip(SKIP_3) | instid1(VALU_DEP_2)
	v_cndmask_b32_e32 v3, 0, v3, vcc_lo
	v_cmp_ngt_f32_e32 vcc_lo, 0xc2b17218, v53
	v_cndmask_b32_e32 v68, 0x7f800000, v68, vcc_lo
	v_cmp_ngt_f32_e32 vcc_lo, 0xc2b17218, v67
	v_dual_add_f32 v68, 1.0, v68 :: v_dual_add_f32 v69, 1.0, v69
	v_cndmask_b32_e32 v3, 0x7f800000, v3, vcc_lo
	v_cmp_nlt_f32_e32 vcc_lo, 0x42ce8ed0, v66
	s_delay_alu instid0(VALU_DEP_3) | instskip(NEXT) | instid1(VALU_DEP_4)
	v_div_scale_f32 v73, null, v68, v68, v53
	v_div_scale_f32 v70, null, v69, v69, v54
	v_cndmask_b32_e32 v2, 0, v2, vcc_lo
	s_delay_alu instid0(VALU_DEP_3) | instskip(SKIP_1) | instid1(VALU_DEP_3)
	v_rcp_f32_e32 v77, v73
	v_cmp_ngt_f32_e32 vcc_lo, 0xc2b17218, v66
	v_rcp_f32_e32 v72, v70
	s_waitcnt_depctr 0xfff
	v_fma_f32 v82, -v73, v77, 1.0
	v_cndmask_b32_e32 v2, 0x7f800000, v2, vcc_lo
	v_div_scale_f32 v76, vcc_lo, v7, v9, v7
	v_fma_f32 v78, -v70, v72, 1.0
	s_delay_alu instid0(VALU_DEP_3) | instskip(NEXT) | instid1(VALU_DEP_3)
	v_dual_fmac_f32 v77, v82, v77 :: v_dual_add_f32 v2, 1.0, v2
	v_dual_add_f32 v3, 1.0, v3 :: v_dual_mul_f32 v80, v76, v74
	v_div_scale_f32 v82, s21, v53, v68, v53
	s_delay_alu instid0(VALU_DEP_3) | instskip(NEXT) | instid1(VALU_DEP_3)
	v_div_scale_f32 v81, null, v2, v2, v66
	v_div_scale_f32 v75, null, v3, v3, v67
	s_delay_alu instid0(VALU_DEP_4) | instskip(NEXT) | instid1(VALU_DEP_3)
	v_fma_f32 v84, -v71, v80, v76
	v_rcp_f32_e32 v83, v81
	s_delay_alu instid0(VALU_DEP_2)
	v_rcp_f32_e32 v79, v75
	s_waitcnt_depctr 0xfff
	v_fma_f32 v87, -v81, v83, 1.0
	v_fmac_f32_e32 v80, v84, v74
	v_fma_f32 v85, -v75, v79, 1.0
	v_fmac_f32_e32 v72, v78, v72
	v_div_scale_f32 v78, s20, v54, v69, v54
	v_fmac_f32_e32 v83, v87, v83
	s_delay_alu instid0(VALU_DEP_4) | instskip(SKIP_1) | instid1(VALU_DEP_4)
	v_fmac_f32_e32 v79, v85, v79
	v_div_scale_f32 v85, s22, v67, v3, v67
	v_mul_f32_e32 v86, v78, v72
	v_div_scale_f32 v87, s23, v66, v2, v66
	s_delay_alu instid0(VALU_DEP_3) | instskip(SKIP_1) | instid1(VALU_DEP_4)
	v_mul_f32_e32 v89, v85, v79
	v_fma_f32 v71, -v71, v80, v76
	v_fma_f32 v84, -v70, v86, v78
	s_delay_alu instid0(VALU_DEP_4) | instskip(NEXT) | instid1(VALU_DEP_3)
	v_mul_f32_e32 v90, v87, v83
	v_div_fmas_f32 v71, v71, v74, v80
	s_delay_alu instid0(VALU_DEP_3)
	v_fmac_f32_e32 v86, v84, v72
	v_fma_f32 v84, -v75, v89, v85
	v_mul_f32_e32 v88, v82, v77
	v_fma_f32 v74, -v81, v90, v87
	s_mov_b32 vcc_lo, s20
	v_fma_f32 v70, -v70, v86, v78
	v_fmac_f32_e32 v89, v84, v79
	v_fma_f32 v76, -v73, v88, v82
	v_fmac_f32_e32 v90, v74, v83
	v_div_fixup_f32 v6, v71, v9, v7
	v_div_fmas_f32 v70, v70, v72, v86
	s_mov_b32 vcc_lo, s21
	v_fmac_f32_e32 v88, v76, v77
	v_fma_f32 v74, -v81, v90, v87
	s_delay_alu instid0(VALU_DEP_3) | instskip(NEXT) | instid1(VALU_DEP_3)
	v_div_fixup_f32 v7, v70, v69, v54
	v_fma_f32 v72, -v73, v88, v82
	v_fma_f32 v73, -v75, v89, v85
	s_delay_alu instid0(VALU_DEP_2) | instskip(SKIP_1) | instid1(VALU_DEP_2)
	v_div_fmas_f32 v72, v72, v77, v88
	s_mov_b32 vcc_lo, s22
	v_div_fmas_f32 v73, v73, v79, v89
	s_mov_b32 vcc_lo, s23
	s_delay_alu instid0(VALU_DEP_2) | instskip(SKIP_1) | instid1(VALU_DEP_3)
	v_div_fixup_f32 v8, v72, v68, v53
	v_div_fmas_f32 v74, v74, v83, v90
	v_div_fixup_f32 v1, v73, v3, v67
	s_delay_alu instid0(VALU_DEP_2) | instskip(NEXT) | instid1(VALU_DEP_2)
	v_div_fixup_f32 v2, v74, v2, v66
	v_fma_mixlo_f16 v3, v60, v1, 0
	v_fma_mixlo_f16 v1, v63, v0, 0
	;; [unrolled: 1-line block ×3, first 2 shown]
	s_delay_alu instid0(VALU_DEP_4) | instskip(NEXT) | instid1(VALU_DEP_4)
	v_fma_mixlo_f16 v2, v62, v2, 0
	v_fma_mixhi_f16 v3, v61, v8, 0
	s_delay_alu instid0(VALU_DEP_4) | instskip(NEXT) | instid1(VALU_DEP_4)
	v_fma_mixhi_f16 v1, v59, v5, 0
	v_fma_mixhi_f16 v0, v58, v4, 0
	s_delay_alu instid0(VALU_DEP_4)
	v_fma_mixhi_f16 v2, v57, v7, 0
	ds_store_b128 v27, v[0:3]
	; wave barrier
	ds_load_u16 v8, v20 offset:64
	ds_load_u16 v7, v21 offset:128
	;; [unrolled: 1-line block ×7, first 2 shown]
	v_add_co_u32 v0, vcc_lo, v42, s24
	v_add_co_ci_u32_e32 v1, vcc_lo, s25, v43, vcc_lo
	s_and_saveexec_b32 s20, s12
	s_cbranch_execnz .LBB104_164
; %bb.148:                              ;   in Loop: Header=BB104_12 Depth=1
	s_or_b32 exec_lo, exec_lo, s20
	s_and_saveexec_b32 s12, s13
	s_cbranch_execnz .LBB104_165
.LBB104_149:                            ;   in Loop: Header=BB104_12 Depth=1
	s_or_b32 exec_lo, exec_lo, s12
	s_and_saveexec_b32 s12, s14
	s_cbranch_execnz .LBB104_166
.LBB104_150:                            ;   in Loop: Header=BB104_12 Depth=1
	s_or_b32 exec_lo, exec_lo, s12
	s_and_saveexec_b32 s12, s15
	s_cbranch_execnz .LBB104_167
.LBB104_151:                            ;   in Loop: Header=BB104_12 Depth=1
	s_or_b32 exec_lo, exec_lo, s12
	s_and_saveexec_b32 s12, s16
	s_cbranch_execnz .LBB104_168
.LBB104_152:                            ;   in Loop: Header=BB104_12 Depth=1
	s_or_b32 exec_lo, exec_lo, s12
	s_and_saveexec_b32 s12, s17
	s_cbranch_execnz .LBB104_169
.LBB104_153:                            ;   in Loop: Header=BB104_12 Depth=1
	s_or_b32 exec_lo, exec_lo, s12
	s_and_saveexec_b32 s12, s18
	s_cbranch_execnz .LBB104_170
.LBB104_154:                            ;   in Loop: Header=BB104_12 Depth=1
	s_or_b32 exec_lo, exec_lo, s12
	s_and_saveexec_b32 s12, s19
	s_cbranch_execz .LBB104_11
	s_branch .LBB104_171
.LBB104_155:                            ;   in Loop: Header=BB104_12 Depth=1
	global_load_u16 v55, v[4:5], off offset:320
	s_or_b32 exec_lo, exec_lo, s20
	s_and_saveexec_b32 s20, s18
	s_cbranch_execz .LBB104_40
.LBB104_156:                            ;   in Loop: Header=BB104_12 Depth=1
	global_load_u16 v54, v[4:5], off offset:384
	s_or_b32 exec_lo, exec_lo, s20
	v_mov_b32_e32 v56, 0
	s_and_saveexec_b32 s20, s19
	s_cbranch_execnz .LBB104_41
	s_branch .LBB104_42
.LBB104_157:                            ;   in Loop: Header=BB104_12 Depth=1
	ds_load_u16 v9, v20
	s_waitcnt lgkmcnt(0)
	global_store_b16 v[0:1], v9, off
	s_or_b32 exec_lo, exec_lo, s20
	s_and_saveexec_b32 s20, s13
	s_cbranch_execz .LBB104_124
.LBB104_158:                            ;   in Loop: Header=BB104_12 Depth=1
	s_waitcnt lgkmcnt(6)
	global_store_b16 v[0:1], v8, off offset:64
	s_or_b32 exec_lo, exec_lo, s20
	s_and_saveexec_b32 s20, s14
	s_cbranch_execz .LBB104_125
.LBB104_159:                            ;   in Loop: Header=BB104_12 Depth=1
	s_waitcnt lgkmcnt(5)
	global_store_b16 v[0:1], v7, off offset:128
	s_or_b32 exec_lo, exec_lo, s20
	s_and_saveexec_b32 s20, s15
	s_cbranch_execz .LBB104_126
.LBB104_160:                            ;   in Loop: Header=BB104_12 Depth=1
	s_waitcnt lgkmcnt(4)
	global_store_b16 v[0:1], v6, off offset:192
	s_or_b32 exec_lo, exec_lo, s20
	s_and_saveexec_b32 s20, s16
	s_cbranch_execz .LBB104_127
.LBB104_161:                            ;   in Loop: Header=BB104_12 Depth=1
	s_waitcnt lgkmcnt(3)
	global_store_b16 v[0:1], v5, off offset:256
	s_or_b32 exec_lo, exec_lo, s20
	s_and_saveexec_b32 s20, s17
	s_cbranch_execz .LBB104_128
.LBB104_162:                            ;   in Loop: Header=BB104_12 Depth=1
	s_waitcnt lgkmcnt(2)
	global_store_b16 v[0:1], v4, off offset:320
	s_or_b32 exec_lo, exec_lo, s20
	s_and_saveexec_b32 s20, s18
	s_cbranch_execz .LBB104_129
.LBB104_163:                            ;   in Loop: Header=BB104_12 Depth=1
	s_waitcnt lgkmcnt(1)
	global_store_b16 v[0:1], v3, off offset:384
	s_or_b32 exec_lo, exec_lo, s20
	s_and_saveexec_b32 s20, s19
	s_cbranch_execnz .LBB104_130
	s_branch .LBB104_131
.LBB104_164:                            ;   in Loop: Header=BB104_12 Depth=1
	ds_load_u16 v9, v20
	s_waitcnt lgkmcnt(0)
	global_store_b16 v[0:1], v9, off
	s_or_b32 exec_lo, exec_lo, s20
	s_and_saveexec_b32 s12, s13
	s_cbranch_execz .LBB104_149
.LBB104_165:                            ;   in Loop: Header=BB104_12 Depth=1
	s_waitcnt lgkmcnt(6)
	global_store_b16 v[0:1], v8, off offset:64
	s_or_b32 exec_lo, exec_lo, s12
	s_and_saveexec_b32 s12, s14
	s_cbranch_execz .LBB104_150
.LBB104_166:                            ;   in Loop: Header=BB104_12 Depth=1
	s_waitcnt lgkmcnt(5)
	global_store_b16 v[0:1], v7, off offset:128
	s_or_b32 exec_lo, exec_lo, s12
	s_and_saveexec_b32 s12, s15
	s_cbranch_execz .LBB104_151
.LBB104_167:                            ;   in Loop: Header=BB104_12 Depth=1
	s_waitcnt lgkmcnt(4)
	global_store_b16 v[0:1], v6, off offset:192
	s_or_b32 exec_lo, exec_lo, s12
	s_and_saveexec_b32 s12, s16
	s_cbranch_execz .LBB104_152
.LBB104_168:                            ;   in Loop: Header=BB104_12 Depth=1
	s_waitcnt lgkmcnt(3)
	global_store_b16 v[0:1], v5, off offset:256
	s_or_b32 exec_lo, exec_lo, s12
	s_and_saveexec_b32 s12, s17
	s_cbranch_execz .LBB104_153
.LBB104_169:                            ;   in Loop: Header=BB104_12 Depth=1
	s_waitcnt lgkmcnt(2)
	global_store_b16 v[0:1], v4, off offset:320
	s_or_b32 exec_lo, exec_lo, s12
	s_and_saveexec_b32 s12, s18
	s_cbranch_execz .LBB104_154
.LBB104_170:                            ;   in Loop: Header=BB104_12 Depth=1
	s_waitcnt lgkmcnt(1)
	global_store_b16 v[0:1], v3, off offset:384
	s_or_b32 exec_lo, exec_lo, s12
	s_and_saveexec_b32 s12, s19
	s_cbranch_execz .LBB104_11
.LBB104_171:                            ;   in Loop: Header=BB104_12 Depth=1
	s_waitcnt lgkmcnt(0)
	global_store_b16 v[0:1], v2, off offset:448
	s_branch .LBB104_11
.LBB104_172:
	s_nop 0
	s_sendmsg sendmsg(MSG_DEALLOC_VGPRS)
	s_endpgm
	.section	.rodata,"a",@progbits
	.p2align	6, 0x0
	.amdhsa_kernel _Z25selective_scan_fwd_kernelI32Selective_Scan_fwd_kernel_traitsILi64ELi8ELi1ELb1ELb1ELb1ELb1ELb1EN3c104HalfEffEEv13SSMParamsBase
		.amdhsa_group_segment_fixed_size 0
		.amdhsa_private_segment_fixed_size 0
		.amdhsa_kernarg_size 248
		.amdhsa_user_sgpr_count 14
		.amdhsa_user_sgpr_dispatch_ptr 0
		.amdhsa_user_sgpr_queue_ptr 0
		.amdhsa_user_sgpr_kernarg_segment_ptr 1
		.amdhsa_user_sgpr_dispatch_id 0
		.amdhsa_user_sgpr_private_segment_size 0
		.amdhsa_wavefront_size32 1
		.amdhsa_uses_dynamic_stack 0
		.amdhsa_enable_private_segment 0
		.amdhsa_system_sgpr_workgroup_id_x 1
		.amdhsa_system_sgpr_workgroup_id_y 1
		.amdhsa_system_sgpr_workgroup_id_z 0
		.amdhsa_system_sgpr_workgroup_info 0
		.amdhsa_system_vgpr_workitem_id 0
		.amdhsa_next_free_vgpr 99
		.amdhsa_next_free_sgpr 76
		.amdhsa_reserve_vcc 1
		.amdhsa_float_round_mode_32 0
		.amdhsa_float_round_mode_16_64 0
		.amdhsa_float_denorm_mode_32 3
		.amdhsa_float_denorm_mode_16_64 3
		.amdhsa_dx10_clamp 1
		.amdhsa_ieee_mode 1
		.amdhsa_fp16_overflow 0
		.amdhsa_workgroup_processor_mode 1
		.amdhsa_memory_ordered 1
		.amdhsa_forward_progress 0
		.amdhsa_shared_vgpr_count 0
		.amdhsa_exception_fp_ieee_invalid_op 0
		.amdhsa_exception_fp_denorm_src 0
		.amdhsa_exception_fp_ieee_div_zero 0
		.amdhsa_exception_fp_ieee_overflow 0
		.amdhsa_exception_fp_ieee_underflow 0
		.amdhsa_exception_fp_ieee_inexact 0
		.amdhsa_exception_int_div_zero 0
	.end_amdhsa_kernel
	.section	.text._Z25selective_scan_fwd_kernelI32Selective_Scan_fwd_kernel_traitsILi64ELi8ELi1ELb1ELb1ELb1ELb1ELb1EN3c104HalfEffEEv13SSMParamsBase,"axG",@progbits,_Z25selective_scan_fwd_kernelI32Selective_Scan_fwd_kernel_traitsILi64ELi8ELi1ELb1ELb1ELb1ELb1ELb1EN3c104HalfEffEEv13SSMParamsBase,comdat
.Lfunc_end104:
	.size	_Z25selective_scan_fwd_kernelI32Selective_Scan_fwd_kernel_traitsILi64ELi8ELi1ELb1ELb1ELb1ELb1ELb1EN3c104HalfEffEEv13SSMParamsBase, .Lfunc_end104-_Z25selective_scan_fwd_kernelI32Selective_Scan_fwd_kernel_traitsILi64ELi8ELi1ELb1ELb1ELb1ELb1ELb1EN3c104HalfEffEEv13SSMParamsBase
                                        ; -- End function
	.section	.AMDGPU.csdata,"",@progbits
; Kernel info:
; codeLenInByte = 14124
; NumSgprs: 78
; NumVgprs: 99
; ScratchSize: 0
; MemoryBound: 0
; FloatMode: 240
; IeeeMode: 1
; LDSByteSize: 0 bytes/workgroup (compile time only)
; SGPRBlocks: 9
; VGPRBlocks: 12
; NumSGPRsForWavesPerEU: 78
; NumVGPRsForWavesPerEU: 99
; Occupancy: 12
; WaveLimiterHint : 1
; COMPUTE_PGM_RSRC2:SCRATCH_EN: 0
; COMPUTE_PGM_RSRC2:USER_SGPR: 14
; COMPUTE_PGM_RSRC2:TRAP_HANDLER: 0
; COMPUTE_PGM_RSRC2:TGID_X_EN: 1
; COMPUTE_PGM_RSRC2:TGID_Y_EN: 1
; COMPUTE_PGM_RSRC2:TGID_Z_EN: 0
; COMPUTE_PGM_RSRC2:TIDIG_COMP_CNT: 0
	.section	.text._Z25selective_scan_fwd_kernelI32Selective_Scan_fwd_kernel_traitsILi64ELi8ELi1ELb1ELb1ELb1ELb1ELb0EN3c104HalfEffEEv13SSMParamsBase,"axG",@progbits,_Z25selective_scan_fwd_kernelI32Selective_Scan_fwd_kernel_traitsILi64ELi8ELi1ELb1ELb1ELb1ELb1ELb0EN3c104HalfEffEEv13SSMParamsBase,comdat
	.protected	_Z25selective_scan_fwd_kernelI32Selective_Scan_fwd_kernel_traitsILi64ELi8ELi1ELb1ELb1ELb1ELb1ELb0EN3c104HalfEffEEv13SSMParamsBase ; -- Begin function _Z25selective_scan_fwd_kernelI32Selective_Scan_fwd_kernel_traitsILi64ELi8ELi1ELb1ELb1ELb1ELb1ELb0EN3c104HalfEffEEv13SSMParamsBase
	.globl	_Z25selective_scan_fwd_kernelI32Selective_Scan_fwd_kernel_traitsILi64ELi8ELi1ELb1ELb1ELb1ELb1ELb0EN3c104HalfEffEEv13SSMParamsBase
	.p2align	8
	.type	_Z25selective_scan_fwd_kernelI32Selective_Scan_fwd_kernel_traitsILi64ELi8ELi1ELb1ELb1ELb1ELb1ELb0EN3c104HalfEffEEv13SSMParamsBase,@function
_Z25selective_scan_fwd_kernelI32Selective_Scan_fwd_kernel_traitsILi64ELi8ELi1ELb1ELb1ELb1ELb1ELb0EN3c104HalfEffEEv13SSMParamsBase: ; @_Z25selective_scan_fwd_kernelI32Selective_Scan_fwd_kernel_traitsILi64ELi8ELi1ELb1ELb1ELb1ELb1ELb0EN3c104HalfEffEEv13SSMParamsBase
; %bb.0:
	s_clause 0x1
	s_load_b32 s9, s[0:1], 0x18
	s_load_b128 s[4:7], s[0:1], 0xe8
	s_mov_b32 s12, s15
	s_mov_b32 s33, 0
	s_waitcnt lgkmcnt(0)
	s_abs_i32 s8, s9
	s_cmp_eq_u64 s[6:7], 0
	v_cvt_f32_u32_e32 v1, s8
	s_delay_alu instid0(VALU_DEP_1) | instskip(SKIP_2) | instid1(VALU_DEP_1)
	v_rcp_iflag_f32_e32 v1, v1
	s_waitcnt_depctr 0xfff
	v_mul_f32_e32 v1, 0x4f7ffffe, v1
	v_cvt_u32_f32_e32 v1, v1
	s_delay_alu instid0(VALU_DEP_1)
	v_readfirstlane_b32 s10, v1
	s_cbranch_scc1 .LBB105_2
; %bb.1:
	v_mov_b32_e32 v1, 0
	s_ashr_i32 s3, s14, 31
	s_add_u32 s2, s6, s14
	s_addc_u32 s3, s7, s3
	global_load_u8 v1, v1, s[2:3]
	s_waitcnt vmcnt(0)
	v_and_b32_e32 v1, 1, v1
	s_delay_alu instid0(VALU_DEP_1)
	v_cmp_eq_u32_e64 s33, 1, v1
.LBB105_2:
	s_load_b64 s[6:7], s[0:1], 0x20
	s_cmp_eq_u64 s[4:5], 0
	s_cbranch_scc1 .LBB105_4
; %bb.3:
	s_ashr_i32 s15, s14, 31
	s_delay_alu instid0(SALU_CYCLE_1) | instskip(NEXT) | instid1(SALU_CYCLE_1)
	s_lshl_b64 s[2:3], s[14:15], 2
	s_add_u32 s2, s4, s2
	s_addc_u32 s3, s5, s3
	s_load_b32 s2, s[2:3], 0x0
	s_waitcnt lgkmcnt(0)
	s_ashr_i32 s3, s2, 31
	s_delay_alu instid0(SALU_CYCLE_1)
	s_cmp_eq_u64 s[6:7], s[2:3]
	s_cbranch_scc0 .LBB105_5
	s_branch .LBB105_64
.LBB105_4:
	s_mov_b32 s2, s14
	s_delay_alu instid0(SALU_CYCLE_1)
	s_ashr_i32 s3, s2, 31
	s_waitcnt lgkmcnt(0)
	s_cmp_eq_u64 s[6:7], s[2:3]
	s_cbranch_scc1 .LBB105_64
.LBB105_5:
	s_clause 0x1
	s_load_b512 s[16:31], s[0:1], 0x88
	s_load_b64 s[34:35], s[0:1], 0x8
	s_mov_b32 s52, 0
	s_mov_b32 s53, 0
	s_waitcnt lgkmcnt(0)
	s_cmp_eq_u64 s[22:23], 0
	s_cbranch_scc1 .LBB105_7
; %bb.6:
	s_ashr_i32 s13, s12, 31
	s_delay_alu instid0(SALU_CYCLE_1) | instskip(NEXT) | instid1(SALU_CYCLE_1)
	s_lshl_b64 s[4:5], s[12:13], 2
	s_add_u32 s4, s22, s4
	s_addc_u32 s5, s23, s5
	s_load_b32 s53, s[4:5], 0x0
.LBB105_7:
	s_cmp_eq_u64 s[28:29], 0
	s_cbranch_scc1 .LBB105_9
; %bb.8:
	s_ashr_i32 s13, s12, 31
	s_delay_alu instid0(SALU_CYCLE_1) | instskip(NEXT) | instid1(SALU_CYCLE_1)
	s_lshl_b64 s[4:5], s[12:13], 2
	s_add_u32 s4, s28, s4
	s_addc_u32 s5, s29, s5
	s_load_b32 s52, s[4:5], 0x0
.LBB105_9:
	s_cmp_lt_i32 s34, 1
	s_cbranch_scc1 .LBB105_64
; %bb.10:
	s_sub_i32 s3, 0, s8
	s_load_b256 s[36:43], s[0:1], 0x4c
	s_mul_i32 s3, s3, s10
	s_abs_i32 s4, s12
	s_mul_hi_u32 s3, s10, s3
	s_ashr_i32 s6, s9, 31
	s_add_i32 s10, s10, s3
	s_ashr_i32 s3, s12, 31
	s_mul_hi_u32 s5, s4, s10
	s_xor_b32 s3, s3, s6
	s_mul_i32 s7, s5, s8
	s_add_i32 s6, s5, 1
	s_sub_i32 s4, s4, s7
	s_load_b256 s[44:51], s[0:1], 0x2c
	s_sub_i32 s7, s4, s8
	s_cmp_ge_u32 s4, s8
	s_mov_b32 s23, 0
	s_cselect_b32 s5, s6, s5
	s_cselect_b32 s4, s7, s4
	s_add_i32 s6, s5, 1
	s_cmp_ge_u32 s4, s8
	s_waitcnt lgkmcnt(0)
	s_mul_i32 s22, s38, s14
	s_cselect_b32 s6, s6, s5
	s_lshl_b64 s[4:5], s[22:23], 1
	s_xor_b32 s6, s6, s3
	s_mul_i32 s22, s39, s12
	s_sub_i32 s3, s6, s3
	s_add_u32 s6, s24, s4
	s_addc_u32 s7, s25, s5
	s_lshl_b64 s[4:5], s[22:23], 1
	s_mul_i32 s22, s40, s14
	s_add_u32 s24, s6, s4
	s_addc_u32 s25, s7, s5
	s_lshl_b64 s[4:5], s[22:23], 1
	s_mul_i32 s22, s41, s12
	;; [unrolled: 4-line block ×3, first 2 shown]
	s_add_u32 s26, s6, s4
	s_load_b64 s[28:29], s[0:1], 0x7c
	s_addc_u32 s27, s7, s5
	s_lshl_b64 s[4:5], s[22:23], 2
	s_mul_i32 s22, s46, s14
	s_add_u32 s44, s16, s4
	s_addc_u32 s46, s17, s5
	s_clause 0x1
	s_load_b128 s[4:7], s[0:1], 0xc8
	s_load_b32 s51, s[0:1], 0x84
	s_lshl_b64 s[8:9], s[22:23], 1
	s_mul_i32 s22, s3, s49
	s_add_u32 s10, s18, s8
	s_addc_u32 s11, s19, s9
	s_lshl_b64 s[8:9], s[22:23], 1
	s_load_b32 s13, s[0:1], 0x28
	s_mul_i32 s22, s50, s14
	s_add_u32 s47, s10, s8
	s_addc_u32 s49, s11, s9
	s_lshl_b64 s[8:9], s[22:23], 1
	s_mul_i32 s22, s3, s37
	s_add_u32 s15, s20, s8
	s_addc_u32 s3, s21, s9
	s_load_b128 s[8:11], s[0:1], 0x6c
	s_lshl_b64 s[16:17], s[22:23], 1
	s_waitcnt lgkmcnt(0)
	s_mul_i32 s22, s2, s28
	s_add_u32 s37, s15, s16
	s_addc_u32 s50, s3, s17
	s_lshl_b64 s[2:3], s[22:23], 2
	s_mul_i32 s22, s29, s12
	s_add_u32 s4, s4, s2
	s_addc_u32 s5, s5, s3
	s_lshl_b64 s[2:3], s[22:23], 2
	s_load_b64 s[16:17], s[0:1], 0xd8
	s_add_u32 s54, s4, s2
	s_addc_u32 s55, s5, s3
	s_add_i32 s2, s34, 0x7ff
	v_lshrrev_b32_e32 v1, 2, v0
	s_lshr_b32 s56, s2, 11
	s_bitcmp1_b32 s13, 0
	v_mov_b32_e32 v22, 0
	s_cselect_b32 s57, -1, 0
	s_cmp_gt_i32 s35, 0
	s_mul_i32 s22, s8, s14
	s_cselect_b32 s58, -1, 0
	s_and_b32 s1, s34, 0x1ff
	v_and_b32_e32 v1, 8, v1
	s_cmp_eq_u32 s1, 0
	v_or_b32_e32 v2, 31, v0
	s_cselect_b32 s59, -1, 0
	s_lshl_b64 s[4:5], s[22:23], 1
	s_add_i32 s60, s56, -1
	s_mul_i32 s22, s9, s12
	s_add_u32 s8, s30, s4
	s_addc_u32 s9, s31, s5
	s_lshl_b64 s[4:5], s[22:23], 1
	s_mul_i32 s22, s10, s14
	s_add_u32 s13, s8, s4
	s_addc_u32 s10, s9, s5
	s_lshl_b64 s[8:9], s[22:23], 1
	s_mul_i32 s22, s11, s12
	s_waitcnt lgkmcnt(0)
	s_add_u32 s15, s16, s8
	s_addc_u32 s11, s17, s9
	s_lshl_b64 s[8:9], s[22:23], 1
	s_mul_i32 s22, s42, s14
	s_add_u32 s15, s15, s8
	s_addc_u32 s11, s11, s9
	s_lshl_b64 s[8:9], s[22:23], 1
	s_mul_i32 s22, s43, s12
	v_add_nc_u32_e32 v24, 0, v1
	v_lshlrev_b32_e32 v1, 4, v0
	s_add_u32 s8, s6, s8
	s_addc_u32 s9, s7, s9
	s_lshl_b64 s[6:7], s[22:23], 1
	v_lshlrev_b32_e32 v23, 3, v0
	s_add_u32 s6, s8, s6
	s_addc_u32 s7, s9, s7
	v_add_co_u32 v28, s6, s6, v1
	v_add_co_u32 v26, s12, s13, v1
	v_add_co_ci_u32_e64 v29, null, s7, 0, s6
	v_add_co_u32 v30, s6, s15, v1
	v_cmp_gt_u32_e64 s0, 64, v0
	v_cmp_eq_u32_e64 s1, v2, v0
	v_cmp_gt_u32_e64 s2, 2, v0
	v_add_nc_u32_e32 v25, 0, v23
	v_cmp_gt_u32_e64 s3, 32, v0
	v_cmp_lt_u32_e64 s4, 31, v0
	v_cmp_eq_u32_e64 s5, 0, v0
	v_add_co_ci_u32_e64 v27, null, s10, 0, s12
	v_add_co_ci_u32_e64 v31, null, s11, 0, s6
	v_or_b32_e32 v32, 1, v23
	v_or_b32_e32 v33, 2, v23
	;; [unrolled: 1-line block ×7, first 2 shown]
	v_lshlrev_b32_e32 v39, 4, v0
	v_mbcnt_lo_u32_b32 v40, -1, 0
	s_mov_b32 s42, 0x3e9b6dac
	s_add_i32 s43, 0, 0x850
	s_mov_b32 s61, 0xbfb8aa3b
	s_mov_b32 s62, 0xb2a5705f
	;; [unrolled: 1-line block ×3, first 2 shown]
                                        ; implicit-def: $vgpr48
                                        ; implicit-def: $vgpr7
                                        ; implicit-def: $vgpr47
                                        ; implicit-def: $vgpr45
                                        ; implicit-def: $vgpr43
                                        ; implicit-def: $vgpr0
                                        ; implicit-def: $vgpr41
                                        ; implicit-def: $vgpr42
                                        ; implicit-def: $vgpr44
                                        ; implicit-def: $vgpr46
                                        ; implicit-def: $vgpr8
	s_branch .LBB105_12
.LBB105_11:                             ;   in Loop: Header=BB105_12 Depth=1
	s_or_b32 exec_lo, exec_lo, s6
	s_waitcnt vmcnt(0)
	v_cvt_f32_f16_e32 v13, v8
	v_lshrrev_b32_e32 v14, 16, v9
	v_lshrrev_b32_e32 v12, 16, v8
	v_cvt_f32_f16_e32 v15, v9
	v_lshrrev_b32_e32 v17, 16, v10
	v_cmp_nlt_f32_e32 vcc_lo, 0x42ce8ed0, v13
	v_cvt_f32_f16_e32 v14, v14
	v_mul_f32_e32 v16, 0xbfb8aa3b, v13
	v_cvt_f32_f16_e32 v12, v12
	v_cvt_f32_f16_e32 v17, v17
	v_cmp_nlt_f32_e64 s7, 0x42ce8ed0, v15
	v_mul_f32_e32 v51, 0xbfb8aa3b, v14
	v_rndne_f32_e32 v20, v16
	v_fma_mix_f32 v21, v8, s61, -v16 op_sel_hi:[1,0,0]
	v_cvt_f32_f16_e32 v19, v10
	v_lshrrev_b32_e32 v52, 16, v11
	v_cmp_ngt_f32_e64 s8, 0xc2b17218, v15
	v_sub_f32_e32 v16, v16, v20
	v_fma_mix_f32 v21, v8, s62, v21 op_sel_hi:[1,0,0]
	v_cvt_i32_f32_e32 v20, v20
	v_cvt_f32_f16_e32 v52, v52
	v_cvt_f32_f16_e32 v53, v11
	s_add_u32 s26, s26, 0x400
	v_add_f32_e32 v16, v16, v21
	v_rndne_f32_e32 v21, v51
	v_mul_f32_e32 v18, 0xbfb8aa3b, v12
	s_addc_u32 s27, s27, 0
	s_add_u32 s24, s24, 0x400
	v_exp_f32_e32 v16, v16
	s_addc_u32 s25, s25, 0
	v_rndne_f32_e32 v49, v18
	v_fma_mix_f32 v50, v8, s61, -v18 op_sel:[1,0,0] op_sel_hi:[1,0,0]
	s_add_u32 s47, s47, 0x400
	s_addc_u32 s49, s49, 0
	s_add_u32 s37, s37, 0x400
	v_sub_f32_e32 v18, v18, v49
	v_fma_mix_f32 v50, v8, s62, v50 op_sel:[1,0,0] op_sel_hi:[1,0,0]
	v_cvt_i32_f32_e32 v49, v49
	s_waitcnt_depctr 0xfff
	v_ldexp_f32 v16, v16, v20
	s_addc_u32 s50, s50, 0
	s_add_i32 s63, s63, 1
	v_add_f32_e32 v18, v18, v50
	v_fma_mix_f32 v50, v9, s61, -v51 op_sel:[1,0,0] op_sel_hi:[1,0,0]
	v_dual_sub_f32 v51, v51, v21 :: v_dual_cndmask_b32 v16, 0, v16
	v_cmp_nlt_f32_e32 vcc_lo, 0x42ce8ed0, v12
	s_delay_alu instid0(VALU_DEP_4) | instskip(NEXT) | instid1(VALU_DEP_3)
	v_exp_f32_e32 v18, v18
	v_fma_mix_f32 v50, v9, s62, v50 op_sel:[1,0,0] op_sel_hi:[1,0,0]
	v_cvt_i32_f32_e32 v21, v21
	s_cmp_eq_u32 s63, s56
	s_barrier
	s_delay_alu instid0(VALU_DEP_2) | instskip(SKIP_3) | instid1(VALU_DEP_1)
	v_add_f32_e32 v50, v51, v50
	buffer_gl0_inv
	v_ldexp_f32 v18, v18, v49
	v_exp_f32_e32 v49, v50
	v_cndmask_b32_e32 v18, 0, v18, vcc_lo
	v_cmp_ngt_f32_e32 vcc_lo, 0xc2b17218, v13
	v_cndmask_b32_e32 v16, 0x7f800000, v16, vcc_lo
	v_cmp_ngt_f32_e32 vcc_lo, 0xc2b17218, v12
	s_waitcnt_depctr 0xfff
	v_ldexp_f32 v21, v49, v21
	v_add_f32_e32 v16, 1.0, v16
	v_cndmask_b32_e32 v18, 0x7f800000, v18, vcc_lo
	v_cmp_nlt_f32_e32 vcc_lo, 0x42ce8ed0, v14
	s_delay_alu instid0(VALU_DEP_3) | instskip(SKIP_4) | instid1(VALU_DEP_4)
	v_div_scale_f32 v49, null, v16, v16, v13
	v_cndmask_b32_e32 v21, 0, v21, vcc_lo
	v_cmp_ngt_f32_e32 vcc_lo, 0xc2b17218, v14
	v_add_f32_e32 v18, 1.0, v18
	v_div_scale_f32 v64, s6, v13, v16, v13
	v_cndmask_b32_e32 v21, 0x7f800000, v21, vcc_lo
	v_mul_f32_e32 v62, 0xbfb8aa3b, v15
	s_delay_alu instid0(VALU_DEP_4) | instskip(NEXT) | instid1(VALU_DEP_3)
	v_div_scale_f32 v68, vcc_lo, v12, v18, v12
	v_add_f32_e32 v21, 1.0, v21
	s_delay_alu instid0(VALU_DEP_3) | instskip(SKIP_1) | instid1(VALU_DEP_3)
	v_rndne_f32_e32 v51, v62
	v_fma_mix_f32 v20, v9, s61, -v62 op_sel_hi:[1,0,0]
	v_div_scale_f32 v65, null, v21, v21, v14
	s_delay_alu instid0(VALU_DEP_3) | instskip(SKIP_1) | instid1(VALU_DEP_4)
	v_sub_f32_e32 v50, v62, v51
	v_div_scale_f32 v62, null, v18, v18, v12
	v_fma_mix_f32 v20, v9, s62, v20 op_sel_hi:[1,0,0]
	v_cvt_i32_f32_e32 v51, v51
	v_rcp_f32_e32 v69, v65
	s_delay_alu instid0(VALU_DEP_3) | instskip(NEXT) | instid1(VALU_DEP_2)
	v_rcp_f32_e32 v63, v62
	v_add_f32_e32 v20, v50, v20
	v_rcp_f32_e32 v50, v49
	s_delay_alu instid0(VALU_DEP_1) | instskip(NEXT) | instid1(TRANS32_DEP_3)
	v_exp_f32_e32 v20, v20
	v_fma_f32 v67, -v62, v63, 1.0
	s_waitcnt_depctr 0xfff
	v_fma_f32 v66, -v49, v50, 1.0
	v_fmac_f32_e32 v63, v67, v63
	v_fma_f32 v67, -v65, v69, 1.0
	v_ldexp_f32 v20, v20, v51
	s_delay_alu instid0(VALU_DEP_4) | instskip(NEXT) | instid1(VALU_DEP_3)
	v_fmac_f32_e32 v50, v66, v50
	v_dual_mul_f32 v66, v68, v63 :: v_dual_fmac_f32 v69, v67, v69
	s_delay_alu instid0(VALU_DEP_3) | instskip(NEXT) | instid1(VALU_DEP_3)
	v_cndmask_b32_e64 v20, 0, v20, s7
	v_mul_f32_e32 v51, v64, v50
	v_div_scale_f32 v72, s7, v14, v21, v14
	s_delay_alu instid0(VALU_DEP_4) | instskip(NEXT) | instid1(VALU_DEP_4)
	v_fma_f32 v71, -v62, v66, v68
	v_cndmask_b32_e64 v20, 0x7f800000, v20, s8
	s_delay_alu instid0(VALU_DEP_4) | instskip(NEXT) | instid1(VALU_DEP_3)
	v_fma_f32 v70, -v49, v51, v64
	v_dual_mul_f32 v67, v72, v69 :: v_dual_fmac_f32 v66, v71, v63
	s_delay_alu instid0(VALU_DEP_2) | instskip(NEXT) | instid1(VALU_DEP_2)
	v_fmac_f32_e32 v51, v70, v50
	v_fma_f32 v62, -v62, v66, v68
	v_mul_f32_e32 v68, 0xbfb8aa3b, v52
	s_delay_alu instid0(VALU_DEP_3) | instskip(SKIP_1) | instid1(VALU_DEP_4)
	v_fma_f32 v49, -v49, v51, v64
	v_fma_f32 v64, -v65, v67, v72
	v_div_fmas_f32 v62, v62, v63, v66
	s_mov_b32 vcc_lo, s6
	s_delay_alu instid0(VALU_DEP_3)
	v_div_fmas_f32 v49, v49, v50, v51
	v_mul_f32_e32 v51, 0xbfb8aa3b, v17
	v_fmac_f32_e32 v67, v64, v69
	v_div_fixup_f32 v18, v62, v18, v12
	v_mul_f32_e32 v12, 0xbfb8aa3b, v19
	v_div_fixup_f32 v13, v49, v16, v13
	v_rndne_f32_e32 v49, v51
	v_fma_mix_f32 v62, v10, s61, -v51 op_sel:[1,0,0] op_sel_hi:[1,0,0]
	v_fma_f32 v16, -v65, v67, v72
	v_rndne_f32_e32 v64, v12
	v_fma_mix_f32 v65, v10, s61, -v12 op_sel_hi:[1,0,0]
	v_sub_f32_e32 v51, v51, v49
	v_fma_mix_f32 v62, v10, s62, v62 op_sel:[1,0,0] op_sel_hi:[1,0,0]
	v_cvt_i32_f32_e32 v49, v49
	v_sub_f32_e32 v12, v12, v64
	v_fma_mix_f32 v65, v10, s62, v65 op_sel_hi:[1,0,0]
	s_mov_b32 vcc_lo, s7
	v_add_f32_e32 v51, v51, v62
	v_rndne_f32_e32 v62, v68
	v_div_fmas_f32 v16, v16, v69, v67
	v_add_f32_e32 v12, v12, v65
	v_fma_mix_f32 v65, v11, s61, -v68 op_sel:[1,0,0] op_sel_hi:[1,0,0]
	v_exp_f32_e32 v51, v51
	v_sub_f32_e32 v67, v68, v62
	v_cvt_i32_f32_e32 v64, v64
	v_exp_f32_e32 v12, v12
	v_fma_mix_f32 v65, v11, s62, v65 op_sel:[1,0,0] op_sel_hi:[1,0,0]
	v_cmp_nlt_f32_e32 vcc_lo, 0x42ce8ed0, v17
	v_cvt_i32_f32_e32 v62, v62
	s_delay_alu instid0(VALU_DEP_3) | instskip(NEXT) | instid1(TRANS32_DEP_2)
	v_add_f32_e32 v65, v67, v65
	v_ldexp_f32 v49, v51, v49
	s_waitcnt_depctr 0xfff
	v_ldexp_f32 v12, v12, v64
	v_exp_f32_e32 v65, v65
	v_cndmask_b32_e32 v49, 0, v49, vcc_lo
	v_cmp_nlt_f32_e32 vcc_lo, 0x42ce8ed0, v19
	s_delay_alu instid0(VALU_DEP_3)
	v_cndmask_b32_e32 v12, 0, v12, vcc_lo
	v_cmp_ngt_f32_e32 vcc_lo, 0xc2b17218, v17
	s_waitcnt_depctr 0xfff
	v_ldexp_f32 v62, v65, v62
	v_cndmask_b32_e32 v49, 0x7f800000, v49, vcc_lo
	v_cmp_ngt_f32_e32 vcc_lo, 0xc2b17218, v19
	s_delay_alu instid0(VALU_DEP_2) | instskip(SKIP_2) | instid1(VALU_DEP_3)
	v_dual_add_f32 v20, 1.0, v20 :: v_dual_add_f32 v49, 1.0, v49
	v_cndmask_b32_e32 v12, 0x7f800000, v12, vcc_lo
	v_cmp_nlt_f32_e32 vcc_lo, 0x42ce8ed0, v52
	v_div_scale_f32 v63, null, v20, v20, v15
	s_delay_alu instid0(VALU_DEP_4) | instskip(SKIP_2) | instid1(VALU_DEP_4)
	v_div_scale_f32 v65, null, v49, v49, v17
	v_cndmask_b32_e32 v62, 0, v62, vcc_lo
	v_cmp_ngt_f32_e32 vcc_lo, 0xc2b17218, v52
	v_rcp_f32_e32 v50, v63
	s_delay_alu instid0(VALU_DEP_2) | instskip(SKIP_1) | instid1(VALU_DEP_2)
	v_cndmask_b32_e32 v62, 0x7f800000, v62, vcc_lo
	v_cmp_nlt_f32_e32 vcc_lo, 0x42ce8ed0, v53
	v_add_f32_e32 v62, 1.0, v62
	s_waitcnt_depctr 0xfff
	v_fma_f32 v66, -v63, v50, 1.0
	v_div_scale_f32 v67, null, v62, v62, v52
	s_delay_alu instid0(VALU_DEP_1) | instskip(SKIP_2) | instid1(VALU_DEP_1)
	v_rcp_f32_e32 v71, v67
	s_waitcnt_depctr 0xfff
	v_fma_f32 v77, -v67, v71, 1.0
	v_dual_fmac_f32 v50, v66, v50 :: v_dual_fmac_f32 v71, v77, v71
	v_div_scale_f32 v77, s8, v52, v62, v52
	s_delay_alu instid0(VALU_DEP_1) | instskip(NEXT) | instid1(VALU_DEP_1)
	v_dual_mul_f32 v66, 0xbfb8aa3b, v53 :: v_dual_mul_f32 v81, v77, v71
	v_rndne_f32_e32 v68, v66
	v_fma_mix_f32 v69, v11, s61, -v66 op_sel_hi:[1,0,0]
	s_delay_alu instid0(VALU_DEP_2) | instskip(NEXT) | instid1(VALU_DEP_2)
	v_sub_f32_e32 v51, v66, v68
	v_fma_mix_f32 v64, v11, s62, v69 op_sel_hi:[1,0,0]
	s_delay_alu instid0(VALU_DEP_1) | instskip(SKIP_1) | instid1(VALU_DEP_2)
	v_add_f32_e32 v51, v51, v64
	v_cvt_i32_f32_e32 v64, v68
	v_exp_f32_e32 v51, v51
	s_waitcnt_depctr 0xfff
	v_ldexp_f32 v51, v51, v64
	s_delay_alu instid0(VALU_DEP_1) | instskip(SKIP_1) | instid1(VALU_DEP_2)
	v_cndmask_b32_e32 v51, 0, v51, vcc_lo
	v_cmp_ngt_f32_e32 vcc_lo, 0xc2b17218, v53
	v_cndmask_b32_e32 v51, 0x7f800000, v51, vcc_lo
	v_div_scale_f32 v68, vcc_lo, v15, v20, v15
	s_delay_alu instid0(VALU_DEP_1) | instskip(NEXT) | instid1(VALU_DEP_1)
	v_dual_add_f32 v51, 1.0, v51 :: v_dual_mul_f32 v72, v68, v50
	v_div_scale_f32 v73, null, v51, v51, v53
	s_delay_alu instid0(VALU_DEP_2) | instskip(NEXT) | instid1(VALU_DEP_2)
	v_fma_f32 v76, -v63, v72, v68
	v_rcp_f32_e32 v75, v73
	s_delay_alu instid0(VALU_DEP_1) | instskip(NEXT) | instid1(VALU_DEP_1)
	v_fmac_f32_e32 v72, v76, v50
	v_fma_f32 v63, -v63, v72, v68
	s_waitcnt_depctr 0xfff
	v_fma_f32 v79, -v73, v75, 1.0
	v_div_fmas_f32 v50, v63, v50, v72
	s_delay_alu instid0(VALU_DEP_2) | instskip(SKIP_2) | instid1(VALU_DEP_3)
	v_dual_fmac_f32 v75, v79, v75 :: v_dual_add_f32 v64, 1.0, v12
	v_rcp_f32_e32 v12, v65
	v_div_scale_f32 v79, s9, v53, v51, v53
	v_div_fixup_f32 v15, v50, v20, v15
	s_delay_alu instid0(VALU_DEP_3) | instskip(NEXT) | instid1(VALU_DEP_3)
	v_div_scale_f32 v66, null, v64, v64, v19
	v_mul_f32_e32 v82, v79, v75
	v_div_fixup_f32 v20, v16, v21, v14
	s_delay_alu instid0(VALU_DEP_3) | instskip(NEXT) | instid1(TRANS32_DEP_2)
	v_rcp_f32_e32 v69, v66
	v_fma_f32 v70, -v65, v12, 1.0
	s_delay_alu instid0(VALU_DEP_1) | instskip(SKIP_1) | instid1(VALU_DEP_1)
	v_fmac_f32_e32 v12, v70, v12
	v_div_scale_f32 v70, s6, v17, v49, v17
	s_mov_b32 vcc_lo, s6
	s_waitcnt_depctr 0xfff
	v_fma_f32 v74, -v66, v69, 1.0
	v_mul_f32_e32 v78, v70, v12
	s_delay_alu instid0(VALU_DEP_2) | instskip(SKIP_1) | instid1(VALU_DEP_3)
	v_fmac_f32_e32 v69, v74, v69
	v_div_scale_f32 v74, s7, v19, v64, v19
	v_fma_f32 v76, -v65, v78, v70
	s_delay_alu instid0(VALU_DEP_2) | instskip(NEXT) | instid1(VALU_DEP_2)
	v_mul_f32_e32 v80, v74, v69
	v_fmac_f32_e32 v78, v76, v12
	v_fma_f32 v76, -v67, v81, v77
	s_delay_alu instid0(VALU_DEP_3) | instskip(NEXT) | instid1(VALU_DEP_3)
	v_fma_f32 v68, -v66, v80, v74
	v_fma_f32 v63, -v65, v78, v70
	;; [unrolled: 1-line block ×3, first 2 shown]
	s_delay_alu instid0(VALU_DEP_4) | instskip(NEXT) | instid1(VALU_DEP_4)
	v_fmac_f32_e32 v81, v76, v71
	v_fmac_f32_e32 v80, v68, v69
	s_delay_alu instid0(VALU_DEP_4) | instskip(NEXT) | instid1(VALU_DEP_4)
	v_div_fmas_f32 v63, v63, v12, v78
	v_fmac_f32_e32 v82, v65, v75
	s_delay_alu instid0(VALU_DEP_4) | instskip(NEXT) | instid1(VALU_DEP_4)
	v_fma_f32 v65, -v67, v81, v77
	v_fma_f32 v12, -v66, v80, v74
	s_mov_b32 vcc_lo, s7
	v_div_fixup_f32 v21, v63, v49, v17
	s_delay_alu instid0(VALU_DEP_2)
	v_div_fmas_f32 v66, v12, v69, v80
	v_fma_f32 v12, -v73, v82, v79
	s_mov_b32 vcc_lo, s8
	v_div_fmas_f32 v65, v65, v71, v81
	s_mov_b32 vcc_lo, s9
	v_div_fixup_f32 v19, v66, v64, v19
	v_div_fmas_f32 v67, v12, v75, v82
	v_fma_mixlo_f16 v12, v61, v13, 0
	v_fma_mixlo_f16 v13, v60, v15, 0
	s_delay_alu instid0(VALU_DEP_4) | instskip(NEXT) | instid1(VALU_DEP_4)
	v_fma_mixlo_f16 v14, v58, v19, 0
	v_div_fixup_f32 v16, v67, v51, v53
	v_div_fixup_f32 v19, v65, v62, v52
	s_delay_alu instid0(VALU_DEP_4)
	v_fma_mixhi_f16 v13, v57, v20, 0
	v_fma_mixhi_f16 v12, v56, v18, 0
	;; [unrolled: 1-line block ×3, first 2 shown]
	v_fma_mixlo_f16 v15, v55, v16, 0
	v_add_co_u32 v16, vcc_lo, v30, s10
	v_add_co_ci_u32_e32 v17, vcc_lo, s11, v31, vcc_lo
	s_delay_alu instid0(VALU_DEP_3)
	v_fma_mixhi_f16 v15, v59, v19, 0
	global_store_b128 v[16:17], v[12:15], off
	s_cbranch_scc1 .LBB105_64
.LBB105_12:                             ; =>This Loop Header: Depth=1
                                        ;     Child Loop BB105_33 Depth 2
	s_waitcnt_vscnt null, 0x0
	s_barrier
	buffer_gl0_inv
	s_and_saveexec_b32 s6, s0
	s_cbranch_execz .LBB105_14
; %bb.13:                               ;   in Loop: Header=BB105_12 Depth=1
	s_clause 0x1
	global_load_b128 v[0:3], v39, s[24:25]
	global_load_b128 v[4:7], v39, s[26:27]
	s_waitcnt vmcnt(1)
	v_lshrrev_b32_e32 v41, 16, v0
	v_lshrrev_b32_e32 v42, 16, v1
	;; [unrolled: 1-line block ×4, first 2 shown]
	s_waitcnt vmcnt(0)
	v_lshrrev_b32_e32 v43, 16, v4
	v_lshrrev_b32_e32 v45, 16, v5
	;; [unrolled: 1-line block ×4, first 2 shown]
.LBB105_14:                             ;   in Loop: Header=BB105_12 Depth=1
	s_or_b32 exec_lo, exec_lo, s6
	v_cvt_f32_f16_e32 v12, v4
	s_delay_alu instid0(VALU_DEP_1) | instskip(NEXT) | instid1(VALU_DEP_1)
	v_add_f32_e32 v49, s52, v12
	v_cmp_ge_f32_e32 vcc_lo, 0x41a00000, v49
	s_and_b32 s6, s57, vcc_lo
	s_delay_alu instid0(SALU_CYCLE_1)
	s_and_saveexec_b32 s7, s6
	s_cbranch_execz .LBB105_16
; %bb.15:                               ;   in Loop: Header=BB105_12 Depth=1
	v_mul_f32_e32 v12, 0x3fb8aa3b, v49
	v_cmp_ngt_f32_e32 vcc_lo, 0xc2ce8ed0, v49
	s_delay_alu instid0(VALU_DEP_2) | instskip(SKIP_1) | instid1(VALU_DEP_2)
	v_rndne_f32_e32 v13, v12
	v_fma_f32 v14, 0x3fb8aa3b, v49, -v12
	v_sub_f32_e32 v12, v12, v13
	s_delay_alu instid0(VALU_DEP_2) | instskip(SKIP_1) | instid1(VALU_DEP_2)
	v_fmac_f32_e32 v14, 0x32a5705f, v49
	v_cvt_i32_f32_e32 v13, v13
	v_add_f32_e32 v12, v12, v14
	s_delay_alu instid0(VALU_DEP_1) | instskip(SKIP_2) | instid1(VALU_DEP_1)
	v_exp_f32_e32 v12, v12
	s_waitcnt_depctr 0xfff
	v_ldexp_f32 v12, v12, v13
	v_cndmask_b32_e32 v12, 0, v12, vcc_lo
	v_cmp_nlt_f32_e32 vcc_lo, 0x42b17218, v49
	s_delay_alu instid0(VALU_DEP_2) | instskip(NEXT) | instid1(VALU_DEP_1)
	v_cndmask_b32_e32 v14, 0x7f800000, v12, vcc_lo
	v_add_f32_e32 v15, 1.0, v14
	s_delay_alu instid0(VALU_DEP_1) | instskip(NEXT) | instid1(VALU_DEP_1)
	v_cvt_f64_f32_e32 v[12:13], v15
	v_frexp_exp_i32_f64_e32 v12, v[12:13]
	v_frexp_mant_f32_e32 v13, v15
	s_delay_alu instid0(VALU_DEP_1) | instskip(SKIP_1) | instid1(VALU_DEP_1)
	v_cmp_gt_f32_e32 vcc_lo, 0x3f2aaaab, v13
	v_add_f32_e32 v13, -1.0, v15
	v_sub_f32_e32 v17, v13, v15
	v_sub_f32_e32 v13, v14, v13
	s_delay_alu instid0(VALU_DEP_2) | instskip(NEXT) | instid1(VALU_DEP_1)
	v_add_f32_e32 v17, 1.0, v17
	v_add_f32_e32 v13, v13, v17
	v_cmp_gt_f32_e64 s6, 0x33800000, v14
	v_subrev_co_ci_u32_e32 v12, vcc_lo, 0, v12, vcc_lo
	v_cmp_eq_f32_e32 vcc_lo, 0x7f800000, v14
	s_delay_alu instid0(VALU_DEP_2) | instskip(SKIP_2) | instid1(VALU_DEP_2)
	v_sub_nc_u32_e32 v16, 0, v12
	v_cvt_f32_i32_e32 v12, v12
	s_or_b32 vcc_lo, s6, vcc_lo
	v_ldexp_f32 v15, v15, v16
	v_ldexp_f32 v13, v13, v16
	s_delay_alu instid0(VALU_DEP_2) | instskip(NEXT) | instid1(VALU_DEP_1)
	v_add_f32_e32 v18, 1.0, v15
	v_dual_add_f32 v16, -1.0, v15 :: v_dual_add_f32 v17, -1.0, v18
	s_delay_alu instid0(VALU_DEP_1) | instskip(NEXT) | instid1(VALU_DEP_2)
	v_add_f32_e32 v19, 1.0, v16
	v_sub_f32_e32 v17, v15, v17
	s_delay_alu instid0(VALU_DEP_2) | instskip(NEXT) | instid1(VALU_DEP_2)
	v_sub_f32_e32 v15, v15, v19
	v_add_f32_e32 v17, v13, v17
	s_delay_alu instid0(VALU_DEP_2) | instskip(NEXT) | instid1(VALU_DEP_2)
	v_add_f32_e32 v13, v13, v15
	v_add_f32_e32 v19, v18, v17
	s_delay_alu instid0(VALU_DEP_2) | instskip(NEXT) | instid1(VALU_DEP_2)
	v_add_f32_e32 v20, v16, v13
	v_rcp_f32_e32 v15, v19
	v_sub_f32_e32 v18, v18, v19
	s_delay_alu instid0(VALU_DEP_1) | instskip(SKIP_2) | instid1(VALU_DEP_1)
	v_dual_sub_f32 v16, v16, v20 :: v_dual_add_f32 v17, v17, v18
	s_waitcnt_depctr 0xfff
	v_mul_f32_e32 v21, v20, v15
	v_mul_f32_e32 v49, v19, v21
	s_delay_alu instid0(VALU_DEP_1) | instskip(NEXT) | instid1(VALU_DEP_1)
	v_fma_f32 v18, v21, v19, -v49
	v_fmac_f32_e32 v18, v21, v17
	s_delay_alu instid0(VALU_DEP_1) | instskip(NEXT) | instid1(VALU_DEP_1)
	v_add_f32_e32 v50, v49, v18
	v_sub_f32_e32 v51, v20, v50
	s_delay_alu instid0(VALU_DEP_1) | instskip(SKIP_1) | instid1(VALU_DEP_2)
	v_dual_sub_f32 v20, v20, v51 :: v_dual_add_f32 v13, v13, v16
	v_sub_f32_e32 v16, v50, v49
	v_sub_f32_e32 v20, v20, v50
	s_delay_alu instid0(VALU_DEP_1) | instskip(NEXT) | instid1(VALU_DEP_1)
	v_dual_sub_f32 v16, v16, v18 :: v_dual_add_f32 v13, v13, v20
	v_add_f32_e32 v13, v16, v13
	s_delay_alu instid0(VALU_DEP_1) | instskip(NEXT) | instid1(VALU_DEP_1)
	v_add_f32_e32 v16, v51, v13
	v_mul_f32_e32 v18, v15, v16
	v_sub_f32_e32 v50, v51, v16
	s_delay_alu instid0(VALU_DEP_2) | instskip(NEXT) | instid1(VALU_DEP_2)
	v_mul_f32_e32 v20, v19, v18
	v_add_f32_e32 v13, v13, v50
	s_delay_alu instid0(VALU_DEP_2) | instskip(NEXT) | instid1(VALU_DEP_1)
	v_fma_f32 v19, v18, v19, -v20
	v_fmac_f32_e32 v19, v18, v17
	s_delay_alu instid0(VALU_DEP_1) | instskip(NEXT) | instid1(VALU_DEP_1)
	v_add_f32_e32 v17, v20, v19
	v_sub_f32_e32 v49, v16, v17
	s_delay_alu instid0(VALU_DEP_1) | instskip(NEXT) | instid1(VALU_DEP_1)
	v_sub_f32_e32 v16, v16, v49
	v_sub_f32_e32 v16, v16, v17
	s_delay_alu instid0(VALU_DEP_1) | instskip(SKIP_2) | instid1(VALU_DEP_1)
	v_add_f32_e32 v13, v13, v16
	v_add_f32_e32 v16, v21, v18
	v_sub_f32_e32 v20, v17, v20
	v_sub_f32_e32 v17, v20, v19
	s_delay_alu instid0(VALU_DEP_1) | instskip(NEXT) | instid1(VALU_DEP_4)
	v_add_f32_e32 v13, v17, v13
	v_sub_f32_e32 v17, v16, v21
	s_delay_alu instid0(VALU_DEP_2) | instskip(NEXT) | instid1(VALU_DEP_2)
	v_add_f32_e32 v13, v49, v13
	v_sub_f32_e32 v17, v18, v17
	s_delay_alu instid0(VALU_DEP_2) | instskip(NEXT) | instid1(VALU_DEP_1)
	v_mul_f32_e32 v13, v15, v13
	v_add_f32_e32 v13, v17, v13
	s_delay_alu instid0(VALU_DEP_1) | instskip(NEXT) | instid1(VALU_DEP_1)
	v_add_f32_e32 v15, v16, v13
	v_mul_f32_e32 v17, v15, v15
	s_delay_alu instid0(VALU_DEP_1) | instskip(SKIP_1) | instid1(VALU_DEP_2)
	v_fmaak_f32 v18, s42, v17, 0x3ecc95a3
	v_mul_f32_e32 v19, v15, v17
	v_fmaak_f32 v17, v17, v18, 0x3f2aaada
	v_ldexp_f32 v18, v15, 1
	s_delay_alu instid0(VALU_DEP_2) | instskip(SKIP_1) | instid1(VALU_DEP_2)
	v_mul_f32_e32 v17, v19, v17
	v_sub_f32_e32 v15, v15, v16
	v_dual_mul_f32 v19, 0x3f317218, v12 :: v_dual_add_f32 v16, v18, v17
	s_delay_alu instid0(VALU_DEP_2) | instskip(NEXT) | instid1(VALU_DEP_2)
	v_sub_f32_e32 v13, v13, v15
	v_sub_f32_e32 v15, v16, v18
	s_delay_alu instid0(VALU_DEP_3) | instskip(NEXT) | instid1(VALU_DEP_3)
	v_fma_f32 v18, 0x3f317218, v12, -v19
	v_ldexp_f32 v13, v13, 1
	s_delay_alu instid0(VALU_DEP_2) | instskip(NEXT) | instid1(VALU_DEP_1)
	v_dual_sub_f32 v15, v17, v15 :: v_dual_fmac_f32 v18, 0xb102e308, v12
	v_dual_add_f32 v12, v13, v15 :: v_dual_add_f32 v13, v19, v18
	s_delay_alu instid0(VALU_DEP_1) | instskip(NEXT) | instid1(VALU_DEP_1)
	v_add_f32_e32 v15, v16, v12
	v_dual_add_f32 v17, v13, v15 :: v_dual_sub_f32 v16, v15, v16
	s_delay_alu instid0(VALU_DEP_1) | instskip(NEXT) | instid1(VALU_DEP_2)
	v_sub_f32_e32 v20, v17, v13
	v_dual_sub_f32 v19, v13, v19 :: v_dual_sub_f32 v12, v12, v16
	s_delay_alu instid0(VALU_DEP_1) | instskip(SKIP_1) | instid1(VALU_DEP_2)
	v_dual_sub_f32 v21, v17, v20 :: v_dual_sub_f32 v18, v18, v19
	v_sub_f32_e32 v15, v15, v20
	v_dual_sub_f32 v13, v13, v21 :: v_dual_add_f32 v16, v18, v12
	s_delay_alu instid0(VALU_DEP_1) | instskip(NEXT) | instid1(VALU_DEP_2)
	v_add_f32_e32 v13, v15, v13
	v_sub_f32_e32 v15, v16, v18
	s_delay_alu instid0(VALU_DEP_2) | instskip(NEXT) | instid1(VALU_DEP_2)
	v_add_f32_e32 v13, v16, v13
	v_sub_f32_e32 v16, v16, v15
	s_delay_alu instid0(VALU_DEP_2) | instskip(NEXT) | instid1(VALU_DEP_1)
	v_dual_sub_f32 v12, v12, v15 :: v_dual_add_f32 v19, v17, v13
	v_dual_sub_f32 v16, v18, v16 :: v_dual_sub_f32 v15, v19, v17
	s_delay_alu instid0(VALU_DEP_1) | instskip(NEXT) | instid1(VALU_DEP_1)
	v_dual_add_f32 v12, v12, v16 :: v_dual_sub_f32 v13, v13, v15
	v_add_f32_e32 v12, v12, v13
	s_delay_alu instid0(VALU_DEP_1) | instskip(NEXT) | instid1(VALU_DEP_1)
	v_add_f32_e32 v12, v19, v12
	v_cndmask_b32_e32 v49, v12, v14, vcc_lo
.LBB105_16:                             ;   in Loop: Header=BB105_12 Depth=1
	s_or_b32 exec_lo, exec_lo, s7
	v_cvt_f32_f16_e32 v12, v43
	s_delay_alu instid0(VALU_DEP_1) | instskip(NEXT) | instid1(VALU_DEP_1)
	v_add_f32_e32 v50, s52, v12
	v_cmp_ge_f32_e32 vcc_lo, 0x41a00000, v50
	s_and_b32 s6, s57, vcc_lo
	s_delay_alu instid0(SALU_CYCLE_1)
	s_and_saveexec_b32 s7, s6
	s_cbranch_execz .LBB105_18
; %bb.17:                               ;   in Loop: Header=BB105_12 Depth=1
	v_mul_f32_e32 v12, 0x3fb8aa3b, v50
	v_cmp_ngt_f32_e32 vcc_lo, 0xc2ce8ed0, v50
	s_delay_alu instid0(VALU_DEP_2) | instskip(SKIP_1) | instid1(VALU_DEP_2)
	v_rndne_f32_e32 v13, v12
	v_fma_f32 v14, 0x3fb8aa3b, v50, -v12
	v_sub_f32_e32 v12, v12, v13
	s_delay_alu instid0(VALU_DEP_2) | instskip(SKIP_1) | instid1(VALU_DEP_2)
	v_fmac_f32_e32 v14, 0x32a5705f, v50
	v_cvt_i32_f32_e32 v13, v13
	v_add_f32_e32 v12, v12, v14
	s_delay_alu instid0(VALU_DEP_1) | instskip(SKIP_2) | instid1(VALU_DEP_1)
	v_exp_f32_e32 v12, v12
	s_waitcnt_depctr 0xfff
	v_ldexp_f32 v12, v12, v13
	v_cndmask_b32_e32 v12, 0, v12, vcc_lo
	v_cmp_nlt_f32_e32 vcc_lo, 0x42b17218, v50
	s_delay_alu instid0(VALU_DEP_2) | instskip(NEXT) | instid1(VALU_DEP_1)
	v_cndmask_b32_e32 v14, 0x7f800000, v12, vcc_lo
	v_add_f32_e32 v15, 1.0, v14
	s_delay_alu instid0(VALU_DEP_1) | instskip(NEXT) | instid1(VALU_DEP_1)
	v_cvt_f64_f32_e32 v[12:13], v15
	v_frexp_exp_i32_f64_e32 v12, v[12:13]
	v_frexp_mant_f32_e32 v13, v15
	s_delay_alu instid0(VALU_DEP_1) | instskip(SKIP_1) | instid1(VALU_DEP_1)
	v_cmp_gt_f32_e32 vcc_lo, 0x3f2aaaab, v13
	v_add_f32_e32 v13, -1.0, v15
	v_sub_f32_e32 v17, v13, v15
	v_sub_f32_e32 v13, v14, v13
	s_delay_alu instid0(VALU_DEP_2) | instskip(NEXT) | instid1(VALU_DEP_1)
	v_add_f32_e32 v17, 1.0, v17
	v_add_f32_e32 v13, v13, v17
	v_cmp_gt_f32_e64 s6, 0x33800000, v14
	v_subrev_co_ci_u32_e32 v12, vcc_lo, 0, v12, vcc_lo
	v_cmp_eq_f32_e32 vcc_lo, 0x7f800000, v14
	s_delay_alu instid0(VALU_DEP_2) | instskip(SKIP_2) | instid1(VALU_DEP_2)
	v_sub_nc_u32_e32 v16, 0, v12
	v_cvt_f32_i32_e32 v12, v12
	s_or_b32 vcc_lo, s6, vcc_lo
	v_ldexp_f32 v15, v15, v16
	v_ldexp_f32 v13, v13, v16
	s_delay_alu instid0(VALU_DEP_2) | instskip(NEXT) | instid1(VALU_DEP_1)
	v_add_f32_e32 v18, 1.0, v15
	v_dual_add_f32 v16, -1.0, v15 :: v_dual_add_f32 v17, -1.0, v18
	s_delay_alu instid0(VALU_DEP_1) | instskip(NEXT) | instid1(VALU_DEP_2)
	v_add_f32_e32 v19, 1.0, v16
	v_sub_f32_e32 v17, v15, v17
	s_delay_alu instid0(VALU_DEP_2) | instskip(NEXT) | instid1(VALU_DEP_2)
	v_sub_f32_e32 v15, v15, v19
	v_add_f32_e32 v17, v13, v17
	s_delay_alu instid0(VALU_DEP_2) | instskip(NEXT) | instid1(VALU_DEP_1)
	v_add_f32_e32 v13, v13, v15
	v_add_f32_e32 v20, v16, v13
	s_delay_alu instid0(VALU_DEP_1) | instskip(NEXT) | instid1(VALU_DEP_1)
	v_dual_add_f32 v19, v18, v17 :: v_dual_sub_f32 v16, v16, v20
	v_rcp_f32_e32 v15, v19
	v_sub_f32_e32 v18, v18, v19
	s_delay_alu instid0(VALU_DEP_1) | instskip(SKIP_2) | instid1(VALU_DEP_1)
	v_add_f32_e32 v17, v17, v18
	s_waitcnt_depctr 0xfff
	v_mul_f32_e32 v21, v20, v15
	v_mul_f32_e32 v50, v19, v21
	s_delay_alu instid0(VALU_DEP_1) | instskip(NEXT) | instid1(VALU_DEP_1)
	v_fma_f32 v18, v21, v19, -v50
	v_fmac_f32_e32 v18, v21, v17
	s_delay_alu instid0(VALU_DEP_1) | instskip(NEXT) | instid1(VALU_DEP_1)
	v_add_f32_e32 v51, v50, v18
	v_sub_f32_e32 v52, v20, v51
	s_delay_alu instid0(VALU_DEP_1) | instskip(SKIP_1) | instid1(VALU_DEP_2)
	v_sub_f32_e32 v20, v20, v52
	v_dual_add_f32 v13, v13, v16 :: v_dual_sub_f32 v16, v51, v50
	v_sub_f32_e32 v20, v20, v51
	s_delay_alu instid0(VALU_DEP_1) | instskip(NEXT) | instid1(VALU_DEP_1)
	v_dual_sub_f32 v16, v16, v18 :: v_dual_add_f32 v13, v13, v20
	v_add_f32_e32 v13, v16, v13
	s_delay_alu instid0(VALU_DEP_1) | instskip(NEXT) | instid1(VALU_DEP_1)
	v_add_f32_e32 v16, v52, v13
	v_mul_f32_e32 v18, v15, v16
	s_delay_alu instid0(VALU_DEP_1) | instskip(NEXT) | instid1(VALU_DEP_1)
	v_dual_sub_f32 v51, v52, v16 :: v_dual_mul_f32 v20, v19, v18
	v_add_f32_e32 v13, v13, v51
	s_delay_alu instid0(VALU_DEP_2) | instskip(NEXT) | instid1(VALU_DEP_1)
	v_fma_f32 v19, v18, v19, -v20
	v_fmac_f32_e32 v19, v18, v17
	s_delay_alu instid0(VALU_DEP_1) | instskip(NEXT) | instid1(VALU_DEP_1)
	v_add_f32_e32 v17, v20, v19
	v_sub_f32_e32 v50, v16, v17
	s_delay_alu instid0(VALU_DEP_1) | instskip(NEXT) | instid1(VALU_DEP_1)
	v_sub_f32_e32 v16, v16, v50
	v_sub_f32_e32 v16, v16, v17
	s_delay_alu instid0(VALU_DEP_1) | instskip(SKIP_2) | instid1(VALU_DEP_1)
	v_add_f32_e32 v13, v13, v16
	v_add_f32_e32 v16, v21, v18
	v_sub_f32_e32 v20, v17, v20
	v_sub_f32_e32 v17, v20, v19
	s_delay_alu instid0(VALU_DEP_1) | instskip(NEXT) | instid1(VALU_DEP_4)
	v_add_f32_e32 v13, v17, v13
	v_sub_f32_e32 v17, v16, v21
	s_delay_alu instid0(VALU_DEP_2) | instskip(NEXT) | instid1(VALU_DEP_2)
	v_add_f32_e32 v13, v50, v13
	v_sub_f32_e32 v17, v18, v17
	s_delay_alu instid0(VALU_DEP_2) | instskip(NEXT) | instid1(VALU_DEP_1)
	v_mul_f32_e32 v13, v15, v13
	v_add_f32_e32 v13, v17, v13
	s_delay_alu instid0(VALU_DEP_1) | instskip(NEXT) | instid1(VALU_DEP_1)
	v_add_f32_e32 v15, v16, v13
	v_mul_f32_e32 v17, v15, v15
	s_delay_alu instid0(VALU_DEP_1) | instskip(SKIP_1) | instid1(VALU_DEP_2)
	v_fmaak_f32 v18, s42, v17, 0x3ecc95a3
	v_mul_f32_e32 v19, v15, v17
	v_fmaak_f32 v17, v17, v18, 0x3f2aaada
	v_ldexp_f32 v18, v15, 1
	s_delay_alu instid0(VALU_DEP_2) | instskip(SKIP_1) | instid1(VALU_DEP_2)
	v_mul_f32_e32 v17, v19, v17
	v_sub_f32_e32 v15, v15, v16
	v_dual_mul_f32 v19, 0x3f317218, v12 :: v_dual_add_f32 v16, v18, v17
	s_delay_alu instid0(VALU_DEP_2) | instskip(NEXT) | instid1(VALU_DEP_2)
	v_sub_f32_e32 v13, v13, v15
	v_sub_f32_e32 v15, v16, v18
	s_delay_alu instid0(VALU_DEP_3) | instskip(NEXT) | instid1(VALU_DEP_3)
	v_fma_f32 v18, 0x3f317218, v12, -v19
	v_ldexp_f32 v13, v13, 1
	s_delay_alu instid0(VALU_DEP_2) | instskip(NEXT) | instid1(VALU_DEP_1)
	v_dual_sub_f32 v15, v17, v15 :: v_dual_fmac_f32 v18, 0xb102e308, v12
	v_dual_add_f32 v12, v13, v15 :: v_dual_add_f32 v13, v19, v18
	s_delay_alu instid0(VALU_DEP_1) | instskip(NEXT) | instid1(VALU_DEP_1)
	v_add_f32_e32 v15, v16, v12
	v_dual_add_f32 v17, v13, v15 :: v_dual_sub_f32 v16, v15, v16
	s_delay_alu instid0(VALU_DEP_1) | instskip(NEXT) | instid1(VALU_DEP_2)
	v_sub_f32_e32 v20, v17, v13
	v_dual_sub_f32 v19, v13, v19 :: v_dual_sub_f32 v12, v12, v16
	s_delay_alu instid0(VALU_DEP_1) | instskip(SKIP_1) | instid1(VALU_DEP_2)
	v_dual_sub_f32 v21, v17, v20 :: v_dual_sub_f32 v18, v18, v19
	v_sub_f32_e32 v15, v15, v20
	v_dual_sub_f32 v13, v13, v21 :: v_dual_add_f32 v16, v18, v12
	s_delay_alu instid0(VALU_DEP_1) | instskip(NEXT) | instid1(VALU_DEP_2)
	v_add_f32_e32 v13, v15, v13
	v_sub_f32_e32 v15, v16, v18
	s_delay_alu instid0(VALU_DEP_2) | instskip(NEXT) | instid1(VALU_DEP_2)
	v_add_f32_e32 v13, v16, v13
	v_sub_f32_e32 v16, v16, v15
	s_delay_alu instid0(VALU_DEP_2) | instskip(NEXT) | instid1(VALU_DEP_1)
	v_dual_sub_f32 v12, v12, v15 :: v_dual_add_f32 v19, v17, v13
	v_dual_sub_f32 v16, v18, v16 :: v_dual_sub_f32 v15, v19, v17
	s_delay_alu instid0(VALU_DEP_1) | instskip(NEXT) | instid1(VALU_DEP_1)
	v_dual_add_f32 v12, v12, v16 :: v_dual_sub_f32 v13, v13, v15
	v_add_f32_e32 v12, v12, v13
	s_delay_alu instid0(VALU_DEP_1) | instskip(NEXT) | instid1(VALU_DEP_1)
	v_add_f32_e32 v12, v19, v12
	v_cndmask_b32_e32 v50, v12, v14, vcc_lo
.LBB105_18:                             ;   in Loop: Header=BB105_12 Depth=1
	s_or_b32 exec_lo, exec_lo, s7
	v_cvt_f32_f16_e32 v12, v5
	s_delay_alu instid0(VALU_DEP_1) | instskip(NEXT) | instid1(VALU_DEP_1)
	v_add_f32_e32 v51, s52, v12
	v_cmp_ge_f32_e32 vcc_lo, 0x41a00000, v51
	s_and_b32 s6, s57, vcc_lo
	s_delay_alu instid0(SALU_CYCLE_1)
	s_and_saveexec_b32 s7, s6
	s_cbranch_execz .LBB105_20
; %bb.19:                               ;   in Loop: Header=BB105_12 Depth=1
	v_mul_f32_e32 v12, 0x3fb8aa3b, v51
	v_cmp_ngt_f32_e32 vcc_lo, 0xc2ce8ed0, v51
	s_delay_alu instid0(VALU_DEP_2) | instskip(SKIP_1) | instid1(VALU_DEP_2)
	v_rndne_f32_e32 v13, v12
	v_fma_f32 v14, 0x3fb8aa3b, v51, -v12
	v_sub_f32_e32 v12, v12, v13
	s_delay_alu instid0(VALU_DEP_2) | instskip(SKIP_1) | instid1(VALU_DEP_2)
	v_fmac_f32_e32 v14, 0x32a5705f, v51
	v_cvt_i32_f32_e32 v13, v13
	v_add_f32_e32 v12, v12, v14
	s_delay_alu instid0(VALU_DEP_1) | instskip(SKIP_2) | instid1(VALU_DEP_1)
	v_exp_f32_e32 v12, v12
	s_waitcnt_depctr 0xfff
	v_ldexp_f32 v12, v12, v13
	v_cndmask_b32_e32 v12, 0, v12, vcc_lo
	v_cmp_nlt_f32_e32 vcc_lo, 0x42b17218, v51
	s_delay_alu instid0(VALU_DEP_2) | instskip(NEXT) | instid1(VALU_DEP_1)
	v_cndmask_b32_e32 v14, 0x7f800000, v12, vcc_lo
	v_add_f32_e32 v15, 1.0, v14
	s_delay_alu instid0(VALU_DEP_1) | instskip(NEXT) | instid1(VALU_DEP_1)
	v_cvt_f64_f32_e32 v[12:13], v15
	v_frexp_exp_i32_f64_e32 v12, v[12:13]
	v_frexp_mant_f32_e32 v13, v15
	s_delay_alu instid0(VALU_DEP_1) | instskip(SKIP_1) | instid1(VALU_DEP_1)
	v_cmp_gt_f32_e32 vcc_lo, 0x3f2aaaab, v13
	v_add_f32_e32 v13, -1.0, v15
	v_sub_f32_e32 v17, v13, v15
	v_sub_f32_e32 v13, v14, v13
	s_delay_alu instid0(VALU_DEP_2) | instskip(NEXT) | instid1(VALU_DEP_1)
	v_add_f32_e32 v17, 1.0, v17
	v_add_f32_e32 v13, v13, v17
	v_cmp_gt_f32_e64 s6, 0x33800000, v14
	v_subrev_co_ci_u32_e32 v12, vcc_lo, 0, v12, vcc_lo
	v_cmp_eq_f32_e32 vcc_lo, 0x7f800000, v14
	s_delay_alu instid0(VALU_DEP_2) | instskip(SKIP_2) | instid1(VALU_DEP_2)
	v_sub_nc_u32_e32 v16, 0, v12
	v_cvt_f32_i32_e32 v12, v12
	s_or_b32 vcc_lo, s6, vcc_lo
	v_ldexp_f32 v15, v15, v16
	v_ldexp_f32 v13, v13, v16
	s_delay_alu instid0(VALU_DEP_2) | instskip(NEXT) | instid1(VALU_DEP_1)
	v_add_f32_e32 v18, 1.0, v15
	v_dual_add_f32 v16, -1.0, v15 :: v_dual_add_f32 v17, -1.0, v18
	s_delay_alu instid0(VALU_DEP_1) | instskip(NEXT) | instid1(VALU_DEP_2)
	v_add_f32_e32 v19, 1.0, v16
	v_sub_f32_e32 v17, v15, v17
	s_delay_alu instid0(VALU_DEP_2) | instskip(NEXT) | instid1(VALU_DEP_2)
	v_sub_f32_e32 v15, v15, v19
	v_add_f32_e32 v17, v13, v17
	s_delay_alu instid0(VALU_DEP_2) | instskip(NEXT) | instid1(VALU_DEP_2)
	v_add_f32_e32 v13, v13, v15
	v_add_f32_e32 v19, v18, v17
	s_delay_alu instid0(VALU_DEP_2) | instskip(NEXT) | instid1(VALU_DEP_2)
	v_add_f32_e32 v20, v16, v13
	v_rcp_f32_e32 v15, v19
	v_sub_f32_e32 v18, v18, v19
	s_delay_alu instid0(VALU_DEP_1) | instskip(SKIP_2) | instid1(VALU_DEP_1)
	v_dual_sub_f32 v16, v16, v20 :: v_dual_add_f32 v17, v17, v18
	s_waitcnt_depctr 0xfff
	v_mul_f32_e32 v21, v20, v15
	v_mul_f32_e32 v51, v19, v21
	s_delay_alu instid0(VALU_DEP_1) | instskip(NEXT) | instid1(VALU_DEP_1)
	v_fma_f32 v18, v21, v19, -v51
	v_fmac_f32_e32 v18, v21, v17
	s_delay_alu instid0(VALU_DEP_1) | instskip(NEXT) | instid1(VALU_DEP_1)
	v_add_f32_e32 v52, v51, v18
	v_sub_f32_e32 v53, v20, v52
	s_delay_alu instid0(VALU_DEP_1) | instskip(NEXT) | instid1(VALU_DEP_1)
	v_sub_f32_e32 v20, v20, v53
	v_sub_f32_e32 v20, v20, v52
	v_dual_add_f32 v13, v13, v16 :: v_dual_sub_f32 v16, v52, v51
	s_delay_alu instid0(VALU_DEP_1) | instskip(NEXT) | instid1(VALU_DEP_1)
	v_dual_add_f32 v13, v13, v20 :: v_dual_sub_f32 v16, v16, v18
	v_add_f32_e32 v13, v16, v13
	s_delay_alu instid0(VALU_DEP_1) | instskip(NEXT) | instid1(VALU_DEP_1)
	v_add_f32_e32 v16, v53, v13
	v_mul_f32_e32 v18, v15, v16
	s_delay_alu instid0(VALU_DEP_1) | instskip(SKIP_1) | instid1(VALU_DEP_2)
	v_mul_f32_e32 v20, v19, v18
	v_sub_f32_e32 v52, v53, v16
	v_fma_f32 v19, v18, v19, -v20
	s_delay_alu instid0(VALU_DEP_2) | instskip(NEXT) | instid1(VALU_DEP_2)
	v_add_f32_e32 v13, v13, v52
	v_fmac_f32_e32 v19, v18, v17
	s_delay_alu instid0(VALU_DEP_1) | instskip(NEXT) | instid1(VALU_DEP_1)
	v_add_f32_e32 v17, v20, v19
	v_sub_f32_e32 v51, v16, v17
	s_delay_alu instid0(VALU_DEP_1) | instskip(NEXT) | instid1(VALU_DEP_1)
	v_sub_f32_e32 v16, v16, v51
	v_sub_f32_e32 v16, v16, v17
	s_delay_alu instid0(VALU_DEP_1) | instskip(SKIP_2) | instid1(VALU_DEP_1)
	v_add_f32_e32 v13, v13, v16
	v_add_f32_e32 v16, v21, v18
	v_sub_f32_e32 v20, v17, v20
	v_sub_f32_e32 v17, v20, v19
	s_delay_alu instid0(VALU_DEP_1) | instskip(NEXT) | instid1(VALU_DEP_4)
	v_add_f32_e32 v13, v17, v13
	v_sub_f32_e32 v17, v16, v21
	s_delay_alu instid0(VALU_DEP_2) | instskip(NEXT) | instid1(VALU_DEP_2)
	v_add_f32_e32 v13, v51, v13
	v_sub_f32_e32 v17, v18, v17
	s_delay_alu instid0(VALU_DEP_2) | instskip(NEXT) | instid1(VALU_DEP_1)
	v_mul_f32_e32 v13, v15, v13
	v_add_f32_e32 v13, v17, v13
	s_delay_alu instid0(VALU_DEP_1) | instskip(NEXT) | instid1(VALU_DEP_1)
	v_add_f32_e32 v15, v16, v13
	v_mul_f32_e32 v17, v15, v15
	s_delay_alu instid0(VALU_DEP_1) | instskip(SKIP_1) | instid1(VALU_DEP_2)
	v_fmaak_f32 v18, s42, v17, 0x3ecc95a3
	v_mul_f32_e32 v19, v15, v17
	v_fmaak_f32 v17, v17, v18, 0x3f2aaada
	v_ldexp_f32 v18, v15, 1
	s_delay_alu instid0(VALU_DEP_2) | instskip(SKIP_1) | instid1(VALU_DEP_2)
	v_mul_f32_e32 v17, v19, v17
	v_sub_f32_e32 v15, v15, v16
	v_dual_mul_f32 v19, 0x3f317218, v12 :: v_dual_add_f32 v16, v18, v17
	s_delay_alu instid0(VALU_DEP_2) | instskip(NEXT) | instid1(VALU_DEP_2)
	v_sub_f32_e32 v13, v13, v15
	v_sub_f32_e32 v15, v16, v18
	s_delay_alu instid0(VALU_DEP_3) | instskip(NEXT) | instid1(VALU_DEP_3)
	v_fma_f32 v18, 0x3f317218, v12, -v19
	v_ldexp_f32 v13, v13, 1
	s_delay_alu instid0(VALU_DEP_2) | instskip(NEXT) | instid1(VALU_DEP_1)
	v_dual_sub_f32 v15, v17, v15 :: v_dual_fmac_f32 v18, 0xb102e308, v12
	v_dual_add_f32 v12, v13, v15 :: v_dual_add_f32 v13, v19, v18
	s_delay_alu instid0(VALU_DEP_1) | instskip(NEXT) | instid1(VALU_DEP_1)
	v_add_f32_e32 v15, v16, v12
	v_dual_add_f32 v17, v13, v15 :: v_dual_sub_f32 v16, v15, v16
	s_delay_alu instid0(VALU_DEP_1) | instskip(NEXT) | instid1(VALU_DEP_2)
	v_sub_f32_e32 v20, v17, v13
	v_dual_sub_f32 v19, v13, v19 :: v_dual_sub_f32 v12, v12, v16
	s_delay_alu instid0(VALU_DEP_1) | instskip(SKIP_1) | instid1(VALU_DEP_2)
	v_dual_sub_f32 v21, v17, v20 :: v_dual_sub_f32 v18, v18, v19
	v_sub_f32_e32 v15, v15, v20
	v_dual_sub_f32 v13, v13, v21 :: v_dual_add_f32 v16, v18, v12
	s_delay_alu instid0(VALU_DEP_1) | instskip(NEXT) | instid1(VALU_DEP_2)
	v_add_f32_e32 v13, v15, v13
	v_sub_f32_e32 v15, v16, v18
	s_delay_alu instid0(VALU_DEP_2) | instskip(NEXT) | instid1(VALU_DEP_2)
	v_add_f32_e32 v13, v16, v13
	v_sub_f32_e32 v16, v16, v15
	s_delay_alu instid0(VALU_DEP_2) | instskip(NEXT) | instid1(VALU_DEP_1)
	v_dual_sub_f32 v12, v12, v15 :: v_dual_add_f32 v19, v17, v13
	v_dual_sub_f32 v16, v18, v16 :: v_dual_sub_f32 v15, v19, v17
	s_delay_alu instid0(VALU_DEP_1) | instskip(NEXT) | instid1(VALU_DEP_1)
	v_dual_add_f32 v12, v12, v16 :: v_dual_sub_f32 v13, v13, v15
	v_add_f32_e32 v12, v12, v13
	s_delay_alu instid0(VALU_DEP_1) | instskip(NEXT) | instid1(VALU_DEP_1)
	v_add_f32_e32 v12, v19, v12
	v_cndmask_b32_e32 v51, v12, v14, vcc_lo
.LBB105_20:                             ;   in Loop: Header=BB105_12 Depth=1
	s_or_b32 exec_lo, exec_lo, s7
	v_cvt_f32_f16_e32 v12, v45
	s_delay_alu instid0(VALU_DEP_1) | instskip(NEXT) | instid1(VALU_DEP_1)
	v_add_f32_e32 v52, s52, v12
	v_cmp_ge_f32_e32 vcc_lo, 0x41a00000, v52
	s_and_b32 s6, s57, vcc_lo
	s_delay_alu instid0(SALU_CYCLE_1)
	s_and_saveexec_b32 s7, s6
	s_cbranch_execz .LBB105_22
; %bb.21:                               ;   in Loop: Header=BB105_12 Depth=1
	v_mul_f32_e32 v12, 0x3fb8aa3b, v52
	v_cmp_ngt_f32_e32 vcc_lo, 0xc2ce8ed0, v52
	s_delay_alu instid0(VALU_DEP_2) | instskip(SKIP_1) | instid1(VALU_DEP_2)
	v_rndne_f32_e32 v13, v12
	v_fma_f32 v14, 0x3fb8aa3b, v52, -v12
	v_sub_f32_e32 v12, v12, v13
	s_delay_alu instid0(VALU_DEP_2) | instskip(SKIP_1) | instid1(VALU_DEP_2)
	v_fmac_f32_e32 v14, 0x32a5705f, v52
	v_cvt_i32_f32_e32 v13, v13
	v_add_f32_e32 v12, v12, v14
	s_delay_alu instid0(VALU_DEP_1) | instskip(SKIP_2) | instid1(VALU_DEP_1)
	v_exp_f32_e32 v12, v12
	s_waitcnt_depctr 0xfff
	v_ldexp_f32 v12, v12, v13
	v_cndmask_b32_e32 v12, 0, v12, vcc_lo
	v_cmp_nlt_f32_e32 vcc_lo, 0x42b17218, v52
	s_delay_alu instid0(VALU_DEP_2) | instskip(NEXT) | instid1(VALU_DEP_1)
	v_cndmask_b32_e32 v14, 0x7f800000, v12, vcc_lo
	v_add_f32_e32 v15, 1.0, v14
	s_delay_alu instid0(VALU_DEP_1) | instskip(NEXT) | instid1(VALU_DEP_1)
	v_cvt_f64_f32_e32 v[12:13], v15
	v_frexp_exp_i32_f64_e32 v12, v[12:13]
	v_frexp_mant_f32_e32 v13, v15
	s_delay_alu instid0(VALU_DEP_1) | instskip(SKIP_1) | instid1(VALU_DEP_1)
	v_cmp_gt_f32_e32 vcc_lo, 0x3f2aaaab, v13
	v_add_f32_e32 v13, -1.0, v15
	v_sub_f32_e32 v17, v13, v15
	v_sub_f32_e32 v13, v14, v13
	s_delay_alu instid0(VALU_DEP_2) | instskip(NEXT) | instid1(VALU_DEP_1)
	v_add_f32_e32 v17, 1.0, v17
	v_add_f32_e32 v13, v13, v17
	v_cmp_gt_f32_e64 s6, 0x33800000, v14
	v_subrev_co_ci_u32_e32 v12, vcc_lo, 0, v12, vcc_lo
	v_cmp_eq_f32_e32 vcc_lo, 0x7f800000, v14
	s_delay_alu instid0(VALU_DEP_2) | instskip(SKIP_2) | instid1(VALU_DEP_2)
	v_sub_nc_u32_e32 v16, 0, v12
	v_cvt_f32_i32_e32 v12, v12
	s_or_b32 vcc_lo, s6, vcc_lo
	v_ldexp_f32 v15, v15, v16
	v_ldexp_f32 v13, v13, v16
	s_delay_alu instid0(VALU_DEP_2) | instskip(NEXT) | instid1(VALU_DEP_1)
	v_add_f32_e32 v18, 1.0, v15
	v_dual_add_f32 v16, -1.0, v15 :: v_dual_add_f32 v17, -1.0, v18
	s_delay_alu instid0(VALU_DEP_1) | instskip(NEXT) | instid1(VALU_DEP_2)
	v_add_f32_e32 v19, 1.0, v16
	v_sub_f32_e32 v17, v15, v17
	s_delay_alu instid0(VALU_DEP_2) | instskip(NEXT) | instid1(VALU_DEP_2)
	v_sub_f32_e32 v15, v15, v19
	v_add_f32_e32 v17, v13, v17
	s_delay_alu instid0(VALU_DEP_2) | instskip(NEXT) | instid1(VALU_DEP_1)
	v_add_f32_e32 v13, v13, v15
	v_add_f32_e32 v20, v16, v13
	s_delay_alu instid0(VALU_DEP_1) | instskip(NEXT) | instid1(VALU_DEP_1)
	v_dual_add_f32 v19, v18, v17 :: v_dual_sub_f32 v16, v16, v20
	v_rcp_f32_e32 v15, v19
	v_sub_f32_e32 v18, v18, v19
	s_delay_alu instid0(VALU_DEP_1) | instskip(SKIP_2) | instid1(VALU_DEP_1)
	v_add_f32_e32 v17, v17, v18
	s_waitcnt_depctr 0xfff
	v_mul_f32_e32 v21, v20, v15
	v_dual_mul_f32 v52, v19, v21 :: v_dual_add_f32 v13, v13, v16
	s_delay_alu instid0(VALU_DEP_1) | instskip(NEXT) | instid1(VALU_DEP_1)
	v_fma_f32 v18, v21, v19, -v52
	v_fmac_f32_e32 v18, v21, v17
	s_delay_alu instid0(VALU_DEP_1) | instskip(NEXT) | instid1(VALU_DEP_1)
	v_add_f32_e32 v53, v52, v18
	v_sub_f32_e32 v54, v20, v53
	v_sub_f32_e32 v16, v53, v52
	s_delay_alu instid0(VALU_DEP_2) | instskip(NEXT) | instid1(VALU_DEP_1)
	v_sub_f32_e32 v20, v20, v54
	v_sub_f32_e32 v20, v20, v53
	s_delay_alu instid0(VALU_DEP_1) | instskip(NEXT) | instid1(VALU_DEP_1)
	v_dual_sub_f32 v16, v16, v18 :: v_dual_add_f32 v13, v13, v20
	v_add_f32_e32 v13, v16, v13
	s_delay_alu instid0(VALU_DEP_1) | instskip(NEXT) | instid1(VALU_DEP_1)
	v_add_f32_e32 v16, v54, v13
	v_mul_f32_e32 v18, v15, v16
	s_delay_alu instid0(VALU_DEP_1) | instskip(NEXT) | instid1(VALU_DEP_1)
	v_dual_sub_f32 v53, v54, v16 :: v_dual_mul_f32 v20, v19, v18
	v_add_f32_e32 v13, v13, v53
	s_delay_alu instid0(VALU_DEP_2) | instskip(NEXT) | instid1(VALU_DEP_1)
	v_fma_f32 v19, v18, v19, -v20
	v_fmac_f32_e32 v19, v18, v17
	s_delay_alu instid0(VALU_DEP_1) | instskip(NEXT) | instid1(VALU_DEP_1)
	v_add_f32_e32 v17, v20, v19
	v_sub_f32_e32 v52, v16, v17
	s_delay_alu instid0(VALU_DEP_1) | instskip(NEXT) | instid1(VALU_DEP_1)
	v_sub_f32_e32 v16, v16, v52
	v_sub_f32_e32 v16, v16, v17
	s_delay_alu instid0(VALU_DEP_1) | instskip(SKIP_2) | instid1(VALU_DEP_1)
	v_add_f32_e32 v13, v13, v16
	v_add_f32_e32 v16, v21, v18
	v_sub_f32_e32 v20, v17, v20
	v_sub_f32_e32 v17, v20, v19
	s_delay_alu instid0(VALU_DEP_1) | instskip(NEXT) | instid1(VALU_DEP_4)
	v_add_f32_e32 v13, v17, v13
	v_sub_f32_e32 v17, v16, v21
	s_delay_alu instid0(VALU_DEP_2) | instskip(NEXT) | instid1(VALU_DEP_2)
	v_add_f32_e32 v13, v52, v13
	v_sub_f32_e32 v17, v18, v17
	s_delay_alu instid0(VALU_DEP_2) | instskip(NEXT) | instid1(VALU_DEP_1)
	v_mul_f32_e32 v13, v15, v13
	v_add_f32_e32 v13, v17, v13
	s_delay_alu instid0(VALU_DEP_1) | instskip(NEXT) | instid1(VALU_DEP_1)
	v_add_f32_e32 v15, v16, v13
	v_mul_f32_e32 v17, v15, v15
	s_delay_alu instid0(VALU_DEP_1) | instskip(SKIP_1) | instid1(VALU_DEP_2)
	v_fmaak_f32 v18, s42, v17, 0x3ecc95a3
	v_mul_f32_e32 v19, v15, v17
	v_fmaak_f32 v17, v17, v18, 0x3f2aaada
	v_ldexp_f32 v18, v15, 1
	v_sub_f32_e32 v15, v15, v16
	s_delay_alu instid0(VALU_DEP_3) | instskip(SKIP_1) | instid1(VALU_DEP_2)
	v_mul_f32_e32 v17, v19, v17
	v_mul_f32_e32 v19, 0x3f317218, v12
	v_dual_sub_f32 v13, v13, v15 :: v_dual_add_f32 v16, v18, v17
	s_delay_alu instid0(VALU_DEP_1) | instskip(NEXT) | instid1(VALU_DEP_2)
	v_ldexp_f32 v13, v13, 1
	v_sub_f32_e32 v15, v16, v18
	s_delay_alu instid0(VALU_DEP_4) | instskip(NEXT) | instid1(VALU_DEP_1)
	v_fma_f32 v18, 0x3f317218, v12, -v19
	v_dual_sub_f32 v15, v17, v15 :: v_dual_fmac_f32 v18, 0xb102e308, v12
	s_delay_alu instid0(VALU_DEP_1) | instskip(NEXT) | instid1(VALU_DEP_1)
	v_dual_add_f32 v12, v13, v15 :: v_dual_add_f32 v13, v19, v18
	v_add_f32_e32 v15, v16, v12
	s_delay_alu instid0(VALU_DEP_2) | instskip(NEXT) | instid1(VALU_DEP_2)
	v_sub_f32_e32 v19, v13, v19
	v_dual_add_f32 v17, v13, v15 :: v_dual_sub_f32 v16, v15, v16
	s_delay_alu instid0(VALU_DEP_2) | instskip(NEXT) | instid1(VALU_DEP_2)
	v_sub_f32_e32 v18, v18, v19
	v_sub_f32_e32 v20, v17, v13
	s_delay_alu instid0(VALU_DEP_3) | instskip(NEXT) | instid1(VALU_DEP_2)
	v_sub_f32_e32 v12, v12, v16
	v_sub_f32_e32 v21, v17, v20
	v_sub_f32_e32 v15, v15, v20
	s_delay_alu instid0(VALU_DEP_2) | instskip(NEXT) | instid1(VALU_DEP_1)
	v_dual_add_f32 v16, v18, v12 :: v_dual_sub_f32 v13, v13, v21
	v_add_f32_e32 v13, v15, v13
	s_delay_alu instid0(VALU_DEP_2) | instskip(NEXT) | instid1(VALU_DEP_2)
	v_sub_f32_e32 v15, v16, v18
	v_add_f32_e32 v13, v16, v13
	s_delay_alu instid0(VALU_DEP_2) | instskip(NEXT) | instid1(VALU_DEP_2)
	v_sub_f32_e32 v16, v16, v15
	v_dual_sub_f32 v12, v12, v15 :: v_dual_add_f32 v19, v17, v13
	s_delay_alu instid0(VALU_DEP_1) | instskip(NEXT) | instid1(VALU_DEP_1)
	v_dual_sub_f32 v16, v18, v16 :: v_dual_sub_f32 v15, v19, v17
	v_dual_add_f32 v12, v12, v16 :: v_dual_sub_f32 v13, v13, v15
	s_delay_alu instid0(VALU_DEP_1) | instskip(NEXT) | instid1(VALU_DEP_1)
	v_add_f32_e32 v12, v12, v13
	v_add_f32_e32 v12, v19, v12
	s_delay_alu instid0(VALU_DEP_1)
	v_cndmask_b32_e32 v52, v12, v14, vcc_lo
.LBB105_22:                             ;   in Loop: Header=BB105_12 Depth=1
	s_or_b32 exec_lo, exec_lo, s7
	v_cvt_f32_f16_e32 v12, v6
	s_delay_alu instid0(VALU_DEP_1) | instskip(NEXT) | instid1(VALU_DEP_1)
	v_add_f32_e32 v53, s52, v12
	v_cmp_ge_f32_e32 vcc_lo, 0x41a00000, v53
	s_and_b32 s6, s57, vcc_lo
	s_delay_alu instid0(SALU_CYCLE_1)
	s_and_saveexec_b32 s7, s6
	s_cbranch_execz .LBB105_24
; %bb.23:                               ;   in Loop: Header=BB105_12 Depth=1
	v_mul_f32_e32 v12, 0x3fb8aa3b, v53
	v_cmp_ngt_f32_e32 vcc_lo, 0xc2ce8ed0, v53
	s_delay_alu instid0(VALU_DEP_2) | instskip(SKIP_1) | instid1(VALU_DEP_2)
	v_rndne_f32_e32 v13, v12
	v_fma_f32 v14, 0x3fb8aa3b, v53, -v12
	v_sub_f32_e32 v12, v12, v13
	s_delay_alu instid0(VALU_DEP_2) | instskip(SKIP_1) | instid1(VALU_DEP_2)
	v_fmac_f32_e32 v14, 0x32a5705f, v53
	v_cvt_i32_f32_e32 v13, v13
	v_add_f32_e32 v12, v12, v14
	s_delay_alu instid0(VALU_DEP_1) | instskip(SKIP_2) | instid1(VALU_DEP_1)
	v_exp_f32_e32 v12, v12
	s_waitcnt_depctr 0xfff
	v_ldexp_f32 v12, v12, v13
	v_cndmask_b32_e32 v12, 0, v12, vcc_lo
	v_cmp_nlt_f32_e32 vcc_lo, 0x42b17218, v53
	s_delay_alu instid0(VALU_DEP_2) | instskip(NEXT) | instid1(VALU_DEP_1)
	v_cndmask_b32_e32 v14, 0x7f800000, v12, vcc_lo
	v_add_f32_e32 v15, 1.0, v14
	s_delay_alu instid0(VALU_DEP_1) | instskip(NEXT) | instid1(VALU_DEP_1)
	v_cvt_f64_f32_e32 v[12:13], v15
	v_frexp_exp_i32_f64_e32 v12, v[12:13]
	v_frexp_mant_f32_e32 v13, v15
	s_delay_alu instid0(VALU_DEP_1) | instskip(SKIP_1) | instid1(VALU_DEP_1)
	v_cmp_gt_f32_e32 vcc_lo, 0x3f2aaaab, v13
	v_add_f32_e32 v13, -1.0, v15
	v_sub_f32_e32 v17, v13, v15
	v_sub_f32_e32 v13, v14, v13
	s_delay_alu instid0(VALU_DEP_2) | instskip(NEXT) | instid1(VALU_DEP_1)
	v_add_f32_e32 v17, 1.0, v17
	v_add_f32_e32 v13, v13, v17
	v_cmp_gt_f32_e64 s6, 0x33800000, v14
	v_subrev_co_ci_u32_e32 v12, vcc_lo, 0, v12, vcc_lo
	v_cmp_eq_f32_e32 vcc_lo, 0x7f800000, v14
	s_delay_alu instid0(VALU_DEP_2) | instskip(SKIP_2) | instid1(VALU_DEP_2)
	v_sub_nc_u32_e32 v16, 0, v12
	v_cvt_f32_i32_e32 v12, v12
	s_or_b32 vcc_lo, s6, vcc_lo
	v_ldexp_f32 v15, v15, v16
	v_ldexp_f32 v13, v13, v16
	s_delay_alu instid0(VALU_DEP_2) | instskip(NEXT) | instid1(VALU_DEP_1)
	v_add_f32_e32 v18, 1.0, v15
	v_dual_add_f32 v16, -1.0, v15 :: v_dual_add_f32 v17, -1.0, v18
	s_delay_alu instid0(VALU_DEP_1) | instskip(NEXT) | instid1(VALU_DEP_2)
	v_add_f32_e32 v19, 1.0, v16
	v_sub_f32_e32 v17, v15, v17
	s_delay_alu instid0(VALU_DEP_2) | instskip(NEXT) | instid1(VALU_DEP_2)
	v_sub_f32_e32 v15, v15, v19
	v_add_f32_e32 v17, v13, v17
	s_delay_alu instid0(VALU_DEP_2) | instskip(NEXT) | instid1(VALU_DEP_2)
	v_add_f32_e32 v13, v13, v15
	v_add_f32_e32 v19, v18, v17
	s_delay_alu instid0(VALU_DEP_2) | instskip(NEXT) | instid1(VALU_DEP_2)
	v_add_f32_e32 v20, v16, v13
	v_rcp_f32_e32 v15, v19
	v_sub_f32_e32 v18, v18, v19
	s_delay_alu instid0(VALU_DEP_1) | instskip(SKIP_2) | instid1(VALU_DEP_1)
	v_dual_sub_f32 v16, v16, v20 :: v_dual_add_f32 v17, v17, v18
	s_waitcnt_depctr 0xfff
	v_mul_f32_e32 v21, v20, v15
	v_mul_f32_e32 v53, v19, v21
	s_delay_alu instid0(VALU_DEP_1) | instskip(NEXT) | instid1(VALU_DEP_1)
	v_fma_f32 v18, v21, v19, -v53
	v_fmac_f32_e32 v18, v21, v17
	s_delay_alu instid0(VALU_DEP_1) | instskip(NEXT) | instid1(VALU_DEP_1)
	v_add_f32_e32 v54, v53, v18
	v_sub_f32_e32 v55, v20, v54
	s_delay_alu instid0(VALU_DEP_1) | instskip(SKIP_1) | instid1(VALU_DEP_2)
	v_dual_sub_f32 v20, v20, v55 :: v_dual_add_f32 v13, v13, v16
	v_sub_f32_e32 v16, v54, v53
	v_sub_f32_e32 v20, v20, v54
	s_delay_alu instid0(VALU_DEP_1) | instskip(NEXT) | instid1(VALU_DEP_1)
	v_dual_sub_f32 v16, v16, v18 :: v_dual_add_f32 v13, v13, v20
	v_add_f32_e32 v13, v16, v13
	s_delay_alu instid0(VALU_DEP_1) | instskip(NEXT) | instid1(VALU_DEP_1)
	v_add_f32_e32 v16, v55, v13
	v_mul_f32_e32 v18, v15, v16
	v_sub_f32_e32 v54, v55, v16
	s_delay_alu instid0(VALU_DEP_2) | instskip(NEXT) | instid1(VALU_DEP_2)
	v_mul_f32_e32 v20, v19, v18
	v_add_f32_e32 v13, v13, v54
	s_delay_alu instid0(VALU_DEP_2) | instskip(NEXT) | instid1(VALU_DEP_1)
	v_fma_f32 v19, v18, v19, -v20
	v_fmac_f32_e32 v19, v18, v17
	s_delay_alu instid0(VALU_DEP_1) | instskip(NEXT) | instid1(VALU_DEP_1)
	v_add_f32_e32 v17, v20, v19
	v_sub_f32_e32 v53, v16, v17
	s_delay_alu instid0(VALU_DEP_1) | instskip(NEXT) | instid1(VALU_DEP_1)
	v_sub_f32_e32 v16, v16, v53
	v_sub_f32_e32 v16, v16, v17
	s_delay_alu instid0(VALU_DEP_1) | instskip(SKIP_2) | instid1(VALU_DEP_1)
	v_add_f32_e32 v13, v13, v16
	v_add_f32_e32 v16, v21, v18
	v_sub_f32_e32 v20, v17, v20
	v_sub_f32_e32 v17, v20, v19
	s_delay_alu instid0(VALU_DEP_1) | instskip(NEXT) | instid1(VALU_DEP_4)
	v_add_f32_e32 v13, v17, v13
	v_sub_f32_e32 v17, v16, v21
	s_delay_alu instid0(VALU_DEP_2) | instskip(NEXT) | instid1(VALU_DEP_2)
	v_add_f32_e32 v13, v53, v13
	v_sub_f32_e32 v17, v18, v17
	s_delay_alu instid0(VALU_DEP_2) | instskip(NEXT) | instid1(VALU_DEP_1)
	v_mul_f32_e32 v13, v15, v13
	v_add_f32_e32 v13, v17, v13
	s_delay_alu instid0(VALU_DEP_1) | instskip(NEXT) | instid1(VALU_DEP_1)
	v_add_f32_e32 v15, v16, v13
	v_mul_f32_e32 v17, v15, v15
	s_delay_alu instid0(VALU_DEP_1) | instskip(SKIP_1) | instid1(VALU_DEP_2)
	v_fmaak_f32 v18, s42, v17, 0x3ecc95a3
	v_mul_f32_e32 v19, v15, v17
	v_fmaak_f32 v17, v17, v18, 0x3f2aaada
	v_ldexp_f32 v18, v15, 1
	s_delay_alu instid0(VALU_DEP_2) | instskip(SKIP_1) | instid1(VALU_DEP_2)
	v_mul_f32_e32 v17, v19, v17
	v_sub_f32_e32 v15, v15, v16
	v_dual_mul_f32 v19, 0x3f317218, v12 :: v_dual_add_f32 v16, v18, v17
	s_delay_alu instid0(VALU_DEP_2) | instskip(NEXT) | instid1(VALU_DEP_2)
	v_sub_f32_e32 v13, v13, v15
	v_sub_f32_e32 v15, v16, v18
	s_delay_alu instid0(VALU_DEP_3) | instskip(NEXT) | instid1(VALU_DEP_3)
	v_fma_f32 v18, 0x3f317218, v12, -v19
	v_ldexp_f32 v13, v13, 1
	s_delay_alu instid0(VALU_DEP_2) | instskip(NEXT) | instid1(VALU_DEP_1)
	v_dual_sub_f32 v15, v17, v15 :: v_dual_fmac_f32 v18, 0xb102e308, v12
	v_dual_add_f32 v12, v13, v15 :: v_dual_add_f32 v13, v19, v18
	s_delay_alu instid0(VALU_DEP_1) | instskip(NEXT) | instid1(VALU_DEP_1)
	v_add_f32_e32 v15, v16, v12
	v_dual_add_f32 v17, v13, v15 :: v_dual_sub_f32 v16, v15, v16
	s_delay_alu instid0(VALU_DEP_1) | instskip(NEXT) | instid1(VALU_DEP_2)
	v_sub_f32_e32 v20, v17, v13
	v_dual_sub_f32 v19, v13, v19 :: v_dual_sub_f32 v12, v12, v16
	s_delay_alu instid0(VALU_DEP_1) | instskip(SKIP_1) | instid1(VALU_DEP_2)
	v_dual_sub_f32 v21, v17, v20 :: v_dual_sub_f32 v18, v18, v19
	v_sub_f32_e32 v15, v15, v20
	v_dual_sub_f32 v13, v13, v21 :: v_dual_add_f32 v16, v18, v12
	s_delay_alu instid0(VALU_DEP_1) | instskip(NEXT) | instid1(VALU_DEP_2)
	v_add_f32_e32 v13, v15, v13
	v_sub_f32_e32 v15, v16, v18
	s_delay_alu instid0(VALU_DEP_2) | instskip(NEXT) | instid1(VALU_DEP_2)
	v_add_f32_e32 v13, v16, v13
	v_sub_f32_e32 v16, v16, v15
	s_delay_alu instid0(VALU_DEP_2) | instskip(NEXT) | instid1(VALU_DEP_1)
	v_dual_sub_f32 v12, v12, v15 :: v_dual_add_f32 v19, v17, v13
	v_dual_sub_f32 v16, v18, v16 :: v_dual_sub_f32 v15, v19, v17
	s_delay_alu instid0(VALU_DEP_1) | instskip(NEXT) | instid1(VALU_DEP_1)
	v_dual_add_f32 v12, v12, v16 :: v_dual_sub_f32 v13, v13, v15
	v_add_f32_e32 v12, v12, v13
	s_delay_alu instid0(VALU_DEP_1) | instskip(NEXT) | instid1(VALU_DEP_1)
	v_add_f32_e32 v12, v19, v12
	v_cndmask_b32_e32 v53, v12, v14, vcc_lo
.LBB105_24:                             ;   in Loop: Header=BB105_12 Depth=1
	s_or_b32 exec_lo, exec_lo, s7
	v_cvt_f32_f16_e32 v12, v47
	s_delay_alu instid0(VALU_DEP_1) | instskip(NEXT) | instid1(VALU_DEP_1)
	v_add_f32_e32 v62, s52, v12
	v_cmp_ge_f32_e32 vcc_lo, 0x41a00000, v62
	s_and_b32 s6, s57, vcc_lo
	s_delay_alu instid0(SALU_CYCLE_1)
	s_and_saveexec_b32 s7, s6
	s_cbranch_execz .LBB105_26
; %bb.25:                               ;   in Loop: Header=BB105_12 Depth=1
	v_mul_f32_e32 v12, 0x3fb8aa3b, v62
	v_cmp_ngt_f32_e32 vcc_lo, 0xc2ce8ed0, v62
	s_delay_alu instid0(VALU_DEP_2) | instskip(SKIP_1) | instid1(VALU_DEP_2)
	v_rndne_f32_e32 v13, v12
	v_fma_f32 v14, 0x3fb8aa3b, v62, -v12
	v_sub_f32_e32 v12, v12, v13
	s_delay_alu instid0(VALU_DEP_2) | instskip(SKIP_1) | instid1(VALU_DEP_2)
	v_fmac_f32_e32 v14, 0x32a5705f, v62
	v_cvt_i32_f32_e32 v13, v13
	v_add_f32_e32 v12, v12, v14
	s_delay_alu instid0(VALU_DEP_1) | instskip(SKIP_2) | instid1(VALU_DEP_1)
	v_exp_f32_e32 v12, v12
	s_waitcnt_depctr 0xfff
	v_ldexp_f32 v12, v12, v13
	v_cndmask_b32_e32 v12, 0, v12, vcc_lo
	v_cmp_nlt_f32_e32 vcc_lo, 0x42b17218, v62
	s_delay_alu instid0(VALU_DEP_2) | instskip(NEXT) | instid1(VALU_DEP_1)
	v_cndmask_b32_e32 v14, 0x7f800000, v12, vcc_lo
	v_add_f32_e32 v15, 1.0, v14
	s_delay_alu instid0(VALU_DEP_1) | instskip(NEXT) | instid1(VALU_DEP_1)
	v_cvt_f64_f32_e32 v[12:13], v15
	v_frexp_exp_i32_f64_e32 v12, v[12:13]
	v_frexp_mant_f32_e32 v13, v15
	s_delay_alu instid0(VALU_DEP_1) | instskip(SKIP_1) | instid1(VALU_DEP_1)
	v_cmp_gt_f32_e32 vcc_lo, 0x3f2aaaab, v13
	v_add_f32_e32 v13, -1.0, v15
	v_sub_f32_e32 v17, v13, v15
	v_sub_f32_e32 v13, v14, v13
	s_delay_alu instid0(VALU_DEP_2) | instskip(NEXT) | instid1(VALU_DEP_1)
	v_add_f32_e32 v17, 1.0, v17
	v_add_f32_e32 v13, v13, v17
	v_cmp_gt_f32_e64 s6, 0x33800000, v14
	v_subrev_co_ci_u32_e32 v12, vcc_lo, 0, v12, vcc_lo
	v_cmp_eq_f32_e32 vcc_lo, 0x7f800000, v14
	s_delay_alu instid0(VALU_DEP_2) | instskip(SKIP_2) | instid1(VALU_DEP_2)
	v_sub_nc_u32_e32 v16, 0, v12
	v_cvt_f32_i32_e32 v12, v12
	s_or_b32 vcc_lo, s6, vcc_lo
	v_ldexp_f32 v15, v15, v16
	v_ldexp_f32 v13, v13, v16
	s_delay_alu instid0(VALU_DEP_2) | instskip(NEXT) | instid1(VALU_DEP_1)
	v_add_f32_e32 v18, 1.0, v15
	v_dual_add_f32 v16, -1.0, v15 :: v_dual_add_f32 v17, -1.0, v18
	s_delay_alu instid0(VALU_DEP_1) | instskip(NEXT) | instid1(VALU_DEP_2)
	v_add_f32_e32 v19, 1.0, v16
	v_sub_f32_e32 v17, v15, v17
	s_delay_alu instid0(VALU_DEP_2) | instskip(NEXT) | instid1(VALU_DEP_2)
	v_sub_f32_e32 v15, v15, v19
	v_add_f32_e32 v17, v13, v17
	s_delay_alu instid0(VALU_DEP_2) | instskip(NEXT) | instid1(VALU_DEP_1)
	v_add_f32_e32 v13, v13, v15
	v_add_f32_e32 v20, v16, v13
	s_delay_alu instid0(VALU_DEP_1) | instskip(NEXT) | instid1(VALU_DEP_1)
	v_dual_add_f32 v19, v18, v17 :: v_dual_sub_f32 v16, v16, v20
	v_rcp_f32_e32 v15, v19
	v_sub_f32_e32 v18, v18, v19
	s_delay_alu instid0(VALU_DEP_1) | instskip(SKIP_2) | instid1(VALU_DEP_1)
	v_add_f32_e32 v17, v17, v18
	s_waitcnt_depctr 0xfff
	v_mul_f32_e32 v21, v20, v15
	v_mul_f32_e32 v54, v19, v21
	s_delay_alu instid0(VALU_DEP_1) | instskip(NEXT) | instid1(VALU_DEP_1)
	v_fma_f32 v18, v21, v19, -v54
	v_fmac_f32_e32 v18, v21, v17
	s_delay_alu instid0(VALU_DEP_1) | instskip(NEXT) | instid1(VALU_DEP_1)
	v_add_f32_e32 v55, v54, v18
	v_sub_f32_e32 v56, v20, v55
	s_delay_alu instid0(VALU_DEP_1) | instskip(SKIP_1) | instid1(VALU_DEP_2)
	v_sub_f32_e32 v20, v20, v56
	v_dual_add_f32 v13, v13, v16 :: v_dual_sub_f32 v16, v55, v54
	v_sub_f32_e32 v20, v20, v55
	s_delay_alu instid0(VALU_DEP_1) | instskip(NEXT) | instid1(VALU_DEP_1)
	v_dual_sub_f32 v16, v16, v18 :: v_dual_add_f32 v13, v13, v20
	v_add_f32_e32 v13, v16, v13
	s_delay_alu instid0(VALU_DEP_1) | instskip(NEXT) | instid1(VALU_DEP_1)
	v_add_f32_e32 v16, v56, v13
	v_mul_f32_e32 v18, v15, v16
	s_delay_alu instid0(VALU_DEP_1) | instskip(NEXT) | instid1(VALU_DEP_1)
	v_dual_sub_f32 v55, v56, v16 :: v_dual_mul_f32 v20, v19, v18
	v_add_f32_e32 v13, v13, v55
	s_delay_alu instid0(VALU_DEP_2) | instskip(NEXT) | instid1(VALU_DEP_1)
	v_fma_f32 v19, v18, v19, -v20
	v_fmac_f32_e32 v19, v18, v17
	s_delay_alu instid0(VALU_DEP_1) | instskip(NEXT) | instid1(VALU_DEP_1)
	v_add_f32_e32 v17, v20, v19
	v_sub_f32_e32 v54, v16, v17
	s_delay_alu instid0(VALU_DEP_1) | instskip(NEXT) | instid1(VALU_DEP_1)
	v_sub_f32_e32 v16, v16, v54
	v_sub_f32_e32 v16, v16, v17
	s_delay_alu instid0(VALU_DEP_1) | instskip(SKIP_2) | instid1(VALU_DEP_1)
	v_add_f32_e32 v13, v13, v16
	v_add_f32_e32 v16, v21, v18
	v_sub_f32_e32 v20, v17, v20
	v_sub_f32_e32 v17, v20, v19
	s_delay_alu instid0(VALU_DEP_1) | instskip(NEXT) | instid1(VALU_DEP_4)
	v_add_f32_e32 v13, v17, v13
	v_sub_f32_e32 v17, v16, v21
	s_delay_alu instid0(VALU_DEP_2) | instskip(NEXT) | instid1(VALU_DEP_2)
	v_add_f32_e32 v13, v54, v13
	v_sub_f32_e32 v17, v18, v17
	s_delay_alu instid0(VALU_DEP_2) | instskip(NEXT) | instid1(VALU_DEP_1)
	v_mul_f32_e32 v13, v15, v13
	v_add_f32_e32 v13, v17, v13
	s_delay_alu instid0(VALU_DEP_1) | instskip(NEXT) | instid1(VALU_DEP_1)
	v_add_f32_e32 v15, v16, v13
	v_mul_f32_e32 v17, v15, v15
	s_delay_alu instid0(VALU_DEP_1) | instskip(SKIP_1) | instid1(VALU_DEP_2)
	v_fmaak_f32 v18, s42, v17, 0x3ecc95a3
	v_mul_f32_e32 v19, v15, v17
	v_fmaak_f32 v17, v17, v18, 0x3f2aaada
	v_ldexp_f32 v18, v15, 1
	s_delay_alu instid0(VALU_DEP_2) | instskip(SKIP_1) | instid1(VALU_DEP_2)
	v_mul_f32_e32 v17, v19, v17
	v_sub_f32_e32 v15, v15, v16
	v_dual_mul_f32 v19, 0x3f317218, v12 :: v_dual_add_f32 v16, v18, v17
	s_delay_alu instid0(VALU_DEP_2) | instskip(NEXT) | instid1(VALU_DEP_2)
	v_sub_f32_e32 v13, v13, v15
	v_sub_f32_e32 v15, v16, v18
	s_delay_alu instid0(VALU_DEP_3) | instskip(NEXT) | instid1(VALU_DEP_3)
	v_fma_f32 v18, 0x3f317218, v12, -v19
	v_ldexp_f32 v13, v13, 1
	s_delay_alu instid0(VALU_DEP_2) | instskip(NEXT) | instid1(VALU_DEP_1)
	v_dual_sub_f32 v15, v17, v15 :: v_dual_fmac_f32 v18, 0xb102e308, v12
	v_dual_add_f32 v12, v13, v15 :: v_dual_add_f32 v13, v19, v18
	s_delay_alu instid0(VALU_DEP_1) | instskip(NEXT) | instid1(VALU_DEP_1)
	v_add_f32_e32 v15, v16, v12
	v_dual_add_f32 v17, v13, v15 :: v_dual_sub_f32 v16, v15, v16
	s_delay_alu instid0(VALU_DEP_1) | instskip(NEXT) | instid1(VALU_DEP_2)
	v_sub_f32_e32 v20, v17, v13
	v_dual_sub_f32 v19, v13, v19 :: v_dual_sub_f32 v12, v12, v16
	s_delay_alu instid0(VALU_DEP_1) | instskip(SKIP_1) | instid1(VALU_DEP_2)
	v_dual_sub_f32 v21, v17, v20 :: v_dual_sub_f32 v18, v18, v19
	v_sub_f32_e32 v15, v15, v20
	v_dual_sub_f32 v13, v13, v21 :: v_dual_add_f32 v16, v18, v12
	s_delay_alu instid0(VALU_DEP_1) | instskip(NEXT) | instid1(VALU_DEP_2)
	v_add_f32_e32 v13, v15, v13
	v_sub_f32_e32 v15, v16, v18
	s_delay_alu instid0(VALU_DEP_2) | instskip(NEXT) | instid1(VALU_DEP_2)
	v_add_f32_e32 v13, v16, v13
	v_sub_f32_e32 v16, v16, v15
	s_delay_alu instid0(VALU_DEP_2) | instskip(NEXT) | instid1(VALU_DEP_1)
	v_dual_sub_f32 v12, v12, v15 :: v_dual_add_f32 v19, v17, v13
	v_dual_sub_f32 v16, v18, v16 :: v_dual_sub_f32 v15, v19, v17
	s_delay_alu instid0(VALU_DEP_1) | instskip(NEXT) | instid1(VALU_DEP_1)
	v_dual_add_f32 v12, v12, v16 :: v_dual_sub_f32 v13, v13, v15
	v_add_f32_e32 v12, v12, v13
	s_delay_alu instid0(VALU_DEP_1) | instskip(NEXT) | instid1(VALU_DEP_1)
	v_add_f32_e32 v12, v19, v12
	v_cndmask_b32_e32 v62, v12, v14, vcc_lo
.LBB105_26:                             ;   in Loop: Header=BB105_12 Depth=1
	s_or_b32 exec_lo, exec_lo, s7
	v_cvt_f32_f16_e32 v12, v7
	s_delay_alu instid0(VALU_DEP_1) | instskip(NEXT) | instid1(VALU_DEP_1)
	v_add_f32_e32 v63, s52, v12
	v_cmp_ge_f32_e32 vcc_lo, 0x41a00000, v63
	s_and_b32 s6, s57, vcc_lo
	s_delay_alu instid0(SALU_CYCLE_1)
	s_and_saveexec_b32 s7, s6
	s_cbranch_execz .LBB105_28
; %bb.27:                               ;   in Loop: Header=BB105_12 Depth=1
	v_mul_f32_e32 v12, 0x3fb8aa3b, v63
	v_cmp_ngt_f32_e32 vcc_lo, 0xc2ce8ed0, v63
	s_delay_alu instid0(VALU_DEP_2) | instskip(SKIP_1) | instid1(VALU_DEP_2)
	v_rndne_f32_e32 v13, v12
	v_fma_f32 v14, 0x3fb8aa3b, v63, -v12
	v_sub_f32_e32 v12, v12, v13
	s_delay_alu instid0(VALU_DEP_2) | instskip(SKIP_1) | instid1(VALU_DEP_2)
	v_fmac_f32_e32 v14, 0x32a5705f, v63
	v_cvt_i32_f32_e32 v13, v13
	v_add_f32_e32 v12, v12, v14
	s_delay_alu instid0(VALU_DEP_1) | instskip(SKIP_2) | instid1(VALU_DEP_1)
	v_exp_f32_e32 v12, v12
	s_waitcnt_depctr 0xfff
	v_ldexp_f32 v12, v12, v13
	v_cndmask_b32_e32 v12, 0, v12, vcc_lo
	v_cmp_nlt_f32_e32 vcc_lo, 0x42b17218, v63
	s_delay_alu instid0(VALU_DEP_2) | instskip(NEXT) | instid1(VALU_DEP_1)
	v_cndmask_b32_e32 v14, 0x7f800000, v12, vcc_lo
	v_add_f32_e32 v15, 1.0, v14
	s_delay_alu instid0(VALU_DEP_1) | instskip(NEXT) | instid1(VALU_DEP_1)
	v_cvt_f64_f32_e32 v[12:13], v15
	v_frexp_exp_i32_f64_e32 v12, v[12:13]
	v_frexp_mant_f32_e32 v13, v15
	s_delay_alu instid0(VALU_DEP_1) | instskip(SKIP_1) | instid1(VALU_DEP_1)
	v_cmp_gt_f32_e32 vcc_lo, 0x3f2aaaab, v13
	v_add_f32_e32 v13, -1.0, v15
	v_sub_f32_e32 v17, v13, v15
	v_sub_f32_e32 v13, v14, v13
	s_delay_alu instid0(VALU_DEP_2) | instskip(NEXT) | instid1(VALU_DEP_1)
	v_add_f32_e32 v17, 1.0, v17
	v_add_f32_e32 v13, v13, v17
	v_cmp_gt_f32_e64 s6, 0x33800000, v14
	v_subrev_co_ci_u32_e32 v12, vcc_lo, 0, v12, vcc_lo
	v_cmp_eq_f32_e32 vcc_lo, 0x7f800000, v14
	s_delay_alu instid0(VALU_DEP_2) | instskip(SKIP_2) | instid1(VALU_DEP_2)
	v_sub_nc_u32_e32 v16, 0, v12
	v_cvt_f32_i32_e32 v12, v12
	s_or_b32 vcc_lo, s6, vcc_lo
	v_ldexp_f32 v15, v15, v16
	v_ldexp_f32 v13, v13, v16
	s_delay_alu instid0(VALU_DEP_2) | instskip(NEXT) | instid1(VALU_DEP_1)
	v_add_f32_e32 v18, 1.0, v15
	v_dual_add_f32 v16, -1.0, v15 :: v_dual_add_f32 v17, -1.0, v18
	s_delay_alu instid0(VALU_DEP_1) | instskip(NEXT) | instid1(VALU_DEP_2)
	v_add_f32_e32 v19, 1.0, v16
	v_sub_f32_e32 v17, v15, v17
	s_delay_alu instid0(VALU_DEP_2) | instskip(NEXT) | instid1(VALU_DEP_2)
	v_sub_f32_e32 v15, v15, v19
	v_add_f32_e32 v17, v13, v17
	s_delay_alu instid0(VALU_DEP_2) | instskip(NEXT) | instid1(VALU_DEP_1)
	v_add_f32_e32 v13, v13, v15
	v_add_f32_e32 v20, v16, v13
	s_delay_alu instid0(VALU_DEP_1) | instskip(NEXT) | instid1(VALU_DEP_1)
	v_dual_add_f32 v19, v18, v17 :: v_dual_sub_f32 v16, v16, v20
	v_rcp_f32_e32 v15, v19
	v_sub_f32_e32 v18, v18, v19
	s_delay_alu instid0(VALU_DEP_1) | instskip(SKIP_2) | instid1(VALU_DEP_1)
	v_add_f32_e32 v17, v17, v18
	s_waitcnt_depctr 0xfff
	v_mul_f32_e32 v21, v20, v15
	v_mul_f32_e32 v54, v19, v21
	s_delay_alu instid0(VALU_DEP_1) | instskip(NEXT) | instid1(VALU_DEP_1)
	v_fma_f32 v18, v21, v19, -v54
	v_fmac_f32_e32 v18, v21, v17
	s_delay_alu instid0(VALU_DEP_1) | instskip(NEXT) | instid1(VALU_DEP_1)
	v_add_f32_e32 v55, v54, v18
	v_sub_f32_e32 v56, v20, v55
	s_delay_alu instid0(VALU_DEP_1) | instskip(SKIP_1) | instid1(VALU_DEP_2)
	v_sub_f32_e32 v20, v20, v56
	v_dual_add_f32 v13, v13, v16 :: v_dual_sub_f32 v16, v55, v54
	v_sub_f32_e32 v20, v20, v55
	s_delay_alu instid0(VALU_DEP_1) | instskip(NEXT) | instid1(VALU_DEP_1)
	v_dual_sub_f32 v16, v16, v18 :: v_dual_add_f32 v13, v13, v20
	v_add_f32_e32 v13, v16, v13
	s_delay_alu instid0(VALU_DEP_1) | instskip(NEXT) | instid1(VALU_DEP_1)
	v_add_f32_e32 v16, v56, v13
	v_mul_f32_e32 v18, v15, v16
	s_delay_alu instid0(VALU_DEP_1) | instskip(NEXT) | instid1(VALU_DEP_1)
	v_dual_sub_f32 v55, v56, v16 :: v_dual_mul_f32 v20, v19, v18
	v_add_f32_e32 v13, v13, v55
	s_delay_alu instid0(VALU_DEP_2) | instskip(NEXT) | instid1(VALU_DEP_1)
	v_fma_f32 v19, v18, v19, -v20
	v_fmac_f32_e32 v19, v18, v17
	s_delay_alu instid0(VALU_DEP_1) | instskip(NEXT) | instid1(VALU_DEP_1)
	v_add_f32_e32 v17, v20, v19
	v_sub_f32_e32 v54, v16, v17
	s_delay_alu instid0(VALU_DEP_1) | instskip(NEXT) | instid1(VALU_DEP_1)
	v_sub_f32_e32 v16, v16, v54
	v_sub_f32_e32 v16, v16, v17
	s_delay_alu instid0(VALU_DEP_1) | instskip(SKIP_2) | instid1(VALU_DEP_1)
	v_add_f32_e32 v13, v13, v16
	v_add_f32_e32 v16, v21, v18
	v_sub_f32_e32 v20, v17, v20
	v_sub_f32_e32 v17, v20, v19
	s_delay_alu instid0(VALU_DEP_1) | instskip(NEXT) | instid1(VALU_DEP_4)
	v_add_f32_e32 v13, v17, v13
	v_sub_f32_e32 v17, v16, v21
	s_delay_alu instid0(VALU_DEP_2) | instskip(NEXT) | instid1(VALU_DEP_2)
	v_add_f32_e32 v13, v54, v13
	v_sub_f32_e32 v17, v18, v17
	s_delay_alu instid0(VALU_DEP_2) | instskip(NEXT) | instid1(VALU_DEP_1)
	v_mul_f32_e32 v13, v15, v13
	v_add_f32_e32 v13, v17, v13
	s_delay_alu instid0(VALU_DEP_1) | instskip(NEXT) | instid1(VALU_DEP_1)
	v_add_f32_e32 v15, v16, v13
	v_mul_f32_e32 v17, v15, v15
	s_delay_alu instid0(VALU_DEP_1) | instskip(SKIP_1) | instid1(VALU_DEP_2)
	v_fmaak_f32 v18, s42, v17, 0x3ecc95a3
	v_mul_f32_e32 v19, v15, v17
	v_fmaak_f32 v17, v17, v18, 0x3f2aaada
	v_ldexp_f32 v18, v15, 1
	s_delay_alu instid0(VALU_DEP_2) | instskip(SKIP_1) | instid1(VALU_DEP_2)
	v_mul_f32_e32 v17, v19, v17
	v_sub_f32_e32 v15, v15, v16
	v_dual_mul_f32 v19, 0x3f317218, v12 :: v_dual_add_f32 v16, v18, v17
	s_delay_alu instid0(VALU_DEP_2) | instskip(NEXT) | instid1(VALU_DEP_2)
	v_sub_f32_e32 v13, v13, v15
	v_sub_f32_e32 v15, v16, v18
	s_delay_alu instid0(VALU_DEP_3) | instskip(NEXT) | instid1(VALU_DEP_3)
	v_fma_f32 v18, 0x3f317218, v12, -v19
	v_ldexp_f32 v13, v13, 1
	s_delay_alu instid0(VALU_DEP_2) | instskip(NEXT) | instid1(VALU_DEP_1)
	v_dual_sub_f32 v15, v17, v15 :: v_dual_fmac_f32 v18, 0xb102e308, v12
	v_dual_add_f32 v12, v13, v15 :: v_dual_add_f32 v13, v19, v18
	s_delay_alu instid0(VALU_DEP_1) | instskip(NEXT) | instid1(VALU_DEP_1)
	v_add_f32_e32 v15, v16, v12
	v_dual_add_f32 v17, v13, v15 :: v_dual_sub_f32 v16, v15, v16
	s_delay_alu instid0(VALU_DEP_1) | instskip(NEXT) | instid1(VALU_DEP_2)
	v_sub_f32_e32 v20, v17, v13
	v_dual_sub_f32 v19, v13, v19 :: v_dual_sub_f32 v12, v12, v16
	s_delay_alu instid0(VALU_DEP_1) | instskip(SKIP_1) | instid1(VALU_DEP_2)
	v_dual_sub_f32 v21, v17, v20 :: v_dual_sub_f32 v18, v18, v19
	v_sub_f32_e32 v15, v15, v20
	v_dual_sub_f32 v13, v13, v21 :: v_dual_add_f32 v16, v18, v12
	s_delay_alu instid0(VALU_DEP_1) | instskip(NEXT) | instid1(VALU_DEP_2)
	v_add_f32_e32 v13, v15, v13
	v_sub_f32_e32 v15, v16, v18
	s_delay_alu instid0(VALU_DEP_2) | instskip(NEXT) | instid1(VALU_DEP_2)
	v_add_f32_e32 v13, v16, v13
	v_sub_f32_e32 v16, v16, v15
	s_delay_alu instid0(VALU_DEP_2) | instskip(NEXT) | instid1(VALU_DEP_1)
	v_dual_sub_f32 v12, v12, v15 :: v_dual_add_f32 v19, v17, v13
	v_dual_sub_f32 v16, v18, v16 :: v_dual_sub_f32 v15, v19, v17
	s_delay_alu instid0(VALU_DEP_1) | instskip(NEXT) | instid1(VALU_DEP_1)
	v_dual_add_f32 v12, v12, v16 :: v_dual_sub_f32 v13, v13, v15
	v_add_f32_e32 v12, v12, v13
	s_delay_alu instid0(VALU_DEP_1) | instskip(NEXT) | instid1(VALU_DEP_1)
	v_add_f32_e32 v12, v19, v12
	v_cndmask_b32_e32 v63, v12, v14, vcc_lo
.LBB105_28:                             ;   in Loop: Header=BB105_12 Depth=1
	s_or_b32 exec_lo, exec_lo, s7
	v_cvt_f32_f16_e32 v12, v48
	s_delay_alu instid0(VALU_DEP_1) | instskip(NEXT) | instid1(VALU_DEP_1)
	v_add_f32_e32 v64, s52, v12
	v_cmp_ge_f32_e32 vcc_lo, 0x41a00000, v64
	s_and_b32 s6, s57, vcc_lo
	s_delay_alu instid0(SALU_CYCLE_1)
	s_and_saveexec_b32 s7, s6
	s_cbranch_execz .LBB105_30
; %bb.29:                               ;   in Loop: Header=BB105_12 Depth=1
	v_mul_f32_e32 v12, 0x3fb8aa3b, v64
	v_cmp_ngt_f32_e32 vcc_lo, 0xc2ce8ed0, v64
	s_delay_alu instid0(VALU_DEP_2) | instskip(SKIP_1) | instid1(VALU_DEP_2)
	v_rndne_f32_e32 v13, v12
	v_fma_f32 v14, 0x3fb8aa3b, v64, -v12
	v_sub_f32_e32 v12, v12, v13
	s_delay_alu instid0(VALU_DEP_2) | instskip(SKIP_1) | instid1(VALU_DEP_2)
	v_fmac_f32_e32 v14, 0x32a5705f, v64
	v_cvt_i32_f32_e32 v13, v13
	v_add_f32_e32 v12, v12, v14
	s_delay_alu instid0(VALU_DEP_1) | instskip(SKIP_2) | instid1(VALU_DEP_1)
	v_exp_f32_e32 v12, v12
	s_waitcnt_depctr 0xfff
	v_ldexp_f32 v12, v12, v13
	v_cndmask_b32_e32 v12, 0, v12, vcc_lo
	v_cmp_nlt_f32_e32 vcc_lo, 0x42b17218, v64
	s_delay_alu instid0(VALU_DEP_2) | instskip(NEXT) | instid1(VALU_DEP_1)
	v_cndmask_b32_e32 v14, 0x7f800000, v12, vcc_lo
	v_add_f32_e32 v15, 1.0, v14
	s_delay_alu instid0(VALU_DEP_1) | instskip(NEXT) | instid1(VALU_DEP_1)
	v_cvt_f64_f32_e32 v[12:13], v15
	v_frexp_exp_i32_f64_e32 v12, v[12:13]
	v_frexp_mant_f32_e32 v13, v15
	s_delay_alu instid0(VALU_DEP_1) | instskip(SKIP_1) | instid1(VALU_DEP_1)
	v_cmp_gt_f32_e32 vcc_lo, 0x3f2aaaab, v13
	v_add_f32_e32 v13, -1.0, v15
	v_sub_f32_e32 v17, v13, v15
	v_sub_f32_e32 v13, v14, v13
	s_delay_alu instid0(VALU_DEP_2) | instskip(NEXT) | instid1(VALU_DEP_1)
	v_add_f32_e32 v17, 1.0, v17
	v_add_f32_e32 v13, v13, v17
	v_cmp_gt_f32_e64 s6, 0x33800000, v14
	v_subrev_co_ci_u32_e32 v12, vcc_lo, 0, v12, vcc_lo
	v_cmp_eq_f32_e32 vcc_lo, 0x7f800000, v14
	s_delay_alu instid0(VALU_DEP_2) | instskip(SKIP_2) | instid1(VALU_DEP_2)
	v_sub_nc_u32_e32 v16, 0, v12
	v_cvt_f32_i32_e32 v12, v12
	s_or_b32 vcc_lo, s6, vcc_lo
	v_ldexp_f32 v15, v15, v16
	v_ldexp_f32 v13, v13, v16
	s_delay_alu instid0(VALU_DEP_2) | instskip(NEXT) | instid1(VALU_DEP_1)
	v_add_f32_e32 v18, 1.0, v15
	v_dual_add_f32 v16, -1.0, v15 :: v_dual_add_f32 v17, -1.0, v18
	s_delay_alu instid0(VALU_DEP_1) | instskip(NEXT) | instid1(VALU_DEP_2)
	v_add_f32_e32 v19, 1.0, v16
	v_sub_f32_e32 v17, v15, v17
	s_delay_alu instid0(VALU_DEP_2) | instskip(NEXT) | instid1(VALU_DEP_2)
	v_sub_f32_e32 v15, v15, v19
	v_add_f32_e32 v17, v13, v17
	s_delay_alu instid0(VALU_DEP_2) | instskip(NEXT) | instid1(VALU_DEP_1)
	v_add_f32_e32 v13, v13, v15
	v_add_f32_e32 v20, v16, v13
	s_delay_alu instid0(VALU_DEP_1) | instskip(NEXT) | instid1(VALU_DEP_1)
	v_dual_add_f32 v19, v18, v17 :: v_dual_sub_f32 v16, v16, v20
	v_rcp_f32_e32 v15, v19
	v_sub_f32_e32 v18, v18, v19
	s_delay_alu instid0(VALU_DEP_1) | instskip(SKIP_2) | instid1(VALU_DEP_1)
	v_add_f32_e32 v17, v17, v18
	s_waitcnt_depctr 0xfff
	v_mul_f32_e32 v21, v20, v15
	v_mul_f32_e32 v54, v19, v21
	s_delay_alu instid0(VALU_DEP_1) | instskip(NEXT) | instid1(VALU_DEP_1)
	v_fma_f32 v18, v21, v19, -v54
	v_fmac_f32_e32 v18, v21, v17
	s_delay_alu instid0(VALU_DEP_1) | instskip(NEXT) | instid1(VALU_DEP_1)
	v_add_f32_e32 v55, v54, v18
	v_sub_f32_e32 v56, v20, v55
	s_delay_alu instid0(VALU_DEP_1) | instskip(SKIP_1) | instid1(VALU_DEP_2)
	v_sub_f32_e32 v20, v20, v56
	v_dual_add_f32 v13, v13, v16 :: v_dual_sub_f32 v16, v55, v54
	v_sub_f32_e32 v20, v20, v55
	s_delay_alu instid0(VALU_DEP_1) | instskip(NEXT) | instid1(VALU_DEP_1)
	v_dual_sub_f32 v16, v16, v18 :: v_dual_add_f32 v13, v13, v20
	v_add_f32_e32 v13, v16, v13
	s_delay_alu instid0(VALU_DEP_1) | instskip(NEXT) | instid1(VALU_DEP_1)
	v_add_f32_e32 v16, v56, v13
	v_mul_f32_e32 v18, v15, v16
	s_delay_alu instid0(VALU_DEP_1) | instskip(NEXT) | instid1(VALU_DEP_1)
	v_dual_sub_f32 v55, v56, v16 :: v_dual_mul_f32 v20, v19, v18
	v_add_f32_e32 v13, v13, v55
	s_delay_alu instid0(VALU_DEP_2) | instskip(NEXT) | instid1(VALU_DEP_1)
	v_fma_f32 v19, v18, v19, -v20
	v_fmac_f32_e32 v19, v18, v17
	s_delay_alu instid0(VALU_DEP_1) | instskip(NEXT) | instid1(VALU_DEP_1)
	v_add_f32_e32 v17, v20, v19
	v_sub_f32_e32 v54, v16, v17
	s_delay_alu instid0(VALU_DEP_1) | instskip(NEXT) | instid1(VALU_DEP_1)
	v_sub_f32_e32 v16, v16, v54
	v_sub_f32_e32 v16, v16, v17
	s_delay_alu instid0(VALU_DEP_1) | instskip(SKIP_2) | instid1(VALU_DEP_1)
	v_add_f32_e32 v13, v13, v16
	v_add_f32_e32 v16, v21, v18
	v_sub_f32_e32 v20, v17, v20
	v_sub_f32_e32 v17, v20, v19
	s_delay_alu instid0(VALU_DEP_1) | instskip(NEXT) | instid1(VALU_DEP_4)
	v_add_f32_e32 v13, v17, v13
	v_sub_f32_e32 v17, v16, v21
	s_delay_alu instid0(VALU_DEP_2) | instskip(NEXT) | instid1(VALU_DEP_2)
	v_add_f32_e32 v13, v54, v13
	v_sub_f32_e32 v17, v18, v17
	s_delay_alu instid0(VALU_DEP_2) | instskip(NEXT) | instid1(VALU_DEP_1)
	v_mul_f32_e32 v13, v15, v13
	v_add_f32_e32 v13, v17, v13
	s_delay_alu instid0(VALU_DEP_1) | instskip(NEXT) | instid1(VALU_DEP_1)
	v_add_f32_e32 v15, v16, v13
	v_mul_f32_e32 v17, v15, v15
	s_delay_alu instid0(VALU_DEP_1) | instskip(SKIP_1) | instid1(VALU_DEP_2)
	v_fmaak_f32 v18, s42, v17, 0x3ecc95a3
	v_mul_f32_e32 v19, v15, v17
	v_fmaak_f32 v17, v17, v18, 0x3f2aaada
	v_ldexp_f32 v18, v15, 1
	s_delay_alu instid0(VALU_DEP_2) | instskip(SKIP_1) | instid1(VALU_DEP_2)
	v_mul_f32_e32 v17, v19, v17
	v_sub_f32_e32 v15, v15, v16
	v_dual_mul_f32 v19, 0x3f317218, v12 :: v_dual_add_f32 v16, v18, v17
	s_delay_alu instid0(VALU_DEP_2) | instskip(NEXT) | instid1(VALU_DEP_2)
	v_sub_f32_e32 v13, v13, v15
	v_sub_f32_e32 v15, v16, v18
	s_delay_alu instid0(VALU_DEP_3) | instskip(NEXT) | instid1(VALU_DEP_3)
	v_fma_f32 v18, 0x3f317218, v12, -v19
	v_ldexp_f32 v13, v13, 1
	s_delay_alu instid0(VALU_DEP_2) | instskip(NEXT) | instid1(VALU_DEP_1)
	v_dual_sub_f32 v15, v17, v15 :: v_dual_fmac_f32 v18, 0xb102e308, v12
	v_dual_add_f32 v12, v13, v15 :: v_dual_add_f32 v13, v19, v18
	s_delay_alu instid0(VALU_DEP_1) | instskip(NEXT) | instid1(VALU_DEP_1)
	v_add_f32_e32 v15, v16, v12
	v_dual_add_f32 v17, v13, v15 :: v_dual_sub_f32 v16, v15, v16
	s_delay_alu instid0(VALU_DEP_1) | instskip(NEXT) | instid1(VALU_DEP_2)
	v_sub_f32_e32 v20, v17, v13
	v_dual_sub_f32 v19, v13, v19 :: v_dual_sub_f32 v12, v12, v16
	s_delay_alu instid0(VALU_DEP_1) | instskip(SKIP_1) | instid1(VALU_DEP_2)
	v_dual_sub_f32 v21, v17, v20 :: v_dual_sub_f32 v18, v18, v19
	v_sub_f32_e32 v15, v15, v20
	v_dual_sub_f32 v13, v13, v21 :: v_dual_add_f32 v16, v18, v12
	s_delay_alu instid0(VALU_DEP_1) | instskip(NEXT) | instid1(VALU_DEP_2)
	v_add_f32_e32 v13, v15, v13
	v_sub_f32_e32 v15, v16, v18
	s_delay_alu instid0(VALU_DEP_2) | instskip(NEXT) | instid1(VALU_DEP_2)
	v_add_f32_e32 v13, v16, v13
	v_sub_f32_e32 v16, v16, v15
	s_delay_alu instid0(VALU_DEP_2) | instskip(NEXT) | instid1(VALU_DEP_1)
	v_dual_sub_f32 v12, v12, v15 :: v_dual_add_f32 v19, v17, v13
	v_dual_sub_f32 v16, v18, v16 :: v_dual_sub_f32 v15, v19, v17
	s_delay_alu instid0(VALU_DEP_1) | instskip(NEXT) | instid1(VALU_DEP_1)
	v_dual_add_f32 v12, v12, v16 :: v_dual_sub_f32 v13, v13, v15
	v_add_f32_e32 v12, v12, v13
	s_delay_alu instid0(VALU_DEP_1) | instskip(NEXT) | instid1(VALU_DEP_1)
	v_add_f32_e32 v12, v19, v12
	v_cndmask_b32_e32 v64, v12, v14, vcc_lo
.LBB105_30:                             ;   in Loop: Header=BB105_12 Depth=1
	s_or_b32 exec_lo, exec_lo, s7
	v_cvt_f32_f16_e32 v12, v3
	v_cvt_f32_f16_e32 v13, v44
	;; [unrolled: 1-line block ×8, first 2 shown]
	v_dual_mul_f32 v55, s53, v12 :: v_dual_mul_f32 v54, s53, v13
	v_dual_mul_f32 v58, s53, v14 :: v_dual_mul_f32 v57, s53, v16
	s_delay_alu instid0(VALU_DEP_3)
	v_dual_mul_f32 v60, s53, v17 :: v_dual_mul_f32 v61, s53, v19
	v_dual_mul_f32 v56, s53, v18 :: v_dual_mul_f32 v59, s53, v15
	s_lshl_b32 s28, s63, 9
	s_and_b32 vcc_lo, exec_lo, s58
	s_barrier
	buffer_gl0_inv
	s_cbranch_vccz .LBB105_62
; %bb.31:                               ;   in Loop: Header=BB105_12 Depth=1
	v_dual_mul_f32 v67, v62, v13 :: v_dual_mul_f32 v68, v53, v14
	v_add_nc_u32_e32 v13, -1, v40
	s_sub_i32 s16, s34, s28
	s_cmp_lg_u32 s63, 0
	v_dual_mul_f32 v65, v64, v15 :: v_dual_mul_f32 v66, v63, v12
	s_delay_alu instid0(VALU_DEP_2)
	v_cmp_gt_i32_e32 vcc_lo, 0, v13
	v_and_b32_e32 v12, 15, v40
	v_and_b32_e32 v14, 16, v40
	v_and_b32_e32 v15, 1, v40
	v_add_co_u32 v73, s6, s47, v39
	v_cndmask_b32_e32 v13, v13, v40, vcc_lo
	v_cmp_gt_u32_e32 vcc_lo, s16, v23
	s_cselect_b32 s29, -1, 0
	s_cmp_eq_u32 s63, s60
	v_add_co_ci_u32_e64 v74, null, s49, 0, s6
	v_add_co_u32 v75, s6, s37, v39
	v_cmp_gt_u32_e64 s14, s16, v32
	v_cmp_gt_u32_e64 s15, s16, v33
	s_cselect_b32 s64, -1, 0
	s_or_b32 s13, s59, vcc_lo
	v_cmp_gt_u32_e32 vcc_lo, s16, v34
	v_cmp_gt_u32_e64 s17, s16, v35
	v_cmp_gt_u32_e64 s18, s16, v36
	;; [unrolled: 1-line block ×4, first 2 shown]
	v_dual_mul_f32 v69, v52, v16 :: v_dual_mul_f32 v70, v51, v17
	v_dual_mul_f32 v71, v50, v18 :: v_dual_mul_f32 v72, v49, v19
	v_add_co_ci_u32_e64 v76, null, s50, 0, s6
	v_cmp_ne_u32_e64 s6, 0, v12
	v_cmp_lt_u32_e64 s7, 1, v12
	v_cmp_lt_u32_e64 s8, 3, v12
	;; [unrolled: 1-line block ×3, first 2 shown]
	v_cmp_ne_u32_e64 s10, 0, v14
	v_cmp_eq_u32_e64 s11, 0, v15
	v_lshlrev_b32_e32 v77, 2, v13
	v_cmp_eq_u32_e64 s12, 0, v40
	s_mov_b32 s22, 0
	s_or_b32 s14, s59, s14
	s_or_b32 s15, s59, s15
	s_or_b32 s16, s59, vcc_lo
	s_or_b32 s17, s59, s17
	s_or_b32 s18, s59, s18
	s_or_b32 s19, s59, s19
	s_or_b32 s20, s59, s20
	s_mov_b32 s30, s22
	s_mov_b32 s38, s22
	s_mov_b32 s40, s22
	s_mov_b32 s65, s35
	s_mov_b32 s66, s43
	s_branch .LBB105_33
.LBB105_32:                             ;   in Loop: Header=BB105_33 Depth=2
	s_or_b32 exec_lo, exec_lo, s21
	v_cndmask_b32_e64 v17, v95, v19, s12
	v_cndmask_b32_e64 v18, v94, v18, s12
	s_add_i32 s65, s65, -1
	s_add_i32 s66, s66, 8
	s_add_i32 s40, s40, s51
	v_fma_f32 v17, v17, v81, v79
	v_mul_f32_e32 v18, v18, v81
	s_add_i32 s38, s38, s36
	s_add_i32 s30, s30, s48
	;; [unrolled: 1-line block ×3, first 2 shown]
	v_cndmask_b32_e64 v17, v17, v79, s5
	v_cndmask_b32_e64 v18, v18, v81, s5
	s_cmp_eq_u32 s65, 0
	s_waitcnt lgkmcnt(0)
	s_delay_alu instid0(VALU_DEP_1) | instskip(NEXT) | instid1(VALU_DEP_1)
	v_fmac_f32_e32 v17, v16, v18
	v_fmac_f32_e32 v78, v17, v83
	s_delay_alu instid0(VALU_DEP_1) | instskip(SKIP_2) | instid1(VALU_DEP_3)
	v_fmac_f32_e32 v80, v78, v85
	v_fma_mix_f32 v61, v17, v12, v61 op_sel_hi:[0,1,0]
	v_fma_mix_f32 v56, v78, v12, v56 op_sel:[0,1,0] op_sel_hi:[0,1,0]
	v_fmac_f32_e32 v82, v80, v87
	v_fma_mix_f32 v60, v80, v13, v60 op_sel_hi:[0,1,0]
	s_delay_alu instid0(VALU_DEP_2) | instskip(SKIP_1) | instid1(VALU_DEP_2)
	v_fmac_f32_e32 v84, v82, v88
	v_fma_mix_f32 v57, v82, v13, v57 op_sel:[0,1,0] op_sel_hi:[0,1,0]
	v_fmac_f32_e32 v86, v84, v93
	v_fma_mix_f32 v58, v84, v14, v58 op_sel_hi:[0,1,0]
	s_delay_alu instid0(VALU_DEP_2) | instskip(SKIP_1) | instid1(VALU_DEP_2)
	v_fmac_f32_e32 v89, v86, v91
	v_fma_mix_f32 v54, v86, v14, v54 op_sel:[0,1,0] op_sel_hi:[0,1,0]
	v_fmac_f32_e32 v90, v89, v92
	v_fma_mix_f32 v55, v89, v15, v55 op_sel_hi:[0,1,0]
	s_delay_alu instid0(VALU_DEP_2)
	v_fma_mix_f32 v59, v90, v15, v59 op_sel:[0,1,0] op_sel_hi:[0,1,0]
	s_cbranch_scc1 .LBB105_62
.LBB105_33:                             ;   Parent Loop BB105_12 Depth=1
                                        ; =>  This Inner Loop Header: Depth=2
	s_lshl_b64 s[68:69], s[22:23], 2
	s_mov_b32 s31, s23
	s_add_u32 s68, s44, s68
	s_addc_u32 s69, s46, s69
	s_lshl_b64 s[70:71], s[30:31], 1
	s_mov_b32 s39, s23
	v_add_co_u32 v12, vcc_lo, v73, s70
	v_add_co_ci_u32_e32 v13, vcc_lo, s71, v74, vcc_lo
	s_lshl_b64 s[70:71], s[38:39], 1
	s_delay_alu instid0(SALU_CYCLE_1)
	v_add_co_u32 v14, vcc_lo, v75, s70
	v_add_co_ci_u32_e32 v15, vcc_lo, s71, v76, vcc_lo
	global_load_b32 v78, v22, s[68:69]
	global_load_b128 v[16:19], v[12:13], off
	global_load_b128 v[12:15], v[14:15], off
	s_and_not1_b32 vcc_lo, exec_lo, s29
	s_cbranch_vccnz .LBB105_35
; %bb.34:                               ;   in Loop: Header=BB105_33 Depth=2
	v_mov_b32_e32 v20, s66
	ds_load_b64 v[20:21], v20
	s_cbranch_execz .LBB105_36
	s_branch .LBB105_39
.LBB105_35:                             ;   in Loop: Header=BB105_33 Depth=2
                                        ; implicit-def: $vgpr20
.LBB105_36:                             ;   in Loop: Header=BB105_33 Depth=2
	s_waitcnt lgkmcnt(0)
	v_mov_b32_e32 v21, 0
	s_and_not1_b32 vcc_lo, exec_lo, s33
	s_cbranch_vccnz .LBB105_38
; %bb.37:                               ;   in Loop: Header=BB105_33 Depth=2
	s_mov_b32 s41, s23
	s_delay_alu instid0(SALU_CYCLE_1) | instskip(NEXT) | instid1(SALU_CYCLE_1)
	s_lshl_b64 s[68:69], s[40:41], 2
	s_add_u32 s68, s54, s68
	s_addc_u32 s69, s55, s69
	global_load_b32 v21, v22, s[68:69]
.LBB105_38:                             ;   in Loop: Header=BB105_33 Depth=2
	v_mov_b32_e32 v20, 1.0
.LBB105_39:                             ;   in Loop: Header=BB105_33 Depth=2
	s_waitcnt vmcnt(2)
	v_mul_f32_e32 v89, 0x3fb8aa3b, v78
	s_waitcnt vmcnt(1)
	v_cvt_f32_f16_e32 v78, v16
	v_lshrrev_b32_e32 v16, 16, v16
	v_cvt_f32_f16_e32 v80, v17
	v_cvt_f32_f16_e32 v84, v18
	v_lshrrev_b32_e32 v18, 16, v18
	v_lshrrev_b32_e32 v17, 16, v17
	v_cvt_f32_f16_e32 v16, v16
	v_cvt_f32_f16_e32 v90, v19
	v_lshrrev_b32_e32 v19, 16, v19
	v_mul_f32_e32 v78, v72, v78
	v_mul_f32_e32 v80, v70, v80
	v_dual_mul_f32 v16, v71, v16 :: v_dual_mul_f32 v79, v89, v49
	v_mul_f32_e32 v81, v89, v50
	v_mul_f32_e32 v82, v89, v51
	;; [unrolled: 1-line block ×3, first 2 shown]
	v_cvt_f32_f16_e32 v18, v18
	v_cmp_gt_f32_e32 vcc_lo, 0xc2fc0000, v79
	v_cmp_gt_f32_e64 s21, 0xc2fc0000, v81
	v_cvt_f32_f16_e32 v17, v17
	v_mul_f32_e32 v90, v66, v90
	v_cndmask_b32_e64 v80, 0, v80, s15
	v_cndmask_b32_e64 v79, 0, 0x42800000, vcc_lo
	v_cndmask_b32_e64 v81, 0, 0x42800000, s21
	v_cndmask_b32_e64 v83, 1.0, 0x1f800000, vcc_lo
	v_cmp_gt_f32_e32 vcc_lo, 0xc2fc0000, v82
	s_delay_alu instid0(VALU_DEP_4) | instskip(NEXT) | instid1(VALU_DEP_4)
	v_dual_mul_f32 v84, v68, v84 :: v_dual_fmac_f32 v79, v89, v49
	v_fmac_f32_e32 v81, v89, v50
	v_cndmask_b32_e64 v86, 1.0, 0x1f800000, s21
	v_cndmask_b32_e64 v82, 0, 0x42800000, vcc_lo
	v_cmp_gt_f32_e64 s21, 0xc2fc0000, v85
	v_exp_f32_e32 v79, v79
	v_exp_f32_e32 v81, v81
	v_mul_f32_e32 v18, v67, v18
	v_fmac_f32_e32 v82, v89, v51
	v_cndmask_b32_e64 v85, 0, 0x42800000, s21
	v_mul_f32_e32 v17, v69, v17
	v_cndmask_b32_e64 v84, 0, v84, s17
	v_cvt_f32_f16_e32 v19, v19
	s_delay_alu instid0(VALU_DEP_4) | instskip(NEXT) | instid1(TRANS32_DEP_1)
	v_fmac_f32_e32 v85, v89, v52
	v_dual_mul_f32 v83, v79, v83 :: v_dual_mul_f32 v86, v81, v86
	v_cndmask_b32_e64 v79, 0, v78, s13
	v_cndmask_b32_e64 v78, 0, v16, s14
	v_exp_f32_e32 v16, v82
	v_mul_f32_e32 v82, v89, v53
	v_cndmask_b32_e64 v81, 1.0, v83, s13
	v_cndmask_b32_e64 v83, 1.0, v86, s14
	v_cndmask_b32_e64 v86, 1.0, 0x1f800000, vcc_lo
	v_exp_f32_e32 v87, v85
	v_cmp_gt_f32_e32 vcc_lo, 0xc2fc0000, v82
	v_mul_f32_e32 v85, v89, v62
	v_mul_f32_e32 v93, v89, v64
	s_delay_alu instid0(TRANS32_DEP_2) | instskip(SKIP_3) | instid1(VALU_DEP_4)
	v_dual_mul_f32 v19, v65, v19 :: v_dual_mul_f32 v16, v16, v86
	v_cndmask_b32_e64 v82, 0, 0x42800000, vcc_lo
	v_cndmask_b32_e64 v86, 1.0, 0x1f800000, s21
	v_cmp_gt_f32_e64 s21, 0xc2fc0000, v85
	v_cndmask_b32_e64 v85, 1.0, v16, s15
	s_delay_alu instid0(VALU_DEP_4) | instskip(NEXT) | instid1(VALU_DEP_4)
	v_fmac_f32_e32 v82, v89, v53
	v_mul_f32_e32 v16, v87, v86
	s_delay_alu instid0(VALU_DEP_4) | instskip(SKIP_1) | instid1(VALU_DEP_4)
	v_cndmask_b32_e64 v88, 0, 0x42800000, s21
	v_mul_f32_e32 v86, v89, v63
	v_exp_f32_e32 v91, v82
	v_cndmask_b32_e64 v82, 0, v17, s16
	s_delay_alu instid0(VALU_DEP_3)
	v_fmac_f32_e32 v88, v89, v62
	v_cndmask_b32_e64 v17, 1.0, 0x1f800000, vcc_lo
	v_cmp_gt_f32_e32 vcc_lo, 0xc2fc0000, v86
	v_cndmask_b32_e64 v87, 1.0, v16, s16
	v_cndmask_b32_e64 v86, 0, v18, s18
	v_mul_f32_e32 v18, v83, v81
	v_exp_f32_e32 v16, v88
	v_cndmask_b32_e64 v92, 0, 0x42800000, vcc_lo
	v_mul_f32_e32 v17, v91, v17
	v_cndmask_b32_e64 v91, 1.0, 0x1f800000, s21
	v_cmp_gt_f32_e64 s21, 0xc2fc0000, v93
	s_delay_alu instid0(VALU_DEP_4) | instskip(NEXT) | instid1(VALU_DEP_4)
	v_fmac_f32_e32 v92, v89, v63
	v_cndmask_b32_e64 v88, 1.0, v17, s17
	s_delay_alu instid0(VALU_DEP_3) | instskip(NEXT) | instid1(TRANS32_DEP_1)
	v_cndmask_b32_e64 v17, 0, 0x42800000, s21
	v_mul_f32_e32 v16, v16, v91
	v_fma_f32 v91, v83, v79, v78
	v_exp_f32_e32 v92, v92
	s_delay_alu instid0(VALU_DEP_3) | instskip(NEXT) | instid1(VALU_DEP_3)
	v_fmac_f32_e32 v17, v89, v64
	v_cndmask_b32_e64 v93, 1.0, v16, s18
	v_mul_f32_e32 v16, v18, v85
	v_fma_f32 v18, v91, v85, v80
	v_cndmask_b32_e64 v89, 1.0, 0x1f800000, vcc_lo
	v_exp_f32_e32 v17, v17
	s_delay_alu instid0(VALU_DEP_2)
	v_fma_f32 v18, v18, v87, v82
	s_delay_alu instid0(TRANS32_DEP_2) | instid1(VALU_DEP_2)
	v_mul_f32_e32 v91, v92, v89
	v_cndmask_b32_e64 v89, 0, v90, s19
	v_cndmask_b32_e64 v90, 1.0, 0x1f800000, s21
	v_mul_f32_e32 v16, v16, v87
	v_fma_f32 v18, v18, v88, v84
	v_cndmask_b32_e64 v91, 1.0, v91, s19
	s_delay_alu instid0(TRANS32_DEP_1) | instid1(VALU_DEP_3)
	v_dual_mul_f32 v17, v17, v90 :: v_dual_mul_f32 v16, v16, v88
	s_delay_alu instid0(VALU_DEP_3) | instskip(SKIP_1) | instid1(VALU_DEP_3)
	v_fma_f32 v18, v18, v93, v86
	v_cndmask_b32_e64 v90, 0, v19, s20
	v_cndmask_b32_e64 v92, 1.0, v17, s20
	s_delay_alu instid0(VALU_DEP_4) | instskip(NEXT) | instid1(VALU_DEP_4)
	v_mul_f32_e32 v16, v16, v93
	v_fma_f32 v17, v18, v91, v89
	s_delay_alu instid0(VALU_DEP_2) | instskip(NEXT) | instid1(VALU_DEP_2)
	v_mul_f32_e32 v16, v16, v91
	v_fma_f32 v17, v17, v92, v90
	s_delay_alu instid0(VALU_DEP_2) | instskip(NEXT) | instid1(VALU_DEP_2)
	v_mul_f32_e32 v16, v16, v92
	v_mov_b32_dpp v18, v17 row_shr:1 row_mask:0xf bank_mask:0xf
	s_delay_alu instid0(VALU_DEP_2)
	v_mov_b32_dpp v19, v16 row_shr:1 row_mask:0xf bank_mask:0xf
	s_and_saveexec_b32 s21, s6
; %bb.40:                               ;   in Loop: Header=BB105_33 Depth=2
	s_delay_alu instid0(VALU_DEP_1) | instskip(NEXT) | instid1(VALU_DEP_1)
	v_mul_f32_e32 v19, v16, v19
	v_dual_fmac_f32 v17, v16, v18 :: v_dual_mov_b32 v16, v19
; %bb.41:                               ;   in Loop: Header=BB105_33 Depth=2
	s_or_b32 exec_lo, exec_lo, s21
	s_delay_alu instid0(VALU_DEP_1) | instskip(NEXT) | instid1(VALU_DEP_2)
	v_mov_b32_dpp v18, v16 row_shr:2 row_mask:0xf bank_mask:0xf
	v_mov_b32_dpp v19, v17 row_shr:2 row_mask:0xf bank_mask:0xf
	s_and_saveexec_b32 s21, s7
; %bb.42:                               ;   in Loop: Header=BB105_33 Depth=2
	s_delay_alu instid0(VALU_DEP_1) | instskip(NEXT) | instid1(VALU_DEP_3)
	v_fmac_f32_e32 v17, v16, v19
	v_mul_f32_e32 v16, v16, v18
; %bb.43:                               ;   in Loop: Header=BB105_33 Depth=2
	s_or_b32 exec_lo, exec_lo, s21
	s_delay_alu instid0(VALU_DEP_1) | instskip(NEXT) | instid1(VALU_DEP_3)
	v_mov_b32_dpp v18, v16 row_shr:4 row_mask:0xf bank_mask:0xf
	v_mov_b32_dpp v19, v17 row_shr:4 row_mask:0xf bank_mask:0xf
	s_and_saveexec_b32 s21, s8
; %bb.44:                               ;   in Loop: Header=BB105_33 Depth=2
	s_delay_alu instid0(VALU_DEP_1) | instskip(NEXT) | instid1(VALU_DEP_3)
	v_fmac_f32_e32 v17, v16, v19
	v_mul_f32_e32 v16, v16, v18
; %bb.45:                               ;   in Loop: Header=BB105_33 Depth=2
	s_or_b32 exec_lo, exec_lo, s21
	s_delay_alu instid0(VALU_DEP_1) | instskip(NEXT) | instid1(VALU_DEP_3)
	v_mov_b32_dpp v18, v16 row_shr:8 row_mask:0xf bank_mask:0xf
	v_mov_b32_dpp v19, v17 row_shr:8 row_mask:0xf bank_mask:0xf
	s_and_saveexec_b32 s21, s9
; %bb.46:                               ;   in Loop: Header=BB105_33 Depth=2
	s_delay_alu instid0(VALU_DEP_1) | instskip(NEXT) | instid1(VALU_DEP_3)
	v_fmac_f32_e32 v17, v16, v19
	v_mul_f32_e32 v16, v16, v18
; %bb.47:                               ;   in Loop: Header=BB105_33 Depth=2
	s_or_b32 exec_lo, exec_lo, s21
	ds_swizzle_b32 v19, v16 offset:swizzle(BROADCAST,32,15)
	ds_swizzle_b32 v18, v17 offset:swizzle(BROADCAST,32,15)
	s_and_saveexec_b32 s21, s10
	s_cbranch_execz .LBB105_49
; %bb.48:                               ;   in Loop: Header=BB105_33 Depth=2
	s_waitcnt lgkmcnt(1)
	v_mul_f32_e32 v19, v16, v19
	s_waitcnt lgkmcnt(0)
	s_delay_alu instid0(VALU_DEP_1)
	v_dual_fmac_f32 v17, v16, v18 :: v_dual_mov_b32 v16, v19
.LBB105_49:                             ;   in Loop: Header=BB105_33 Depth=2
	s_or_b32 exec_lo, exec_lo, s21
	s_and_saveexec_b32 s21, s1
	s_cbranch_execz .LBB105_51
; %bb.50:                               ;   in Loop: Header=BB105_33 Depth=2
	ds_store_b64 v24, v[16:17] offset:2112
.LBB105_51:                             ;   in Loop: Header=BB105_33 Depth=2
	s_or_b32 exec_lo, exec_lo, s21
	s_waitcnt vmcnt(0) lgkmcnt(0)
	s_waitcnt_vscnt null, 0x0
	s_barrier
	buffer_gl0_inv
	s_and_saveexec_b32 s21, s2
	s_cbranch_execz .LBB105_53
; %bb.52:                               ;   in Loop: Header=BB105_33 Depth=2
	ds_load_b64 v[18:19], v25 offset:2112
	s_waitcnt lgkmcnt(0)
	v_mov_b32_dpp v94, v18 row_shr:1 row_mask:0xf bank_mask:0xf
	v_mov_b32_dpp v95, v19 row_shr:1 row_mask:0xf bank_mask:0xf
	s_delay_alu instid0(VALU_DEP_2) | instskip(NEXT) | instid1(VALU_DEP_2)
	v_mul_f32_e32 v94, v18, v94
	v_fma_f32 v95, v18, v95, v19
	s_delay_alu instid0(VALU_DEP_2) | instskip(NEXT) | instid1(VALU_DEP_2)
	v_cndmask_b32_e64 v18, v94, v18, s11
	v_cndmask_b32_e64 v19, v95, v19, s11
	ds_store_b64 v25, v[18:19] offset:2112
.LBB105_53:                             ;   in Loop: Header=BB105_33 Depth=2
	s_or_b32 exec_lo, exec_lo, s21
	s_waitcnt lgkmcnt(0)
	s_barrier
	buffer_gl0_inv
                                        ; implicit-def: $vgpr19
	s_and_saveexec_b32 s21, s4
	s_cbranch_execz .LBB105_55
; %bb.54:                               ;   in Loop: Header=BB105_33 Depth=2
	ds_load_b64 v[18:19], v24 offset:2104
	s_waitcnt lgkmcnt(0)
	v_mul_f32_e32 v94, v16, v18
	s_delay_alu instid0(VALU_DEP_1)
	v_dual_fmac_f32 v17, v16, v19 :: v_dual_mov_b32 v16, v94
.LBB105_55:                             ;   in Loop: Header=BB105_33 Depth=2
	s_or_b32 exec_lo, exec_lo, s21
	ds_bpermute_b32 v94, v77, v16
	ds_bpermute_b32 v95, v77, v17
	s_and_saveexec_b32 s21, s3
	s_cbranch_execz .LBB105_59
; %bb.56:                               ;   in Loop: Header=BB105_33 Depth=2
	ds_load_b64 v[16:17], v22 offset:2120
	s_and_saveexec_b32 s31, s5
	s_cbranch_execz .LBB105_58
; %bb.57:                               ;   in Loop: Header=BB105_33 Depth=2
	ds_store_b64 v22, v[20:21] offset:2120
.LBB105_58:                             ;   in Loop: Header=BB105_33 Depth=2
	s_or_b32 exec_lo, exec_lo, s31
	s_waitcnt lgkmcnt(0)
	v_fmac_f32_e32 v17, v21, v16
	s_delay_alu instid0(VALU_DEP_1)
	v_dual_mul_f32 v20, v20, v16 :: v_dual_mov_b32 v21, v17
.LBB105_59:                             ;   in Loop: Header=BB105_33 Depth=2
	s_or_b32 exec_lo, exec_lo, s21
	s_waitcnt lgkmcnt(0)
	s_barrier
	buffer_gl0_inv
	ds_load_b32 v16, v22 offset:2124
	s_and_saveexec_b32 s21, s5
	s_cbranch_execz .LBB105_32
; %bb.60:                               ;   in Loop: Header=BB105_33 Depth=2
	v_mov_b32_e32 v17, s66
	s_and_not1_b32 vcc_lo, exec_lo, s64
	ds_store_b64 v17, v[20:21]
	s_cbranch_vccnz .LBB105_32
; %bb.61:                               ;   in Loop: Header=BB105_33 Depth=2
	s_mov_b32 s41, s23
	s_delay_alu instid0(SALU_CYCLE_1) | instskip(NEXT) | instid1(SALU_CYCLE_1)
	s_lshl_b64 s[68:69], s[40:41], 2
	s_add_u32 s68, s54, s68
	s_addc_u32 s69, s55, s69
	global_store_b32 v22, v21, s[68:69]
	s_branch .LBB105_32
.LBB105_62:                             ;   in Loop: Header=BB105_12 Depth=1
	s_mov_b32 s29, s23
	v_cvt_f16_f32_e32 v12, v61
	v_cvt_f16_f32_e32 v18, v56
	v_cvt_f16_f32_e32 v13, v60
	v_cvt_f16_f32_e32 v19, v57
	v_cvt_f16_f32_e32 v14, v58
	v_cvt_f16_f32_e32 v20, v54
	v_cvt_f16_f32_e32 v15, v55
	v_cvt_f16_f32_e32 v21, v59
	s_lshl_b64 s[10:11], s[28:29], 1
	v_pack_b32_f16 v13, v13, v19
	v_add_co_u32 v16, vcc_lo, v26, s10
	v_add_co_ci_u32_e32 v17, vcc_lo, s11, v27, vcc_lo
	v_pack_b32_f16 v15, v15, v21
	v_pack_b32_f16 v14, v14, v20
	;; [unrolled: 1-line block ×3, first 2 shown]
	s_waitcnt_vscnt null, 0x0
	s_barrier
	buffer_gl0_inv
	global_store_b128 v[16:17], v[12:15], off
	s_waitcnt_vscnt null, 0x0
	s_barrier
	buffer_gl0_inv
	s_and_saveexec_b32 s6, s0
	s_cbranch_execz .LBB105_11
; %bb.63:                               ;   in Loop: Header=BB105_12 Depth=1
	v_add_co_u32 v8, vcc_lo, v28, s10
	v_add_co_ci_u32_e32 v9, vcc_lo, s11, v29, vcc_lo
	global_load_b128 v[8:11], v[8:9], off
	s_branch .LBB105_11
.LBB105_64:
	s_nop 0
	s_sendmsg sendmsg(MSG_DEALLOC_VGPRS)
	s_endpgm
	.section	.rodata,"a",@progbits
	.p2align	6, 0x0
	.amdhsa_kernel _Z25selective_scan_fwd_kernelI32Selective_Scan_fwd_kernel_traitsILi64ELi8ELi1ELb1ELb1ELb1ELb1ELb0EN3c104HalfEffEEv13SSMParamsBase
		.amdhsa_group_segment_fixed_size 0
		.amdhsa_private_segment_fixed_size 0
		.amdhsa_kernarg_size 248
		.amdhsa_user_sgpr_count 14
		.amdhsa_user_sgpr_dispatch_ptr 0
		.amdhsa_user_sgpr_queue_ptr 0
		.amdhsa_user_sgpr_kernarg_segment_ptr 1
		.amdhsa_user_sgpr_dispatch_id 0
		.amdhsa_user_sgpr_private_segment_size 0
		.amdhsa_wavefront_size32 1
		.amdhsa_uses_dynamic_stack 0
		.amdhsa_enable_private_segment 0
		.amdhsa_system_sgpr_workgroup_id_x 1
		.amdhsa_system_sgpr_workgroup_id_y 1
		.amdhsa_system_sgpr_workgroup_id_z 0
		.amdhsa_system_sgpr_workgroup_info 0
		.amdhsa_system_vgpr_workitem_id 0
		.amdhsa_next_free_vgpr 96
		.amdhsa_next_free_sgpr 72
		.amdhsa_reserve_vcc 1
		.amdhsa_float_round_mode_32 0
		.amdhsa_float_round_mode_16_64 0
		.amdhsa_float_denorm_mode_32 3
		.amdhsa_float_denorm_mode_16_64 3
		.amdhsa_dx10_clamp 1
		.amdhsa_ieee_mode 1
		.amdhsa_fp16_overflow 0
		.amdhsa_workgroup_processor_mode 1
		.amdhsa_memory_ordered 1
		.amdhsa_forward_progress 0
		.amdhsa_shared_vgpr_count 0
		.amdhsa_exception_fp_ieee_invalid_op 0
		.amdhsa_exception_fp_denorm_src 0
		.amdhsa_exception_fp_ieee_div_zero 0
		.amdhsa_exception_fp_ieee_overflow 0
		.amdhsa_exception_fp_ieee_underflow 0
		.amdhsa_exception_fp_ieee_inexact 0
		.amdhsa_exception_int_div_zero 0
	.end_amdhsa_kernel
	.section	.text._Z25selective_scan_fwd_kernelI32Selective_Scan_fwd_kernel_traitsILi64ELi8ELi1ELb1ELb1ELb1ELb1ELb0EN3c104HalfEffEEv13SSMParamsBase,"axG",@progbits,_Z25selective_scan_fwd_kernelI32Selective_Scan_fwd_kernel_traitsILi64ELi8ELi1ELb1ELb1ELb1ELb1ELb0EN3c104HalfEffEEv13SSMParamsBase,comdat
.Lfunc_end105:
	.size	_Z25selective_scan_fwd_kernelI32Selective_Scan_fwd_kernel_traitsILi64ELi8ELi1ELb1ELb1ELb1ELb1ELb0EN3c104HalfEffEEv13SSMParamsBase, .Lfunc_end105-_Z25selective_scan_fwd_kernelI32Selective_Scan_fwd_kernel_traitsILi64ELi8ELi1ELb1ELb1ELb1ELb1ELb0EN3c104HalfEffEEv13SSMParamsBase
                                        ; -- End function
	.section	.AMDGPU.csdata,"",@progbits
; Kernel info:
; codeLenInByte = 11392
; NumSgprs: 74
; NumVgprs: 96
; ScratchSize: 0
; MemoryBound: 1
; FloatMode: 240
; IeeeMode: 1
; LDSByteSize: 0 bytes/workgroup (compile time only)
; SGPRBlocks: 9
; VGPRBlocks: 11
; NumSGPRsForWavesPerEU: 74
; NumVGPRsForWavesPerEU: 96
; Occupancy: 16
; WaveLimiterHint : 0
; COMPUTE_PGM_RSRC2:SCRATCH_EN: 0
; COMPUTE_PGM_RSRC2:USER_SGPR: 14
; COMPUTE_PGM_RSRC2:TRAP_HANDLER: 0
; COMPUTE_PGM_RSRC2:TGID_X_EN: 1
; COMPUTE_PGM_RSRC2:TGID_Y_EN: 1
; COMPUTE_PGM_RSRC2:TGID_Z_EN: 0
; COMPUTE_PGM_RSRC2:TIDIG_COMP_CNT: 0
	.section	.text._Z25selective_scan_fwd_kernelI32Selective_Scan_fwd_kernel_traitsILi64ELi8ELi1ELb1ELb1ELb1ELb0ELb1EN3c104HalfEffEEv13SSMParamsBase,"axG",@progbits,_Z25selective_scan_fwd_kernelI32Selective_Scan_fwd_kernel_traitsILi64ELi8ELi1ELb1ELb1ELb1ELb0ELb1EN3c104HalfEffEEv13SSMParamsBase,comdat
	.protected	_Z25selective_scan_fwd_kernelI32Selective_Scan_fwd_kernel_traitsILi64ELi8ELi1ELb1ELb1ELb1ELb0ELb1EN3c104HalfEffEEv13SSMParamsBase ; -- Begin function _Z25selective_scan_fwd_kernelI32Selective_Scan_fwd_kernel_traitsILi64ELi8ELi1ELb1ELb1ELb1ELb0ELb1EN3c104HalfEffEEv13SSMParamsBase
	.globl	_Z25selective_scan_fwd_kernelI32Selective_Scan_fwd_kernel_traitsILi64ELi8ELi1ELb1ELb1ELb1ELb0ELb1EN3c104HalfEffEEv13SSMParamsBase
	.p2align	8
	.type	_Z25selective_scan_fwd_kernelI32Selective_Scan_fwd_kernel_traitsILi64ELi8ELi1ELb1ELb1ELb1ELb0ELb1EN3c104HalfEffEEv13SSMParamsBase,@function
_Z25selective_scan_fwd_kernelI32Selective_Scan_fwd_kernel_traitsILi64ELi8ELi1ELb1ELb1ELb1ELb0ELb1EN3c104HalfEffEEv13SSMParamsBase: ; @_Z25selective_scan_fwd_kernelI32Selective_Scan_fwd_kernel_traitsILi64ELi8ELi1ELb1ELb1ELb1ELb0ELb1EN3c104HalfEffEEv13SSMParamsBase
; %bb.0:
	s_clause 0x2
	s_load_b32 s35, s[0:1], 0x18
	s_load_b128 s[4:7], s[0:1], 0xe0
	s_load_b64 s[10:11], s[0:1], 0xf0
	s_mov_b32 s12, s15
	s_ashr_i32 s15, s14, 31
	s_mov_b32 s33, 0
	s_lshl_b64 s[8:9], s[14:15], 2
	s_waitcnt lgkmcnt(0)
	s_abs_i32 s34, s35
	s_add_u32 s2, s4, s8
	v_cvt_f32_u32_e32 v1, s34
	s_addc_u32 s3, s5, s9
	s_cmp_eq_u64 s[10:11], 0
	s_delay_alu instid0(VALU_DEP_1) | instskip(SKIP_2) | instid1(VALU_DEP_1)
	v_rcp_iflag_f32_e32 v1, v1
	s_waitcnt_depctr 0xfff
	v_mul_f32_e32 v1, 0x4f7ffffe, v1
	v_cvt_u32_f32_e32 v1, v1
	s_delay_alu instid0(VALU_DEP_1)
	v_readfirstlane_b32 s36, v1
	s_cbranch_scc1 .LBB106_2
; %bb.1:
	v_mov_b32_e32 v1, 0
	s_add_u32 s4, s10, s14
	s_addc_u32 s5, s11, s15
	global_load_u8 v1, v1, s[4:5]
	s_waitcnt vmcnt(0)
	v_and_b32_e32 v1, 1, v1
	s_delay_alu instid0(VALU_DEP_1)
	v_cmp_eq_u32_e64 s33, 1, v1
.LBB106_2:
	s_load_b64 s[4:5], s[0:1], 0x20
	s_cmp_eq_u64 s[6:7], 0
	s_cbranch_scc1 .LBB106_4
; %bb.3:
	s_add_u32 s6, s6, s8
	s_addc_u32 s7, s7, s9
	s_load_b32 s14, s[6:7], 0x0
	s_waitcnt lgkmcnt(0)
	s_ashr_i32 s15, s14, 31
.LBB106_4:
	s_waitcnt lgkmcnt(0)
	s_cmp_eq_u64 s[4:5], s[14:15]
	s_cbranch_scc1 .LBB106_140
; %bb.5:
	s_load_b512 s[16:31], s[0:1], 0x88
	s_load_b64 s[10:11], s[2:3], 0x0
	s_mov_b32 s52, 0
	s_mov_b32 s53, 0
	s_waitcnt lgkmcnt(0)
	s_cmp_eq_u64 s[22:23], 0
	s_cbranch_scc1 .LBB106_7
; %bb.6:
	s_ashr_i32 s13, s12, 31
	s_delay_alu instid0(SALU_CYCLE_1) | instskip(NEXT) | instid1(SALU_CYCLE_1)
	s_lshl_b64 s[2:3], s[12:13], 2
	s_add_u32 s2, s22, s2
	s_addc_u32 s3, s23, s3
	s_load_b32 s53, s[2:3], 0x0
.LBB106_7:
	s_cmp_eq_u64 s[28:29], 0
	s_cbranch_scc1 .LBB106_9
; %bb.8:
	s_ashr_i32 s13, s12, 31
	s_delay_alu instid0(SALU_CYCLE_1) | instskip(NEXT) | instid1(SALU_CYCLE_1)
	s_lshl_b64 s[2:3], s[12:13], 2
	s_add_u32 s2, s28, s2
	s_addc_u32 s3, s29, s3
	s_load_b32 s52, s[2:3], 0x0
.LBB106_9:
	s_sub_i32 s29, s11, s10
	s_delay_alu instid0(SALU_CYCLE_1)
	s_cmp_lt_i32 s29, 1
	s_cbranch_scc1 .LBB106_140
; %bb.10:
	s_sub_i32 s2, 0, s34
	s_abs_i32 s5, s12
	s_mul_i32 s4, s2, s36
	s_clause 0x1
	s_load_b64 s[2:3], s[0:1], 0x5c
	s_load_b128 s[44:47], s[0:1], 0x4c
	s_mul_hi_u32 s4, s36, s4
	s_ashr_i32 s7, s35, 31
	s_add_i32 s36, s36, s4
	s_ashr_i32 s4, s12, 31
	s_mul_hi_u32 s6, s5, s36
	s_xor_b32 s7, s4, s7
	s_mul_i32 s8, s6, s34
	s_load_b256 s[36:43], s[0:1], 0x2c
	s_sub_i32 s4, s5, s8
	s_add_i32 s5, s6, 1
	s_sub_i32 s8, s4, s34
	s_cmp_ge_u32 s4, s34
	s_mov_b32 s35, 0
	s_cselect_b32 s5, s5, s6
	s_cselect_b32 s4, s8, s4
	s_add_i32 s6, s5, 1
	s_cmp_ge_u32 s4, s34
	s_load_b128 s[48:51], s[0:1], 0x7c
	s_cselect_b32 s4, s6, s5
	s_waitcnt lgkmcnt(0)
	s_mul_i32 s34, s10, s46
	s_xor_b32 s6, s4, s7
	s_lshl_b64 s[4:5], s[34:35], 1
	s_sub_i32 s6, s6, s7
	s_mul_i32 s34, s47, s12
	s_add_u32 s7, s24, s4
	s_addc_u32 s8, s25, s5
	s_lshl_b64 s[4:5], s[34:35], 1
	s_mul_i32 s34, s10, s2
	s_add_u32 s54, s7, s4
	s_addc_u32 s55, s8, s5
	s_lshl_b64 s[4:5], s[34:35], 1
	;; [unrolled: 4-line block ×4, first 2 shown]
	s_mul_i32 s34, s10, s38
	s_add_u32 s57, s16, s2
	s_addc_u32 s58, s17, s3
	s_load_b64 s[16:17], s[0:1], 0x6c
	s_lshl_b64 s[2:3], s[34:35], 1
	s_mul_i32 s34, s6, s41
	s_add_u32 s7, s18, s2
	s_addc_u32 s8, s19, s3
	s_lshl_b64 s[2:3], s[34:35], 1
	v_dual_mov_b32 v13, 0 :: v_dual_lshlrev_b32 v10, 3, v0
	s_mul_i32 s34, s10, s42
	s_load_b64 s[4:5], s[0:1], 0xc8
	s_add_u32 s41, s7, s2
	s_addc_u32 s51, s8, s3
	s_lshl_b64 s[2:3], s[34:35], 1
	s_mul_i32 s34, s6, s45
	s_add_u32 s7, s20, s2
	v_mbcnt_lo_u32_b32 v1, -1, 0
	v_and_b32_e32 v2, 0x100, v10
	s_addc_u32 s6, s21, s3
	s_lshl_b64 s[2:3], s[34:35], 1
	s_mul_i32 s34, s14, s48
	s_add_u32 s45, s7, s2
	s_addc_u32 s48, s6, s3
	s_lshl_b64 s[2:3], s[34:35], 2
	s_mul_i32 s34, s49, s12
	s_clause 0x1
	s_load_b32 s49, s[0:1], 0xc
	s_load_b32 s0, s[0:1], 0x28
	v_or_b32_e32 v11, v1, v2
	v_and_b32_e32 v6, 32, v0
	v_lshrrev_b32_e32 v4, 5, v2
	v_cmp_gt_u32_e64 s6, 2, v0
	s_waitcnt lgkmcnt(0)
	s_add_u32 s4, s4, s2
	v_or_b32_e32 v12, 0x60, v11
	v_or_b32_e32 v17, 0xa0, v11
	;; [unrolled: 1-line block ×3, first 2 shown]
	s_addc_u32 s5, s5, s3
	s_lshl_b64 s[2:3], s[34:35], 2
	v_lshrrev_b32_e32 v3, 5, v12
	s_add_u32 s59, s4, s2
	v_or_b32_e32 v15, 64, v11
	v_or_b32_e32 v16, 0x80, v11
	;; [unrolled: 1-line block ×3, first 2 shown]
	v_and_b32_e32 v3, 10, v3
	v_lshrrev_b32_e32 v7, 5, v17
	v_lshrrev_b32_e32 v24, 5, v19
	s_addc_u32 s60, s5, s3
	s_add_i32 s1, s29, 0x7ff
	v_lshrrev_b32_e32 v5, 5, v15
	s_lshr_b32 s61, s1, 11
	s_bitcmp1_b32 s0, 0
	v_add_lshl_u32 v3, v3, v11, 1
	v_lshrrev_b32_e32 v8, 5, v16
	v_or_b32_e32 v9, v1, v6
	v_and_b32_e32 v7, 12, v7
	v_lshrrev_b32_e32 v23, 5, v18
	v_and_b32_e32 v26, 14, v24
	s_cselect_b32 s62, -1, 0
	s_cmp_gt_i32 s49, 0
	v_add_lshl_u32 v4, v4, v11, 1
	s_cselect_b32 s63, -1, 0
	s_add_i32 s0, 0, 0x420
	v_add_lshl_u32 v5, v5, v11, 1
	v_add_nc_u32_e32 v22, 0, v3
	v_add_lshl_u32 v8, v8, v11, 1
	v_lshrrev_b32_e32 v25, 2, v9
	v_add_lshl_u32 v7, v7, v11, 1
	v_add_lshl_u32 v33, v23, v11, 1
	;; [unrolled: 1-line block ×3, first 2 shown]
	v_add_nc_u32_e32 v30, s0, v3
	v_and_b32_e32 v3, 15, v1
	s_and_b32 s1, s29, 0x1ff
	v_and_b32_e32 v27, 14, v25
	v_add_nc_u32_e32 v25, 0, v33
	v_add_nc_u32_e32 v26, 0, v34
	;; [unrolled: 1-line block ×7, first 2 shown]
	s_cmp_eq_u32 s1, 0
	v_add_nc_u32_e32 v34, s0, v34
	v_cmp_ne_u32_e64 s0, 0, v3
	v_cmp_lt_u32_e64 s1, 1, v3
	v_cmp_lt_u32_e64 s2, 3, v3
	;; [unrolled: 1-line block ×3, first 2 shown]
	v_add_nc_u32_e32 v3, -1, v1
	v_add_nc_u32_e32 v20, 0, v4
	v_lshrrev_b32_e32 v4, 2, v0
	v_or_b32_e32 v6, 31, v6
	s_mul_i32 s34, s10, s16
	v_cmp_gt_i32_e32 vcc_lo, 0, v3
	s_cselect_b32 s64, -1, 0
	v_and_b32_e32 v4, 8, v4
	s_lshl_b64 s[14:15], s[34:35], 1
	s_add_i32 s65, s61, -1
	v_cndmask_b32_e32 v3, v3, v1, vcc_lo
	s_mul_i32 s34, s17, s12
	v_cmp_eq_u32_e64 s5, v6, v0
	v_cmp_gt_u32_e64 s8, 32, v0
	v_cmp_lt_u32_e64 s9, 31, v0
	v_cmp_eq_u32_e64 s10, 0, v0
	s_add_u32 s11, s30, s14
	v_lshlrev_b32_e32 v0, 1, v1
	s_addc_u32 s14, s31, s15
	s_lshl_b64 s[12:13], s[34:35], 1
	v_add_nc_u32_e32 v35, 0, v4
	v_and_b32_e32 v4, 1, v1
	s_add_u32 s11, s11, s12
	v_lshlrev_b32_e32 v37, 2, v3
	s_addc_u32 s12, s14, s13
	v_lshlrev_b32_e32 v3, 1, v2
	v_add_co_u32 v0, s11, s11, v0
	v_add_nc_u32_e32 v21, 0, v5
	v_lshl_add_u32 v9, v9, 3, v27
	v_and_b32_e32 v5, 16, v1
	v_cmp_eq_u32_e64 s7, 0, v4
	v_add_co_ci_u32_e64 v4, null, s12, 0, s11
	v_add_co_u32 v38, vcc_lo, v0, v3
	v_or_b32_e32 v14, 32, v11
	v_add_nc_u32_e32 v23, 0, v8
	v_add_nc_u32_e32 v24, 0, v7
	v_lshl_add_u32 v27, v9, 1, 0
	v_cmp_ne_u32_e64 s4, 0, v5
	v_add_nc_u32_e32 v36, 0, v10
	v_cmp_eq_u32_e64 s11, 0, v1
	v_add_co_ci_u32_e32 v39, vcc_lo, 0, v4, vcc_lo
	v_or_b32_e32 v40, 1, v10
	v_or_b32_e32 v41, 2, v10
	v_or_b32_e32 v42, 3, v10
	v_or_b32_e32 v43, 4, v10
	v_or_b32_e32 v44, 5, v10
	v_or_b32_e32 v45, 6, v10
	v_or_b32_e32 v46, 7, v10
	v_lshlrev_b32_e32 v47, 1, v1
	v_lshlrev_b32_e32 v48, 1, v2
	s_mov_b32 s66, 0x3e9b6dac
	s_add_i32 s67, 0, 0x850
	s_mov_b32 s68, 0
	s_branch .LBB106_12
.LBB106_11:                             ;   in Loop: Header=BB106_12 Depth=1
	s_or_b32 exec_lo, exec_lo, s12
	s_add_u32 s56, s56, 0x400
	s_addc_u32 s36, s36, 0
	s_add_u32 s54, s54, 0x400
	s_addc_u32 s55, s55, 0
	;; [unrolled: 2-line block ×4, first 2 shown]
	s_add_i32 s68, s68, 1
	s_delay_alu instid0(SALU_CYCLE_1)
	s_cmp_eq_u32 s68, s61
	s_cbranch_scc1 .LBB106_140
.LBB106_12:                             ; =>This Loop Header: Depth=1
                                        ;     Child Loop BB106_61 Depth 2
	v_add_co_u32 v0, s12, s54, v47
	s_delay_alu instid0(VALU_DEP_1) | instskip(SKIP_1) | instid1(VALU_DEP_2)
	v_add_co_ci_u32_e64 v1, null, s55, 0, s12
	s_lshl_b32 s30, s68, 9
	v_add_co_u32 v0, vcc_lo, v0, v48
	s_sub_i32 s23, s29, s30
	s_delay_alu instid0(VALU_DEP_2)
	v_add_co_ci_u32_e32 v1, vcc_lo, 0, v1, vcc_lo
	v_cmp_gt_u32_e64 s12, s23, v11
	s_waitcnt lgkmcnt(0)
	v_mov_b32_e32 v2, 0
	s_waitcnt_vscnt null, 0x0
	s_barrier
	buffer_gl0_inv
	s_and_saveexec_b32 s13, s12
	s_cbranch_execz .LBB106_14
; %bb.13:                               ;   in Loop: Header=BB106_12 Depth=1
	global_load_u16 v2, v[0:1], off
.LBB106_14:                             ;   in Loop: Header=BB106_12 Depth=1
	s_or_b32 exec_lo, exec_lo, s13
	v_cmp_gt_u32_e64 s13, s23, v14
	v_dual_mov_b32 v3, 0 :: v_dual_mov_b32 v4, 0
	s_delay_alu instid0(VALU_DEP_2)
	s_and_saveexec_b32 s14, s13
	s_cbranch_execz .LBB106_16
; %bb.15:                               ;   in Loop: Header=BB106_12 Depth=1
	global_load_u16 v4, v[0:1], off offset:64
.LBB106_16:                             ;   in Loop: Header=BB106_12 Depth=1
	s_or_b32 exec_lo, exec_lo, s14
	v_cmp_gt_u32_e64 s14, s23, v15
	s_delay_alu instid0(VALU_DEP_1)
	s_and_saveexec_b32 s15, s14
	s_cbranch_execz .LBB106_18
; %bb.17:                               ;   in Loop: Header=BB106_12 Depth=1
	global_load_u16 v3, v[0:1], off offset:128
.LBB106_18:                             ;   in Loop: Header=BB106_12 Depth=1
	s_or_b32 exec_lo, exec_lo, s15
	v_cmp_gt_u32_e64 s15, s23, v12
	v_mov_b32_e32 v5, 0
	v_mov_b32_e32 v7, 0
	s_delay_alu instid0(VALU_DEP_3)
	s_and_saveexec_b32 s16, s15
	s_cbranch_execz .LBB106_20
; %bb.19:                               ;   in Loop: Header=BB106_12 Depth=1
	global_load_u16 v7, v[0:1], off offset:192
.LBB106_20:                             ;   in Loop: Header=BB106_12 Depth=1
	s_or_b32 exec_lo, exec_lo, s16
	v_cmp_gt_u32_e64 s16, s23, v16
	s_delay_alu instid0(VALU_DEP_1)
	s_and_saveexec_b32 s17, s16
	s_cbranch_execz .LBB106_22
; %bb.21:                               ;   in Loop: Header=BB106_12 Depth=1
	global_load_u16 v5, v[0:1], off offset:256
.LBB106_22:                             ;   in Loop: Header=BB106_12 Depth=1
	s_or_b32 exec_lo, exec_lo, s17
	v_cmp_gt_u32_e64 s17, s23, v17
	v_dual_mov_b32 v8, 0 :: v_dual_mov_b32 v9, 0
	s_delay_alu instid0(VALU_DEP_2)
	s_and_saveexec_b32 s18, s17
	s_cbranch_execz .LBB106_24
; %bb.23:                               ;   in Loop: Header=BB106_12 Depth=1
	global_load_u16 v9, v[0:1], off offset:320
.LBB106_24:                             ;   in Loop: Header=BB106_12 Depth=1
	s_or_b32 exec_lo, exec_lo, s18
	v_cmp_gt_u32_e64 s18, s23, v18
	s_delay_alu instid0(VALU_DEP_1)
	s_and_saveexec_b32 s19, s18
	s_cbranch_execz .LBB106_26
; %bb.25:                               ;   in Loop: Header=BB106_12 Depth=1
	global_load_u16 v8, v[0:1], off offset:384
.LBB106_26:                             ;   in Loop: Header=BB106_12 Depth=1
	s_or_b32 exec_lo, exec_lo, s19
	v_cmp_gt_u32_e64 s19, s23, v19
	v_dual_mov_b32 v6, 0 :: v_dual_mov_b32 v49, 0
	s_delay_alu instid0(VALU_DEP_2)
	s_and_saveexec_b32 s20, s19
	s_cbranch_execz .LBB106_28
; %bb.27:                               ;   in Loop: Header=BB106_12 Depth=1
	global_load_u16 v49, v[0:1], off offset:448
.LBB106_28:                             ;   in Loop: Header=BB106_12 Depth=1
	s_or_b32 exec_lo, exec_lo, s20
	s_waitcnt vmcnt(0)
	ds_store_b16 v20, v2
	ds_store_b16 v20, v4 offset:64
	ds_store_b16 v21, v3 offset:128
	;; [unrolled: 1-line block ×7, first 2 shown]
	; wave barrier
	ds_load_b128 v[0:3], v27
	v_add_co_u32 v4, s20, s56, v47
	s_delay_alu instid0(VALU_DEP_1) | instskip(SKIP_1) | instid1(VALU_DEP_2)
	v_add_co_ci_u32_e64 v5, null, s36, 0, s20
	s_waitcnt lgkmcnt(0)
	v_add_co_u32 v4, vcc_lo, v4, v48
	s_delay_alu instid0(VALU_DEP_2)
	v_add_co_ci_u32_e32 v5, vcc_lo, 0, v5, vcc_lo
	s_barrier
	buffer_gl0_inv
	s_and_saveexec_b32 s20, s12
	s_cbranch_execz .LBB106_30
; %bb.29:                               ;   in Loop: Header=BB106_12 Depth=1
	global_load_u16 v6, v[4:5], off
.LBB106_30:                             ;   in Loop: Header=BB106_12 Depth=1
	s_or_b32 exec_lo, exec_lo, s20
	v_dual_mov_b32 v7, 0 :: v_dual_mov_b32 v8, 0
	s_and_saveexec_b32 s20, s13
	s_cbranch_execz .LBB106_32
; %bb.31:                               ;   in Loop: Header=BB106_12 Depth=1
	global_load_u16 v8, v[4:5], off offset:64
.LBB106_32:                             ;   in Loop: Header=BB106_12 Depth=1
	s_or_b32 exec_lo, exec_lo, s20
	s_and_saveexec_b32 s20, s14
	s_cbranch_execz .LBB106_34
; %bb.33:                               ;   in Loop: Header=BB106_12 Depth=1
	global_load_u16 v7, v[4:5], off offset:128
.LBB106_34:                             ;   in Loop: Header=BB106_12 Depth=1
	s_or_b32 exec_lo, exec_lo, s20
	v_mov_b32_e32 v9, 0
	v_mov_b32_e32 v49, 0
	s_and_saveexec_b32 s20, s15
	s_cbranch_execz .LBB106_36
; %bb.35:                               ;   in Loop: Header=BB106_12 Depth=1
	global_load_u16 v49, v[4:5], off offset:192
.LBB106_36:                             ;   in Loop: Header=BB106_12 Depth=1
	s_or_b32 exec_lo, exec_lo, s20
	s_and_saveexec_b32 s20, s16
	s_cbranch_execz .LBB106_38
; %bb.37:                               ;   in Loop: Header=BB106_12 Depth=1
	global_load_u16 v9, v[4:5], off offset:256
.LBB106_38:                             ;   in Loop: Header=BB106_12 Depth=1
	s_or_b32 exec_lo, exec_lo, s20
	v_dual_mov_b32 v50, 0 :: v_dual_mov_b32 v51, 0
	s_and_saveexec_b32 s20, s17
	s_cbranch_execnz .LBB106_130
; %bb.39:                               ;   in Loop: Header=BB106_12 Depth=1
	s_or_b32 exec_lo, exec_lo, s20
	s_and_saveexec_b32 s20, s18
	s_cbranch_execnz .LBB106_131
.LBB106_40:                             ;   in Loop: Header=BB106_12 Depth=1
	s_or_b32 exec_lo, exec_lo, s20
	v_mov_b32_e32 v52, 0
	s_and_saveexec_b32 s20, s19
	s_cbranch_execz .LBB106_42
.LBB106_41:                             ;   in Loop: Header=BB106_12 Depth=1
	global_load_u16 v52, v[4:5], off offset:448
.LBB106_42:                             ;   in Loop: Header=BB106_12 Depth=1
	s_or_b32 exec_lo, exec_lo, s20
	s_waitcnt vmcnt(0)
	ds_store_b16 v20, v6
	ds_store_b16 v20, v8 offset:64
	ds_store_b16 v21, v7 offset:128
	;; [unrolled: 1-line block ×7, first 2 shown]
	; wave barrier
	ds_load_b128 v[4:7], v27
	s_waitcnt lgkmcnt(0)
	v_cvt_f32_f16_e32 v8, v4
	s_delay_alu instid0(VALU_DEP_1) | instskip(NEXT) | instid1(VALU_DEP_1)
	v_add_f32_e32 v49, s52, v8
	v_cmp_ge_f32_e32 vcc_lo, 0x41a00000, v49
	s_and_b32 s20, s62, vcc_lo
	s_delay_alu instid0(SALU_CYCLE_1)
	s_and_saveexec_b32 s21, s20
	s_cbranch_execz .LBB106_44
; %bb.43:                               ;   in Loop: Header=BB106_12 Depth=1
	v_mul_f32_e32 v8, 0x3fb8aa3b, v49
	v_cmp_ngt_f32_e32 vcc_lo, 0xc2ce8ed0, v49
	s_delay_alu instid0(VALU_DEP_2) | instskip(SKIP_1) | instid1(VALU_DEP_2)
	v_rndne_f32_e32 v9, v8
	v_fma_f32 v50, 0x3fb8aa3b, v49, -v8
	v_sub_f32_e32 v8, v8, v9
	s_delay_alu instid0(VALU_DEP_2) | instskip(SKIP_1) | instid1(VALU_DEP_2)
	v_fmac_f32_e32 v50, 0x32a5705f, v49
	v_cvt_i32_f32_e32 v9, v9
	v_add_f32_e32 v8, v8, v50
	s_delay_alu instid0(VALU_DEP_1) | instskip(SKIP_2) | instid1(VALU_DEP_1)
	v_exp_f32_e32 v8, v8
	s_waitcnt_depctr 0xfff
	v_ldexp_f32 v8, v8, v9
	v_cndmask_b32_e32 v8, 0, v8, vcc_lo
	v_cmp_nlt_f32_e32 vcc_lo, 0x42b17218, v49
	s_delay_alu instid0(VALU_DEP_2) | instskip(NEXT) | instid1(VALU_DEP_1)
	v_cndmask_b32_e32 v49, 0x7f800000, v8, vcc_lo
	v_add_f32_e32 v50, 1.0, v49
	s_delay_alu instid0(VALU_DEP_1) | instskip(NEXT) | instid1(VALU_DEP_1)
	v_cvt_f64_f32_e32 v[8:9], v50
	v_frexp_exp_i32_f64_e32 v8, v[8:9]
	v_frexp_mant_f32_e32 v9, v50
	s_delay_alu instid0(VALU_DEP_1) | instskip(SKIP_1) | instid1(VALU_DEP_1)
	v_cmp_gt_f32_e32 vcc_lo, 0x3f2aaaab, v9
	v_add_f32_e32 v9, -1.0, v50
	v_sub_f32_e32 v52, v9, v50
	v_sub_f32_e32 v9, v49, v9
	v_cmp_gt_f32_e64 s20, 0x33800000, v49
	s_delay_alu instid0(VALU_DEP_3) | instskip(NEXT) | instid1(VALU_DEP_1)
	v_add_f32_e32 v52, 1.0, v52
	v_add_f32_e32 v9, v9, v52
	v_subrev_co_ci_u32_e32 v8, vcc_lo, 0, v8, vcc_lo
	v_cmp_eq_f32_e32 vcc_lo, 0x7f800000, v49
	s_delay_alu instid0(VALU_DEP_2) | instskip(SKIP_2) | instid1(VALU_DEP_2)
	v_sub_nc_u32_e32 v51, 0, v8
	v_cvt_f32_i32_e32 v8, v8
	s_or_b32 vcc_lo, s20, vcc_lo
	v_ldexp_f32 v50, v50, v51
	v_ldexp_f32 v9, v9, v51
	s_delay_alu instid0(VALU_DEP_2) | instskip(NEXT) | instid1(VALU_DEP_1)
	v_add_f32_e32 v53, 1.0, v50
	v_dual_add_f32 v51, -1.0, v50 :: v_dual_add_f32 v52, -1.0, v53
	s_delay_alu instid0(VALU_DEP_1) | instskip(NEXT) | instid1(VALU_DEP_2)
	v_add_f32_e32 v54, 1.0, v51
	v_sub_f32_e32 v52, v50, v52
	s_delay_alu instid0(VALU_DEP_2) | instskip(NEXT) | instid1(VALU_DEP_2)
	v_sub_f32_e32 v50, v50, v54
	v_add_f32_e32 v52, v9, v52
	s_delay_alu instid0(VALU_DEP_2) | instskip(NEXT) | instid1(VALU_DEP_1)
	v_add_f32_e32 v9, v9, v50
	v_dual_add_f32 v55, v51, v9 :: v_dual_add_f32 v54, v53, v52
	s_delay_alu instid0(VALU_DEP_1) | instskip(NEXT) | instid1(VALU_DEP_2)
	v_sub_f32_e32 v51, v51, v55
	v_rcp_f32_e32 v50, v54
	v_sub_f32_e32 v53, v53, v54
	s_delay_alu instid0(VALU_DEP_1) | instskip(SKIP_2) | instid1(VALU_DEP_1)
	v_dual_add_f32 v9, v9, v51 :: v_dual_add_f32 v52, v52, v53
	s_waitcnt_depctr 0xfff
	v_mul_f32_e32 v56, v55, v50
	v_mul_f32_e32 v57, v54, v56
	s_delay_alu instid0(VALU_DEP_1) | instskip(NEXT) | instid1(VALU_DEP_1)
	v_fma_f32 v53, v56, v54, -v57
	v_fmac_f32_e32 v53, v56, v52
	s_delay_alu instid0(VALU_DEP_1) | instskip(NEXT) | instid1(VALU_DEP_1)
	v_add_f32_e32 v58, v57, v53
	v_sub_f32_e32 v59, v55, v58
	s_delay_alu instid0(VALU_DEP_1) | instskip(NEXT) | instid1(VALU_DEP_1)
	v_sub_f32_e32 v55, v55, v59
	v_sub_f32_e32 v55, v55, v58
	;; [unrolled: 1-line block ×3, first 2 shown]
	s_delay_alu instid0(VALU_DEP_2) | instskip(NEXT) | instid1(VALU_DEP_2)
	v_add_f32_e32 v9, v9, v55
	v_sub_f32_e32 v51, v51, v53
	s_delay_alu instid0(VALU_DEP_1) | instskip(NEXT) | instid1(VALU_DEP_1)
	v_add_f32_e32 v9, v51, v9
	v_add_f32_e32 v51, v59, v9
	s_delay_alu instid0(VALU_DEP_1) | instskip(NEXT) | instid1(VALU_DEP_1)
	v_mul_f32_e32 v53, v50, v51
	v_dual_sub_f32 v58, v59, v51 :: v_dual_mul_f32 v55, v54, v53
	s_delay_alu instid0(VALU_DEP_1) | instskip(NEXT) | instid1(VALU_DEP_2)
	v_add_f32_e32 v9, v9, v58
	v_fma_f32 v54, v53, v54, -v55
	s_delay_alu instid0(VALU_DEP_1) | instskip(NEXT) | instid1(VALU_DEP_1)
	v_fmac_f32_e32 v54, v53, v52
	v_add_f32_e32 v52, v55, v54
	s_delay_alu instid0(VALU_DEP_1) | instskip(NEXT) | instid1(VALU_DEP_1)
	v_sub_f32_e32 v57, v51, v52
	v_sub_f32_e32 v51, v51, v57
	s_delay_alu instid0(VALU_DEP_1) | instskip(NEXT) | instid1(VALU_DEP_1)
	v_sub_f32_e32 v51, v51, v52
	v_add_f32_e32 v9, v9, v51
	v_add_f32_e32 v51, v56, v53
	v_sub_f32_e32 v55, v52, v55
	s_delay_alu instid0(VALU_DEP_1) | instskip(NEXT) | instid1(VALU_DEP_1)
	v_sub_f32_e32 v52, v55, v54
	v_dual_add_f32 v9, v52, v9 :: v_dual_sub_f32 v52, v51, v56
	s_delay_alu instid0(VALU_DEP_1) | instskip(NEXT) | instid1(VALU_DEP_1)
	v_add_f32_e32 v9, v57, v9
	v_dual_sub_f32 v52, v53, v52 :: v_dual_mul_f32 v9, v50, v9
	s_delay_alu instid0(VALU_DEP_1) | instskip(NEXT) | instid1(VALU_DEP_1)
	v_add_f32_e32 v9, v52, v9
	v_add_f32_e32 v50, v51, v9
	s_delay_alu instid0(VALU_DEP_1) | instskip(NEXT) | instid1(VALU_DEP_1)
	v_mul_f32_e32 v52, v50, v50
	v_fmaak_f32 v53, s66, v52, 0x3ecc95a3
	v_mul_f32_e32 v54, v50, v52
	s_delay_alu instid0(VALU_DEP_2) | instskip(SKIP_2) | instid1(VALU_DEP_3)
	v_fmaak_f32 v52, v52, v53, 0x3f2aaada
	v_ldexp_f32 v53, v50, 1
	v_sub_f32_e32 v50, v50, v51
	v_mul_f32_e32 v52, v54, v52
	v_mul_f32_e32 v54, 0x3f317218, v8
	s_delay_alu instid0(VALU_DEP_2) | instskip(NEXT) | instid1(VALU_DEP_1)
	v_add_f32_e32 v51, v53, v52
	v_dual_sub_f32 v9, v9, v50 :: v_dual_sub_f32 v50, v51, v53
	s_delay_alu instid0(VALU_DEP_3) | instskip(NEXT) | instid1(VALU_DEP_2)
	v_fma_f32 v53, 0x3f317218, v8, -v54
	v_ldexp_f32 v9, v9, 1
	s_delay_alu instid0(VALU_DEP_2) | instskip(NEXT) | instid1(VALU_DEP_1)
	v_dual_sub_f32 v50, v52, v50 :: v_dual_fmac_f32 v53, 0xb102e308, v8
	v_dual_add_f32 v8, v9, v50 :: v_dual_add_f32 v9, v54, v53
	s_delay_alu instid0(VALU_DEP_1) | instskip(NEXT) | instid1(VALU_DEP_1)
	v_add_f32_e32 v50, v51, v8
	v_add_f32_e32 v52, v9, v50
	s_delay_alu instid0(VALU_DEP_1) | instskip(NEXT) | instid1(VALU_DEP_1)
	v_sub_f32_e32 v55, v52, v9
	v_sub_f32_e32 v56, v52, v55
	;; [unrolled: 1-line block ×4, first 2 shown]
	s_delay_alu instid0(VALU_DEP_2) | instskip(SKIP_1) | instid1(VALU_DEP_1)
	v_sub_f32_e32 v8, v8, v51
	v_sub_f32_e32 v54, v9, v54
	;; [unrolled: 1-line block ×3, first 2 shown]
	s_delay_alu instid0(VALU_DEP_1) | instskip(SKIP_1) | instid1(VALU_DEP_1)
	v_add_f32_e32 v51, v53, v8
	v_sub_f32_e32 v9, v9, v56
	v_add_f32_e32 v9, v50, v9
	s_delay_alu instid0(VALU_DEP_3) | instskip(NEXT) | instid1(VALU_DEP_1)
	v_sub_f32_e32 v50, v51, v53
	v_dual_sub_f32 v8, v8, v50 :: v_dual_add_f32 v9, v51, v9
	s_delay_alu instid0(VALU_DEP_1) | instskip(NEXT) | instid1(VALU_DEP_1)
	v_dual_sub_f32 v51, v51, v50 :: v_dual_add_f32 v54, v52, v9
	v_dual_sub_f32 v51, v53, v51 :: v_dual_sub_f32 v50, v54, v52
	s_delay_alu instid0(VALU_DEP_1) | instskip(NEXT) | instid1(VALU_DEP_1)
	v_dual_add_f32 v8, v8, v51 :: v_dual_sub_f32 v9, v9, v50
	v_add_f32_e32 v8, v8, v9
	s_delay_alu instid0(VALU_DEP_1) | instskip(NEXT) | instid1(VALU_DEP_1)
	v_add_f32_e32 v8, v54, v8
	v_cndmask_b32_e32 v49, v8, v49, vcc_lo
.LBB106_44:                             ;   in Loop: Header=BB106_12 Depth=1
	s_or_b32 exec_lo, exec_lo, s21
	v_lshrrev_b32_e32 v4, 16, v4
	s_delay_alu instid0(VALU_DEP_1) | instskip(NEXT) | instid1(VALU_DEP_1)
	v_cvt_f32_f16_e32 v4, v4
	v_add_f32_e32 v50, s52, v4
	s_delay_alu instid0(VALU_DEP_1) | instskip(SKIP_1) | instid1(SALU_CYCLE_1)
	v_cmp_ge_f32_e32 vcc_lo, 0x41a00000, v50
	s_and_b32 s20, s62, vcc_lo
	s_and_saveexec_b32 s21, s20
	s_cbranch_execz .LBB106_46
; %bb.45:                               ;   in Loop: Header=BB106_12 Depth=1
	v_mul_f32_e32 v4, 0x3fb8aa3b, v50
	v_cmp_ngt_f32_e32 vcc_lo, 0xc2ce8ed0, v50
	s_delay_alu instid0(VALU_DEP_2) | instskip(SKIP_1) | instid1(VALU_DEP_1)
	v_rndne_f32_e32 v8, v4
	v_fma_f32 v9, 0x3fb8aa3b, v50, -v4
	v_dual_sub_f32 v4, v4, v8 :: v_dual_fmac_f32 v9, 0x32a5705f, v50
	v_cvt_i32_f32_e32 v8, v8
	s_delay_alu instid0(VALU_DEP_2) | instskip(NEXT) | instid1(VALU_DEP_1)
	v_add_f32_e32 v4, v4, v9
	v_exp_f32_e32 v4, v4
	s_waitcnt_depctr 0xfff
	v_ldexp_f32 v4, v4, v8
	s_delay_alu instid0(VALU_DEP_1) | instskip(SKIP_1) | instid1(VALU_DEP_2)
	v_cndmask_b32_e32 v4, 0, v4, vcc_lo
	v_cmp_nlt_f32_e32 vcc_lo, 0x42b17218, v50
	v_cndmask_b32_e32 v4, 0x7f800000, v4, vcc_lo
	s_delay_alu instid0(VALU_DEP_1) | instskip(NEXT) | instid1(VALU_DEP_1)
	v_add_f32_e32 v50, 1.0, v4
	v_cvt_f64_f32_e32 v[8:9], v50
	s_delay_alu instid0(VALU_DEP_1) | instskip(SKIP_1) | instid1(VALU_DEP_1)
	v_frexp_exp_i32_f64_e32 v8, v[8:9]
	v_frexp_mant_f32_e32 v9, v50
	v_cmp_gt_f32_e32 vcc_lo, 0x3f2aaaab, v9
	v_add_f32_e32 v9, -1.0, v50
	s_delay_alu instid0(VALU_DEP_1) | instskip(NEXT) | instid1(VALU_DEP_1)
	v_dual_sub_f32 v52, v9, v50 :: v_dual_sub_f32 v9, v4, v9
	v_add_f32_e32 v52, 1.0, v52
	s_delay_alu instid0(VALU_DEP_1) | instskip(SKIP_1) | instid1(VALU_DEP_1)
	v_add_f32_e32 v9, v9, v52
	v_subrev_co_ci_u32_e32 v8, vcc_lo, 0, v8, vcc_lo
	v_sub_nc_u32_e32 v51, 0, v8
	v_cvt_f32_i32_e32 v8, v8
	s_delay_alu instid0(VALU_DEP_2) | instskip(SKIP_1) | instid1(VALU_DEP_2)
	v_ldexp_f32 v50, v50, v51
	v_ldexp_f32 v9, v9, v51
	v_add_f32_e32 v53, 1.0, v50
	v_add_f32_e32 v51, -1.0, v50
	v_cmp_eq_f32_e32 vcc_lo, 0x7f800000, v4
	v_cmp_gt_f32_e64 s20, 0x33800000, v4
	s_delay_alu instid0(VALU_DEP_4) | instskip(NEXT) | instid1(VALU_DEP_4)
	v_add_f32_e32 v52, -1.0, v53
	v_add_f32_e32 v54, 1.0, v51
	s_delay_alu instid0(VALU_DEP_3) | instskip(NEXT) | instid1(VALU_DEP_2)
	s_or_b32 vcc_lo, s20, vcc_lo
	v_sub_f32_e32 v52, v50, v52
	s_delay_alu instid0(VALU_DEP_2) | instskip(NEXT) | instid1(VALU_DEP_2)
	v_sub_f32_e32 v50, v50, v54
	v_add_f32_e32 v52, v9, v52
	s_delay_alu instid0(VALU_DEP_2) | instskip(NEXT) | instid1(VALU_DEP_1)
	v_add_f32_e32 v9, v9, v50
	v_add_f32_e32 v55, v51, v9
	s_delay_alu instid0(VALU_DEP_1) | instskip(NEXT) | instid1(VALU_DEP_1)
	v_dual_sub_f32 v51, v51, v55 :: v_dual_add_f32 v54, v53, v52
	v_add_f32_e32 v9, v9, v51
	s_delay_alu instid0(VALU_DEP_2) | instskip(SKIP_1) | instid1(VALU_DEP_1)
	v_rcp_f32_e32 v50, v54
	v_sub_f32_e32 v53, v53, v54
	v_add_f32_e32 v52, v52, v53
	s_waitcnt_depctr 0xfff
	v_mul_f32_e32 v56, v55, v50
	s_delay_alu instid0(VALU_DEP_1) | instskip(NEXT) | instid1(VALU_DEP_1)
	v_mul_f32_e32 v57, v54, v56
	v_fma_f32 v53, v56, v54, -v57
	s_delay_alu instid0(VALU_DEP_1) | instskip(NEXT) | instid1(VALU_DEP_1)
	v_fmac_f32_e32 v53, v56, v52
	v_add_f32_e32 v58, v57, v53
	s_delay_alu instid0(VALU_DEP_1) | instskip(SKIP_1) | instid1(VALU_DEP_2)
	v_sub_f32_e32 v59, v55, v58
	v_sub_f32_e32 v51, v58, v57
	v_sub_f32_e32 v55, v55, v59
	s_delay_alu instid0(VALU_DEP_2) | instskip(NEXT) | instid1(VALU_DEP_2)
	v_sub_f32_e32 v51, v51, v53
	v_sub_f32_e32 v55, v55, v58
	s_delay_alu instid0(VALU_DEP_1) | instskip(NEXT) | instid1(VALU_DEP_1)
	v_add_f32_e32 v9, v9, v55
	v_add_f32_e32 v9, v51, v9
	s_delay_alu instid0(VALU_DEP_1) | instskip(NEXT) | instid1(VALU_DEP_1)
	v_add_f32_e32 v51, v59, v9
	v_mul_f32_e32 v53, v50, v51
	s_delay_alu instid0(VALU_DEP_1) | instskip(NEXT) | instid1(VALU_DEP_1)
	v_dual_sub_f32 v58, v59, v51 :: v_dual_mul_f32 v55, v54, v53
	v_add_f32_e32 v9, v9, v58
	s_delay_alu instid0(VALU_DEP_2) | instskip(NEXT) | instid1(VALU_DEP_1)
	v_fma_f32 v54, v53, v54, -v55
	v_fmac_f32_e32 v54, v53, v52
	s_delay_alu instid0(VALU_DEP_1) | instskip(NEXT) | instid1(VALU_DEP_1)
	v_add_f32_e32 v52, v55, v54
	v_sub_f32_e32 v57, v51, v52
	s_delay_alu instid0(VALU_DEP_1) | instskip(NEXT) | instid1(VALU_DEP_1)
	v_sub_f32_e32 v51, v51, v57
	v_sub_f32_e32 v51, v51, v52
	s_delay_alu instid0(VALU_DEP_1) | instskip(SKIP_2) | instid1(VALU_DEP_1)
	v_add_f32_e32 v9, v9, v51
	v_add_f32_e32 v51, v56, v53
	v_sub_f32_e32 v55, v52, v55
	v_sub_f32_e32 v52, v55, v54
	s_delay_alu instid0(VALU_DEP_1) | instskip(NEXT) | instid1(VALU_DEP_1)
	v_dual_add_f32 v9, v52, v9 :: v_dual_sub_f32 v52, v51, v56
	v_add_f32_e32 v9, v57, v9
	s_delay_alu instid0(VALU_DEP_1) | instskip(NEXT) | instid1(VALU_DEP_1)
	v_dual_sub_f32 v52, v53, v52 :: v_dual_mul_f32 v9, v50, v9
	v_add_f32_e32 v9, v52, v9
	s_delay_alu instid0(VALU_DEP_1) | instskip(NEXT) | instid1(VALU_DEP_1)
	v_add_f32_e32 v50, v51, v9
	v_mul_f32_e32 v52, v50, v50
	s_delay_alu instid0(VALU_DEP_1) | instskip(SKIP_1) | instid1(VALU_DEP_2)
	v_fmaak_f32 v53, s66, v52, 0x3ecc95a3
	v_mul_f32_e32 v54, v50, v52
	v_fmaak_f32 v52, v52, v53, 0x3f2aaada
	v_ldexp_f32 v53, v50, 1
	v_sub_f32_e32 v50, v50, v51
	s_delay_alu instid0(VALU_DEP_3) | instskip(SKIP_1) | instid1(VALU_DEP_2)
	v_mul_f32_e32 v52, v54, v52
	v_mul_f32_e32 v54, 0x3f317218, v8
	v_add_f32_e32 v51, v53, v52
	s_delay_alu instid0(VALU_DEP_1) | instskip(NEXT) | instid1(VALU_DEP_3)
	v_dual_sub_f32 v9, v9, v50 :: v_dual_sub_f32 v50, v51, v53
	v_fma_f32 v53, 0x3f317218, v8, -v54
	s_delay_alu instid0(VALU_DEP_2) | instskip(NEXT) | instid1(VALU_DEP_2)
	v_ldexp_f32 v9, v9, 1
	v_dual_sub_f32 v50, v52, v50 :: v_dual_fmac_f32 v53, 0xb102e308, v8
	s_delay_alu instid0(VALU_DEP_1) | instskip(NEXT) | instid1(VALU_DEP_1)
	v_dual_add_f32 v8, v9, v50 :: v_dual_add_f32 v9, v54, v53
	v_add_f32_e32 v50, v51, v8
	s_delay_alu instid0(VALU_DEP_1) | instskip(NEXT) | instid1(VALU_DEP_1)
	v_add_f32_e32 v52, v9, v50
	v_sub_f32_e32 v55, v52, v9
	s_delay_alu instid0(VALU_DEP_1) | instskip(SKIP_2) | instid1(VALU_DEP_2)
	v_sub_f32_e32 v56, v52, v55
	v_sub_f32_e32 v51, v50, v51
	;; [unrolled: 1-line block ×5, first 2 shown]
	s_delay_alu instid0(VALU_DEP_1) | instskip(NEXT) | instid1(VALU_DEP_1)
	v_sub_f32_e32 v53, v53, v54
	v_add_f32_e32 v51, v53, v8
	v_sub_f32_e32 v9, v9, v56
	s_delay_alu instid0(VALU_DEP_1) | instskip(NEXT) | instid1(VALU_DEP_3)
	v_add_f32_e32 v9, v50, v9
	v_sub_f32_e32 v50, v51, v53
	s_delay_alu instid0(VALU_DEP_1) | instskip(NEXT) | instid1(VALU_DEP_1)
	v_dual_sub_f32 v8, v8, v50 :: v_dual_add_f32 v9, v51, v9
	v_dual_sub_f32 v51, v51, v50 :: v_dual_add_f32 v54, v52, v9
	s_delay_alu instid0(VALU_DEP_1) | instskip(NEXT) | instid1(VALU_DEP_1)
	v_dual_sub_f32 v51, v53, v51 :: v_dual_sub_f32 v50, v54, v52
	v_dual_add_f32 v8, v8, v51 :: v_dual_sub_f32 v9, v9, v50
	s_delay_alu instid0(VALU_DEP_1) | instskip(NEXT) | instid1(VALU_DEP_1)
	v_add_f32_e32 v8, v8, v9
	v_add_f32_e32 v8, v54, v8
	s_delay_alu instid0(VALU_DEP_1)
	v_cndmask_b32_e32 v50, v8, v4, vcc_lo
.LBB106_46:                             ;   in Loop: Header=BB106_12 Depth=1
	s_or_b32 exec_lo, exec_lo, s21
	v_cvt_f32_f16_e32 v4, v5
	s_delay_alu instid0(VALU_DEP_1) | instskip(NEXT) | instid1(VALU_DEP_1)
	v_add_f32_e32 v51, s52, v4
	v_cmp_ge_f32_e32 vcc_lo, 0x41a00000, v51
	s_and_b32 s20, s62, vcc_lo
	s_delay_alu instid0(SALU_CYCLE_1)
	s_and_saveexec_b32 s21, s20
	s_cbranch_execz .LBB106_48
; %bb.47:                               ;   in Loop: Header=BB106_12 Depth=1
	v_mul_f32_e32 v4, 0x3fb8aa3b, v51
	v_cmp_ngt_f32_e32 vcc_lo, 0xc2ce8ed0, v51
	s_delay_alu instid0(VALU_DEP_2) | instskip(SKIP_1) | instid1(VALU_DEP_1)
	v_rndne_f32_e32 v8, v4
	v_fma_f32 v9, 0x3fb8aa3b, v51, -v4
	v_dual_sub_f32 v4, v4, v8 :: v_dual_fmac_f32 v9, 0x32a5705f, v51
	v_cvt_i32_f32_e32 v8, v8
	s_delay_alu instid0(VALU_DEP_2) | instskip(NEXT) | instid1(VALU_DEP_1)
	v_add_f32_e32 v4, v4, v9
	v_exp_f32_e32 v4, v4
	s_waitcnt_depctr 0xfff
	v_ldexp_f32 v4, v4, v8
	s_delay_alu instid0(VALU_DEP_1) | instskip(SKIP_1) | instid1(VALU_DEP_2)
	v_cndmask_b32_e32 v4, 0, v4, vcc_lo
	v_cmp_nlt_f32_e32 vcc_lo, 0x42b17218, v51
	v_cndmask_b32_e32 v4, 0x7f800000, v4, vcc_lo
	s_delay_alu instid0(VALU_DEP_1) | instskip(NEXT) | instid1(VALU_DEP_1)
	v_add_f32_e32 v51, 1.0, v4
	v_cvt_f64_f32_e32 v[8:9], v51
	s_delay_alu instid0(VALU_DEP_1) | instskip(SKIP_1) | instid1(VALU_DEP_1)
	v_frexp_exp_i32_f64_e32 v8, v[8:9]
	v_frexp_mant_f32_e32 v9, v51
	v_cmp_gt_f32_e32 vcc_lo, 0x3f2aaaab, v9
	v_add_f32_e32 v9, -1.0, v51
	s_delay_alu instid0(VALU_DEP_1) | instskip(NEXT) | instid1(VALU_DEP_1)
	v_sub_f32_e32 v53, v9, v51
	v_add_f32_e32 v53, 1.0, v53
	v_subrev_co_ci_u32_e32 v8, vcc_lo, 0, v8, vcc_lo
	s_delay_alu instid0(VALU_DEP_1) | instskip(SKIP_1) | instid1(VALU_DEP_2)
	v_sub_nc_u32_e32 v52, 0, v8
	v_cvt_f32_i32_e32 v8, v8
	v_ldexp_f32 v51, v51, v52
	s_delay_alu instid0(VALU_DEP_1) | instskip(NEXT) | instid1(VALU_DEP_1)
	v_dual_sub_f32 v9, v4, v9 :: v_dual_add_f32 v54, 1.0, v51
	v_add_f32_e32 v9, v9, v53
	v_cmp_eq_f32_e32 vcc_lo, 0x7f800000, v4
	v_cmp_gt_f32_e64 s20, 0x33800000, v4
	s_delay_alu instid0(VALU_DEP_4) | instskip(NEXT) | instid1(VALU_DEP_4)
	v_add_f32_e32 v53, -1.0, v54
	v_ldexp_f32 v9, v9, v52
	v_add_f32_e32 v52, -1.0, v51
	s_delay_alu instid0(VALU_DEP_4) | instskip(NEXT) | instid1(VALU_DEP_3)
	s_or_b32 vcc_lo, s20, vcc_lo
	v_sub_f32_e32 v53, v51, v53
	s_delay_alu instid0(VALU_DEP_2) | instskip(NEXT) | instid1(VALU_DEP_2)
	v_add_f32_e32 v55, 1.0, v52
	v_add_f32_e32 v53, v9, v53
	s_delay_alu instid0(VALU_DEP_2) | instskip(NEXT) | instid1(VALU_DEP_1)
	v_sub_f32_e32 v51, v51, v55
	v_add_f32_e32 v9, v9, v51
	s_delay_alu instid0(VALU_DEP_1) | instskip(NEXT) | instid1(VALU_DEP_1)
	v_add_f32_e32 v56, v52, v9
	v_dual_add_f32 v55, v54, v53 :: v_dual_sub_f32 v52, v52, v56
	s_delay_alu instid0(VALU_DEP_1) | instskip(SKIP_1) | instid1(VALU_DEP_1)
	v_rcp_f32_e32 v51, v55
	v_sub_f32_e32 v54, v54, v55
	v_add_f32_e32 v53, v53, v54
	s_waitcnt_depctr 0xfff
	v_mul_f32_e32 v57, v56, v51
	s_delay_alu instid0(VALU_DEP_1) | instskip(NEXT) | instid1(VALU_DEP_1)
	v_mul_f32_e32 v58, v55, v57
	v_fma_f32 v54, v57, v55, -v58
	s_delay_alu instid0(VALU_DEP_1) | instskip(SKIP_1) | instid1(VALU_DEP_2)
	v_fmac_f32_e32 v54, v57, v53
	v_add_f32_e32 v9, v9, v52
	v_add_f32_e32 v59, v58, v54
	s_delay_alu instid0(VALU_DEP_1) | instskip(SKIP_1) | instid1(VALU_DEP_2)
	v_sub_f32_e32 v60, v56, v59
	v_sub_f32_e32 v52, v59, v58
	;; [unrolled: 1-line block ×3, first 2 shown]
	s_delay_alu instid0(VALU_DEP_2) | instskip(NEXT) | instid1(VALU_DEP_2)
	v_sub_f32_e32 v52, v52, v54
	v_sub_f32_e32 v56, v56, v59
	s_delay_alu instid0(VALU_DEP_1) | instskip(NEXT) | instid1(VALU_DEP_1)
	v_add_f32_e32 v9, v9, v56
	v_add_f32_e32 v9, v52, v9
	s_delay_alu instid0(VALU_DEP_1) | instskip(NEXT) | instid1(VALU_DEP_1)
	v_add_f32_e32 v52, v60, v9
	v_mul_f32_e32 v54, v51, v52
	s_delay_alu instid0(VALU_DEP_1) | instskip(NEXT) | instid1(VALU_DEP_1)
	v_dual_sub_f32 v59, v60, v52 :: v_dual_mul_f32 v56, v55, v54
	v_add_f32_e32 v9, v9, v59
	s_delay_alu instid0(VALU_DEP_2) | instskip(NEXT) | instid1(VALU_DEP_1)
	v_fma_f32 v55, v54, v55, -v56
	v_fmac_f32_e32 v55, v54, v53
	s_delay_alu instid0(VALU_DEP_1) | instskip(NEXT) | instid1(VALU_DEP_1)
	v_add_f32_e32 v53, v56, v55
	v_sub_f32_e32 v58, v52, v53
	s_delay_alu instid0(VALU_DEP_1) | instskip(NEXT) | instid1(VALU_DEP_1)
	v_sub_f32_e32 v52, v52, v58
	v_sub_f32_e32 v52, v52, v53
	s_delay_alu instid0(VALU_DEP_1) | instskip(SKIP_2) | instid1(VALU_DEP_1)
	v_add_f32_e32 v9, v9, v52
	v_add_f32_e32 v52, v57, v54
	v_sub_f32_e32 v56, v53, v56
	v_sub_f32_e32 v53, v56, v55
	s_delay_alu instid0(VALU_DEP_1) | instskip(NEXT) | instid1(VALU_DEP_4)
	v_add_f32_e32 v9, v53, v9
	v_sub_f32_e32 v53, v52, v57
	s_delay_alu instid0(VALU_DEP_2) | instskip(NEXT) | instid1(VALU_DEP_2)
	v_add_f32_e32 v9, v58, v9
	v_sub_f32_e32 v53, v54, v53
	s_delay_alu instid0(VALU_DEP_2) | instskip(NEXT) | instid1(VALU_DEP_1)
	v_mul_f32_e32 v9, v51, v9
	v_add_f32_e32 v9, v53, v9
	s_delay_alu instid0(VALU_DEP_1) | instskip(NEXT) | instid1(VALU_DEP_1)
	v_add_f32_e32 v51, v52, v9
	v_mul_f32_e32 v53, v51, v51
	s_delay_alu instid0(VALU_DEP_1) | instskip(SKIP_1) | instid1(VALU_DEP_2)
	v_fmaak_f32 v54, s66, v53, 0x3ecc95a3
	v_mul_f32_e32 v55, v51, v53
	v_fmaak_f32 v53, v53, v54, 0x3f2aaada
	v_ldexp_f32 v54, v51, 1
	v_sub_f32_e32 v51, v51, v52
	s_delay_alu instid0(VALU_DEP_3) | instskip(SKIP_1) | instid1(VALU_DEP_2)
	v_mul_f32_e32 v53, v55, v53
	v_mul_f32_e32 v55, 0x3f317218, v8
	v_dual_sub_f32 v9, v9, v51 :: v_dual_add_f32 v52, v54, v53
	s_delay_alu instid0(VALU_DEP_1) | instskip(NEXT) | instid1(VALU_DEP_2)
	v_ldexp_f32 v9, v9, 1
	v_sub_f32_e32 v51, v52, v54
	s_delay_alu instid0(VALU_DEP_4) | instskip(NEXT) | instid1(VALU_DEP_1)
	v_fma_f32 v54, 0x3f317218, v8, -v55
	v_dual_sub_f32 v51, v53, v51 :: v_dual_fmac_f32 v54, 0xb102e308, v8
	s_delay_alu instid0(VALU_DEP_1) | instskip(NEXT) | instid1(VALU_DEP_1)
	v_dual_add_f32 v8, v9, v51 :: v_dual_add_f32 v9, v55, v54
	v_add_f32_e32 v51, v52, v8
	s_delay_alu instid0(VALU_DEP_2) | instskip(NEXT) | instid1(VALU_DEP_2)
	v_sub_f32_e32 v55, v9, v55
	v_dual_add_f32 v53, v9, v51 :: v_dual_sub_f32 v52, v51, v52
	s_delay_alu instid0(VALU_DEP_2) | instskip(NEXT) | instid1(VALU_DEP_2)
	v_sub_f32_e32 v54, v54, v55
	v_sub_f32_e32 v56, v53, v9
	s_delay_alu instid0(VALU_DEP_3) | instskip(NEXT) | instid1(VALU_DEP_2)
	v_sub_f32_e32 v8, v8, v52
	v_sub_f32_e32 v57, v53, v56
	;; [unrolled: 1-line block ×3, first 2 shown]
	s_delay_alu instid0(VALU_DEP_2) | instskip(NEXT) | instid1(VALU_DEP_1)
	v_dual_add_f32 v52, v54, v8 :: v_dual_sub_f32 v9, v9, v57
	v_add_f32_e32 v9, v51, v9
	s_delay_alu instid0(VALU_DEP_2) | instskip(NEXT) | instid1(VALU_DEP_2)
	v_sub_f32_e32 v51, v52, v54
	v_add_f32_e32 v9, v52, v9
	s_delay_alu instid0(VALU_DEP_2) | instskip(NEXT) | instid1(VALU_DEP_2)
	v_sub_f32_e32 v52, v52, v51
	v_dual_sub_f32 v8, v8, v51 :: v_dual_add_f32 v55, v53, v9
	s_delay_alu instid0(VALU_DEP_1) | instskip(NEXT) | instid1(VALU_DEP_1)
	v_dual_sub_f32 v52, v54, v52 :: v_dual_sub_f32 v51, v55, v53
	v_dual_add_f32 v8, v8, v52 :: v_dual_sub_f32 v9, v9, v51
	s_delay_alu instid0(VALU_DEP_1) | instskip(NEXT) | instid1(VALU_DEP_1)
	v_add_f32_e32 v8, v8, v9
	v_add_f32_e32 v8, v55, v8
	s_delay_alu instid0(VALU_DEP_1)
	v_cndmask_b32_e32 v51, v8, v4, vcc_lo
.LBB106_48:                             ;   in Loop: Header=BB106_12 Depth=1
	s_or_b32 exec_lo, exec_lo, s21
	v_lshrrev_b32_e32 v4, 16, v5
	s_delay_alu instid0(VALU_DEP_1) | instskip(NEXT) | instid1(VALU_DEP_1)
	v_cvt_f32_f16_e32 v4, v4
	v_add_f32_e32 v52, s52, v4
	s_delay_alu instid0(VALU_DEP_1) | instskip(SKIP_1) | instid1(SALU_CYCLE_1)
	v_cmp_ge_f32_e32 vcc_lo, 0x41a00000, v52
	s_and_b32 s20, s62, vcc_lo
	s_and_saveexec_b32 s21, s20
	s_cbranch_execz .LBB106_50
; %bb.49:                               ;   in Loop: Header=BB106_12 Depth=1
	v_mul_f32_e32 v4, 0x3fb8aa3b, v52
	v_cmp_ngt_f32_e32 vcc_lo, 0xc2ce8ed0, v52
	s_delay_alu instid0(VALU_DEP_2) | instskip(SKIP_1) | instid1(VALU_DEP_2)
	v_rndne_f32_e32 v5, v4
	v_fma_f32 v8, 0x3fb8aa3b, v52, -v4
	v_sub_f32_e32 v4, v4, v5
	s_delay_alu instid0(VALU_DEP_2) | instskip(SKIP_1) | instid1(VALU_DEP_2)
	v_fmac_f32_e32 v8, 0x32a5705f, v52
	v_cvt_i32_f32_e32 v5, v5
	v_add_f32_e32 v4, v4, v8
	s_delay_alu instid0(VALU_DEP_1) | instskip(SKIP_2) | instid1(VALU_DEP_1)
	v_exp_f32_e32 v4, v4
	s_waitcnt_depctr 0xfff
	v_ldexp_f32 v4, v4, v5
	v_cndmask_b32_e32 v4, 0, v4, vcc_lo
	v_cmp_nlt_f32_e32 vcc_lo, 0x42b17218, v52
	s_delay_alu instid0(VALU_DEP_2) | instskip(NEXT) | instid1(VALU_DEP_1)
	v_cndmask_b32_e32 v8, 0x7f800000, v4, vcc_lo
	v_add_f32_e32 v9, 1.0, v8
	s_delay_alu instid0(VALU_DEP_1) | instskip(NEXT) | instid1(VALU_DEP_1)
	v_cvt_f64_f32_e32 v[4:5], v9
	v_frexp_exp_i32_f64_e32 v4, v[4:5]
	v_frexp_mant_f32_e32 v5, v9
	s_delay_alu instid0(VALU_DEP_1) | instskip(SKIP_1) | instid1(VALU_DEP_1)
	v_cmp_gt_f32_e32 vcc_lo, 0x3f2aaaab, v5
	v_add_f32_e32 v5, -1.0, v9
	v_sub_f32_e32 v53, v5, v9
	v_sub_f32_e32 v5, v8, v5
	s_delay_alu instid0(VALU_DEP_2) | instskip(NEXT) | instid1(VALU_DEP_1)
	v_add_f32_e32 v53, 1.0, v53
	v_add_f32_e32 v5, v5, v53
	v_cmp_gt_f32_e64 s20, 0x33800000, v8
	v_subrev_co_ci_u32_e32 v4, vcc_lo, 0, v4, vcc_lo
	v_cmp_eq_f32_e32 vcc_lo, 0x7f800000, v8
	s_delay_alu instid0(VALU_DEP_2) | instskip(SKIP_2) | instid1(VALU_DEP_2)
	v_sub_nc_u32_e32 v52, 0, v4
	v_cvt_f32_i32_e32 v4, v4
	s_or_b32 vcc_lo, s20, vcc_lo
	v_ldexp_f32 v9, v9, v52
	v_ldexp_f32 v5, v5, v52
	s_delay_alu instid0(VALU_DEP_2) | instskip(NEXT) | instid1(VALU_DEP_1)
	v_add_f32_e32 v52, -1.0, v9
	v_dual_add_f32 v54, 1.0, v9 :: v_dual_add_f32 v55, 1.0, v52
	s_delay_alu instid0(VALU_DEP_1) | instskip(NEXT) | instid1(VALU_DEP_1)
	v_add_f32_e32 v53, -1.0, v54
	v_sub_f32_e32 v53, v9, v53
	s_delay_alu instid0(VALU_DEP_3) | instskip(NEXT) | instid1(VALU_DEP_2)
	v_sub_f32_e32 v9, v9, v55
	v_add_f32_e32 v53, v5, v53
	s_delay_alu instid0(VALU_DEP_2) | instskip(NEXT) | instid1(VALU_DEP_1)
	v_add_f32_e32 v5, v5, v9
	v_add_f32_e32 v56, v52, v5
	s_delay_alu instid0(VALU_DEP_1) | instskip(NEXT) | instid1(VALU_DEP_1)
	v_dual_add_f32 v55, v54, v53 :: v_dual_sub_f32 v52, v52, v56
	v_rcp_f32_e32 v9, v55
	v_sub_f32_e32 v54, v54, v55
	s_delay_alu instid0(VALU_DEP_1) | instskip(SKIP_2) | instid1(VALU_DEP_1)
	v_add_f32_e32 v53, v53, v54
	s_waitcnt_depctr 0xfff
	v_mul_f32_e32 v57, v56, v9
	v_mul_f32_e32 v58, v55, v57
	s_delay_alu instid0(VALU_DEP_1) | instskip(NEXT) | instid1(VALU_DEP_1)
	v_fma_f32 v54, v57, v55, -v58
	v_fmac_f32_e32 v54, v57, v53
	s_delay_alu instid0(VALU_DEP_1) | instskip(NEXT) | instid1(VALU_DEP_1)
	v_add_f32_e32 v59, v58, v54
	v_sub_f32_e32 v60, v56, v59
	s_delay_alu instid0(VALU_DEP_1) | instskip(SKIP_1) | instid1(VALU_DEP_2)
	v_sub_f32_e32 v56, v56, v60
	v_dual_add_f32 v5, v5, v52 :: v_dual_sub_f32 v52, v59, v58
	v_sub_f32_e32 v56, v56, v59
	s_delay_alu instid0(VALU_DEP_1) | instskip(NEXT) | instid1(VALU_DEP_1)
	v_dual_sub_f32 v52, v52, v54 :: v_dual_add_f32 v5, v5, v56
	v_add_f32_e32 v5, v52, v5
	s_delay_alu instid0(VALU_DEP_1) | instskip(NEXT) | instid1(VALU_DEP_1)
	v_add_f32_e32 v52, v60, v5
	v_mul_f32_e32 v54, v9, v52
	s_delay_alu instid0(VALU_DEP_1) | instskip(NEXT) | instid1(VALU_DEP_1)
	v_dual_sub_f32 v59, v60, v52 :: v_dual_mul_f32 v56, v55, v54
	v_add_f32_e32 v5, v5, v59
	s_delay_alu instid0(VALU_DEP_2) | instskip(NEXT) | instid1(VALU_DEP_1)
	v_fma_f32 v55, v54, v55, -v56
	v_fmac_f32_e32 v55, v54, v53
	s_delay_alu instid0(VALU_DEP_1) | instskip(NEXT) | instid1(VALU_DEP_1)
	v_add_f32_e32 v53, v56, v55
	v_sub_f32_e32 v58, v52, v53
	s_delay_alu instid0(VALU_DEP_1) | instskip(NEXT) | instid1(VALU_DEP_1)
	v_sub_f32_e32 v52, v52, v58
	v_sub_f32_e32 v52, v52, v53
	s_delay_alu instid0(VALU_DEP_1) | instskip(SKIP_2) | instid1(VALU_DEP_1)
	v_add_f32_e32 v5, v5, v52
	v_add_f32_e32 v52, v57, v54
	v_sub_f32_e32 v56, v53, v56
	v_sub_f32_e32 v53, v56, v55
	s_delay_alu instid0(VALU_DEP_1) | instskip(NEXT) | instid1(VALU_DEP_4)
	v_add_f32_e32 v5, v53, v5
	v_sub_f32_e32 v53, v52, v57
	s_delay_alu instid0(VALU_DEP_2) | instskip(NEXT) | instid1(VALU_DEP_2)
	v_add_f32_e32 v5, v58, v5
	v_sub_f32_e32 v53, v54, v53
	s_delay_alu instid0(VALU_DEP_2) | instskip(NEXT) | instid1(VALU_DEP_1)
	v_mul_f32_e32 v5, v9, v5
	v_add_f32_e32 v5, v53, v5
	s_delay_alu instid0(VALU_DEP_1) | instskip(NEXT) | instid1(VALU_DEP_1)
	v_add_f32_e32 v9, v52, v5
	v_mul_f32_e32 v53, v9, v9
	s_delay_alu instid0(VALU_DEP_1) | instskip(SKIP_1) | instid1(VALU_DEP_2)
	v_fmaak_f32 v54, s66, v53, 0x3ecc95a3
	v_mul_f32_e32 v55, v9, v53
	v_fmaak_f32 v53, v53, v54, 0x3f2aaada
	v_ldexp_f32 v54, v9, 1
	s_delay_alu instid0(VALU_DEP_2) | instskip(NEXT) | instid1(VALU_DEP_1)
	v_mul_f32_e32 v53, v55, v53
	v_dual_sub_f32 v9, v9, v52 :: v_dual_add_f32 v52, v54, v53
	s_delay_alu instid0(VALU_DEP_1) | instskip(NEXT) | instid1(VALU_DEP_2)
	v_sub_f32_e32 v5, v5, v9
	v_sub_f32_e32 v9, v52, v54
	s_delay_alu instid0(VALU_DEP_2) | instskip(NEXT) | instid1(VALU_DEP_2)
	v_ldexp_f32 v5, v5, 1
	v_sub_f32_e32 v9, v53, v9
	v_mul_f32_e32 v55, 0x3f317218, v4
	s_delay_alu instid0(VALU_DEP_1) | instskip(NEXT) | instid1(VALU_DEP_1)
	v_fma_f32 v54, 0x3f317218, v4, -v55
	v_fmac_f32_e32 v54, 0xb102e308, v4
	s_delay_alu instid0(VALU_DEP_1) | instskip(NEXT) | instid1(VALU_DEP_1)
	v_dual_add_f32 v4, v5, v9 :: v_dual_add_f32 v5, v55, v54
	v_add_f32_e32 v9, v52, v4
	s_delay_alu instid0(VALU_DEP_1) | instskip(SKIP_1) | instid1(VALU_DEP_2)
	v_add_f32_e32 v53, v5, v9
	v_sub_f32_e32 v52, v9, v52
	v_sub_f32_e32 v56, v53, v5
	s_delay_alu instid0(VALU_DEP_2) | instskip(NEXT) | instid1(VALU_DEP_2)
	v_dual_sub_f32 v4, v4, v52 :: v_dual_sub_f32 v55, v5, v55
	v_sub_f32_e32 v57, v53, v56
	s_delay_alu instid0(VALU_DEP_2) | instskip(NEXT) | instid1(VALU_DEP_1)
	v_dual_sub_f32 v9, v9, v56 :: v_dual_sub_f32 v54, v54, v55
	v_dual_sub_f32 v5, v5, v57 :: v_dual_add_f32 v52, v54, v4
	s_delay_alu instid0(VALU_DEP_1) | instskip(NEXT) | instid1(VALU_DEP_2)
	v_add_f32_e32 v5, v9, v5
	v_sub_f32_e32 v9, v52, v54
	s_delay_alu instid0(VALU_DEP_2) | instskip(NEXT) | instid1(VALU_DEP_2)
	v_add_f32_e32 v5, v52, v5
	v_sub_f32_e32 v52, v52, v9
	v_sub_f32_e32 v4, v4, v9
	s_delay_alu instid0(VALU_DEP_2) | instskip(NEXT) | instid1(VALU_DEP_1)
	v_dual_add_f32 v55, v53, v5 :: v_dual_sub_f32 v52, v54, v52
	v_dual_sub_f32 v9, v55, v53 :: v_dual_add_f32 v4, v4, v52
	s_delay_alu instid0(VALU_DEP_1) | instskip(NEXT) | instid1(VALU_DEP_1)
	v_sub_f32_e32 v5, v5, v9
	v_add_f32_e32 v4, v4, v5
	s_delay_alu instid0(VALU_DEP_1) | instskip(NEXT) | instid1(VALU_DEP_1)
	v_add_f32_e32 v4, v55, v4
	v_cndmask_b32_e32 v52, v4, v8, vcc_lo
.LBB106_50:                             ;   in Loop: Header=BB106_12 Depth=1
	s_or_b32 exec_lo, exec_lo, s21
	v_cvt_f32_f16_e32 v4, v6
	s_delay_alu instid0(VALU_DEP_1) | instskip(NEXT) | instid1(VALU_DEP_1)
	v_add_f32_e32 v53, s52, v4
	v_cmp_ge_f32_e32 vcc_lo, 0x41a00000, v53
	s_and_b32 s20, s62, vcc_lo
	s_delay_alu instid0(SALU_CYCLE_1)
	s_and_saveexec_b32 s21, s20
	s_cbranch_execz .LBB106_52
; %bb.51:                               ;   in Loop: Header=BB106_12 Depth=1
	v_mul_f32_e32 v4, 0x3fb8aa3b, v53
	v_cmp_ngt_f32_e32 vcc_lo, 0xc2ce8ed0, v53
	s_delay_alu instid0(VALU_DEP_2) | instskip(SKIP_1) | instid1(VALU_DEP_2)
	v_rndne_f32_e32 v5, v4
	v_fma_f32 v8, 0x3fb8aa3b, v53, -v4
	v_sub_f32_e32 v4, v4, v5
	s_delay_alu instid0(VALU_DEP_2) | instskip(SKIP_1) | instid1(VALU_DEP_2)
	v_fmac_f32_e32 v8, 0x32a5705f, v53
	v_cvt_i32_f32_e32 v5, v5
	v_add_f32_e32 v4, v4, v8
	s_delay_alu instid0(VALU_DEP_1) | instskip(SKIP_2) | instid1(VALU_DEP_1)
	v_exp_f32_e32 v4, v4
	s_waitcnt_depctr 0xfff
	v_ldexp_f32 v4, v4, v5
	v_cndmask_b32_e32 v4, 0, v4, vcc_lo
	v_cmp_nlt_f32_e32 vcc_lo, 0x42b17218, v53
	s_delay_alu instid0(VALU_DEP_2) | instskip(NEXT) | instid1(VALU_DEP_1)
	v_cndmask_b32_e32 v8, 0x7f800000, v4, vcc_lo
	v_add_f32_e32 v9, 1.0, v8
	s_delay_alu instid0(VALU_DEP_1) | instskip(NEXT) | instid1(VALU_DEP_1)
	v_cvt_f64_f32_e32 v[4:5], v9
	v_frexp_exp_i32_f64_e32 v4, v[4:5]
	v_frexp_mant_f32_e32 v5, v9
	s_delay_alu instid0(VALU_DEP_1) | instskip(SKIP_1) | instid1(VALU_DEP_1)
	v_cmp_gt_f32_e32 vcc_lo, 0x3f2aaaab, v5
	v_add_f32_e32 v5, -1.0, v9
	v_sub_f32_e32 v54, v5, v9
	v_subrev_co_ci_u32_e32 v4, vcc_lo, 0, v4, vcc_lo
	s_delay_alu instid0(VALU_DEP_1) | instskip(SKIP_1) | instid1(VALU_DEP_2)
	v_sub_nc_u32_e32 v53, 0, v4
	v_cvt_f32_i32_e32 v4, v4
	v_ldexp_f32 v9, v9, v53
	s_delay_alu instid0(VALU_DEP_1) | instskip(SKIP_3) | instid1(VALU_DEP_3)
	v_dual_add_f32 v54, 1.0, v54 :: v_dual_add_f32 v55, 1.0, v9
	v_sub_f32_e32 v5, v8, v5
	v_cmp_eq_f32_e32 vcc_lo, 0x7f800000, v8
	v_cmp_gt_f32_e64 s20, 0x33800000, v8
	v_add_f32_e32 v5, v5, v54
	s_delay_alu instid0(VALU_DEP_2) | instskip(NEXT) | instid1(VALU_DEP_1)
	s_or_b32 vcc_lo, s20, vcc_lo
	v_ldexp_f32 v5, v5, v53
	v_dual_add_f32 v53, -1.0, v9 :: v_dual_add_f32 v54, -1.0, v55
	s_delay_alu instid0(VALU_DEP_1) | instskip(NEXT) | instid1(VALU_DEP_2)
	v_add_f32_e32 v56, 1.0, v53
	v_sub_f32_e32 v54, v9, v54
	s_delay_alu instid0(VALU_DEP_2) | instskip(NEXT) | instid1(VALU_DEP_2)
	v_sub_f32_e32 v9, v9, v56
	v_add_f32_e32 v54, v5, v54
	s_delay_alu instid0(VALU_DEP_1) | instskip(NEXT) | instid1(VALU_DEP_1)
	v_dual_add_f32 v5, v5, v9 :: v_dual_add_f32 v56, v55, v54
	v_add_f32_e32 v57, v53, v5
	s_delay_alu instid0(VALU_DEP_2) | instskip(SKIP_1) | instid1(VALU_DEP_1)
	v_rcp_f32_e32 v9, v56
	v_sub_f32_e32 v55, v55, v56
	v_dual_sub_f32 v53, v53, v57 :: v_dual_add_f32 v54, v54, v55
	s_delay_alu instid0(VALU_DEP_1) | instskip(SKIP_2) | instid1(VALU_DEP_1)
	v_add_f32_e32 v5, v5, v53
	s_waitcnt_depctr 0xfff
	v_mul_f32_e32 v58, v57, v9
	v_mul_f32_e32 v59, v56, v58
	s_delay_alu instid0(VALU_DEP_1) | instskip(NEXT) | instid1(VALU_DEP_1)
	v_fma_f32 v55, v58, v56, -v59
	v_fmac_f32_e32 v55, v58, v54
	s_delay_alu instid0(VALU_DEP_1) | instskip(NEXT) | instid1(VALU_DEP_1)
	v_add_f32_e32 v60, v59, v55
	v_sub_f32_e32 v61, v57, v60
	v_sub_f32_e32 v53, v60, v59
	s_delay_alu instid0(VALU_DEP_2) | instskip(NEXT) | instid1(VALU_DEP_2)
	v_sub_f32_e32 v57, v57, v61
	v_sub_f32_e32 v53, v53, v55
	s_delay_alu instid0(VALU_DEP_2) | instskip(NEXT) | instid1(VALU_DEP_1)
	v_sub_f32_e32 v57, v57, v60
	v_add_f32_e32 v5, v5, v57
	s_delay_alu instid0(VALU_DEP_1) | instskip(NEXT) | instid1(VALU_DEP_1)
	v_add_f32_e32 v5, v53, v5
	v_add_f32_e32 v53, v61, v5
	s_delay_alu instid0(VALU_DEP_1) | instskip(NEXT) | instid1(VALU_DEP_1)
	v_mul_f32_e32 v55, v9, v53
	v_mul_f32_e32 v57, v56, v55
	s_delay_alu instid0(VALU_DEP_1) | instskip(NEXT) | instid1(VALU_DEP_1)
	v_fma_f32 v56, v55, v56, -v57
	v_fmac_f32_e32 v56, v55, v54
	v_sub_f32_e32 v60, v61, v53
	s_delay_alu instid0(VALU_DEP_2) | instskip(NEXT) | instid1(VALU_DEP_2)
	v_add_f32_e32 v54, v57, v56
	v_add_f32_e32 v5, v5, v60
	s_delay_alu instid0(VALU_DEP_2) | instskip(NEXT) | instid1(VALU_DEP_1)
	v_sub_f32_e32 v59, v53, v54
	v_sub_f32_e32 v53, v53, v59
	s_delay_alu instid0(VALU_DEP_1) | instskip(NEXT) | instid1(VALU_DEP_1)
	v_sub_f32_e32 v53, v53, v54
	v_add_f32_e32 v5, v5, v53
	v_add_f32_e32 v53, v58, v55
	v_sub_f32_e32 v57, v54, v57
	s_delay_alu instid0(VALU_DEP_1) | instskip(NEXT) | instid1(VALU_DEP_1)
	v_sub_f32_e32 v54, v57, v56
	v_dual_add_f32 v5, v54, v5 :: v_dual_sub_f32 v54, v53, v58
	s_delay_alu instid0(VALU_DEP_1) | instskip(NEXT) | instid1(VALU_DEP_1)
	v_add_f32_e32 v5, v59, v5
	v_dual_sub_f32 v54, v55, v54 :: v_dual_mul_f32 v5, v9, v5
	s_delay_alu instid0(VALU_DEP_1) | instskip(NEXT) | instid1(VALU_DEP_1)
	v_add_f32_e32 v5, v54, v5
	v_add_f32_e32 v9, v53, v5
	s_delay_alu instid0(VALU_DEP_1) | instskip(NEXT) | instid1(VALU_DEP_1)
	v_mul_f32_e32 v54, v9, v9
	v_fmaak_f32 v55, s66, v54, 0x3ecc95a3
	v_mul_f32_e32 v56, v9, v54
	s_delay_alu instid0(VALU_DEP_2) | instskip(SKIP_1) | instid1(VALU_DEP_2)
	v_fmaak_f32 v54, v54, v55, 0x3f2aaada
	v_ldexp_f32 v55, v9, 1
	v_dual_sub_f32 v9, v9, v53 :: v_dual_mul_f32 v54, v56, v54
	s_delay_alu instid0(VALU_DEP_1) | instskip(NEXT) | instid1(VALU_DEP_2)
	v_dual_mul_f32 v56, 0x3f317218, v4 :: v_dual_sub_f32 v5, v5, v9
	v_add_f32_e32 v53, v55, v54
	s_delay_alu instid0(VALU_DEP_2) | instskip(NEXT) | instid1(VALU_DEP_2)
	v_ldexp_f32 v5, v5, 1
	v_sub_f32_e32 v9, v53, v55
	s_delay_alu instid0(VALU_DEP_4) | instskip(NEXT) | instid1(VALU_DEP_2)
	v_fma_f32 v55, 0x3f317218, v4, -v56
	v_sub_f32_e32 v9, v54, v9
	s_delay_alu instid0(VALU_DEP_1) | instskip(NEXT) | instid1(VALU_DEP_1)
	v_dual_fmac_f32 v55, 0xb102e308, v4 :: v_dual_add_f32 v4, v5, v9
	v_add_f32_e32 v5, v56, v55
	s_delay_alu instid0(VALU_DEP_2) | instskip(NEXT) | instid1(VALU_DEP_2)
	v_add_f32_e32 v9, v53, v4
	v_sub_f32_e32 v56, v5, v56
	s_delay_alu instid0(VALU_DEP_1) | instskip(SKIP_1) | instid1(VALU_DEP_2)
	v_dual_add_f32 v54, v5, v9 :: v_dual_sub_f32 v55, v55, v56
	v_sub_f32_e32 v53, v9, v53
	v_sub_f32_e32 v57, v54, v5
	s_delay_alu instid0(VALU_DEP_2) | instskip(NEXT) | instid1(VALU_DEP_2)
	v_sub_f32_e32 v4, v4, v53
	v_sub_f32_e32 v58, v54, v57
	;; [unrolled: 1-line block ×3, first 2 shown]
	s_delay_alu instid0(VALU_DEP_3) | instskip(NEXT) | instid1(VALU_DEP_3)
	v_add_f32_e32 v53, v55, v4
	v_sub_f32_e32 v5, v5, v58
	s_delay_alu instid0(VALU_DEP_1) | instskip(NEXT) | instid1(VALU_DEP_3)
	v_add_f32_e32 v5, v9, v5
	v_sub_f32_e32 v9, v53, v55
	s_delay_alu instid0(VALU_DEP_2) | instskip(NEXT) | instid1(VALU_DEP_2)
	v_add_f32_e32 v5, v53, v5
	v_sub_f32_e32 v53, v53, v9
	v_sub_f32_e32 v4, v4, v9
	s_delay_alu instid0(VALU_DEP_3) | instskip(NEXT) | instid1(VALU_DEP_3)
	v_add_f32_e32 v56, v54, v5
	v_sub_f32_e32 v53, v55, v53
	s_delay_alu instid0(VALU_DEP_2) | instskip(NEXT) | instid1(VALU_DEP_2)
	v_sub_f32_e32 v9, v56, v54
	v_add_f32_e32 v4, v4, v53
	s_delay_alu instid0(VALU_DEP_2) | instskip(NEXT) | instid1(VALU_DEP_1)
	v_sub_f32_e32 v5, v5, v9
	v_add_f32_e32 v4, v4, v5
	s_delay_alu instid0(VALU_DEP_1) | instskip(NEXT) | instid1(VALU_DEP_1)
	v_add_f32_e32 v4, v56, v4
	v_cndmask_b32_e32 v53, v4, v8, vcc_lo
.LBB106_52:                             ;   in Loop: Header=BB106_12 Depth=1
	s_or_b32 exec_lo, exec_lo, s21
	v_lshrrev_b32_e32 v4, 16, v6
	s_delay_alu instid0(VALU_DEP_1) | instskip(NEXT) | instid1(VALU_DEP_1)
	v_cvt_f32_f16_e32 v4, v4
	v_add_f32_e32 v54, s52, v4
	s_delay_alu instid0(VALU_DEP_1) | instskip(SKIP_1) | instid1(SALU_CYCLE_1)
	v_cmp_ge_f32_e32 vcc_lo, 0x41a00000, v54
	s_and_b32 s20, s62, vcc_lo
	s_and_saveexec_b32 s21, s20
	s_cbranch_execz .LBB106_54
; %bb.53:                               ;   in Loop: Header=BB106_12 Depth=1
	v_mul_f32_e32 v4, 0x3fb8aa3b, v54
	v_cmp_ngt_f32_e32 vcc_lo, 0xc2ce8ed0, v54
	s_delay_alu instid0(VALU_DEP_2) | instskip(SKIP_1) | instid1(VALU_DEP_2)
	v_rndne_f32_e32 v5, v4
	v_fma_f32 v6, 0x3fb8aa3b, v54, -v4
	v_sub_f32_e32 v4, v4, v5
	s_delay_alu instid0(VALU_DEP_2) | instskip(SKIP_1) | instid1(VALU_DEP_2)
	v_fmac_f32_e32 v6, 0x32a5705f, v54
	v_cvt_i32_f32_e32 v5, v5
	v_add_f32_e32 v4, v4, v6
	s_delay_alu instid0(VALU_DEP_1) | instskip(SKIP_2) | instid1(VALU_DEP_1)
	v_exp_f32_e32 v4, v4
	s_waitcnt_depctr 0xfff
	v_ldexp_f32 v4, v4, v5
	v_cndmask_b32_e32 v4, 0, v4, vcc_lo
	v_cmp_nlt_f32_e32 vcc_lo, 0x42b17218, v54
	s_delay_alu instid0(VALU_DEP_2) | instskip(NEXT) | instid1(VALU_DEP_1)
	v_cndmask_b32_e32 v6, 0x7f800000, v4, vcc_lo
	v_add_f32_e32 v8, 1.0, v6
	s_delay_alu instid0(VALU_DEP_1) | instskip(NEXT) | instid1(VALU_DEP_1)
	v_cvt_f64_f32_e32 v[4:5], v8
	v_frexp_exp_i32_f64_e32 v4, v[4:5]
	v_frexp_mant_f32_e32 v5, v8
	s_delay_alu instid0(VALU_DEP_1) | instskip(SKIP_1) | instid1(VALU_DEP_1)
	v_cmp_gt_f32_e32 vcc_lo, 0x3f2aaaab, v5
	v_add_f32_e32 v5, -1.0, v8
	v_dual_sub_f32 v54, v5, v8 :: v_dual_sub_f32 v5, v6, v5
	s_delay_alu instid0(VALU_DEP_1) | instskip(NEXT) | instid1(VALU_DEP_1)
	v_add_f32_e32 v54, 1.0, v54
	v_add_f32_e32 v5, v5, v54
	v_subrev_co_ci_u32_e32 v4, vcc_lo, 0, v4, vcc_lo
	s_delay_alu instid0(VALU_DEP_1) | instskip(SKIP_1) | instid1(VALU_DEP_2)
	v_sub_nc_u32_e32 v9, 0, v4
	v_cvt_f32_i32_e32 v4, v4
	v_ldexp_f32 v8, v8, v9
	v_ldexp_f32 v5, v5, v9
	s_delay_alu instid0(VALU_DEP_2) | instskip(NEXT) | instid1(VALU_DEP_1)
	v_add_f32_e32 v55, 1.0, v8
	v_dual_add_f32 v9, -1.0, v8 :: v_dual_add_f32 v54, -1.0, v55
	s_delay_alu instid0(VALU_DEP_1) | instskip(NEXT) | instid1(VALU_DEP_2)
	v_add_f32_e32 v56, 1.0, v9
	v_sub_f32_e32 v54, v8, v54
	s_delay_alu instid0(VALU_DEP_2) | instskip(NEXT) | instid1(VALU_DEP_2)
	v_sub_f32_e32 v8, v8, v56
	v_add_f32_e32 v54, v5, v54
	s_delay_alu instid0(VALU_DEP_2) | instskip(NEXT) | instid1(VALU_DEP_1)
	v_add_f32_e32 v5, v5, v8
	v_add_f32_e32 v57, v9, v5
	v_cmp_eq_f32_e32 vcc_lo, 0x7f800000, v6
	v_cmp_gt_f32_e64 s20, 0x33800000, v6
	s_delay_alu instid0(VALU_DEP_3) | instskip(NEXT) | instid1(VALU_DEP_2)
	v_dual_sub_f32 v9, v9, v57 :: v_dual_add_f32 v56, v55, v54
	s_or_b32 vcc_lo, s20, vcc_lo
	s_delay_alu instid0(VALU_DEP_1) | instskip(NEXT) | instid1(VALU_DEP_2)
	v_add_f32_e32 v5, v5, v9
	v_rcp_f32_e32 v8, v56
	v_sub_f32_e32 v55, v55, v56
	s_delay_alu instid0(VALU_DEP_1) | instskip(SKIP_2) | instid1(VALU_DEP_1)
	v_add_f32_e32 v54, v54, v55
	s_waitcnt_depctr 0xfff
	v_mul_f32_e32 v58, v57, v8
	v_mul_f32_e32 v59, v56, v58
	s_delay_alu instid0(VALU_DEP_1) | instskip(NEXT) | instid1(VALU_DEP_1)
	v_fma_f32 v55, v58, v56, -v59
	v_fmac_f32_e32 v55, v58, v54
	s_delay_alu instid0(VALU_DEP_1) | instskip(NEXT) | instid1(VALU_DEP_1)
	v_add_f32_e32 v60, v59, v55
	v_sub_f32_e32 v61, v57, v60
	s_delay_alu instid0(VALU_DEP_1) | instskip(NEXT) | instid1(VALU_DEP_1)
	v_sub_f32_e32 v57, v57, v61
	v_sub_f32_e32 v57, v57, v60
	s_delay_alu instid0(VALU_DEP_1) | instskip(SKIP_1) | instid1(VALU_DEP_1)
	v_add_f32_e32 v5, v5, v57
	v_sub_f32_e32 v9, v60, v59
	v_sub_f32_e32 v9, v9, v55
	s_delay_alu instid0(VALU_DEP_1) | instskip(NEXT) | instid1(VALU_DEP_1)
	v_add_f32_e32 v5, v9, v5
	v_add_f32_e32 v9, v61, v5
	s_delay_alu instid0(VALU_DEP_1) | instskip(NEXT) | instid1(VALU_DEP_1)
	v_mul_f32_e32 v55, v8, v9
	v_dual_sub_f32 v60, v61, v9 :: v_dual_mul_f32 v57, v56, v55
	s_delay_alu instid0(VALU_DEP_1) | instskip(NEXT) | instid1(VALU_DEP_2)
	v_add_f32_e32 v5, v5, v60
	v_fma_f32 v56, v55, v56, -v57
	s_delay_alu instid0(VALU_DEP_1) | instskip(NEXT) | instid1(VALU_DEP_1)
	v_fmac_f32_e32 v56, v55, v54
	v_add_f32_e32 v54, v57, v56
	s_delay_alu instid0(VALU_DEP_1) | instskip(NEXT) | instid1(VALU_DEP_1)
	v_sub_f32_e32 v59, v9, v54
	v_sub_f32_e32 v9, v9, v59
	s_delay_alu instid0(VALU_DEP_1) | instskip(NEXT) | instid1(VALU_DEP_1)
	v_sub_f32_e32 v9, v9, v54
	v_add_f32_e32 v5, v5, v9
	v_add_f32_e32 v9, v58, v55
	v_sub_f32_e32 v57, v54, v57
	s_delay_alu instid0(VALU_DEP_1) | instskip(NEXT) | instid1(VALU_DEP_1)
	v_sub_f32_e32 v54, v57, v56
	v_dual_add_f32 v5, v54, v5 :: v_dual_sub_f32 v54, v9, v58
	s_delay_alu instid0(VALU_DEP_1) | instskip(NEXT) | instid1(VALU_DEP_1)
	v_add_f32_e32 v5, v59, v5
	v_dual_sub_f32 v54, v55, v54 :: v_dual_mul_f32 v5, v8, v5
	s_delay_alu instid0(VALU_DEP_1) | instskip(NEXT) | instid1(VALU_DEP_1)
	v_add_f32_e32 v5, v54, v5
	v_add_f32_e32 v8, v9, v5
	s_delay_alu instid0(VALU_DEP_1) | instskip(NEXT) | instid1(VALU_DEP_1)
	v_mul_f32_e32 v54, v8, v8
	v_fmaak_f32 v55, s66, v54, 0x3ecc95a3
	v_mul_f32_e32 v56, v8, v54
	s_delay_alu instid0(VALU_DEP_2) | instskip(SKIP_1) | instid1(VALU_DEP_2)
	v_fmaak_f32 v54, v54, v55, 0x3f2aaada
	v_ldexp_f32 v55, v8, 1
	v_mul_f32_e32 v54, v56, v54
	v_sub_f32_e32 v8, v8, v9
	s_delay_alu instid0(VALU_DEP_2) | instskip(NEXT) | instid1(VALU_DEP_2)
	v_dual_mul_f32 v56, 0x3f317218, v4 :: v_dual_add_f32 v9, v55, v54
	v_sub_f32_e32 v5, v5, v8
	s_delay_alu instid0(VALU_DEP_2) | instskip(NEXT) | instid1(VALU_DEP_3)
	v_sub_f32_e32 v8, v9, v55
	v_fma_f32 v55, 0x3f317218, v4, -v56
	s_delay_alu instid0(VALU_DEP_3) | instskip(NEXT) | instid1(VALU_DEP_3)
	v_ldexp_f32 v5, v5, 1
	v_sub_f32_e32 v8, v54, v8
	s_delay_alu instid0(VALU_DEP_3) | instskip(NEXT) | instid1(VALU_DEP_2)
	v_fmac_f32_e32 v55, 0xb102e308, v4
	v_add_f32_e32 v4, v5, v8
	s_delay_alu instid0(VALU_DEP_1) | instskip(NEXT) | instid1(VALU_DEP_1)
	v_add_f32_e32 v8, v9, v4
	v_sub_f32_e32 v9, v8, v9
	s_delay_alu instid0(VALU_DEP_1) | instskip(SKIP_1) | instid1(VALU_DEP_1)
	v_sub_f32_e32 v4, v4, v9
	v_add_f32_e32 v5, v56, v55
	v_add_f32_e32 v54, v5, v8
	s_delay_alu instid0(VALU_DEP_1) | instskip(NEXT) | instid1(VALU_DEP_1)
	v_dual_sub_f32 v56, v5, v56 :: v_dual_sub_f32 v57, v54, v5
	v_dual_sub_f32 v55, v55, v56 :: v_dual_sub_f32 v8, v8, v57
	v_sub_f32_e32 v58, v54, v57
	s_delay_alu instid0(VALU_DEP_1) | instskip(NEXT) | instid1(VALU_DEP_1)
	v_sub_f32_e32 v5, v5, v58
	v_add_f32_e32 v5, v8, v5
	s_delay_alu instid0(VALU_DEP_4) | instskip(NEXT) | instid1(VALU_DEP_1)
	v_add_f32_e32 v9, v55, v4
	v_add_f32_e32 v5, v9, v5
	s_delay_alu instid0(VALU_DEP_1) | instskip(SKIP_1) | instid1(VALU_DEP_1)
	v_add_f32_e32 v56, v54, v5
	v_sub_f32_e32 v8, v9, v55
	v_sub_f32_e32 v9, v9, v8
	;; [unrolled: 1-line block ×3, first 2 shown]
	s_delay_alu instid0(VALU_DEP_2) | instskip(NEXT) | instid1(VALU_DEP_1)
	v_dual_sub_f32 v8, v56, v54 :: v_dual_sub_f32 v9, v55, v9
	v_dual_sub_f32 v5, v5, v8 :: v_dual_add_f32 v4, v4, v9
	s_delay_alu instid0(VALU_DEP_1) | instskip(NEXT) | instid1(VALU_DEP_1)
	v_add_f32_e32 v4, v4, v5
	v_add_f32_e32 v4, v56, v4
	s_delay_alu instid0(VALU_DEP_1)
	v_cndmask_b32_e32 v54, v4, v6, vcc_lo
.LBB106_54:                             ;   in Loop: Header=BB106_12 Depth=1
	s_or_b32 exec_lo, exec_lo, s21
	v_cvt_f32_f16_e32 v4, v7
	s_delay_alu instid0(VALU_DEP_1) | instskip(NEXT) | instid1(VALU_DEP_1)
	v_add_f32_e32 v55, s52, v4
	v_cmp_ge_f32_e32 vcc_lo, 0x41a00000, v55
	s_and_b32 s20, s62, vcc_lo
	s_delay_alu instid0(SALU_CYCLE_1)
	s_and_saveexec_b32 s21, s20
	s_cbranch_execz .LBB106_56
; %bb.55:                               ;   in Loop: Header=BB106_12 Depth=1
	v_mul_f32_e32 v4, 0x3fb8aa3b, v55
	v_cmp_ngt_f32_e32 vcc_lo, 0xc2ce8ed0, v55
	s_delay_alu instid0(VALU_DEP_2) | instskip(SKIP_1) | instid1(VALU_DEP_2)
	v_rndne_f32_e32 v5, v4
	v_fma_f32 v6, 0x3fb8aa3b, v55, -v4
	v_sub_f32_e32 v4, v4, v5
	s_delay_alu instid0(VALU_DEP_2) | instskip(SKIP_1) | instid1(VALU_DEP_2)
	v_fmac_f32_e32 v6, 0x32a5705f, v55
	v_cvt_i32_f32_e32 v5, v5
	v_add_f32_e32 v4, v4, v6
	s_delay_alu instid0(VALU_DEP_1) | instskip(SKIP_2) | instid1(VALU_DEP_1)
	v_exp_f32_e32 v4, v4
	s_waitcnt_depctr 0xfff
	v_ldexp_f32 v4, v4, v5
	v_cndmask_b32_e32 v4, 0, v4, vcc_lo
	v_cmp_nlt_f32_e32 vcc_lo, 0x42b17218, v55
	s_delay_alu instid0(VALU_DEP_2) | instskip(NEXT) | instid1(VALU_DEP_1)
	v_cndmask_b32_e32 v6, 0x7f800000, v4, vcc_lo
	v_add_f32_e32 v8, 1.0, v6
	s_delay_alu instid0(VALU_DEP_1) | instskip(NEXT) | instid1(VALU_DEP_1)
	v_cvt_f64_f32_e32 v[4:5], v8
	v_frexp_exp_i32_f64_e32 v4, v[4:5]
	v_frexp_mant_f32_e32 v5, v8
	s_delay_alu instid0(VALU_DEP_1) | instskip(SKIP_1) | instid1(VALU_DEP_1)
	v_cmp_gt_f32_e32 vcc_lo, 0x3f2aaaab, v5
	v_add_f32_e32 v5, -1.0, v8
	v_sub_f32_e32 v55, v5, v8
	v_sub_f32_e32 v5, v6, v5
	s_delay_alu instid0(VALU_DEP_2) | instskip(NEXT) | instid1(VALU_DEP_1)
	v_add_f32_e32 v55, 1.0, v55
	v_add_f32_e32 v5, v5, v55
	v_cmp_gt_f32_e64 s20, 0x33800000, v6
	v_subrev_co_ci_u32_e32 v4, vcc_lo, 0, v4, vcc_lo
	v_cmp_eq_f32_e32 vcc_lo, 0x7f800000, v6
	s_delay_alu instid0(VALU_DEP_2) | instskip(SKIP_2) | instid1(VALU_DEP_2)
	v_sub_nc_u32_e32 v9, 0, v4
	v_cvt_f32_i32_e32 v4, v4
	s_or_b32 vcc_lo, s20, vcc_lo
	v_ldexp_f32 v8, v8, v9
	v_ldexp_f32 v5, v5, v9
	s_delay_alu instid0(VALU_DEP_2) | instskip(SKIP_1) | instid1(VALU_DEP_2)
	v_add_f32_e32 v56, 1.0, v8
	v_add_f32_e32 v9, -1.0, v8
	v_add_f32_e32 v55, -1.0, v56
	s_delay_alu instid0(VALU_DEP_2) | instskip(NEXT) | instid1(VALU_DEP_2)
	v_add_f32_e32 v57, 1.0, v9
	v_sub_f32_e32 v55, v8, v55
	s_delay_alu instid0(VALU_DEP_1) | instskip(NEXT) | instid1(VALU_DEP_1)
	v_dual_sub_f32 v8, v8, v57 :: v_dual_add_f32 v55, v5, v55
	v_add_f32_e32 v5, v5, v8
	s_delay_alu instid0(VALU_DEP_1) | instskip(NEXT) | instid1(VALU_DEP_1)
	v_dual_add_f32 v57, v56, v55 :: v_dual_add_f32 v58, v9, v5
	v_rcp_f32_e32 v8, v57
	s_delay_alu instid0(VALU_DEP_1) | instskip(NEXT) | instid1(VALU_DEP_1)
	v_dual_sub_f32 v56, v56, v57 :: v_dual_sub_f32 v9, v9, v58
	v_add_f32_e32 v55, v55, v56
	s_waitcnt_depctr 0xfff
	v_mul_f32_e32 v59, v58, v8
	s_delay_alu instid0(VALU_DEP_1) | instskip(NEXT) | instid1(VALU_DEP_1)
	v_mul_f32_e32 v60, v57, v59
	v_fma_f32 v56, v59, v57, -v60
	s_delay_alu instid0(VALU_DEP_1) | instskip(NEXT) | instid1(VALU_DEP_1)
	v_dual_fmac_f32 v56, v59, v55 :: v_dual_add_f32 v5, v5, v9
	v_add_f32_e32 v61, v60, v56
	s_delay_alu instid0(VALU_DEP_1) | instskip(NEXT) | instid1(VALU_DEP_1)
	v_sub_f32_e32 v62, v58, v61
	v_dual_sub_f32 v58, v58, v62 :: v_dual_sub_f32 v9, v61, v60
	s_delay_alu instid0(VALU_DEP_1) | instskip(NEXT) | instid1(VALU_DEP_1)
	v_dual_sub_f32 v58, v58, v61 :: v_dual_sub_f32 v9, v9, v56
	v_add_f32_e32 v5, v5, v58
	s_delay_alu instid0(VALU_DEP_1) | instskip(NEXT) | instid1(VALU_DEP_1)
	v_add_f32_e32 v5, v9, v5
	v_add_f32_e32 v9, v62, v5
	s_delay_alu instid0(VALU_DEP_1) | instskip(NEXT) | instid1(VALU_DEP_1)
	v_mul_f32_e32 v56, v8, v9
	v_dual_mul_f32 v58, v57, v56 :: v_dual_sub_f32 v61, v62, v9
	s_delay_alu instid0(VALU_DEP_1) | instskip(NEXT) | instid1(VALU_DEP_2)
	v_fma_f32 v57, v56, v57, -v58
	v_add_f32_e32 v5, v5, v61
	s_delay_alu instid0(VALU_DEP_2) | instskip(NEXT) | instid1(VALU_DEP_1)
	v_fmac_f32_e32 v57, v56, v55
	v_add_f32_e32 v55, v58, v57
	s_delay_alu instid0(VALU_DEP_1) | instskip(NEXT) | instid1(VALU_DEP_1)
	v_sub_f32_e32 v60, v9, v55
	v_dual_sub_f32 v58, v55, v58 :: v_dual_sub_f32 v9, v9, v60
	s_delay_alu instid0(VALU_DEP_1) | instskip(NEXT) | instid1(VALU_DEP_2)
	v_sub_f32_e32 v9, v9, v55
	v_sub_f32_e32 v55, v58, v57
	s_delay_alu instid0(VALU_DEP_2) | instskip(SKIP_1) | instid1(VALU_DEP_2)
	v_add_f32_e32 v5, v5, v9
	v_add_f32_e32 v9, v59, v56
	;; [unrolled: 1-line block ×3, first 2 shown]
	s_delay_alu instid0(VALU_DEP_2) | instskip(NEXT) | instid1(VALU_DEP_2)
	v_sub_f32_e32 v55, v9, v59
	v_add_f32_e32 v5, v60, v5
	s_delay_alu instid0(VALU_DEP_2) | instskip(NEXT) | instid1(VALU_DEP_2)
	v_sub_f32_e32 v55, v56, v55
	v_mul_f32_e32 v5, v8, v5
	s_delay_alu instid0(VALU_DEP_1) | instskip(NEXT) | instid1(VALU_DEP_1)
	v_add_f32_e32 v5, v55, v5
	v_add_f32_e32 v8, v9, v5
	s_delay_alu instid0(VALU_DEP_1) | instskip(NEXT) | instid1(VALU_DEP_1)
	v_mul_f32_e32 v55, v8, v8
	v_fmaak_f32 v56, s66, v55, 0x3ecc95a3
	v_mul_f32_e32 v57, v8, v55
	s_delay_alu instid0(VALU_DEP_2) | instskip(SKIP_1) | instid1(VALU_DEP_2)
	v_fmaak_f32 v55, v55, v56, 0x3f2aaada
	v_ldexp_f32 v56, v8, 1
	v_dual_sub_f32 v8, v8, v9 :: v_dual_mul_f32 v55, v57, v55
	v_mul_f32_e32 v57, 0x3f317218, v4
	s_delay_alu instid0(VALU_DEP_2) | instskip(NEXT) | instid1(VALU_DEP_3)
	v_sub_f32_e32 v5, v5, v8
	v_add_f32_e32 v9, v56, v55
	s_delay_alu instid0(VALU_DEP_2) | instskip(NEXT) | instid1(VALU_DEP_2)
	v_ldexp_f32 v5, v5, 1
	v_sub_f32_e32 v8, v9, v56
	v_fma_f32 v56, 0x3f317218, v4, -v57
	s_delay_alu instid0(VALU_DEP_2) | instskip(NEXT) | instid1(VALU_DEP_2)
	v_sub_f32_e32 v8, v55, v8
	v_fmac_f32_e32 v56, 0xb102e308, v4
	s_delay_alu instid0(VALU_DEP_2) | instskip(NEXT) | instid1(VALU_DEP_2)
	v_add_f32_e32 v4, v5, v8
	v_add_f32_e32 v5, v57, v56
	s_delay_alu instid0(VALU_DEP_2) | instskip(NEXT) | instid1(VALU_DEP_2)
	v_add_f32_e32 v8, v9, v4
	v_sub_f32_e32 v57, v5, v57
	s_delay_alu instid0(VALU_DEP_2) | instskip(SKIP_1) | instid1(VALU_DEP_3)
	v_add_f32_e32 v55, v5, v8
	v_sub_f32_e32 v9, v8, v9
	v_sub_f32_e32 v56, v56, v57
	s_delay_alu instid0(VALU_DEP_3) | instskip(NEXT) | instid1(VALU_DEP_1)
	v_sub_f32_e32 v58, v55, v5
	v_dual_sub_f32 v4, v4, v9 :: v_dual_sub_f32 v59, v55, v58
	v_sub_f32_e32 v8, v8, v58
	s_delay_alu instid0(VALU_DEP_2) | instskip(NEXT) | instid1(VALU_DEP_3)
	v_add_f32_e32 v9, v56, v4
	v_sub_f32_e32 v5, v5, v59
	s_delay_alu instid0(VALU_DEP_1) | instskip(NEXT) | instid1(VALU_DEP_1)
	v_dual_add_f32 v5, v8, v5 :: v_dual_sub_f32 v8, v9, v56
	v_add_f32_e32 v5, v9, v5
	s_delay_alu instid0(VALU_DEP_2) | instskip(NEXT) | instid1(VALU_DEP_2)
	v_sub_f32_e32 v9, v9, v8
	v_dual_sub_f32 v4, v4, v8 :: v_dual_add_f32 v57, v55, v5
	s_delay_alu instid0(VALU_DEP_1) | instskip(NEXT) | instid1(VALU_DEP_1)
	v_dual_sub_f32 v9, v56, v9 :: v_dual_sub_f32 v8, v57, v55
	v_dual_add_f32 v4, v4, v9 :: v_dual_sub_f32 v5, v5, v8
	s_delay_alu instid0(VALU_DEP_1) | instskip(NEXT) | instid1(VALU_DEP_1)
	v_add_f32_e32 v4, v4, v5
	v_add_f32_e32 v4, v57, v4
	s_delay_alu instid0(VALU_DEP_1)
	v_cndmask_b32_e32 v55, v4, v6, vcc_lo
.LBB106_56:                             ;   in Loop: Header=BB106_12 Depth=1
	s_or_b32 exec_lo, exec_lo, s21
	v_lshrrev_b32_e32 v4, 16, v7
	s_delay_alu instid0(VALU_DEP_1) | instskip(NEXT) | instid1(VALU_DEP_1)
	v_cvt_f32_f16_e32 v4, v4
	v_add_f32_e32 v56, s52, v4
	s_delay_alu instid0(VALU_DEP_1) | instskip(SKIP_1) | instid1(SALU_CYCLE_1)
	v_cmp_ge_f32_e32 vcc_lo, 0x41a00000, v56
	s_and_b32 s20, s62, vcc_lo
	s_and_saveexec_b32 s21, s20
	s_cbranch_execz .LBB106_58
; %bb.57:                               ;   in Loop: Header=BB106_12 Depth=1
	v_mul_f32_e32 v4, 0x3fb8aa3b, v56
	v_cmp_ngt_f32_e32 vcc_lo, 0xc2ce8ed0, v56
	s_delay_alu instid0(VALU_DEP_2) | instskip(SKIP_1) | instid1(VALU_DEP_2)
	v_rndne_f32_e32 v5, v4
	v_fma_f32 v6, 0x3fb8aa3b, v56, -v4
	v_sub_f32_e32 v4, v4, v5
	s_delay_alu instid0(VALU_DEP_2) | instskip(SKIP_1) | instid1(VALU_DEP_2)
	v_fmac_f32_e32 v6, 0x32a5705f, v56
	v_cvt_i32_f32_e32 v5, v5
	v_add_f32_e32 v4, v4, v6
	s_delay_alu instid0(VALU_DEP_1) | instskip(SKIP_2) | instid1(VALU_DEP_1)
	v_exp_f32_e32 v4, v4
	s_waitcnt_depctr 0xfff
	v_ldexp_f32 v4, v4, v5
	v_cndmask_b32_e32 v4, 0, v4, vcc_lo
	v_cmp_nlt_f32_e32 vcc_lo, 0x42b17218, v56
	s_delay_alu instid0(VALU_DEP_2) | instskip(NEXT) | instid1(VALU_DEP_1)
	v_cndmask_b32_e32 v6, 0x7f800000, v4, vcc_lo
	v_add_f32_e32 v7, 1.0, v6
	s_delay_alu instid0(VALU_DEP_1) | instskip(NEXT) | instid1(VALU_DEP_1)
	v_cvt_f64_f32_e32 v[4:5], v7
	v_frexp_exp_i32_f64_e32 v4, v[4:5]
	v_frexp_mant_f32_e32 v5, v7
	s_delay_alu instid0(VALU_DEP_1) | instskip(SKIP_1) | instid1(VALU_DEP_1)
	v_cmp_gt_f32_e32 vcc_lo, 0x3f2aaaab, v5
	v_add_f32_e32 v5, -1.0, v7
	v_sub_f32_e32 v9, v5, v7
	v_sub_f32_e32 v5, v6, v5
	s_delay_alu instid0(VALU_DEP_2) | instskip(NEXT) | instid1(VALU_DEP_1)
	v_add_f32_e32 v9, 1.0, v9
	v_add_f32_e32 v5, v5, v9
	v_cmp_gt_f32_e64 s20, 0x33800000, v6
	v_subrev_co_ci_u32_e32 v4, vcc_lo, 0, v4, vcc_lo
	v_cmp_eq_f32_e32 vcc_lo, 0x7f800000, v6
	s_delay_alu instid0(VALU_DEP_2) | instskip(SKIP_2) | instid1(VALU_DEP_2)
	v_sub_nc_u32_e32 v8, 0, v4
	v_cvt_f32_i32_e32 v4, v4
	s_or_b32 vcc_lo, s20, vcc_lo
	v_ldexp_f32 v7, v7, v8
	v_ldexp_f32 v5, v5, v8
	s_delay_alu instid0(VALU_DEP_2) | instskip(NEXT) | instid1(VALU_DEP_1)
	v_add_f32_e32 v56, 1.0, v7
	v_dual_add_f32 v8, -1.0, v7 :: v_dual_add_f32 v9, -1.0, v56
	s_delay_alu instid0(VALU_DEP_1) | instskip(NEXT) | instid1(VALU_DEP_2)
	v_add_f32_e32 v57, 1.0, v8
	v_sub_f32_e32 v9, v7, v9
	s_delay_alu instid0(VALU_DEP_2) | instskip(NEXT) | instid1(VALU_DEP_2)
	v_sub_f32_e32 v7, v7, v57
	v_add_f32_e32 v9, v5, v9
	s_delay_alu instid0(VALU_DEP_2) | instskip(NEXT) | instid1(VALU_DEP_1)
	v_add_f32_e32 v5, v5, v7
	v_add_f32_e32 v58, v8, v5
	s_delay_alu instid0(VALU_DEP_1) | instskip(NEXT) | instid1(VALU_DEP_4)
	v_sub_f32_e32 v8, v8, v58
	v_add_f32_e32 v57, v56, v9
	s_delay_alu instid0(VALU_DEP_1) | instskip(NEXT) | instid1(VALU_DEP_2)
	v_rcp_f32_e32 v7, v57
	v_dual_sub_f32 v56, v56, v57 :: v_dual_add_f32 v5, v5, v8
	s_delay_alu instid0(VALU_DEP_1) | instskip(SKIP_2) | instid1(VALU_DEP_1)
	v_add_f32_e32 v9, v9, v56
	s_waitcnt_depctr 0xfff
	v_mul_f32_e32 v59, v58, v7
	v_mul_f32_e32 v60, v57, v59
	s_delay_alu instid0(VALU_DEP_1) | instskip(NEXT) | instid1(VALU_DEP_1)
	v_fma_f32 v56, v59, v57, -v60
	v_fmac_f32_e32 v56, v59, v9
	s_delay_alu instid0(VALU_DEP_1) | instskip(NEXT) | instid1(VALU_DEP_1)
	v_add_f32_e32 v61, v60, v56
	v_sub_f32_e32 v62, v58, v61
	v_sub_f32_e32 v8, v61, v60
	s_delay_alu instid0(VALU_DEP_2) | instskip(NEXT) | instid1(VALU_DEP_1)
	v_sub_f32_e32 v58, v58, v62
	v_sub_f32_e32 v58, v58, v61
	s_delay_alu instid0(VALU_DEP_1) | instskip(NEXT) | instid1(VALU_DEP_1)
	v_dual_sub_f32 v8, v8, v56 :: v_dual_add_f32 v5, v5, v58
	v_add_f32_e32 v5, v8, v5
	s_delay_alu instid0(VALU_DEP_1) | instskip(NEXT) | instid1(VALU_DEP_1)
	v_add_f32_e32 v8, v62, v5
	v_mul_f32_e32 v56, v7, v8
	v_sub_f32_e32 v61, v62, v8
	s_delay_alu instid0(VALU_DEP_2) | instskip(NEXT) | instid1(VALU_DEP_2)
	v_mul_f32_e32 v58, v57, v56
	v_add_f32_e32 v5, v5, v61
	s_delay_alu instid0(VALU_DEP_2) | instskip(NEXT) | instid1(VALU_DEP_1)
	v_fma_f32 v57, v56, v57, -v58
	v_fmac_f32_e32 v57, v56, v9
	s_delay_alu instid0(VALU_DEP_1) | instskip(NEXT) | instid1(VALU_DEP_1)
	v_add_f32_e32 v9, v58, v57
	v_sub_f32_e32 v60, v8, v9
	s_delay_alu instid0(VALU_DEP_1) | instskip(NEXT) | instid1(VALU_DEP_1)
	v_sub_f32_e32 v8, v8, v60
	v_sub_f32_e32 v8, v8, v9
	s_delay_alu instid0(VALU_DEP_1) | instskip(SKIP_2) | instid1(VALU_DEP_1)
	v_add_f32_e32 v5, v5, v8
	v_add_f32_e32 v8, v59, v56
	v_sub_f32_e32 v58, v9, v58
	v_sub_f32_e32 v9, v58, v57
	s_delay_alu instid0(VALU_DEP_1) | instskip(NEXT) | instid1(VALU_DEP_4)
	v_add_f32_e32 v5, v9, v5
	v_sub_f32_e32 v9, v8, v59
	s_delay_alu instid0(VALU_DEP_2) | instskip(NEXT) | instid1(VALU_DEP_2)
	v_add_f32_e32 v5, v60, v5
	v_sub_f32_e32 v9, v56, v9
	s_delay_alu instid0(VALU_DEP_2) | instskip(NEXT) | instid1(VALU_DEP_1)
	v_mul_f32_e32 v5, v7, v5
	v_add_f32_e32 v5, v9, v5
	s_delay_alu instid0(VALU_DEP_1) | instskip(NEXT) | instid1(VALU_DEP_1)
	v_add_f32_e32 v7, v8, v5
	v_mul_f32_e32 v9, v7, v7
	s_delay_alu instid0(VALU_DEP_1) | instskip(SKIP_1) | instid1(VALU_DEP_2)
	v_fmaak_f32 v56, s66, v9, 0x3ecc95a3
	v_mul_f32_e32 v57, v7, v9
	v_fmaak_f32 v9, v9, v56, 0x3f2aaada
	v_ldexp_f32 v56, v7, 1
	v_sub_f32_e32 v7, v7, v8
	s_delay_alu instid0(VALU_DEP_3) | instskip(SKIP_1) | instid1(VALU_DEP_2)
	v_mul_f32_e32 v9, v57, v9
	v_mul_f32_e32 v57, 0x3f317218, v4
	v_dual_sub_f32 v5, v5, v7 :: v_dual_add_f32 v8, v56, v9
	s_delay_alu instid0(VALU_DEP_1) | instskip(NEXT) | instid1(VALU_DEP_2)
	v_ldexp_f32 v5, v5, 1
	v_sub_f32_e32 v7, v8, v56
	s_delay_alu instid0(VALU_DEP_4) | instskip(NEXT) | instid1(VALU_DEP_1)
	v_fma_f32 v56, 0x3f317218, v4, -v57
	v_dual_sub_f32 v7, v9, v7 :: v_dual_fmac_f32 v56, 0xb102e308, v4
	s_delay_alu instid0(VALU_DEP_1) | instskip(NEXT) | instid1(VALU_DEP_1)
	v_add_f32_e32 v4, v5, v7
	v_add_f32_e32 v7, v8, v4
	s_delay_alu instid0(VALU_DEP_1) | instskip(NEXT) | instid1(VALU_DEP_1)
	v_sub_f32_e32 v8, v7, v8
	v_sub_f32_e32 v4, v4, v8
	v_add_f32_e32 v5, v57, v56
	s_delay_alu instid0(VALU_DEP_1) | instskip(SKIP_1) | instid1(VALU_DEP_2)
	v_add_f32_e32 v9, v5, v7
	v_sub_f32_e32 v57, v5, v57
	v_sub_f32_e32 v58, v9, v5
	s_delay_alu instid0(VALU_DEP_1) | instskip(NEXT) | instid1(VALU_DEP_1)
	v_dual_sub_f32 v56, v56, v57 :: v_dual_sub_f32 v59, v9, v58
	v_dual_sub_f32 v7, v7, v58 :: v_dual_add_f32 v8, v56, v4
	s_delay_alu instid0(VALU_DEP_2) | instskip(NEXT) | instid1(VALU_DEP_1)
	v_sub_f32_e32 v5, v5, v59
	v_add_f32_e32 v5, v7, v5
	s_delay_alu instid0(VALU_DEP_3) | instskip(NEXT) | instid1(VALU_DEP_2)
	v_sub_f32_e32 v7, v8, v56
	v_add_f32_e32 v5, v8, v5
	s_delay_alu instid0(VALU_DEP_2) | instskip(NEXT) | instid1(VALU_DEP_2)
	v_sub_f32_e32 v8, v8, v7
	v_dual_sub_f32 v4, v4, v7 :: v_dual_add_f32 v57, v9, v5
	s_delay_alu instid0(VALU_DEP_1) | instskip(NEXT) | instid1(VALU_DEP_1)
	v_dual_sub_f32 v8, v56, v8 :: v_dual_sub_f32 v7, v57, v9
	v_dual_add_f32 v4, v4, v8 :: v_dual_sub_f32 v5, v5, v7
	s_delay_alu instid0(VALU_DEP_1) | instskip(NEXT) | instid1(VALU_DEP_1)
	v_add_f32_e32 v4, v4, v5
	v_add_f32_e32 v4, v57, v4
	s_delay_alu instid0(VALU_DEP_1)
	v_cndmask_b32_e32 v56, v4, v6, vcc_lo
.LBB106_58:                             ;   in Loop: Header=BB106_12 Depth=1
	s_or_b32 exec_lo, exec_lo, s21
	v_lshrrev_b32_e32 v5, 16, v2
	v_lshrrev_b32_e32 v6, 16, v3
	;; [unrolled: 1-line block ×4, first 2 shown]
	v_cvt_f32_f16_e32 v4, v3
	v_cvt_f32_f16_e32 v2, v2
	;; [unrolled: 1-line block ×8, first 2 shown]
	v_dual_mul_f32 v57, s53, v4 :: v_dual_mul_f32 v58, s53, v3
	v_mul_f32_e32 v61, s53, v2
	s_delay_alu instid0(VALU_DEP_4)
	v_dual_mul_f32 v59, s53, v5 :: v_dual_mul_f32 v60, s53, v6
	v_dual_mul_f32 v63, s53, v1 :: v_dual_mul_f32 v62, s53, v7
	v_mul_f32_e32 v64, s53, v0
	s_and_b32 vcc_lo, exec_lo, s63
	s_barrier
	buffer_gl0_inv
	s_cbranch_vccz .LBB106_122
; %bb.59:                               ;   in Loop: Header=BB106_12 Depth=1
	v_dual_mul_f32 v65, v56, v7 :: v_dual_mul_f32 v70, v55, v4
	v_add_co_u32 v7, s20, s41, v47
	s_delay_alu instid0(VALU_DEP_1) | instskip(SKIP_1) | instid1(VALU_DEP_1)
	v_add_co_ci_u32_e64 v8, null, s51, 0, s20
	v_add_co_u32 v9, s20, s45, v47
	v_add_co_ci_u32_e64 v69, null, s48, 0, s20
	s_delay_alu instid0(VALU_DEP_4) | instskip(NEXT) | instid1(VALU_DEP_4)
	v_add_co_u32 v66, vcc_lo, v7, v48
	v_add_co_ci_u32_e32 v67, vcc_lo, 0, v8, vcc_lo
	s_delay_alu instid0(VALU_DEP_4) | instskip(NEXT) | instid1(VALU_DEP_4)
	v_add_co_u32 v68, vcc_lo, v9, v48
	v_add_co_ci_u32_e32 v69, vcc_lo, 0, v69, vcc_lo
	v_cmp_gt_u32_e32 vcc_lo, s23, v10
	s_cmp_lg_u32 s68, 0
	v_cmp_gt_u32_e64 s21, s23, v40
	s_cselect_b32 s31, -1, 0
	s_cmp_eq_u32 s68, s65
	v_cmp_gt_u32_e64 s22, s23, v41
	s_cselect_b32 s69, -1, 0
	s_or_b32 s20, s64, vcc_lo
	v_cmp_gt_u32_e32 vcc_lo, s23, v42
	v_cmp_gt_u32_e64 s24, s23, v43
	v_cmp_gt_u32_e64 s25, s23, v44
	;; [unrolled: 1-line block ×4, first 2 shown]
	v_dual_mul_f32 v71, v54, v3 :: v_dual_mul_f32 v72, v53, v2
	v_dual_mul_f32 v73, v52, v5 :: v_dual_mul_f32 v76, v49, v0
	;; [unrolled: 1-line block ×3, first 2 shown]
	s_mov_b32 s34, 0
	s_or_b32 s21, s64, s21
	s_or_b32 s22, s64, s22
	s_or_b32 s23, s64, vcc_lo
	s_or_b32 s24, s64, s24
	s_or_b32 s25, s64, s25
	;; [unrolled: 1-line block ×4, first 2 shown]
	s_mov_b32 s38, s34
	s_mov_b32 s42, s34
	s_mov_b32 s46, s34
	s_mov_b32 s70, s49
	s_mov_b32 s71, s67
	s_branch .LBB106_61
.LBB106_60:                             ;   in Loop: Header=BB106_61 Depth=2
	s_or_b32 exec_lo, exec_lo, s28
	v_cndmask_b32_e64 v5, v94, v7, s11
	v_cndmask_b32_e64 v6, v93, v6, s11
	s_add_i32 s70, s70, -1
	s_add_i32 s71, s71, 8
	s_add_i32 s46, s46, s50
	v_fma_f32 v5, v5, v80, v78
	v_mul_f32_e32 v6, v6, v80
	s_add_i32 s42, s42, s44
	s_add_i32 s38, s38, s40
	;; [unrolled: 1-line block ×3, first 2 shown]
	v_cndmask_b32_e64 v5, v5, v78, s10
	v_cndmask_b32_e64 v6, v6, v80, s10
	s_cmp_eq_u32 s70, 0
	s_waitcnt lgkmcnt(0)
	s_delay_alu instid0(VALU_DEP_1) | instskip(NEXT) | instid1(VALU_DEP_1)
	v_fmac_f32_e32 v5, v4, v6
	v_fmac_f32_e32 v77, v5, v82
	v_fma_mix_f32 v64, v5, v0, v64 op_sel_hi:[0,1,0]
	s_delay_alu instid0(VALU_DEP_2) | instskip(SKIP_1) | instid1(VALU_DEP_2)
	v_fmac_f32_e32 v79, v77, v84
	v_fma_mix_f32 v60, v77, v0, v60 op_sel:[0,1,0] op_sel_hi:[0,1,0]
	v_fmac_f32_e32 v81, v79, v86
	v_fma_mix_f32 v63, v79, v1, v63 op_sel_hi:[0,1,0]
	s_delay_alu instid0(VALU_DEP_2) | instskip(SKIP_1) | instid1(VALU_DEP_2)
	v_fmac_f32_e32 v83, v81, v87
	v_fma_mix_f32 v59, v81, v1, v59 op_sel:[0,1,0] op_sel_hi:[0,1,0]
	v_fmac_f32_e32 v85, v83, v92
	v_fma_mix_f32 v61, v83, v2, v61 op_sel_hi:[0,1,0]
	s_delay_alu instid0(VALU_DEP_2) | instskip(SKIP_1) | instid1(VALU_DEP_2)
	v_fmac_f32_e32 v88, v85, v90
	v_fma_mix_f32 v58, v85, v2, v58 op_sel:[0,1,0] op_sel_hi:[0,1,0]
	v_fmac_f32_e32 v89, v88, v91
	v_fma_mix_f32 v57, v88, v3, v57 op_sel_hi:[0,1,0]
	s_delay_alu instid0(VALU_DEP_2)
	v_fma_mix_f32 v62, v89, v3, v62 op_sel:[0,1,0] op_sel_hi:[0,1,0]
	s_cbranch_scc1 .LBB106_122
.LBB106_61:                             ;   Parent Loop BB106_12 Depth=1
                                        ; =>  This Inner Loop Header: Depth=2
	s_lshl_b64 s[72:73], s[34:35], 2
	s_mov_b32 s39, s35
	s_add_u32 s72, s57, s72
	s_addc_u32 s73, s58, s73
	v_dual_mov_b32 v2, 0 :: v_dual_mov_b32 v3, 0
	global_load_b32 v77, v13, s[72:73]
	s_lshl_b64 s[72:73], s[38:39], 1
	s_delay_alu instid0(SALU_CYCLE_1)
	v_add_co_u32 v0, vcc_lo, v66, s72
	v_add_co_ci_u32_e32 v1, vcc_lo, s73, v67, vcc_lo
	s_and_saveexec_b32 s28, s12
	s_cbranch_execnz .LBB106_81
; %bb.62:                               ;   in Loop: Header=BB106_61 Depth=2
	s_or_b32 exec_lo, exec_lo, s28
	s_and_saveexec_b32 s28, s13
	s_cbranch_execnz .LBB106_82
.LBB106_63:                             ;   in Loop: Header=BB106_61 Depth=2
	s_or_b32 exec_lo, exec_lo, s28
	v_mov_b32_e32 v4, 0
	s_and_saveexec_b32 s28, s14
	s_cbranch_execnz .LBB106_83
.LBB106_64:                             ;   in Loop: Header=BB106_61 Depth=2
	s_or_b32 exec_lo, exec_lo, s28
	s_and_saveexec_b32 s28, s15
	s_cbranch_execnz .LBB106_84
.LBB106_65:                             ;   in Loop: Header=BB106_61 Depth=2
	s_or_b32 exec_lo, exec_lo, s28
	v_mov_b32_e32 v5, 0
	s_and_saveexec_b32 s28, s16
	s_cbranch_execnz .LBB106_85
.LBB106_66:                             ;   in Loop: Header=BB106_61 Depth=2
	s_or_b32 exec_lo, exec_lo, s28
	s_and_saveexec_b32 s28, s17
	s_cbranch_execnz .LBB106_86
.LBB106_67:                             ;   in Loop: Header=BB106_61 Depth=2
	s_or_b32 exec_lo, exec_lo, s28
	v_mov_b32_e32 v6, 0
	s_and_saveexec_b32 s28, s18
	s_cbranch_execnz .LBB106_87
.LBB106_68:                             ;   in Loop: Header=BB106_61 Depth=2
	s_or_b32 exec_lo, exec_lo, s28
	s_and_saveexec_b32 s28, s19
	s_cbranch_execz .LBB106_70
.LBB106_69:                             ;   in Loop: Header=BB106_61 Depth=2
	global_load_u16 v0, v[0:1], off offset:448
	s_waitcnt vmcnt(0)
	v_lshl_or_b32 v6, v0, 16, v6
.LBB106_70:                             ;   in Loop: Header=BB106_61 Depth=2
	s_or_b32 exec_lo, exec_lo, s28
	s_waitcnt vmcnt(0)
	ds_store_b16 v20, v3
	ds_store_b16 v20, v2 offset:64
	ds_store_b16 v21, v4 offset:128
	ds_store_b16_d16_hi v22, v4 offset:192
	ds_store_b16 v23, v5 offset:256
	ds_store_b16_d16_hi v24, v5 offset:320
	;; [unrolled: 2-line block ×3, first 2 shown]
	; wave barrier
	ds_load_b128 v[4:7], v27
	s_mov_b32 s43, s35
	v_dual_mov_b32 v2, 0 :: v_dual_mov_b32 v3, 0
	s_lshl_b64 s[72:73], s[42:43], 1
	s_delay_alu instid0(SALU_CYCLE_1)
	v_add_co_u32 v0, vcc_lo, v68, s72
	v_add_co_ci_u32_e32 v1, vcc_lo, s73, v69, vcc_lo
	s_and_saveexec_b32 s28, s12
	s_cbranch_execnz .LBB106_88
; %bb.71:                               ;   in Loop: Header=BB106_61 Depth=2
	s_or_b32 exec_lo, exec_lo, s28
	s_and_saveexec_b32 s28, s13
	s_cbranch_execnz .LBB106_89
.LBB106_72:                             ;   in Loop: Header=BB106_61 Depth=2
	s_or_b32 exec_lo, exec_lo, s28
	v_mov_b32_e32 v8, 0
	s_and_saveexec_b32 s28, s14
	s_cbranch_execnz .LBB106_90
.LBB106_73:                             ;   in Loop: Header=BB106_61 Depth=2
	s_or_b32 exec_lo, exec_lo, s28
	s_and_saveexec_b32 s28, s15
	s_cbranch_execnz .LBB106_91
.LBB106_74:                             ;   in Loop: Header=BB106_61 Depth=2
	s_or_b32 exec_lo, exec_lo, s28
	v_mov_b32_e32 v9, 0
	s_and_saveexec_b32 s28, s16
	s_cbranch_execnz .LBB106_92
.LBB106_75:                             ;   in Loop: Header=BB106_61 Depth=2
	s_or_b32 exec_lo, exec_lo, s28
	s_and_saveexec_b32 s28, s17
	s_cbranch_execnz .LBB106_93
.LBB106_76:                             ;   in Loop: Header=BB106_61 Depth=2
	s_or_b32 exec_lo, exec_lo, s28
	v_mov_b32_e32 v78, 0
	s_and_saveexec_b32 s28, s18
	s_cbranch_execnz .LBB106_94
.LBB106_77:                             ;   in Loop: Header=BB106_61 Depth=2
	s_or_b32 exec_lo, exec_lo, s28
	s_and_saveexec_b32 s28, s19
	s_cbranch_execz .LBB106_79
.LBB106_78:                             ;   in Loop: Header=BB106_61 Depth=2
	global_load_u16 v0, v[0:1], off offset:448
	s_waitcnt vmcnt(0)
	v_lshl_or_b32 v78, v0, 16, v78
.LBB106_79:                             ;   in Loop: Header=BB106_61 Depth=2
	s_or_b32 exec_lo, exec_lo, s28
	s_waitcnt vmcnt(0)
	ds_store_b16 v20, v3 offset:1056
	ds_store_b16 v28, v2 offset:64
	;; [unrolled: 1-line block ×3, first 2 shown]
	ds_store_b16_d16_hi v30, v8 offset:192
	ds_store_b16 v31, v9 offset:256
	ds_store_b16_d16_hi v32, v9 offset:320
	ds_store_b16 v33, v78 offset:384
	ds_store_b16_d16_hi v34, v78 offset:448
	; wave barrier
	ds_load_b128 v[0:3], v27 offset:1056
	s_and_not1_b32 vcc_lo, exec_lo, s31
	s_cbranch_vccnz .LBB106_95
; %bb.80:                               ;   in Loop: Header=BB106_61 Depth=2
	v_mov_b32_e32 v8, s71
	ds_load_b64 v[8:9], v8
	s_cbranch_execz .LBB106_96
	s_branch .LBB106_99
.LBB106_81:                             ;   in Loop: Header=BB106_61 Depth=2
	global_load_u16 v3, v[0:1], off
	s_or_b32 exec_lo, exec_lo, s28
	s_and_saveexec_b32 s28, s13
	s_cbranch_execz .LBB106_63
.LBB106_82:                             ;   in Loop: Header=BB106_61 Depth=2
	global_load_u16 v2, v[0:1], off offset:64
	s_or_b32 exec_lo, exec_lo, s28
	v_mov_b32_e32 v4, 0
	s_and_saveexec_b32 s28, s14
	s_cbranch_execz .LBB106_64
.LBB106_83:                             ;   in Loop: Header=BB106_61 Depth=2
	global_load_u16 v4, v[0:1], off offset:128
	s_or_b32 exec_lo, exec_lo, s28
	s_and_saveexec_b32 s28, s15
	s_cbranch_execz .LBB106_65
.LBB106_84:                             ;   in Loop: Header=BB106_61 Depth=2
	global_load_u16 v5, v[0:1], off offset:192
	s_waitcnt vmcnt(0)
	v_lshl_or_b32 v4, v5, 16, v4
	s_or_b32 exec_lo, exec_lo, s28
	v_mov_b32_e32 v5, 0
	s_and_saveexec_b32 s28, s16
	s_cbranch_execz .LBB106_66
.LBB106_85:                             ;   in Loop: Header=BB106_61 Depth=2
	global_load_u16 v5, v[0:1], off offset:256
	s_or_b32 exec_lo, exec_lo, s28
	s_and_saveexec_b32 s28, s17
	s_cbranch_execz .LBB106_67
.LBB106_86:                             ;   in Loop: Header=BB106_61 Depth=2
	global_load_u16 v6, v[0:1], off offset:320
	s_waitcnt vmcnt(0)
	v_lshl_or_b32 v5, v6, 16, v5
	s_or_b32 exec_lo, exec_lo, s28
	v_mov_b32_e32 v6, 0
	s_and_saveexec_b32 s28, s18
	s_cbranch_execz .LBB106_68
.LBB106_87:                             ;   in Loop: Header=BB106_61 Depth=2
	global_load_u16 v6, v[0:1], off offset:384
	s_or_b32 exec_lo, exec_lo, s28
	s_and_saveexec_b32 s28, s19
	s_cbranch_execnz .LBB106_69
	s_branch .LBB106_70
.LBB106_88:                             ;   in Loop: Header=BB106_61 Depth=2
	global_load_u16 v3, v[0:1], off
	s_or_b32 exec_lo, exec_lo, s28
	s_and_saveexec_b32 s28, s13
	s_cbranch_execz .LBB106_72
.LBB106_89:                             ;   in Loop: Header=BB106_61 Depth=2
	global_load_u16 v2, v[0:1], off offset:64
	s_or_b32 exec_lo, exec_lo, s28
	v_mov_b32_e32 v8, 0
	s_and_saveexec_b32 s28, s14
	s_cbranch_execz .LBB106_73
.LBB106_90:                             ;   in Loop: Header=BB106_61 Depth=2
	global_load_u16 v8, v[0:1], off offset:128
	s_or_b32 exec_lo, exec_lo, s28
	s_and_saveexec_b32 s28, s15
	s_cbranch_execz .LBB106_74
.LBB106_91:                             ;   in Loop: Header=BB106_61 Depth=2
	global_load_u16 v9, v[0:1], off offset:192
	s_waitcnt vmcnt(0)
	v_lshl_or_b32 v8, v9, 16, v8
	s_or_b32 exec_lo, exec_lo, s28
	v_mov_b32_e32 v9, 0
	s_and_saveexec_b32 s28, s16
	s_cbranch_execz .LBB106_75
.LBB106_92:                             ;   in Loop: Header=BB106_61 Depth=2
	global_load_u16 v9, v[0:1], off offset:256
	s_or_b32 exec_lo, exec_lo, s28
	s_and_saveexec_b32 s28, s17
	s_cbranch_execz .LBB106_76
.LBB106_93:                             ;   in Loop: Header=BB106_61 Depth=2
	global_load_u16 v78, v[0:1], off offset:320
	s_waitcnt vmcnt(0)
	v_lshl_or_b32 v9, v78, 16, v9
	s_or_b32 exec_lo, exec_lo, s28
	v_mov_b32_e32 v78, 0
	s_and_saveexec_b32 s28, s18
	s_cbranch_execz .LBB106_77
.LBB106_94:                             ;   in Loop: Header=BB106_61 Depth=2
	global_load_u16 v78, v[0:1], off offset:384
	s_or_b32 exec_lo, exec_lo, s28
	s_and_saveexec_b32 s28, s19
	s_cbranch_execnz .LBB106_78
	s_branch .LBB106_79
.LBB106_95:                             ;   in Loop: Header=BB106_61 Depth=2
                                        ; implicit-def: $vgpr8
.LBB106_96:                             ;   in Loop: Header=BB106_61 Depth=2
	s_waitcnt lgkmcnt(0)
	v_mov_b32_e32 v9, 0
	s_and_not1_b32 vcc_lo, exec_lo, s33
	s_cbranch_vccnz .LBB106_98
; %bb.97:                               ;   in Loop: Header=BB106_61 Depth=2
	s_mov_b32 s47, s35
	s_delay_alu instid0(SALU_CYCLE_1) | instskip(NEXT) | instid1(SALU_CYCLE_1)
	s_lshl_b64 s[72:73], s[46:47], 2
	s_add_u32 s72, s59, s72
	s_addc_u32 s73, s60, s73
	global_load_b32 v9, v13, s[72:73]
.LBB106_98:                             ;   in Loop: Header=BB106_61 Depth=2
	v_mov_b32_e32 v8, 1.0
.LBB106_99:                             ;   in Loop: Header=BB106_61 Depth=2
	s_waitcnt lgkmcnt(9)
	v_lshrrev_b32_e32 v78, 16, v5
	v_lshrrev_b32_e32 v81, 16, v7
	v_cvt_f32_f16_e32 v7, v7
	v_lshrrev_b32_e32 v79, 16, v6
	v_cvt_f32_f16_e32 v5, v5
	v_cvt_f32_f16_e32 v83, v78
	v_mul_f32_e32 v88, 0x3fb8aa3b, v77
	v_cvt_f32_f16_e32 v89, v81
	v_lshrrev_b32_e32 v77, 16, v4
	v_cvt_f32_f16_e32 v4, v4
	s_delay_alu instid0(VALU_DEP_4)
	v_dual_mul_f32 v83, v73, v83 :: v_dual_mul_f32 v80, v88, v49
	v_mul_f32_e32 v7, v70, v7
	v_cvt_f32_f16_e32 v85, v79
	v_cvt_f32_f16_e32 v77, v77
	v_mul_f32_e32 v79, v88, v51
	v_cmp_gt_f32_e32 vcc_lo, 0xc2fc0000, v80
	v_mul_f32_e32 v4, v76, v4
	v_cvt_f32_f16_e32 v6, v6
	v_mul_f32_e32 v91, v88, v56
	v_mul_f32_e32 v5, v74, v5
	v_cndmask_b32_e64 v80, 0, 0x42800000, vcc_lo
	v_cndmask_b32_e64 v81, 1.0, 0x1f800000, vcc_lo
	v_dual_mul_f32 v6, v72, v6 :: v_dual_mul_f32 v85, v71, v85
	v_mul_f32_e32 v89, v65, v89
	s_delay_alu instid0(VALU_DEP_4) | instskip(NEXT) | instid1(VALU_DEP_3)
	v_fmac_f32_e32 v80, v88, v49
	v_cndmask_b32_e64 v85, 0, v85, s25
	s_delay_alu instid0(VALU_DEP_3) | instskip(NEXT) | instid1(VALU_DEP_3)
	v_cndmask_b32_e64 v89, 0, v89, s27
	v_exp_f32_e32 v78, v80
	s_waitcnt_depctr 0xfff
	v_dual_mul_f32 v82, v88, v50 :: v_dual_mul_f32 v81, v78, v81
	s_delay_alu instid0(VALU_DEP_1) | instskip(SKIP_3) | instid1(VALU_DEP_4)
	v_cmp_gt_f32_e64 s28, 0xc2fc0000, v82
	v_cndmask_b32_e64 v78, 0, v4, s20
	v_mul_f32_e32 v4, v75, v77
	v_cmp_gt_f32_e32 vcc_lo, 0xc2fc0000, v79
	v_cndmask_b32_e64 v82, 0, 0x42800000, s28
	v_cndmask_b32_e64 v84, 1.0, 0x1f800000, s28
	s_delay_alu instid0(VALU_DEP_4) | instskip(SKIP_1) | instid1(VALU_DEP_4)
	v_cndmask_b32_e64 v77, 0, v4, s21
	v_cndmask_b32_e64 v79, 0, 0x42800000, vcc_lo
	v_fmac_f32_e32 v82, v88, v50
	s_delay_alu instid0(VALU_DEP_1) | instskip(SKIP_1) | instid1(VALU_DEP_1)
	v_exp_f32_e32 v80, v82
	v_mul_f32_e32 v82, v88, v52
	v_cmp_gt_f32_e64 s28, 0xc2fc0000, v82
	s_waitcnt_depctr 0xfff
	v_mul_f32_e32 v84, v80, v84
	v_cndmask_b32_e64 v80, 1.0, v81, s20
	v_cndmask_b32_e64 v81, 0, 0x42800000, s28
	s_delay_alu instid0(VALU_DEP_3) | instskip(SKIP_1) | instid1(VALU_DEP_3)
	v_cndmask_b32_e64 v82, 1.0, v84, s21
	v_cndmask_b32_e64 v84, 1.0, 0x1f800000, vcc_lo
	v_fmac_f32_e32 v81, v88, v52
	s_delay_alu instid0(VALU_DEP_1) | instskip(SKIP_1) | instid1(VALU_DEP_1)
	v_exp_f32_e32 v81, v81
	v_fmac_f32_e32 v79, v88, v51
	v_exp_f32_e32 v4, v79
	v_mul_f32_e32 v79, v88, v53
	s_delay_alu instid0(VALU_DEP_1)
	v_cmp_gt_f32_e32 vcc_lo, 0xc2fc0000, v79
	v_cndmask_b32_e64 v79, 0, v5, s22
	v_cndmask_b32_e64 v5, 1.0, 0x1f800000, s28
	s_waitcnt_depctr 0xfff
	v_mul_f32_e32 v4, v4, v84
	v_cndmask_b32_e64 v86, 0, 0x42800000, vcc_lo
	s_delay_alu instid0(VALU_DEP_2) | instskip(SKIP_1) | instid1(VALU_DEP_3)
	v_cndmask_b32_e64 v84, 1.0, v4, s22
	v_mul_f32_e32 v87, v88, v54
	v_fmac_f32_e32 v86, v88, v53
	v_mul_f32_e32 v4, v81, v5
	v_cndmask_b32_e64 v5, 1.0, 0x1f800000, vcc_lo
	v_cndmask_b32_e64 v81, 0, v83, s23
	v_cmp_gt_f32_e64 s28, 0xc2fc0000, v87
	v_exp_f32_e32 v90, v86
	v_cndmask_b32_e64 v86, 1.0, v4, s23
	v_cndmask_b32_e64 v83, 0, v6, s24
	s_delay_alu instid0(VALU_DEP_3) | instskip(SKIP_3) | instid1(VALU_DEP_4)
	v_cndmask_b32_e64 v87, 0, 0x42800000, s28
	v_cndmask_b32_e64 v6, 1.0, 0x1f800000, s28
	v_cmp_gt_f32_e64 s28, 0xc2fc0000, v91
	v_fma_f32 v91, v82, v78, v77
	v_fmac_f32_e32 v87, v88, v54
	s_delay_alu instid0(TRANS32_DEP_1) | instskip(NEXT) | instid1(VALU_DEP_2)
	v_mul_f32_e32 v5, v90, v5
	v_exp_f32_e32 v4, v87
	v_mul_f32_e32 v87, v88, v55
	s_delay_alu instid0(VALU_DEP_1) | instskip(NEXT) | instid1(VALU_DEP_3)
	v_cmp_gt_f32_e32 vcc_lo, 0xc2fc0000, v87
	v_cndmask_b32_e64 v87, 1.0, v5, s24
	v_cndmask_b32_e64 v5, 0, 0x42800000, s28
	s_waitcnt_depctr 0xfff
	v_mul_f32_e32 v4, v4, v6
	v_cndmask_b32_e64 v90, 0, 0x42800000, vcc_lo
	v_mul_f32_e32 v6, v82, v80
	v_fmac_f32_e32 v5, v88, v56
	s_delay_alu instid0(VALU_DEP_4) | instskip(NEXT) | instid1(VALU_DEP_4)
	v_cndmask_b32_e64 v92, 1.0, v4, s25
	v_fmac_f32_e32 v90, v88, v55
	s_delay_alu instid0(VALU_DEP_4)
	v_mul_f32_e32 v4, v6, v84
	v_fma_f32 v6, v91, v84, v79
	v_cndmask_b32_e64 v88, 1.0, 0x1f800000, vcc_lo
	v_exp_f32_e32 v5, v5
	v_exp_f32_e32 v90, v90
	v_mul_f32_e32 v4, v4, v86
	v_fma_f32 v6, v6, v86, v81
	s_delay_alu instid0(VALU_DEP_2) | instskip(NEXT) | instid1(VALU_DEP_2)
	v_mul_f32_e32 v4, v4, v87
	v_fma_f32 v6, v6, v87, v83
	s_waitcnt_depctr 0xfff
	v_mul_f32_e32 v90, v90, v88
	v_cndmask_b32_e64 v88, 0, v7, s26
	v_cndmask_b32_e64 v7, 1.0, 0x1f800000, s28
	v_mul_f32_e32 v4, v4, v92
	v_fma_f32 v6, v6, v92, v85
	v_cndmask_b32_e64 v90, 1.0, v90, s26
	s_delay_alu instid0(VALU_DEP_1) | instskip(NEXT) | instid1(VALU_DEP_1)
	v_dual_mul_f32 v5, v5, v7 :: v_dual_mul_f32 v4, v4, v90
	v_cndmask_b32_e64 v91, 1.0, v5, s27
	s_delay_alu instid0(VALU_DEP_4) | instskip(NEXT) | instid1(VALU_DEP_2)
	v_fma_f32 v5, v6, v90, v88
	v_mul_f32_e32 v4, v4, v91
	s_delay_alu instid0(VALU_DEP_2) | instskip(NEXT) | instid1(VALU_DEP_2)
	v_fma_f32 v5, v5, v91, v89
	v_mov_b32_dpp v7, v4 row_shr:1 row_mask:0xf bank_mask:0xf
	s_delay_alu instid0(VALU_DEP_2)
	v_mov_b32_dpp v6, v5 row_shr:1 row_mask:0xf bank_mask:0xf
	s_and_saveexec_b32 s28, s0
; %bb.100:                              ;   in Loop: Header=BB106_61 Depth=2
	s_delay_alu instid0(VALU_DEP_2) | instskip(NEXT) | instid1(VALU_DEP_1)
	v_mul_f32_e32 v7, v4, v7
	v_dual_fmac_f32 v5, v4, v6 :: v_dual_mov_b32 v4, v7
; %bb.101:                              ;   in Loop: Header=BB106_61 Depth=2
	s_or_b32 exec_lo, exec_lo, s28
	s_delay_alu instid0(VALU_DEP_1) | instskip(NEXT) | instid1(VALU_DEP_2)
	v_mov_b32_dpp v6, v4 row_shr:2 row_mask:0xf bank_mask:0xf
	v_mov_b32_dpp v7, v5 row_shr:2 row_mask:0xf bank_mask:0xf
	s_and_saveexec_b32 s28, s1
; %bb.102:                              ;   in Loop: Header=BB106_61 Depth=2
	s_delay_alu instid0(VALU_DEP_1) | instskip(NEXT) | instid1(VALU_DEP_3)
	v_fmac_f32_e32 v5, v4, v7
	v_mul_f32_e32 v4, v4, v6
; %bb.103:                              ;   in Loop: Header=BB106_61 Depth=2
	s_or_b32 exec_lo, exec_lo, s28
	s_delay_alu instid0(VALU_DEP_1) | instskip(NEXT) | instid1(VALU_DEP_3)
	v_mov_b32_dpp v6, v4 row_shr:4 row_mask:0xf bank_mask:0xf
	v_mov_b32_dpp v7, v5 row_shr:4 row_mask:0xf bank_mask:0xf
	s_and_saveexec_b32 s28, s2
; %bb.104:                              ;   in Loop: Header=BB106_61 Depth=2
	s_delay_alu instid0(VALU_DEP_1) | instskip(NEXT) | instid1(VALU_DEP_3)
	v_fmac_f32_e32 v5, v4, v7
	v_mul_f32_e32 v4, v4, v6
; %bb.105:                              ;   in Loop: Header=BB106_61 Depth=2
	s_or_b32 exec_lo, exec_lo, s28
	s_delay_alu instid0(VALU_DEP_1) | instskip(NEXT) | instid1(VALU_DEP_3)
	v_mov_b32_dpp v6, v4 row_shr:8 row_mask:0xf bank_mask:0xf
	v_mov_b32_dpp v7, v5 row_shr:8 row_mask:0xf bank_mask:0xf
	s_and_saveexec_b32 s28, s3
; %bb.106:                              ;   in Loop: Header=BB106_61 Depth=2
	s_delay_alu instid0(VALU_DEP_1) | instskip(NEXT) | instid1(VALU_DEP_3)
	v_fmac_f32_e32 v5, v4, v7
	v_mul_f32_e32 v4, v4, v6
; %bb.107:                              ;   in Loop: Header=BB106_61 Depth=2
	s_or_b32 exec_lo, exec_lo, s28
	ds_swizzle_b32 v7, v4 offset:swizzle(BROADCAST,32,15)
	ds_swizzle_b32 v6, v5 offset:swizzle(BROADCAST,32,15)
	s_and_saveexec_b32 s28, s4
	s_cbranch_execz .LBB106_109
; %bb.108:                              ;   in Loop: Header=BB106_61 Depth=2
	s_waitcnt lgkmcnt(1)
	v_mul_f32_e32 v7, v4, v7
	s_waitcnt lgkmcnt(0)
	s_delay_alu instid0(VALU_DEP_1)
	v_dual_fmac_f32 v5, v4, v6 :: v_dual_mov_b32 v4, v7
.LBB106_109:                            ;   in Loop: Header=BB106_61 Depth=2
	s_or_b32 exec_lo, exec_lo, s28
	s_and_saveexec_b32 s28, s5
	s_cbranch_execz .LBB106_111
; %bb.110:                              ;   in Loop: Header=BB106_61 Depth=2
	ds_store_b64 v35, v[4:5] offset:2112
.LBB106_111:                            ;   in Loop: Header=BB106_61 Depth=2
	s_or_b32 exec_lo, exec_lo, s28
	s_waitcnt vmcnt(0) lgkmcnt(0)
	s_waitcnt_vscnt null, 0x0
	s_barrier
	buffer_gl0_inv
	s_and_saveexec_b32 s28, s6
	s_cbranch_execz .LBB106_113
; %bb.112:                              ;   in Loop: Header=BB106_61 Depth=2
	ds_load_b64 v[6:7], v36 offset:2112
	s_waitcnt lgkmcnt(0)
	v_mov_b32_dpp v93, v6 row_shr:1 row_mask:0xf bank_mask:0xf
	v_mov_b32_dpp v94, v7 row_shr:1 row_mask:0xf bank_mask:0xf
	s_delay_alu instid0(VALU_DEP_2) | instskip(NEXT) | instid1(VALU_DEP_2)
	v_mul_f32_e32 v93, v6, v93
	v_fma_f32 v94, v6, v94, v7
	s_delay_alu instid0(VALU_DEP_2) | instskip(NEXT) | instid1(VALU_DEP_2)
	v_cndmask_b32_e64 v6, v93, v6, s7
	v_cndmask_b32_e64 v7, v94, v7, s7
	ds_store_b64 v36, v[6:7] offset:2112
.LBB106_113:                            ;   in Loop: Header=BB106_61 Depth=2
	s_or_b32 exec_lo, exec_lo, s28
	s_waitcnt lgkmcnt(0)
	s_barrier
	buffer_gl0_inv
                                        ; implicit-def: $vgpr7
	s_and_saveexec_b32 s28, s9
	s_cbranch_execz .LBB106_115
; %bb.114:                              ;   in Loop: Header=BB106_61 Depth=2
	ds_load_b64 v[6:7], v35 offset:2104
	s_waitcnt lgkmcnt(0)
	v_mul_f32_e32 v93, v4, v6
	s_delay_alu instid0(VALU_DEP_1)
	v_dual_fmac_f32 v5, v4, v7 :: v_dual_mov_b32 v4, v93
.LBB106_115:                            ;   in Loop: Header=BB106_61 Depth=2
	s_or_b32 exec_lo, exec_lo, s28
	ds_bpermute_b32 v93, v37, v4
	ds_bpermute_b32 v94, v37, v5
	s_and_saveexec_b32 s28, s8
	s_cbranch_execz .LBB106_119
; %bb.116:                              ;   in Loop: Header=BB106_61 Depth=2
	ds_load_b64 v[4:5], v13 offset:2120
	s_and_saveexec_b32 s39, s10
	s_cbranch_execz .LBB106_118
; %bb.117:                              ;   in Loop: Header=BB106_61 Depth=2
	ds_store_b64 v13, v[8:9] offset:2120
.LBB106_118:                            ;   in Loop: Header=BB106_61 Depth=2
	s_or_b32 exec_lo, exec_lo, s39
	s_waitcnt lgkmcnt(0)
	v_fmac_f32_e32 v5, v9, v4
	s_delay_alu instid0(VALU_DEP_1)
	v_dual_mul_f32 v8, v8, v4 :: v_dual_mov_b32 v9, v5
.LBB106_119:                            ;   in Loop: Header=BB106_61 Depth=2
	s_or_b32 exec_lo, exec_lo, s28
	s_waitcnt lgkmcnt(0)
	s_barrier
	buffer_gl0_inv
	ds_load_b32 v4, v13 offset:2124
	s_and_saveexec_b32 s28, s10
	s_cbranch_execz .LBB106_60
; %bb.120:                              ;   in Loop: Header=BB106_61 Depth=2
	v_mov_b32_e32 v5, s71
	s_and_not1_b32 vcc_lo, exec_lo, s69
	ds_store_b64 v5, v[8:9]
	s_cbranch_vccnz .LBB106_60
; %bb.121:                              ;   in Loop: Header=BB106_61 Depth=2
	s_mov_b32 s47, s35
	s_delay_alu instid0(SALU_CYCLE_1) | instskip(NEXT) | instid1(SALU_CYCLE_1)
	s_lshl_b64 s[72:73], s[46:47], 2
	s_add_u32 s72, s59, s72
	s_addc_u32 s73, s60, s73
	global_store_b32 v13, v9, s[72:73]
	s_branch .LBB106_60
.LBB106_122:                            ;   in Loop: Header=BB106_12 Depth=1
	v_cvt_f16_f32_e32 v0, v64
	v_cvt_f16_f32_e32 v1, v63
	;; [unrolled: 1-line block ×8, first 2 shown]
	s_waitcnt_vscnt null, 0x0
	v_pack_b32_f16 v3, v3, v4
	v_pack_b32_f16 v2, v2, v5
	;; [unrolled: 1-line block ×4, first 2 shown]
	s_barrier
	buffer_gl0_inv
	s_mov_b32 s31, s35
	ds_store_b128 v27, v[0:3]
	; wave barrier
	ds_load_u16 v8, v20 offset:64
	ds_load_u16 v7, v21 offset:128
	ds_load_u16 v6, v22 offset:192
	ds_load_u16 v5, v23 offset:256
	ds_load_u16 v4, v24 offset:320
	ds_load_u16 v3, v25 offset:384
	ds_load_u16 v2, v26 offset:448
	s_lshl_b64 s[20:21], s[30:31], 1
	s_delay_alu instid0(SALU_CYCLE_1)
	v_add_co_u32 v0, vcc_lo, v38, s20
	v_add_co_ci_u32_e32 v1, vcc_lo, s21, v39, vcc_lo
	s_and_saveexec_b32 s20, s12
	s_cbranch_execnz .LBB106_132
; %bb.123:                              ;   in Loop: Header=BB106_12 Depth=1
	s_or_b32 exec_lo, exec_lo, s20
	s_and_saveexec_b32 s12, s13
	s_cbranch_execnz .LBB106_133
.LBB106_124:                            ;   in Loop: Header=BB106_12 Depth=1
	s_or_b32 exec_lo, exec_lo, s12
	s_and_saveexec_b32 s12, s14
	s_cbranch_execnz .LBB106_134
.LBB106_125:                            ;   in Loop: Header=BB106_12 Depth=1
	s_or_b32 exec_lo, exec_lo, s12
	s_and_saveexec_b32 s12, s15
	s_cbranch_execnz .LBB106_135
.LBB106_126:                            ;   in Loop: Header=BB106_12 Depth=1
	s_or_b32 exec_lo, exec_lo, s12
	s_and_saveexec_b32 s12, s16
	s_cbranch_execnz .LBB106_136
.LBB106_127:                            ;   in Loop: Header=BB106_12 Depth=1
	s_or_b32 exec_lo, exec_lo, s12
	s_and_saveexec_b32 s12, s17
	s_cbranch_execnz .LBB106_137
.LBB106_128:                            ;   in Loop: Header=BB106_12 Depth=1
	s_or_b32 exec_lo, exec_lo, s12
	s_and_saveexec_b32 s12, s18
	s_cbranch_execnz .LBB106_138
.LBB106_129:                            ;   in Loop: Header=BB106_12 Depth=1
	s_or_b32 exec_lo, exec_lo, s12
	s_and_saveexec_b32 s12, s19
	s_cbranch_execz .LBB106_11
	s_branch .LBB106_139
.LBB106_130:                            ;   in Loop: Header=BB106_12 Depth=1
	global_load_u16 v51, v[4:5], off offset:320
	s_or_b32 exec_lo, exec_lo, s20
	s_and_saveexec_b32 s20, s18
	s_cbranch_execz .LBB106_40
.LBB106_131:                            ;   in Loop: Header=BB106_12 Depth=1
	global_load_u16 v50, v[4:5], off offset:384
	s_or_b32 exec_lo, exec_lo, s20
	v_mov_b32_e32 v52, 0
	s_and_saveexec_b32 s20, s19
	s_cbranch_execnz .LBB106_41
	s_branch .LBB106_42
.LBB106_132:                            ;   in Loop: Header=BB106_12 Depth=1
	ds_load_u16 v9, v20
	s_waitcnt lgkmcnt(0)
	global_store_b16 v[0:1], v9, off
	s_or_b32 exec_lo, exec_lo, s20
	s_and_saveexec_b32 s12, s13
	s_cbranch_execz .LBB106_124
.LBB106_133:                            ;   in Loop: Header=BB106_12 Depth=1
	s_waitcnt lgkmcnt(6)
	global_store_b16 v[0:1], v8, off offset:64
	s_or_b32 exec_lo, exec_lo, s12
	s_and_saveexec_b32 s12, s14
	s_cbranch_execz .LBB106_125
.LBB106_134:                            ;   in Loop: Header=BB106_12 Depth=1
	s_waitcnt lgkmcnt(5)
	global_store_b16 v[0:1], v7, off offset:128
	s_or_b32 exec_lo, exec_lo, s12
	s_and_saveexec_b32 s12, s15
	s_cbranch_execz .LBB106_126
.LBB106_135:                            ;   in Loop: Header=BB106_12 Depth=1
	s_waitcnt lgkmcnt(4)
	global_store_b16 v[0:1], v6, off offset:192
	s_or_b32 exec_lo, exec_lo, s12
	s_and_saveexec_b32 s12, s16
	s_cbranch_execz .LBB106_127
.LBB106_136:                            ;   in Loop: Header=BB106_12 Depth=1
	s_waitcnt lgkmcnt(3)
	global_store_b16 v[0:1], v5, off offset:256
	s_or_b32 exec_lo, exec_lo, s12
	s_and_saveexec_b32 s12, s17
	s_cbranch_execz .LBB106_128
.LBB106_137:                            ;   in Loop: Header=BB106_12 Depth=1
	s_waitcnt lgkmcnt(2)
	global_store_b16 v[0:1], v4, off offset:320
	s_or_b32 exec_lo, exec_lo, s12
	s_and_saveexec_b32 s12, s18
	s_cbranch_execz .LBB106_129
.LBB106_138:                            ;   in Loop: Header=BB106_12 Depth=1
	s_waitcnt lgkmcnt(1)
	global_store_b16 v[0:1], v3, off offset:384
	s_or_b32 exec_lo, exec_lo, s12
	s_and_saveexec_b32 s12, s19
	s_cbranch_execz .LBB106_11
.LBB106_139:                            ;   in Loop: Header=BB106_12 Depth=1
	s_waitcnt lgkmcnt(0)
	global_store_b16 v[0:1], v2, off offset:448
	s_branch .LBB106_11
.LBB106_140:
	s_nop 0
	s_sendmsg sendmsg(MSG_DEALLOC_VGPRS)
	s_endpgm
	.section	.rodata,"a",@progbits
	.p2align	6, 0x0
	.amdhsa_kernel _Z25selective_scan_fwd_kernelI32Selective_Scan_fwd_kernel_traitsILi64ELi8ELi1ELb1ELb1ELb1ELb0ELb1EN3c104HalfEffEEv13SSMParamsBase
		.amdhsa_group_segment_fixed_size 0
		.amdhsa_private_segment_fixed_size 0
		.amdhsa_kernarg_size 248
		.amdhsa_user_sgpr_count 14
		.amdhsa_user_sgpr_dispatch_ptr 0
		.amdhsa_user_sgpr_queue_ptr 0
		.amdhsa_user_sgpr_kernarg_segment_ptr 1
		.amdhsa_user_sgpr_dispatch_id 0
		.amdhsa_user_sgpr_private_segment_size 0
		.amdhsa_wavefront_size32 1
		.amdhsa_uses_dynamic_stack 0
		.amdhsa_enable_private_segment 0
		.amdhsa_system_sgpr_workgroup_id_x 1
		.amdhsa_system_sgpr_workgroup_id_y 1
		.amdhsa_system_sgpr_workgroup_id_z 0
		.amdhsa_system_sgpr_workgroup_info 0
		.amdhsa_system_vgpr_workitem_id 0
		.amdhsa_next_free_vgpr 95
		.amdhsa_next_free_sgpr 74
		.amdhsa_reserve_vcc 1
		.amdhsa_float_round_mode_32 0
		.amdhsa_float_round_mode_16_64 0
		.amdhsa_float_denorm_mode_32 3
		.amdhsa_float_denorm_mode_16_64 3
		.amdhsa_dx10_clamp 1
		.amdhsa_ieee_mode 1
		.amdhsa_fp16_overflow 0
		.amdhsa_workgroup_processor_mode 1
		.amdhsa_memory_ordered 1
		.amdhsa_forward_progress 0
		.amdhsa_shared_vgpr_count 0
		.amdhsa_exception_fp_ieee_invalid_op 0
		.amdhsa_exception_fp_denorm_src 0
		.amdhsa_exception_fp_ieee_div_zero 0
		.amdhsa_exception_fp_ieee_overflow 0
		.amdhsa_exception_fp_ieee_underflow 0
		.amdhsa_exception_fp_ieee_inexact 0
		.amdhsa_exception_int_div_zero 0
	.end_amdhsa_kernel
	.section	.text._Z25selective_scan_fwd_kernelI32Selective_Scan_fwd_kernel_traitsILi64ELi8ELi1ELb1ELb1ELb1ELb0ELb1EN3c104HalfEffEEv13SSMParamsBase,"axG",@progbits,_Z25selective_scan_fwd_kernelI32Selective_Scan_fwd_kernel_traitsILi64ELi8ELi1ELb1ELb1ELb1ELb0ELb1EN3c104HalfEffEEv13SSMParamsBase,comdat
.Lfunc_end106:
	.size	_Z25selective_scan_fwd_kernelI32Selective_Scan_fwd_kernel_traitsILi64ELi8ELi1ELb1ELb1ELb1ELb0ELb1EN3c104HalfEffEEv13SSMParamsBase, .Lfunc_end106-_Z25selective_scan_fwd_kernelI32Selective_Scan_fwd_kernel_traitsILi64ELi8ELi1ELb1ELb1ELb1ELb0ELb1EN3c104HalfEffEEv13SSMParamsBase
                                        ; -- End function
	.section	.AMDGPU.csdata,"",@progbits
; Kernel info:
; codeLenInByte = 11768
; NumSgprs: 76
; NumVgprs: 95
; ScratchSize: 0
; MemoryBound: 0
; FloatMode: 240
; IeeeMode: 1
; LDSByteSize: 0 bytes/workgroup (compile time only)
; SGPRBlocks: 9
; VGPRBlocks: 11
; NumSGPRsForWavesPerEU: 76
; NumVGPRsForWavesPerEU: 95
; Occupancy: 16
; WaveLimiterHint : 1
; COMPUTE_PGM_RSRC2:SCRATCH_EN: 0
; COMPUTE_PGM_RSRC2:USER_SGPR: 14
; COMPUTE_PGM_RSRC2:TRAP_HANDLER: 0
; COMPUTE_PGM_RSRC2:TGID_X_EN: 1
; COMPUTE_PGM_RSRC2:TGID_Y_EN: 1
; COMPUTE_PGM_RSRC2:TGID_Z_EN: 0
; COMPUTE_PGM_RSRC2:TIDIG_COMP_CNT: 0
	.section	.text._Z25selective_scan_fwd_kernelI32Selective_Scan_fwd_kernel_traitsILi64ELi8ELi1ELb1ELb1ELb1ELb0ELb0EN3c104HalfEffEEv13SSMParamsBase,"axG",@progbits,_Z25selective_scan_fwd_kernelI32Selective_Scan_fwd_kernel_traitsILi64ELi8ELi1ELb1ELb1ELb1ELb0ELb0EN3c104HalfEffEEv13SSMParamsBase,comdat
	.protected	_Z25selective_scan_fwd_kernelI32Selective_Scan_fwd_kernel_traitsILi64ELi8ELi1ELb1ELb1ELb1ELb0ELb0EN3c104HalfEffEEv13SSMParamsBase ; -- Begin function _Z25selective_scan_fwd_kernelI32Selective_Scan_fwd_kernel_traitsILi64ELi8ELi1ELb1ELb1ELb1ELb0ELb0EN3c104HalfEffEEv13SSMParamsBase
	.globl	_Z25selective_scan_fwd_kernelI32Selective_Scan_fwd_kernel_traitsILi64ELi8ELi1ELb1ELb1ELb1ELb0ELb0EN3c104HalfEffEEv13SSMParamsBase
	.p2align	8
	.type	_Z25selective_scan_fwd_kernelI32Selective_Scan_fwd_kernel_traitsILi64ELi8ELi1ELb1ELb1ELb1ELb0ELb0EN3c104HalfEffEEv13SSMParamsBase,@function
_Z25selective_scan_fwd_kernelI32Selective_Scan_fwd_kernel_traitsILi64ELi8ELi1ELb1ELb1ELb1ELb0ELb0EN3c104HalfEffEEv13SSMParamsBase: ; @_Z25selective_scan_fwd_kernelI32Selective_Scan_fwd_kernel_traitsILi64ELi8ELi1ELb1ELb1ELb1ELb0ELb0EN3c104HalfEffEEv13SSMParamsBase
; %bb.0:
	s_clause 0x1
	s_load_b32 s11, s[0:1], 0x18
	s_load_b128 s[4:7], s[0:1], 0xe8
	s_mov_b32 s8, s15
	s_mov_b32 s33, 0
	s_waitcnt lgkmcnt(0)
	s_abs_i32 s10, s11
	s_cmp_eq_u64 s[6:7], 0
	v_cvt_f32_u32_e32 v1, s10
	s_delay_alu instid0(VALU_DEP_1) | instskip(SKIP_2) | instid1(VALU_DEP_1)
	v_rcp_iflag_f32_e32 v1, v1
	s_waitcnt_depctr 0xfff
	v_mul_f32_e32 v1, 0x4f7ffffe, v1
	v_cvt_u32_f32_e32 v1, v1
	s_delay_alu instid0(VALU_DEP_1)
	v_readfirstlane_b32 s12, v1
	s_cbranch_scc1 .LBB107_2
; %bb.1:
	v_mov_b32_e32 v1, 0
	s_ashr_i32 s3, s14, 31
	s_add_u32 s2, s6, s14
	s_addc_u32 s3, s7, s3
	global_load_u8 v1, v1, s[2:3]
	s_waitcnt vmcnt(0)
	v_and_b32_e32 v1, 1, v1
	s_delay_alu instid0(VALU_DEP_1)
	v_cmp_eq_u32_e64 s33, 1, v1
.LBB107_2:
	s_load_b64 s[6:7], s[0:1], 0x20
	s_cmp_eq_u64 s[4:5], 0
	s_cbranch_scc1 .LBB107_4
; %bb.3:
	s_ashr_i32 s15, s14, 31
	s_delay_alu instid0(SALU_CYCLE_1) | instskip(NEXT) | instid1(SALU_CYCLE_1)
	s_lshl_b64 s[2:3], s[14:15], 2
	s_add_u32 s2, s4, s2
	s_addc_u32 s3, s5, s3
	s_load_b32 s2, s[2:3], 0x0
	s_waitcnt lgkmcnt(0)
	s_ashr_i32 s3, s2, 31
	s_delay_alu instid0(SALU_CYCLE_1)
	s_cmp_eq_u64 s[6:7], s[2:3]
	s_cbranch_scc0 .LBB107_5
	s_branch .LBB107_62
.LBB107_4:
	s_mov_b32 s2, s14
	s_delay_alu instid0(SALU_CYCLE_1)
	s_ashr_i32 s3, s2, 31
	s_waitcnt lgkmcnt(0)
	s_cmp_eq_u64 s[6:7], s[2:3]
	s_cbranch_scc1 .LBB107_62
.LBB107_5:
	s_clause 0x1
	s_load_b512 s[16:31], s[0:1], 0x88
	s_load_b64 s[34:35], s[0:1], 0x8
	s_mov_b32 s48, 0
	s_mov_b32 s49, 0
	s_waitcnt lgkmcnt(0)
	s_cmp_eq_u64 s[22:23], 0
	s_cbranch_scc1 .LBB107_7
; %bb.6:
	s_ashr_i32 s9, s8, 31
	s_delay_alu instid0(SALU_CYCLE_1) | instskip(NEXT) | instid1(SALU_CYCLE_1)
	s_lshl_b64 s[4:5], s[8:9], 2
	s_add_u32 s4, s22, s4
	s_addc_u32 s5, s23, s5
	s_load_b32 s49, s[4:5], 0x0
.LBB107_7:
	s_cmp_eq_u64 s[28:29], 0
	s_cbranch_scc1 .LBB107_9
; %bb.8:
	s_ashr_i32 s9, s8, 31
	s_delay_alu instid0(SALU_CYCLE_1) | instskip(NEXT) | instid1(SALU_CYCLE_1)
	s_lshl_b64 s[4:5], s[8:9], 2
	s_add_u32 s4, s28, s4
	s_addc_u32 s5, s29, s5
	s_load_b32 s48, s[4:5], 0x0
.LBB107_9:
	s_cmp_lt_i32 s34, 1
	s_cbranch_scc1 .LBB107_62
; %bb.10:
	s_sub_i32 s3, 0, s10
	s_clause 0x1
	s_load_b64 s[4:5], s[0:1], 0x5c
	s_load_b128 s[44:47], s[0:1], 0x4c
	s_mul_i32 s3, s3, s12
	s_abs_i32 s6, s8
	s_mul_hi_u32 s3, s12, s3
	s_ashr_i32 s9, s11, 31
	s_add_i32 s12, s12, s3
	s_ashr_i32 s3, s8, 31
	s_mul_hi_u32 s7, s6, s12
	s_xor_b32 s3, s3, s9
	s_mul_i32 s11, s7, s10
	s_add_i32 s9, s7, 1
	s_sub_i32 s6, s6, s11
	s_load_b256 s[36:43], s[0:1], 0x2c
	s_sub_i32 s11, s6, s10
	s_cmp_ge_u32 s6, s10
	s_mov_b32 s23, 0
	s_cselect_b32 s7, s9, s7
	s_cselect_b32 s6, s11, s6
	s_add_i32 s9, s7, 1
	s_cmp_ge_u32 s6, s10
	s_waitcnt lgkmcnt(0)
	s_mul_i32 s22, s46, s14
	s_cselect_b32 s6, s9, s7
	v_lshrrev_b32_e32 v1, 2, v0
	s_xor_b32 s9, s6, s3
	s_lshl_b64 s[6:7], s[22:23], 1
	s_sub_i32 s3, s9, s3
	s_mul_i32 s22, s47, s8
	s_add_u32 s9, s24, s6
	s_addc_u32 s10, s25, s7
	s_lshl_b64 s[6:7], s[22:23], 1
	s_mul_i32 s22, s4, s14
	s_add_u32 s28, s9, s6
	s_addc_u32 s29, s10, s7
	s_lshl_b64 s[6:7], s[22:23], 1
	;; [unrolled: 4-line block ×3, first 2 shown]
	s_load_b128 s[24:27], s[0:1], 0x7c
	s_mul_i32 s22, s36, s8
	s_add_u32 s46, s6, s4
	s_addc_u32 s47, s7, s5
	s_lshl_b64 s[4:5], s[22:23], 2
	s_mul_i32 s22, s38, s14
	s_load_b64 s[6:7], s[0:1], 0xc8
	s_add_u32 s36, s16, s4
	s_waitcnt lgkmcnt(0)
	s_addc_u32 s27, s17, s5
	s_lshl_b64 s[4:5], s[22:23], 1
	s_mul_i32 s22, s3, s41
	s_add_u32 s9, s18, s4
	s_addc_u32 s10, s19, s5
	s_lshl_b64 s[4:5], s[22:23], 1
	s_mul_i32 s22, s42, s14
	s_add_u32 s41, s9, s4
	s_load_b32 s9, s[0:1], 0x28
	s_addc_u32 s50, s10, s5
	s_load_b64 s[10:11], s[0:1], 0x6c
	s_lshl_b64 s[4:5], s[22:23], 1
	s_mul_i32 s22, s3, s45
	s_add_u32 s12, s20, s4
	s_addc_u32 s3, s21, s5
	s_lshl_b64 s[4:5], s[22:23], 1
	s_mul_i32 s22, s2, s24
	s_add_u32 s45, s12, s4
	s_addc_u32 s51, s3, s5
	;; [unrolled: 4-line block ×3, first 2 shown]
	s_lshl_b64 s[0:1], s[22:23], 2
	v_dual_mov_b32 v18, 0 :: v_dual_and_b32 v1, 8, v1
	s_add_u32 s52, s2, s0
	s_addc_u32 s53, s3, s1
	s_add_i32 s0, s34, 0x7ff
	v_or_b32_e32 v2, 31, v0
	s_lshr_b32 s54, s0, 11
	s_waitcnt lgkmcnt(0)
	s_bitcmp1_b32 s9, 0
	s_mul_i32 s22, s10, s14
	s_cselect_b32 s55, -1, 0
	s_cmp_gt_i32 s35, 0
	v_add_nc_u32_e32 v20, 0, v1
	s_cselect_b32 s56, -1, 0
	s_and_b32 s1, s34, 0x1ff
	v_lshlrev_b32_e32 v1, 4, v0
	s_cmp_eq_u32 s1, 0
	v_lshlrev_b32_e32 v19, 3, v0
	s_cselect_b32 s57, -1, 0
	s_lshl_b64 s[6:7], s[22:23], 1
	s_add_i32 s58, s54, -1
	s_mul_i32 s22, s11, s8
	s_add_u32 s9, s30, s6
	s_addc_u32 s8, s31, s7
	s_lshl_b64 s[6:7], s[22:23], 1
	v_cmp_gt_u32_e64 s0, 64, v0
	s_add_u32 s6, s9, s6
	s_addc_u32 s7, s8, s7
	v_add_co_u32 v22, s6, s6, v1
	v_cmp_eq_u32_e64 s1, v2, v0
	v_cmp_gt_u32_e64 s2, 2, v0
	v_add_nc_u32_e32 v21, 0, v19
	v_cmp_gt_u32_e64 s3, 32, v0
	v_cmp_lt_u32_e64 s4, 31, v0
	v_cmp_eq_u32_e64 s5, 0, v0
	v_add_co_ci_u32_e64 v23, null, s7, 0, s6
	v_or_b32_e32 v24, 1, v19
	v_or_b32_e32 v25, 2, v19
	;; [unrolled: 1-line block ×7, first 2 shown]
	v_lshlrev_b32_e32 v31, 4, v0
	v_mbcnt_lo_u32_b32 v32, -1, 0
	s_mov_b32 s59, 0x3e9b6dac
	s_add_i32 s60, 0, 0x850
	s_mov_b32 s61, 0
                                        ; implicit-def: $vgpr40
                                        ; implicit-def: $vgpr7
                                        ; implicit-def: $vgpr39
                                        ; implicit-def: $vgpr37
                                        ; implicit-def: $vgpr35
                                        ; implicit-def: $vgpr0
                                        ; implicit-def: $vgpr33
                                        ; implicit-def: $vgpr34
                                        ; implicit-def: $vgpr36
                                        ; implicit-def: $vgpr38
	s_branch .LBB107_12
.LBB107_11:                             ;   in Loop: Header=BB107_12 Depth=1
	s_add_u32 s46, s46, 0x400
	s_addc_u32 s47, s47, 0
	s_mov_b32 s25, s23
	s_add_u32 s28, s28, 0x400
	v_cvt_f16_f32_e32 v8, v55
	v_cvt_f16_f32_e32 v14, v54
	;; [unrolled: 1-line block ×8, first 2 shown]
	s_addc_u32 s29, s29, 0
	s_lshl_b64 s[6:7], s[24:25], 1
	s_add_u32 s41, s41, 0x400
	v_add_co_u32 v12, vcc_lo, v22, s6
	s_addc_u32 s50, s50, 0
	v_add_co_ci_u32_e32 v13, vcc_lo, s7, v23, vcc_lo
	v_pack_b32_f16 v11, v17, v11
	v_pack_b32_f16 v10, v16, v10
	;; [unrolled: 1-line block ×4, first 2 shown]
	s_add_u32 s45, s45, 0x400
	s_addc_u32 s51, s51, 0
	s_add_i32 s61, s61, 1
	s_waitcnt_vscnt null, 0x0
	s_cmp_eq_u32 s61, s54
	s_barrier
	buffer_gl0_inv
	global_store_b128 v[12:13], v[8:11], off
	s_cbranch_scc1 .LBB107_62
.LBB107_12:                             ; =>This Loop Header: Depth=1
                                        ;     Child Loop BB107_33 Depth 2
	s_waitcnt_vscnt null, 0x0
	s_barrier
	buffer_gl0_inv
	s_and_saveexec_b32 s6, s0
	s_cbranch_execz .LBB107_14
; %bb.13:                               ;   in Loop: Header=BB107_12 Depth=1
	s_clause 0x1
	global_load_b128 v[0:3], v31, s[28:29]
	global_load_b128 v[4:7], v31, s[46:47]
	s_waitcnt vmcnt(1)
	v_lshrrev_b32_e32 v33, 16, v0
	v_lshrrev_b32_e32 v34, 16, v1
	;; [unrolled: 1-line block ×4, first 2 shown]
	s_waitcnt vmcnt(0)
	v_lshrrev_b32_e32 v35, 16, v4
	v_lshrrev_b32_e32 v37, 16, v5
	;; [unrolled: 1-line block ×4, first 2 shown]
.LBB107_14:                             ;   in Loop: Header=BB107_12 Depth=1
	s_or_b32 exec_lo, exec_lo, s6
	v_cvt_f32_f16_e32 v8, v4
	s_delay_alu instid0(VALU_DEP_1) | instskip(NEXT) | instid1(VALU_DEP_1)
	v_add_f32_e32 v41, s48, v8
	v_cmp_ge_f32_e32 vcc_lo, 0x41a00000, v41
	s_and_b32 s6, s55, vcc_lo
	s_delay_alu instid0(SALU_CYCLE_1)
	s_and_saveexec_b32 s7, s6
	s_cbranch_execz .LBB107_16
; %bb.15:                               ;   in Loop: Header=BB107_12 Depth=1
	v_mul_f32_e32 v8, 0x3fb8aa3b, v41
	v_cmp_ngt_f32_e32 vcc_lo, 0xc2ce8ed0, v41
	s_delay_alu instid0(VALU_DEP_2) | instskip(SKIP_1) | instid1(VALU_DEP_2)
	v_rndne_f32_e32 v9, v8
	v_fma_f32 v10, 0x3fb8aa3b, v41, -v8
	v_sub_f32_e32 v8, v8, v9
	s_delay_alu instid0(VALU_DEP_2) | instskip(SKIP_1) | instid1(VALU_DEP_2)
	v_fmac_f32_e32 v10, 0x32a5705f, v41
	v_cvt_i32_f32_e32 v9, v9
	v_add_f32_e32 v8, v8, v10
	s_delay_alu instid0(VALU_DEP_1) | instskip(SKIP_2) | instid1(VALU_DEP_1)
	v_exp_f32_e32 v8, v8
	s_waitcnt_depctr 0xfff
	v_ldexp_f32 v8, v8, v9
	v_cndmask_b32_e32 v8, 0, v8, vcc_lo
	v_cmp_nlt_f32_e32 vcc_lo, 0x42b17218, v41
	s_delay_alu instid0(VALU_DEP_2) | instskip(NEXT) | instid1(VALU_DEP_1)
	v_cndmask_b32_e32 v10, 0x7f800000, v8, vcc_lo
	v_add_f32_e32 v11, 1.0, v10
	s_delay_alu instid0(VALU_DEP_1) | instskip(NEXT) | instid1(VALU_DEP_1)
	v_cvt_f64_f32_e32 v[8:9], v11
	v_frexp_exp_i32_f64_e32 v8, v[8:9]
	v_frexp_mant_f32_e32 v9, v11
	s_delay_alu instid0(VALU_DEP_1) | instskip(SKIP_1) | instid1(VALU_DEP_1)
	v_cmp_gt_f32_e32 vcc_lo, 0x3f2aaaab, v9
	v_add_f32_e32 v9, -1.0, v11
	v_sub_f32_e32 v13, v9, v11
	v_sub_f32_e32 v9, v10, v9
	s_delay_alu instid0(VALU_DEP_2) | instskip(NEXT) | instid1(VALU_DEP_1)
	v_add_f32_e32 v13, 1.0, v13
	v_add_f32_e32 v9, v9, v13
	v_cmp_gt_f32_e64 s6, 0x33800000, v10
	v_subrev_co_ci_u32_e32 v8, vcc_lo, 0, v8, vcc_lo
	v_cmp_eq_f32_e32 vcc_lo, 0x7f800000, v10
	s_delay_alu instid0(VALU_DEP_2) | instskip(SKIP_2) | instid1(VALU_DEP_2)
	v_sub_nc_u32_e32 v12, 0, v8
	v_cvt_f32_i32_e32 v8, v8
	s_or_b32 vcc_lo, s6, vcc_lo
	v_ldexp_f32 v11, v11, v12
	v_ldexp_f32 v9, v9, v12
	s_delay_alu instid0(VALU_DEP_2) | instskip(NEXT) | instid1(VALU_DEP_1)
	v_add_f32_e32 v14, 1.0, v11
	v_dual_add_f32 v12, -1.0, v11 :: v_dual_add_f32 v13, -1.0, v14
	s_delay_alu instid0(VALU_DEP_1) | instskip(NEXT) | instid1(VALU_DEP_2)
	v_add_f32_e32 v15, 1.0, v12
	v_sub_f32_e32 v13, v11, v13
	s_delay_alu instid0(VALU_DEP_2) | instskip(NEXT) | instid1(VALU_DEP_2)
	v_sub_f32_e32 v11, v11, v15
	v_add_f32_e32 v13, v9, v13
	s_delay_alu instid0(VALU_DEP_2) | instskip(NEXT) | instid1(VALU_DEP_2)
	v_add_f32_e32 v9, v9, v11
	v_add_f32_e32 v15, v14, v13
	s_delay_alu instid0(VALU_DEP_2) | instskip(NEXT) | instid1(VALU_DEP_2)
	v_add_f32_e32 v16, v12, v9
	v_rcp_f32_e32 v11, v15
	v_sub_f32_e32 v14, v14, v15
	s_delay_alu instid0(VALU_DEP_1) | instskip(SKIP_2) | instid1(VALU_DEP_1)
	v_dual_sub_f32 v12, v12, v16 :: v_dual_add_f32 v13, v13, v14
	s_waitcnt_depctr 0xfff
	v_mul_f32_e32 v17, v16, v11
	v_mul_f32_e32 v41, v15, v17
	s_delay_alu instid0(VALU_DEP_1) | instskip(NEXT) | instid1(VALU_DEP_1)
	v_fma_f32 v14, v17, v15, -v41
	v_fmac_f32_e32 v14, v17, v13
	s_delay_alu instid0(VALU_DEP_1) | instskip(NEXT) | instid1(VALU_DEP_1)
	v_add_f32_e32 v42, v41, v14
	v_sub_f32_e32 v43, v16, v42
	s_delay_alu instid0(VALU_DEP_1) | instskip(SKIP_1) | instid1(VALU_DEP_2)
	v_dual_sub_f32 v16, v16, v43 :: v_dual_add_f32 v9, v9, v12
	v_sub_f32_e32 v12, v42, v41
	v_sub_f32_e32 v16, v16, v42
	s_delay_alu instid0(VALU_DEP_1) | instskip(NEXT) | instid1(VALU_DEP_1)
	v_dual_sub_f32 v12, v12, v14 :: v_dual_add_f32 v9, v9, v16
	v_add_f32_e32 v9, v12, v9
	s_delay_alu instid0(VALU_DEP_1) | instskip(NEXT) | instid1(VALU_DEP_1)
	v_add_f32_e32 v12, v43, v9
	v_mul_f32_e32 v14, v11, v12
	v_sub_f32_e32 v42, v43, v12
	s_delay_alu instid0(VALU_DEP_2) | instskip(NEXT) | instid1(VALU_DEP_2)
	v_mul_f32_e32 v16, v15, v14
	v_add_f32_e32 v9, v9, v42
	s_delay_alu instid0(VALU_DEP_2) | instskip(NEXT) | instid1(VALU_DEP_1)
	v_fma_f32 v15, v14, v15, -v16
	v_fmac_f32_e32 v15, v14, v13
	s_delay_alu instid0(VALU_DEP_1) | instskip(NEXT) | instid1(VALU_DEP_1)
	v_add_f32_e32 v13, v16, v15
	v_sub_f32_e32 v41, v12, v13
	s_delay_alu instid0(VALU_DEP_1) | instskip(NEXT) | instid1(VALU_DEP_1)
	v_sub_f32_e32 v12, v12, v41
	v_sub_f32_e32 v12, v12, v13
	s_delay_alu instid0(VALU_DEP_1) | instskip(SKIP_2) | instid1(VALU_DEP_1)
	v_add_f32_e32 v9, v9, v12
	v_add_f32_e32 v12, v17, v14
	v_sub_f32_e32 v16, v13, v16
	v_sub_f32_e32 v13, v16, v15
	s_delay_alu instid0(VALU_DEP_1) | instskip(NEXT) | instid1(VALU_DEP_4)
	v_add_f32_e32 v9, v13, v9
	v_sub_f32_e32 v13, v12, v17
	s_delay_alu instid0(VALU_DEP_2) | instskip(NEXT) | instid1(VALU_DEP_2)
	v_add_f32_e32 v9, v41, v9
	v_sub_f32_e32 v13, v14, v13
	s_delay_alu instid0(VALU_DEP_2) | instskip(NEXT) | instid1(VALU_DEP_1)
	v_mul_f32_e32 v9, v11, v9
	v_add_f32_e32 v9, v13, v9
	s_delay_alu instid0(VALU_DEP_1) | instskip(NEXT) | instid1(VALU_DEP_1)
	v_add_f32_e32 v11, v12, v9
	v_mul_f32_e32 v13, v11, v11
	s_delay_alu instid0(VALU_DEP_1) | instskip(SKIP_1) | instid1(VALU_DEP_2)
	v_fmaak_f32 v14, s59, v13, 0x3ecc95a3
	v_mul_f32_e32 v15, v11, v13
	v_fmaak_f32 v13, v13, v14, 0x3f2aaada
	v_ldexp_f32 v14, v11, 1
	s_delay_alu instid0(VALU_DEP_2) | instskip(SKIP_1) | instid1(VALU_DEP_2)
	v_mul_f32_e32 v13, v15, v13
	v_sub_f32_e32 v11, v11, v12
	v_dual_mul_f32 v15, 0x3f317218, v8 :: v_dual_add_f32 v12, v14, v13
	s_delay_alu instid0(VALU_DEP_2) | instskip(NEXT) | instid1(VALU_DEP_2)
	v_sub_f32_e32 v9, v9, v11
	v_sub_f32_e32 v11, v12, v14
	s_delay_alu instid0(VALU_DEP_3) | instskip(NEXT) | instid1(VALU_DEP_3)
	v_fma_f32 v14, 0x3f317218, v8, -v15
	v_ldexp_f32 v9, v9, 1
	s_delay_alu instid0(VALU_DEP_2) | instskip(NEXT) | instid1(VALU_DEP_1)
	v_dual_sub_f32 v11, v13, v11 :: v_dual_fmac_f32 v14, 0xb102e308, v8
	v_dual_add_f32 v8, v9, v11 :: v_dual_add_f32 v9, v15, v14
	s_delay_alu instid0(VALU_DEP_1) | instskip(NEXT) | instid1(VALU_DEP_1)
	v_add_f32_e32 v11, v12, v8
	v_dual_add_f32 v13, v9, v11 :: v_dual_sub_f32 v12, v11, v12
	s_delay_alu instid0(VALU_DEP_1) | instskip(NEXT) | instid1(VALU_DEP_2)
	v_sub_f32_e32 v16, v13, v9
	v_dual_sub_f32 v15, v9, v15 :: v_dual_sub_f32 v8, v8, v12
	s_delay_alu instid0(VALU_DEP_1) | instskip(SKIP_1) | instid1(VALU_DEP_2)
	v_dual_sub_f32 v17, v13, v16 :: v_dual_sub_f32 v14, v14, v15
	v_sub_f32_e32 v11, v11, v16
	v_dual_sub_f32 v9, v9, v17 :: v_dual_add_f32 v12, v14, v8
	s_delay_alu instid0(VALU_DEP_1) | instskip(NEXT) | instid1(VALU_DEP_2)
	v_add_f32_e32 v9, v11, v9
	v_sub_f32_e32 v11, v12, v14
	s_delay_alu instid0(VALU_DEP_2) | instskip(NEXT) | instid1(VALU_DEP_2)
	v_add_f32_e32 v9, v12, v9
	v_sub_f32_e32 v12, v12, v11
	s_delay_alu instid0(VALU_DEP_2) | instskip(NEXT) | instid1(VALU_DEP_1)
	v_dual_sub_f32 v8, v8, v11 :: v_dual_add_f32 v15, v13, v9
	v_dual_sub_f32 v12, v14, v12 :: v_dual_sub_f32 v11, v15, v13
	s_delay_alu instid0(VALU_DEP_1) | instskip(NEXT) | instid1(VALU_DEP_1)
	v_dual_add_f32 v8, v8, v12 :: v_dual_sub_f32 v9, v9, v11
	v_add_f32_e32 v8, v8, v9
	s_delay_alu instid0(VALU_DEP_1) | instskip(NEXT) | instid1(VALU_DEP_1)
	v_add_f32_e32 v8, v15, v8
	v_cndmask_b32_e32 v41, v8, v10, vcc_lo
.LBB107_16:                             ;   in Loop: Header=BB107_12 Depth=1
	s_or_b32 exec_lo, exec_lo, s7
	v_cvt_f32_f16_e32 v8, v35
	s_delay_alu instid0(VALU_DEP_1) | instskip(NEXT) | instid1(VALU_DEP_1)
	v_add_f32_e32 v42, s48, v8
	v_cmp_ge_f32_e32 vcc_lo, 0x41a00000, v42
	s_and_b32 s6, s55, vcc_lo
	s_delay_alu instid0(SALU_CYCLE_1)
	s_and_saveexec_b32 s7, s6
	s_cbranch_execz .LBB107_18
; %bb.17:                               ;   in Loop: Header=BB107_12 Depth=1
	v_mul_f32_e32 v8, 0x3fb8aa3b, v42
	v_cmp_ngt_f32_e32 vcc_lo, 0xc2ce8ed0, v42
	s_delay_alu instid0(VALU_DEP_2) | instskip(SKIP_1) | instid1(VALU_DEP_2)
	v_rndne_f32_e32 v9, v8
	v_fma_f32 v10, 0x3fb8aa3b, v42, -v8
	v_sub_f32_e32 v8, v8, v9
	s_delay_alu instid0(VALU_DEP_2) | instskip(SKIP_1) | instid1(VALU_DEP_2)
	v_fmac_f32_e32 v10, 0x32a5705f, v42
	v_cvt_i32_f32_e32 v9, v9
	v_add_f32_e32 v8, v8, v10
	s_delay_alu instid0(VALU_DEP_1) | instskip(SKIP_2) | instid1(VALU_DEP_1)
	v_exp_f32_e32 v8, v8
	s_waitcnt_depctr 0xfff
	v_ldexp_f32 v8, v8, v9
	v_cndmask_b32_e32 v8, 0, v8, vcc_lo
	v_cmp_nlt_f32_e32 vcc_lo, 0x42b17218, v42
	s_delay_alu instid0(VALU_DEP_2) | instskip(NEXT) | instid1(VALU_DEP_1)
	v_cndmask_b32_e32 v10, 0x7f800000, v8, vcc_lo
	v_add_f32_e32 v11, 1.0, v10
	s_delay_alu instid0(VALU_DEP_1) | instskip(NEXT) | instid1(VALU_DEP_1)
	v_cvt_f64_f32_e32 v[8:9], v11
	v_frexp_exp_i32_f64_e32 v8, v[8:9]
	v_frexp_mant_f32_e32 v9, v11
	s_delay_alu instid0(VALU_DEP_1) | instskip(SKIP_1) | instid1(VALU_DEP_1)
	v_cmp_gt_f32_e32 vcc_lo, 0x3f2aaaab, v9
	v_add_f32_e32 v9, -1.0, v11
	v_sub_f32_e32 v13, v9, v11
	v_sub_f32_e32 v9, v10, v9
	s_delay_alu instid0(VALU_DEP_2) | instskip(NEXT) | instid1(VALU_DEP_1)
	v_add_f32_e32 v13, 1.0, v13
	v_add_f32_e32 v9, v9, v13
	v_cmp_gt_f32_e64 s6, 0x33800000, v10
	v_subrev_co_ci_u32_e32 v8, vcc_lo, 0, v8, vcc_lo
	v_cmp_eq_f32_e32 vcc_lo, 0x7f800000, v10
	s_delay_alu instid0(VALU_DEP_2) | instskip(SKIP_2) | instid1(VALU_DEP_2)
	v_sub_nc_u32_e32 v12, 0, v8
	v_cvt_f32_i32_e32 v8, v8
	s_or_b32 vcc_lo, s6, vcc_lo
	v_ldexp_f32 v11, v11, v12
	v_ldexp_f32 v9, v9, v12
	s_delay_alu instid0(VALU_DEP_2) | instskip(NEXT) | instid1(VALU_DEP_1)
	v_add_f32_e32 v14, 1.0, v11
	v_dual_add_f32 v12, -1.0, v11 :: v_dual_add_f32 v13, -1.0, v14
	s_delay_alu instid0(VALU_DEP_1) | instskip(NEXT) | instid1(VALU_DEP_2)
	v_add_f32_e32 v15, 1.0, v12
	v_sub_f32_e32 v13, v11, v13
	s_delay_alu instid0(VALU_DEP_2) | instskip(NEXT) | instid1(VALU_DEP_2)
	v_sub_f32_e32 v11, v11, v15
	v_add_f32_e32 v13, v9, v13
	s_delay_alu instid0(VALU_DEP_2) | instskip(NEXT) | instid1(VALU_DEP_1)
	v_add_f32_e32 v9, v9, v11
	v_add_f32_e32 v16, v12, v9
	s_delay_alu instid0(VALU_DEP_1) | instskip(NEXT) | instid1(VALU_DEP_1)
	v_dual_add_f32 v15, v14, v13 :: v_dual_sub_f32 v12, v12, v16
	v_rcp_f32_e32 v11, v15
	v_sub_f32_e32 v14, v14, v15
	s_delay_alu instid0(VALU_DEP_1) | instskip(SKIP_2) | instid1(VALU_DEP_1)
	v_add_f32_e32 v13, v13, v14
	s_waitcnt_depctr 0xfff
	v_mul_f32_e32 v17, v16, v11
	v_mul_f32_e32 v42, v15, v17
	s_delay_alu instid0(VALU_DEP_1) | instskip(NEXT) | instid1(VALU_DEP_1)
	v_fma_f32 v14, v17, v15, -v42
	v_fmac_f32_e32 v14, v17, v13
	s_delay_alu instid0(VALU_DEP_1) | instskip(NEXT) | instid1(VALU_DEP_1)
	v_add_f32_e32 v43, v42, v14
	v_sub_f32_e32 v44, v16, v43
	s_delay_alu instid0(VALU_DEP_1) | instskip(SKIP_1) | instid1(VALU_DEP_2)
	v_sub_f32_e32 v16, v16, v44
	v_dual_add_f32 v9, v9, v12 :: v_dual_sub_f32 v12, v43, v42
	v_sub_f32_e32 v16, v16, v43
	s_delay_alu instid0(VALU_DEP_1) | instskip(NEXT) | instid1(VALU_DEP_1)
	v_dual_sub_f32 v12, v12, v14 :: v_dual_add_f32 v9, v9, v16
	v_add_f32_e32 v9, v12, v9
	s_delay_alu instid0(VALU_DEP_1) | instskip(NEXT) | instid1(VALU_DEP_1)
	v_add_f32_e32 v12, v44, v9
	v_mul_f32_e32 v14, v11, v12
	s_delay_alu instid0(VALU_DEP_1) | instskip(NEXT) | instid1(VALU_DEP_1)
	v_dual_sub_f32 v43, v44, v12 :: v_dual_mul_f32 v16, v15, v14
	v_add_f32_e32 v9, v9, v43
	s_delay_alu instid0(VALU_DEP_2) | instskip(NEXT) | instid1(VALU_DEP_1)
	v_fma_f32 v15, v14, v15, -v16
	v_fmac_f32_e32 v15, v14, v13
	s_delay_alu instid0(VALU_DEP_1) | instskip(NEXT) | instid1(VALU_DEP_1)
	v_add_f32_e32 v13, v16, v15
	v_sub_f32_e32 v42, v12, v13
	s_delay_alu instid0(VALU_DEP_1) | instskip(NEXT) | instid1(VALU_DEP_1)
	v_sub_f32_e32 v12, v12, v42
	v_sub_f32_e32 v12, v12, v13
	s_delay_alu instid0(VALU_DEP_1) | instskip(SKIP_2) | instid1(VALU_DEP_1)
	v_add_f32_e32 v9, v9, v12
	v_add_f32_e32 v12, v17, v14
	v_sub_f32_e32 v16, v13, v16
	v_sub_f32_e32 v13, v16, v15
	s_delay_alu instid0(VALU_DEP_1) | instskip(NEXT) | instid1(VALU_DEP_4)
	v_add_f32_e32 v9, v13, v9
	v_sub_f32_e32 v13, v12, v17
	s_delay_alu instid0(VALU_DEP_2) | instskip(NEXT) | instid1(VALU_DEP_2)
	v_add_f32_e32 v9, v42, v9
	v_sub_f32_e32 v13, v14, v13
	s_delay_alu instid0(VALU_DEP_2) | instskip(NEXT) | instid1(VALU_DEP_1)
	v_mul_f32_e32 v9, v11, v9
	v_add_f32_e32 v9, v13, v9
	s_delay_alu instid0(VALU_DEP_1) | instskip(NEXT) | instid1(VALU_DEP_1)
	v_add_f32_e32 v11, v12, v9
	v_mul_f32_e32 v13, v11, v11
	s_delay_alu instid0(VALU_DEP_1) | instskip(SKIP_1) | instid1(VALU_DEP_2)
	v_fmaak_f32 v14, s59, v13, 0x3ecc95a3
	v_mul_f32_e32 v15, v11, v13
	v_fmaak_f32 v13, v13, v14, 0x3f2aaada
	v_ldexp_f32 v14, v11, 1
	s_delay_alu instid0(VALU_DEP_2) | instskip(SKIP_1) | instid1(VALU_DEP_2)
	v_mul_f32_e32 v13, v15, v13
	v_sub_f32_e32 v11, v11, v12
	v_dual_mul_f32 v15, 0x3f317218, v8 :: v_dual_add_f32 v12, v14, v13
	s_delay_alu instid0(VALU_DEP_2) | instskip(NEXT) | instid1(VALU_DEP_2)
	v_sub_f32_e32 v9, v9, v11
	v_sub_f32_e32 v11, v12, v14
	s_delay_alu instid0(VALU_DEP_3) | instskip(NEXT) | instid1(VALU_DEP_3)
	v_fma_f32 v14, 0x3f317218, v8, -v15
	v_ldexp_f32 v9, v9, 1
	s_delay_alu instid0(VALU_DEP_2) | instskip(NEXT) | instid1(VALU_DEP_1)
	v_dual_sub_f32 v11, v13, v11 :: v_dual_fmac_f32 v14, 0xb102e308, v8
	v_dual_add_f32 v8, v9, v11 :: v_dual_add_f32 v9, v15, v14
	s_delay_alu instid0(VALU_DEP_1) | instskip(NEXT) | instid1(VALU_DEP_1)
	v_add_f32_e32 v11, v12, v8
	v_dual_add_f32 v13, v9, v11 :: v_dual_sub_f32 v12, v11, v12
	s_delay_alu instid0(VALU_DEP_1) | instskip(NEXT) | instid1(VALU_DEP_2)
	v_sub_f32_e32 v16, v13, v9
	v_dual_sub_f32 v15, v9, v15 :: v_dual_sub_f32 v8, v8, v12
	s_delay_alu instid0(VALU_DEP_1) | instskip(SKIP_1) | instid1(VALU_DEP_2)
	v_dual_sub_f32 v17, v13, v16 :: v_dual_sub_f32 v14, v14, v15
	v_sub_f32_e32 v11, v11, v16
	v_dual_sub_f32 v9, v9, v17 :: v_dual_add_f32 v12, v14, v8
	s_delay_alu instid0(VALU_DEP_1) | instskip(NEXT) | instid1(VALU_DEP_2)
	v_add_f32_e32 v9, v11, v9
	v_sub_f32_e32 v11, v12, v14
	s_delay_alu instid0(VALU_DEP_2) | instskip(NEXT) | instid1(VALU_DEP_2)
	v_add_f32_e32 v9, v12, v9
	v_sub_f32_e32 v12, v12, v11
	s_delay_alu instid0(VALU_DEP_2) | instskip(NEXT) | instid1(VALU_DEP_1)
	v_dual_sub_f32 v8, v8, v11 :: v_dual_add_f32 v15, v13, v9
	v_dual_sub_f32 v12, v14, v12 :: v_dual_sub_f32 v11, v15, v13
	s_delay_alu instid0(VALU_DEP_1) | instskip(NEXT) | instid1(VALU_DEP_1)
	v_dual_add_f32 v8, v8, v12 :: v_dual_sub_f32 v9, v9, v11
	v_add_f32_e32 v8, v8, v9
	s_delay_alu instid0(VALU_DEP_1) | instskip(NEXT) | instid1(VALU_DEP_1)
	v_add_f32_e32 v8, v15, v8
	v_cndmask_b32_e32 v42, v8, v10, vcc_lo
.LBB107_18:                             ;   in Loop: Header=BB107_12 Depth=1
	s_or_b32 exec_lo, exec_lo, s7
	v_cvt_f32_f16_e32 v8, v5
	s_delay_alu instid0(VALU_DEP_1) | instskip(NEXT) | instid1(VALU_DEP_1)
	v_add_f32_e32 v43, s48, v8
	v_cmp_ge_f32_e32 vcc_lo, 0x41a00000, v43
	s_and_b32 s6, s55, vcc_lo
	s_delay_alu instid0(SALU_CYCLE_1)
	s_and_saveexec_b32 s7, s6
	s_cbranch_execz .LBB107_20
; %bb.19:                               ;   in Loop: Header=BB107_12 Depth=1
	v_mul_f32_e32 v8, 0x3fb8aa3b, v43
	v_cmp_ngt_f32_e32 vcc_lo, 0xc2ce8ed0, v43
	s_delay_alu instid0(VALU_DEP_2) | instskip(SKIP_1) | instid1(VALU_DEP_2)
	v_rndne_f32_e32 v9, v8
	v_fma_f32 v10, 0x3fb8aa3b, v43, -v8
	v_sub_f32_e32 v8, v8, v9
	s_delay_alu instid0(VALU_DEP_2) | instskip(SKIP_1) | instid1(VALU_DEP_2)
	v_fmac_f32_e32 v10, 0x32a5705f, v43
	v_cvt_i32_f32_e32 v9, v9
	v_add_f32_e32 v8, v8, v10
	s_delay_alu instid0(VALU_DEP_1) | instskip(SKIP_2) | instid1(VALU_DEP_1)
	v_exp_f32_e32 v8, v8
	s_waitcnt_depctr 0xfff
	v_ldexp_f32 v8, v8, v9
	v_cndmask_b32_e32 v8, 0, v8, vcc_lo
	v_cmp_nlt_f32_e32 vcc_lo, 0x42b17218, v43
	s_delay_alu instid0(VALU_DEP_2) | instskip(NEXT) | instid1(VALU_DEP_1)
	v_cndmask_b32_e32 v10, 0x7f800000, v8, vcc_lo
	v_add_f32_e32 v11, 1.0, v10
	s_delay_alu instid0(VALU_DEP_1) | instskip(NEXT) | instid1(VALU_DEP_1)
	v_cvt_f64_f32_e32 v[8:9], v11
	v_frexp_exp_i32_f64_e32 v8, v[8:9]
	v_frexp_mant_f32_e32 v9, v11
	s_delay_alu instid0(VALU_DEP_1) | instskip(SKIP_1) | instid1(VALU_DEP_1)
	v_cmp_gt_f32_e32 vcc_lo, 0x3f2aaaab, v9
	v_add_f32_e32 v9, -1.0, v11
	v_sub_f32_e32 v13, v9, v11
	v_sub_f32_e32 v9, v10, v9
	s_delay_alu instid0(VALU_DEP_2) | instskip(NEXT) | instid1(VALU_DEP_1)
	v_add_f32_e32 v13, 1.0, v13
	v_add_f32_e32 v9, v9, v13
	v_cmp_gt_f32_e64 s6, 0x33800000, v10
	v_subrev_co_ci_u32_e32 v8, vcc_lo, 0, v8, vcc_lo
	v_cmp_eq_f32_e32 vcc_lo, 0x7f800000, v10
	s_delay_alu instid0(VALU_DEP_2) | instskip(SKIP_2) | instid1(VALU_DEP_2)
	v_sub_nc_u32_e32 v12, 0, v8
	v_cvt_f32_i32_e32 v8, v8
	s_or_b32 vcc_lo, s6, vcc_lo
	v_ldexp_f32 v11, v11, v12
	v_ldexp_f32 v9, v9, v12
	s_delay_alu instid0(VALU_DEP_2) | instskip(NEXT) | instid1(VALU_DEP_1)
	v_add_f32_e32 v14, 1.0, v11
	v_dual_add_f32 v12, -1.0, v11 :: v_dual_add_f32 v13, -1.0, v14
	s_delay_alu instid0(VALU_DEP_1) | instskip(NEXT) | instid1(VALU_DEP_2)
	v_add_f32_e32 v15, 1.0, v12
	v_sub_f32_e32 v13, v11, v13
	s_delay_alu instid0(VALU_DEP_2) | instskip(NEXT) | instid1(VALU_DEP_2)
	v_sub_f32_e32 v11, v11, v15
	v_add_f32_e32 v13, v9, v13
	s_delay_alu instid0(VALU_DEP_2) | instskip(NEXT) | instid1(VALU_DEP_2)
	v_add_f32_e32 v9, v9, v11
	v_add_f32_e32 v15, v14, v13
	s_delay_alu instid0(VALU_DEP_2) | instskip(NEXT) | instid1(VALU_DEP_2)
	v_add_f32_e32 v16, v12, v9
	v_rcp_f32_e32 v11, v15
	v_sub_f32_e32 v14, v14, v15
	s_delay_alu instid0(VALU_DEP_1) | instskip(SKIP_2) | instid1(VALU_DEP_1)
	v_dual_sub_f32 v12, v12, v16 :: v_dual_add_f32 v13, v13, v14
	s_waitcnt_depctr 0xfff
	v_mul_f32_e32 v17, v16, v11
	v_mul_f32_e32 v43, v15, v17
	s_delay_alu instid0(VALU_DEP_1) | instskip(NEXT) | instid1(VALU_DEP_1)
	v_fma_f32 v14, v17, v15, -v43
	v_fmac_f32_e32 v14, v17, v13
	s_delay_alu instid0(VALU_DEP_1) | instskip(NEXT) | instid1(VALU_DEP_1)
	v_add_f32_e32 v44, v43, v14
	v_sub_f32_e32 v45, v16, v44
	s_delay_alu instid0(VALU_DEP_1) | instskip(NEXT) | instid1(VALU_DEP_1)
	v_sub_f32_e32 v16, v16, v45
	v_sub_f32_e32 v16, v16, v44
	v_dual_add_f32 v9, v9, v12 :: v_dual_sub_f32 v12, v44, v43
	s_delay_alu instid0(VALU_DEP_1) | instskip(NEXT) | instid1(VALU_DEP_1)
	v_dual_add_f32 v9, v9, v16 :: v_dual_sub_f32 v12, v12, v14
	v_add_f32_e32 v9, v12, v9
	s_delay_alu instid0(VALU_DEP_1) | instskip(NEXT) | instid1(VALU_DEP_1)
	v_add_f32_e32 v12, v45, v9
	v_mul_f32_e32 v14, v11, v12
	s_delay_alu instid0(VALU_DEP_1) | instskip(SKIP_1) | instid1(VALU_DEP_2)
	v_mul_f32_e32 v16, v15, v14
	v_sub_f32_e32 v44, v45, v12
	v_fma_f32 v15, v14, v15, -v16
	s_delay_alu instid0(VALU_DEP_2) | instskip(NEXT) | instid1(VALU_DEP_2)
	v_add_f32_e32 v9, v9, v44
	v_fmac_f32_e32 v15, v14, v13
	s_delay_alu instid0(VALU_DEP_1) | instskip(NEXT) | instid1(VALU_DEP_1)
	v_add_f32_e32 v13, v16, v15
	v_sub_f32_e32 v43, v12, v13
	s_delay_alu instid0(VALU_DEP_1) | instskip(NEXT) | instid1(VALU_DEP_1)
	v_sub_f32_e32 v12, v12, v43
	v_sub_f32_e32 v12, v12, v13
	s_delay_alu instid0(VALU_DEP_1) | instskip(SKIP_2) | instid1(VALU_DEP_1)
	v_add_f32_e32 v9, v9, v12
	v_add_f32_e32 v12, v17, v14
	v_sub_f32_e32 v16, v13, v16
	v_sub_f32_e32 v13, v16, v15
	s_delay_alu instid0(VALU_DEP_1) | instskip(NEXT) | instid1(VALU_DEP_4)
	v_add_f32_e32 v9, v13, v9
	v_sub_f32_e32 v13, v12, v17
	s_delay_alu instid0(VALU_DEP_2) | instskip(NEXT) | instid1(VALU_DEP_2)
	v_add_f32_e32 v9, v43, v9
	v_sub_f32_e32 v13, v14, v13
	s_delay_alu instid0(VALU_DEP_2) | instskip(NEXT) | instid1(VALU_DEP_1)
	v_mul_f32_e32 v9, v11, v9
	v_add_f32_e32 v9, v13, v9
	s_delay_alu instid0(VALU_DEP_1) | instskip(NEXT) | instid1(VALU_DEP_1)
	v_add_f32_e32 v11, v12, v9
	v_mul_f32_e32 v13, v11, v11
	s_delay_alu instid0(VALU_DEP_1) | instskip(SKIP_1) | instid1(VALU_DEP_2)
	v_fmaak_f32 v14, s59, v13, 0x3ecc95a3
	v_mul_f32_e32 v15, v11, v13
	v_fmaak_f32 v13, v13, v14, 0x3f2aaada
	v_ldexp_f32 v14, v11, 1
	s_delay_alu instid0(VALU_DEP_2) | instskip(SKIP_1) | instid1(VALU_DEP_2)
	v_mul_f32_e32 v13, v15, v13
	v_sub_f32_e32 v11, v11, v12
	v_dual_mul_f32 v15, 0x3f317218, v8 :: v_dual_add_f32 v12, v14, v13
	s_delay_alu instid0(VALU_DEP_2) | instskip(NEXT) | instid1(VALU_DEP_2)
	v_sub_f32_e32 v9, v9, v11
	v_sub_f32_e32 v11, v12, v14
	s_delay_alu instid0(VALU_DEP_3) | instskip(NEXT) | instid1(VALU_DEP_3)
	v_fma_f32 v14, 0x3f317218, v8, -v15
	v_ldexp_f32 v9, v9, 1
	s_delay_alu instid0(VALU_DEP_2) | instskip(NEXT) | instid1(VALU_DEP_1)
	v_dual_sub_f32 v11, v13, v11 :: v_dual_fmac_f32 v14, 0xb102e308, v8
	v_dual_add_f32 v8, v9, v11 :: v_dual_add_f32 v9, v15, v14
	s_delay_alu instid0(VALU_DEP_1) | instskip(NEXT) | instid1(VALU_DEP_1)
	v_add_f32_e32 v11, v12, v8
	v_dual_add_f32 v13, v9, v11 :: v_dual_sub_f32 v12, v11, v12
	s_delay_alu instid0(VALU_DEP_1) | instskip(NEXT) | instid1(VALU_DEP_2)
	v_sub_f32_e32 v16, v13, v9
	v_dual_sub_f32 v15, v9, v15 :: v_dual_sub_f32 v8, v8, v12
	s_delay_alu instid0(VALU_DEP_1) | instskip(SKIP_1) | instid1(VALU_DEP_2)
	v_dual_sub_f32 v17, v13, v16 :: v_dual_sub_f32 v14, v14, v15
	v_sub_f32_e32 v11, v11, v16
	v_dual_sub_f32 v9, v9, v17 :: v_dual_add_f32 v12, v14, v8
	s_delay_alu instid0(VALU_DEP_1) | instskip(NEXT) | instid1(VALU_DEP_2)
	v_add_f32_e32 v9, v11, v9
	v_sub_f32_e32 v11, v12, v14
	s_delay_alu instid0(VALU_DEP_2) | instskip(NEXT) | instid1(VALU_DEP_2)
	v_add_f32_e32 v9, v12, v9
	v_sub_f32_e32 v12, v12, v11
	s_delay_alu instid0(VALU_DEP_2) | instskip(NEXT) | instid1(VALU_DEP_1)
	v_dual_sub_f32 v8, v8, v11 :: v_dual_add_f32 v15, v13, v9
	v_dual_sub_f32 v12, v14, v12 :: v_dual_sub_f32 v11, v15, v13
	s_delay_alu instid0(VALU_DEP_1) | instskip(NEXT) | instid1(VALU_DEP_1)
	v_dual_add_f32 v8, v8, v12 :: v_dual_sub_f32 v9, v9, v11
	v_add_f32_e32 v8, v8, v9
	s_delay_alu instid0(VALU_DEP_1) | instskip(NEXT) | instid1(VALU_DEP_1)
	v_add_f32_e32 v8, v15, v8
	v_cndmask_b32_e32 v43, v8, v10, vcc_lo
.LBB107_20:                             ;   in Loop: Header=BB107_12 Depth=1
	s_or_b32 exec_lo, exec_lo, s7
	v_cvt_f32_f16_e32 v8, v37
	s_delay_alu instid0(VALU_DEP_1) | instskip(NEXT) | instid1(VALU_DEP_1)
	v_add_f32_e32 v44, s48, v8
	v_cmp_ge_f32_e32 vcc_lo, 0x41a00000, v44
	s_and_b32 s6, s55, vcc_lo
	s_delay_alu instid0(SALU_CYCLE_1)
	s_and_saveexec_b32 s7, s6
	s_cbranch_execz .LBB107_22
; %bb.21:                               ;   in Loop: Header=BB107_12 Depth=1
	v_mul_f32_e32 v8, 0x3fb8aa3b, v44
	v_cmp_ngt_f32_e32 vcc_lo, 0xc2ce8ed0, v44
	s_delay_alu instid0(VALU_DEP_2) | instskip(SKIP_1) | instid1(VALU_DEP_2)
	v_rndne_f32_e32 v9, v8
	v_fma_f32 v10, 0x3fb8aa3b, v44, -v8
	v_sub_f32_e32 v8, v8, v9
	s_delay_alu instid0(VALU_DEP_2) | instskip(SKIP_1) | instid1(VALU_DEP_2)
	v_fmac_f32_e32 v10, 0x32a5705f, v44
	v_cvt_i32_f32_e32 v9, v9
	v_add_f32_e32 v8, v8, v10
	s_delay_alu instid0(VALU_DEP_1) | instskip(SKIP_2) | instid1(VALU_DEP_1)
	v_exp_f32_e32 v8, v8
	s_waitcnt_depctr 0xfff
	v_ldexp_f32 v8, v8, v9
	v_cndmask_b32_e32 v8, 0, v8, vcc_lo
	v_cmp_nlt_f32_e32 vcc_lo, 0x42b17218, v44
	s_delay_alu instid0(VALU_DEP_2) | instskip(NEXT) | instid1(VALU_DEP_1)
	v_cndmask_b32_e32 v10, 0x7f800000, v8, vcc_lo
	v_add_f32_e32 v11, 1.0, v10
	s_delay_alu instid0(VALU_DEP_1) | instskip(NEXT) | instid1(VALU_DEP_1)
	v_cvt_f64_f32_e32 v[8:9], v11
	v_frexp_exp_i32_f64_e32 v8, v[8:9]
	v_frexp_mant_f32_e32 v9, v11
	s_delay_alu instid0(VALU_DEP_1) | instskip(SKIP_1) | instid1(VALU_DEP_1)
	v_cmp_gt_f32_e32 vcc_lo, 0x3f2aaaab, v9
	v_add_f32_e32 v9, -1.0, v11
	v_sub_f32_e32 v13, v9, v11
	v_sub_f32_e32 v9, v10, v9
	s_delay_alu instid0(VALU_DEP_2) | instskip(NEXT) | instid1(VALU_DEP_1)
	v_add_f32_e32 v13, 1.0, v13
	v_add_f32_e32 v9, v9, v13
	v_cmp_gt_f32_e64 s6, 0x33800000, v10
	v_subrev_co_ci_u32_e32 v8, vcc_lo, 0, v8, vcc_lo
	v_cmp_eq_f32_e32 vcc_lo, 0x7f800000, v10
	s_delay_alu instid0(VALU_DEP_2) | instskip(SKIP_2) | instid1(VALU_DEP_2)
	v_sub_nc_u32_e32 v12, 0, v8
	v_cvt_f32_i32_e32 v8, v8
	s_or_b32 vcc_lo, s6, vcc_lo
	v_ldexp_f32 v11, v11, v12
	v_ldexp_f32 v9, v9, v12
	s_delay_alu instid0(VALU_DEP_2) | instskip(NEXT) | instid1(VALU_DEP_1)
	v_add_f32_e32 v14, 1.0, v11
	v_dual_add_f32 v12, -1.0, v11 :: v_dual_add_f32 v13, -1.0, v14
	s_delay_alu instid0(VALU_DEP_1) | instskip(NEXT) | instid1(VALU_DEP_2)
	v_add_f32_e32 v15, 1.0, v12
	v_sub_f32_e32 v13, v11, v13
	s_delay_alu instid0(VALU_DEP_2) | instskip(NEXT) | instid1(VALU_DEP_2)
	v_sub_f32_e32 v11, v11, v15
	v_add_f32_e32 v13, v9, v13
	s_delay_alu instid0(VALU_DEP_2) | instskip(NEXT) | instid1(VALU_DEP_1)
	v_add_f32_e32 v9, v9, v11
	v_add_f32_e32 v16, v12, v9
	s_delay_alu instid0(VALU_DEP_1) | instskip(NEXT) | instid1(VALU_DEP_1)
	v_dual_add_f32 v15, v14, v13 :: v_dual_sub_f32 v12, v12, v16
	v_rcp_f32_e32 v11, v15
	v_sub_f32_e32 v14, v14, v15
	s_delay_alu instid0(VALU_DEP_1) | instskip(SKIP_2) | instid1(VALU_DEP_1)
	v_add_f32_e32 v13, v13, v14
	s_waitcnt_depctr 0xfff
	v_mul_f32_e32 v17, v16, v11
	v_dual_mul_f32 v44, v15, v17 :: v_dual_add_f32 v9, v9, v12
	s_delay_alu instid0(VALU_DEP_1) | instskip(NEXT) | instid1(VALU_DEP_1)
	v_fma_f32 v14, v17, v15, -v44
	v_fmac_f32_e32 v14, v17, v13
	s_delay_alu instid0(VALU_DEP_1) | instskip(NEXT) | instid1(VALU_DEP_1)
	v_add_f32_e32 v45, v44, v14
	v_sub_f32_e32 v46, v16, v45
	v_sub_f32_e32 v12, v45, v44
	s_delay_alu instid0(VALU_DEP_2) | instskip(NEXT) | instid1(VALU_DEP_1)
	v_sub_f32_e32 v16, v16, v46
	v_sub_f32_e32 v16, v16, v45
	s_delay_alu instid0(VALU_DEP_1) | instskip(NEXT) | instid1(VALU_DEP_1)
	v_dual_sub_f32 v12, v12, v14 :: v_dual_add_f32 v9, v9, v16
	v_add_f32_e32 v9, v12, v9
	s_delay_alu instid0(VALU_DEP_1) | instskip(NEXT) | instid1(VALU_DEP_1)
	v_add_f32_e32 v12, v46, v9
	v_mul_f32_e32 v14, v11, v12
	s_delay_alu instid0(VALU_DEP_1) | instskip(NEXT) | instid1(VALU_DEP_1)
	v_dual_sub_f32 v45, v46, v12 :: v_dual_mul_f32 v16, v15, v14
	v_add_f32_e32 v9, v9, v45
	s_delay_alu instid0(VALU_DEP_2) | instskip(NEXT) | instid1(VALU_DEP_1)
	v_fma_f32 v15, v14, v15, -v16
	v_fmac_f32_e32 v15, v14, v13
	s_delay_alu instid0(VALU_DEP_1) | instskip(NEXT) | instid1(VALU_DEP_1)
	v_add_f32_e32 v13, v16, v15
	v_sub_f32_e32 v44, v12, v13
	s_delay_alu instid0(VALU_DEP_1) | instskip(NEXT) | instid1(VALU_DEP_1)
	v_sub_f32_e32 v12, v12, v44
	v_sub_f32_e32 v12, v12, v13
	s_delay_alu instid0(VALU_DEP_1) | instskip(SKIP_2) | instid1(VALU_DEP_1)
	v_add_f32_e32 v9, v9, v12
	v_add_f32_e32 v12, v17, v14
	v_sub_f32_e32 v16, v13, v16
	v_sub_f32_e32 v13, v16, v15
	s_delay_alu instid0(VALU_DEP_1) | instskip(NEXT) | instid1(VALU_DEP_4)
	v_add_f32_e32 v9, v13, v9
	v_sub_f32_e32 v13, v12, v17
	s_delay_alu instid0(VALU_DEP_2) | instskip(NEXT) | instid1(VALU_DEP_2)
	v_add_f32_e32 v9, v44, v9
	v_sub_f32_e32 v13, v14, v13
	s_delay_alu instid0(VALU_DEP_2) | instskip(NEXT) | instid1(VALU_DEP_1)
	v_mul_f32_e32 v9, v11, v9
	v_add_f32_e32 v9, v13, v9
	s_delay_alu instid0(VALU_DEP_1) | instskip(NEXT) | instid1(VALU_DEP_1)
	v_add_f32_e32 v11, v12, v9
	v_mul_f32_e32 v13, v11, v11
	s_delay_alu instid0(VALU_DEP_1) | instskip(SKIP_1) | instid1(VALU_DEP_2)
	v_fmaak_f32 v14, s59, v13, 0x3ecc95a3
	v_mul_f32_e32 v15, v11, v13
	v_fmaak_f32 v13, v13, v14, 0x3f2aaada
	v_ldexp_f32 v14, v11, 1
	v_sub_f32_e32 v11, v11, v12
	s_delay_alu instid0(VALU_DEP_3) | instskip(SKIP_1) | instid1(VALU_DEP_2)
	v_mul_f32_e32 v13, v15, v13
	v_mul_f32_e32 v15, 0x3f317218, v8
	v_dual_sub_f32 v9, v9, v11 :: v_dual_add_f32 v12, v14, v13
	s_delay_alu instid0(VALU_DEP_1) | instskip(NEXT) | instid1(VALU_DEP_2)
	v_ldexp_f32 v9, v9, 1
	v_sub_f32_e32 v11, v12, v14
	s_delay_alu instid0(VALU_DEP_4) | instskip(NEXT) | instid1(VALU_DEP_1)
	v_fma_f32 v14, 0x3f317218, v8, -v15
	v_dual_sub_f32 v11, v13, v11 :: v_dual_fmac_f32 v14, 0xb102e308, v8
	s_delay_alu instid0(VALU_DEP_1) | instskip(NEXT) | instid1(VALU_DEP_1)
	v_dual_add_f32 v8, v9, v11 :: v_dual_add_f32 v9, v15, v14
	v_add_f32_e32 v11, v12, v8
	s_delay_alu instid0(VALU_DEP_2) | instskip(NEXT) | instid1(VALU_DEP_2)
	v_sub_f32_e32 v15, v9, v15
	v_dual_add_f32 v13, v9, v11 :: v_dual_sub_f32 v12, v11, v12
	s_delay_alu instid0(VALU_DEP_2) | instskip(NEXT) | instid1(VALU_DEP_2)
	v_sub_f32_e32 v14, v14, v15
	v_sub_f32_e32 v16, v13, v9
	s_delay_alu instid0(VALU_DEP_3) | instskip(NEXT) | instid1(VALU_DEP_2)
	v_sub_f32_e32 v8, v8, v12
	v_sub_f32_e32 v17, v13, v16
	;; [unrolled: 1-line block ×3, first 2 shown]
	s_delay_alu instid0(VALU_DEP_2) | instskip(NEXT) | instid1(VALU_DEP_1)
	v_dual_add_f32 v12, v14, v8 :: v_dual_sub_f32 v9, v9, v17
	v_add_f32_e32 v9, v11, v9
	s_delay_alu instid0(VALU_DEP_2) | instskip(NEXT) | instid1(VALU_DEP_2)
	v_sub_f32_e32 v11, v12, v14
	v_add_f32_e32 v9, v12, v9
	s_delay_alu instid0(VALU_DEP_2) | instskip(NEXT) | instid1(VALU_DEP_2)
	v_sub_f32_e32 v12, v12, v11
	v_dual_sub_f32 v8, v8, v11 :: v_dual_add_f32 v15, v13, v9
	s_delay_alu instid0(VALU_DEP_1) | instskip(NEXT) | instid1(VALU_DEP_1)
	v_dual_sub_f32 v12, v14, v12 :: v_dual_sub_f32 v11, v15, v13
	v_dual_add_f32 v8, v8, v12 :: v_dual_sub_f32 v9, v9, v11
	s_delay_alu instid0(VALU_DEP_1) | instskip(NEXT) | instid1(VALU_DEP_1)
	v_add_f32_e32 v8, v8, v9
	v_add_f32_e32 v8, v15, v8
	s_delay_alu instid0(VALU_DEP_1)
	v_cndmask_b32_e32 v44, v8, v10, vcc_lo
.LBB107_22:                             ;   in Loop: Header=BB107_12 Depth=1
	s_or_b32 exec_lo, exec_lo, s7
	v_cvt_f32_f16_e32 v8, v6
	s_delay_alu instid0(VALU_DEP_1) | instskip(NEXT) | instid1(VALU_DEP_1)
	v_add_f32_e32 v45, s48, v8
	v_cmp_ge_f32_e32 vcc_lo, 0x41a00000, v45
	s_and_b32 s6, s55, vcc_lo
	s_delay_alu instid0(SALU_CYCLE_1)
	s_and_saveexec_b32 s7, s6
	s_cbranch_execz .LBB107_24
; %bb.23:                               ;   in Loop: Header=BB107_12 Depth=1
	v_mul_f32_e32 v8, 0x3fb8aa3b, v45
	v_cmp_ngt_f32_e32 vcc_lo, 0xc2ce8ed0, v45
	s_delay_alu instid0(VALU_DEP_2) | instskip(SKIP_1) | instid1(VALU_DEP_2)
	v_rndne_f32_e32 v9, v8
	v_fma_f32 v10, 0x3fb8aa3b, v45, -v8
	v_sub_f32_e32 v8, v8, v9
	s_delay_alu instid0(VALU_DEP_2) | instskip(SKIP_1) | instid1(VALU_DEP_2)
	v_fmac_f32_e32 v10, 0x32a5705f, v45
	v_cvt_i32_f32_e32 v9, v9
	v_add_f32_e32 v8, v8, v10
	s_delay_alu instid0(VALU_DEP_1) | instskip(SKIP_2) | instid1(VALU_DEP_1)
	v_exp_f32_e32 v8, v8
	s_waitcnt_depctr 0xfff
	v_ldexp_f32 v8, v8, v9
	v_cndmask_b32_e32 v8, 0, v8, vcc_lo
	v_cmp_nlt_f32_e32 vcc_lo, 0x42b17218, v45
	s_delay_alu instid0(VALU_DEP_2) | instskip(NEXT) | instid1(VALU_DEP_1)
	v_cndmask_b32_e32 v10, 0x7f800000, v8, vcc_lo
	v_add_f32_e32 v11, 1.0, v10
	s_delay_alu instid0(VALU_DEP_1) | instskip(NEXT) | instid1(VALU_DEP_1)
	v_cvt_f64_f32_e32 v[8:9], v11
	v_frexp_exp_i32_f64_e32 v8, v[8:9]
	v_frexp_mant_f32_e32 v9, v11
	s_delay_alu instid0(VALU_DEP_1) | instskip(SKIP_1) | instid1(VALU_DEP_1)
	v_cmp_gt_f32_e32 vcc_lo, 0x3f2aaaab, v9
	v_add_f32_e32 v9, -1.0, v11
	v_sub_f32_e32 v13, v9, v11
	v_sub_f32_e32 v9, v10, v9
	s_delay_alu instid0(VALU_DEP_2) | instskip(NEXT) | instid1(VALU_DEP_1)
	v_add_f32_e32 v13, 1.0, v13
	v_add_f32_e32 v9, v9, v13
	v_cmp_gt_f32_e64 s6, 0x33800000, v10
	v_subrev_co_ci_u32_e32 v8, vcc_lo, 0, v8, vcc_lo
	v_cmp_eq_f32_e32 vcc_lo, 0x7f800000, v10
	s_delay_alu instid0(VALU_DEP_2) | instskip(SKIP_2) | instid1(VALU_DEP_2)
	v_sub_nc_u32_e32 v12, 0, v8
	v_cvt_f32_i32_e32 v8, v8
	s_or_b32 vcc_lo, s6, vcc_lo
	v_ldexp_f32 v11, v11, v12
	v_ldexp_f32 v9, v9, v12
	s_delay_alu instid0(VALU_DEP_2) | instskip(NEXT) | instid1(VALU_DEP_1)
	v_add_f32_e32 v14, 1.0, v11
	v_dual_add_f32 v12, -1.0, v11 :: v_dual_add_f32 v13, -1.0, v14
	s_delay_alu instid0(VALU_DEP_1) | instskip(NEXT) | instid1(VALU_DEP_2)
	v_add_f32_e32 v15, 1.0, v12
	v_sub_f32_e32 v13, v11, v13
	s_delay_alu instid0(VALU_DEP_2) | instskip(NEXT) | instid1(VALU_DEP_2)
	v_sub_f32_e32 v11, v11, v15
	v_add_f32_e32 v13, v9, v13
	s_delay_alu instid0(VALU_DEP_2) | instskip(NEXT) | instid1(VALU_DEP_2)
	v_add_f32_e32 v9, v9, v11
	v_add_f32_e32 v15, v14, v13
	s_delay_alu instid0(VALU_DEP_2) | instskip(NEXT) | instid1(VALU_DEP_2)
	v_add_f32_e32 v16, v12, v9
	v_rcp_f32_e32 v11, v15
	v_sub_f32_e32 v14, v14, v15
	s_delay_alu instid0(VALU_DEP_1) | instskip(SKIP_2) | instid1(VALU_DEP_1)
	v_dual_sub_f32 v12, v12, v16 :: v_dual_add_f32 v13, v13, v14
	s_waitcnt_depctr 0xfff
	v_mul_f32_e32 v17, v16, v11
	v_mul_f32_e32 v45, v15, v17
	s_delay_alu instid0(VALU_DEP_1) | instskip(NEXT) | instid1(VALU_DEP_1)
	v_fma_f32 v14, v17, v15, -v45
	v_fmac_f32_e32 v14, v17, v13
	s_delay_alu instid0(VALU_DEP_1) | instskip(NEXT) | instid1(VALU_DEP_1)
	v_add_f32_e32 v46, v45, v14
	v_sub_f32_e32 v47, v16, v46
	s_delay_alu instid0(VALU_DEP_1) | instskip(SKIP_1) | instid1(VALU_DEP_2)
	v_dual_sub_f32 v16, v16, v47 :: v_dual_add_f32 v9, v9, v12
	v_sub_f32_e32 v12, v46, v45
	v_sub_f32_e32 v16, v16, v46
	s_delay_alu instid0(VALU_DEP_1) | instskip(NEXT) | instid1(VALU_DEP_1)
	v_dual_sub_f32 v12, v12, v14 :: v_dual_add_f32 v9, v9, v16
	v_add_f32_e32 v9, v12, v9
	s_delay_alu instid0(VALU_DEP_1) | instskip(NEXT) | instid1(VALU_DEP_1)
	v_add_f32_e32 v12, v47, v9
	v_mul_f32_e32 v14, v11, v12
	v_sub_f32_e32 v46, v47, v12
	s_delay_alu instid0(VALU_DEP_2) | instskip(NEXT) | instid1(VALU_DEP_2)
	v_mul_f32_e32 v16, v15, v14
	v_add_f32_e32 v9, v9, v46
	s_delay_alu instid0(VALU_DEP_2) | instskip(NEXT) | instid1(VALU_DEP_1)
	v_fma_f32 v15, v14, v15, -v16
	v_fmac_f32_e32 v15, v14, v13
	s_delay_alu instid0(VALU_DEP_1) | instskip(NEXT) | instid1(VALU_DEP_1)
	v_add_f32_e32 v13, v16, v15
	v_sub_f32_e32 v45, v12, v13
	s_delay_alu instid0(VALU_DEP_1) | instskip(NEXT) | instid1(VALU_DEP_1)
	v_sub_f32_e32 v12, v12, v45
	v_sub_f32_e32 v12, v12, v13
	s_delay_alu instid0(VALU_DEP_1) | instskip(SKIP_2) | instid1(VALU_DEP_1)
	v_add_f32_e32 v9, v9, v12
	v_add_f32_e32 v12, v17, v14
	v_sub_f32_e32 v16, v13, v16
	v_sub_f32_e32 v13, v16, v15
	s_delay_alu instid0(VALU_DEP_1) | instskip(NEXT) | instid1(VALU_DEP_4)
	v_add_f32_e32 v9, v13, v9
	v_sub_f32_e32 v13, v12, v17
	s_delay_alu instid0(VALU_DEP_2) | instskip(NEXT) | instid1(VALU_DEP_2)
	v_add_f32_e32 v9, v45, v9
	v_sub_f32_e32 v13, v14, v13
	s_delay_alu instid0(VALU_DEP_2) | instskip(NEXT) | instid1(VALU_DEP_1)
	v_mul_f32_e32 v9, v11, v9
	v_add_f32_e32 v9, v13, v9
	s_delay_alu instid0(VALU_DEP_1) | instskip(NEXT) | instid1(VALU_DEP_1)
	v_add_f32_e32 v11, v12, v9
	v_mul_f32_e32 v13, v11, v11
	s_delay_alu instid0(VALU_DEP_1) | instskip(SKIP_1) | instid1(VALU_DEP_2)
	v_fmaak_f32 v14, s59, v13, 0x3ecc95a3
	v_mul_f32_e32 v15, v11, v13
	v_fmaak_f32 v13, v13, v14, 0x3f2aaada
	v_ldexp_f32 v14, v11, 1
	s_delay_alu instid0(VALU_DEP_2) | instskip(SKIP_1) | instid1(VALU_DEP_2)
	v_mul_f32_e32 v13, v15, v13
	v_sub_f32_e32 v11, v11, v12
	v_dual_mul_f32 v15, 0x3f317218, v8 :: v_dual_add_f32 v12, v14, v13
	s_delay_alu instid0(VALU_DEP_2) | instskip(NEXT) | instid1(VALU_DEP_2)
	v_sub_f32_e32 v9, v9, v11
	v_sub_f32_e32 v11, v12, v14
	s_delay_alu instid0(VALU_DEP_3) | instskip(NEXT) | instid1(VALU_DEP_3)
	v_fma_f32 v14, 0x3f317218, v8, -v15
	v_ldexp_f32 v9, v9, 1
	s_delay_alu instid0(VALU_DEP_2) | instskip(NEXT) | instid1(VALU_DEP_1)
	v_dual_sub_f32 v11, v13, v11 :: v_dual_fmac_f32 v14, 0xb102e308, v8
	v_dual_add_f32 v8, v9, v11 :: v_dual_add_f32 v9, v15, v14
	s_delay_alu instid0(VALU_DEP_1) | instskip(NEXT) | instid1(VALU_DEP_1)
	v_add_f32_e32 v11, v12, v8
	v_dual_add_f32 v13, v9, v11 :: v_dual_sub_f32 v12, v11, v12
	s_delay_alu instid0(VALU_DEP_1) | instskip(NEXT) | instid1(VALU_DEP_2)
	v_sub_f32_e32 v16, v13, v9
	v_dual_sub_f32 v15, v9, v15 :: v_dual_sub_f32 v8, v8, v12
	s_delay_alu instid0(VALU_DEP_1) | instskip(SKIP_1) | instid1(VALU_DEP_2)
	v_dual_sub_f32 v17, v13, v16 :: v_dual_sub_f32 v14, v14, v15
	v_sub_f32_e32 v11, v11, v16
	v_dual_sub_f32 v9, v9, v17 :: v_dual_add_f32 v12, v14, v8
	s_delay_alu instid0(VALU_DEP_1) | instskip(NEXT) | instid1(VALU_DEP_2)
	v_add_f32_e32 v9, v11, v9
	v_sub_f32_e32 v11, v12, v14
	s_delay_alu instid0(VALU_DEP_2) | instskip(NEXT) | instid1(VALU_DEP_2)
	v_add_f32_e32 v9, v12, v9
	v_sub_f32_e32 v12, v12, v11
	s_delay_alu instid0(VALU_DEP_2) | instskip(NEXT) | instid1(VALU_DEP_1)
	v_dual_sub_f32 v8, v8, v11 :: v_dual_add_f32 v15, v13, v9
	v_dual_sub_f32 v12, v14, v12 :: v_dual_sub_f32 v11, v15, v13
	s_delay_alu instid0(VALU_DEP_1) | instskip(NEXT) | instid1(VALU_DEP_1)
	v_dual_add_f32 v8, v8, v12 :: v_dual_sub_f32 v9, v9, v11
	v_add_f32_e32 v8, v8, v9
	s_delay_alu instid0(VALU_DEP_1) | instskip(NEXT) | instid1(VALU_DEP_1)
	v_add_f32_e32 v8, v15, v8
	v_cndmask_b32_e32 v45, v8, v10, vcc_lo
.LBB107_24:                             ;   in Loop: Header=BB107_12 Depth=1
	s_or_b32 exec_lo, exec_lo, s7
	v_cvt_f32_f16_e32 v8, v39
	s_delay_alu instid0(VALU_DEP_1) | instskip(NEXT) | instid1(VALU_DEP_1)
	v_add_f32_e32 v46, s48, v8
	v_cmp_ge_f32_e32 vcc_lo, 0x41a00000, v46
	s_and_b32 s6, s55, vcc_lo
	s_delay_alu instid0(SALU_CYCLE_1)
	s_and_saveexec_b32 s7, s6
	s_cbranch_execz .LBB107_26
; %bb.25:                               ;   in Loop: Header=BB107_12 Depth=1
	v_mul_f32_e32 v8, 0x3fb8aa3b, v46
	v_cmp_ngt_f32_e32 vcc_lo, 0xc2ce8ed0, v46
	s_delay_alu instid0(VALU_DEP_2) | instskip(SKIP_1) | instid1(VALU_DEP_2)
	v_rndne_f32_e32 v9, v8
	v_fma_f32 v10, 0x3fb8aa3b, v46, -v8
	v_sub_f32_e32 v8, v8, v9
	s_delay_alu instid0(VALU_DEP_2) | instskip(SKIP_1) | instid1(VALU_DEP_2)
	v_fmac_f32_e32 v10, 0x32a5705f, v46
	v_cvt_i32_f32_e32 v9, v9
	v_add_f32_e32 v8, v8, v10
	s_delay_alu instid0(VALU_DEP_1) | instskip(SKIP_2) | instid1(VALU_DEP_1)
	v_exp_f32_e32 v8, v8
	s_waitcnt_depctr 0xfff
	v_ldexp_f32 v8, v8, v9
	v_cndmask_b32_e32 v8, 0, v8, vcc_lo
	v_cmp_nlt_f32_e32 vcc_lo, 0x42b17218, v46
	s_delay_alu instid0(VALU_DEP_2) | instskip(NEXT) | instid1(VALU_DEP_1)
	v_cndmask_b32_e32 v10, 0x7f800000, v8, vcc_lo
	v_add_f32_e32 v11, 1.0, v10
	s_delay_alu instid0(VALU_DEP_1) | instskip(NEXT) | instid1(VALU_DEP_1)
	v_cvt_f64_f32_e32 v[8:9], v11
	v_frexp_exp_i32_f64_e32 v8, v[8:9]
	v_frexp_mant_f32_e32 v9, v11
	s_delay_alu instid0(VALU_DEP_1) | instskip(SKIP_1) | instid1(VALU_DEP_1)
	v_cmp_gt_f32_e32 vcc_lo, 0x3f2aaaab, v9
	v_add_f32_e32 v9, -1.0, v11
	v_sub_f32_e32 v13, v9, v11
	v_sub_f32_e32 v9, v10, v9
	s_delay_alu instid0(VALU_DEP_2) | instskip(NEXT) | instid1(VALU_DEP_1)
	v_add_f32_e32 v13, 1.0, v13
	v_add_f32_e32 v9, v9, v13
	v_cmp_gt_f32_e64 s6, 0x33800000, v10
	v_subrev_co_ci_u32_e32 v8, vcc_lo, 0, v8, vcc_lo
	v_cmp_eq_f32_e32 vcc_lo, 0x7f800000, v10
	s_delay_alu instid0(VALU_DEP_2) | instskip(SKIP_2) | instid1(VALU_DEP_2)
	v_sub_nc_u32_e32 v12, 0, v8
	v_cvt_f32_i32_e32 v8, v8
	s_or_b32 vcc_lo, s6, vcc_lo
	v_ldexp_f32 v11, v11, v12
	v_ldexp_f32 v9, v9, v12
	s_delay_alu instid0(VALU_DEP_2) | instskip(NEXT) | instid1(VALU_DEP_1)
	v_add_f32_e32 v14, 1.0, v11
	v_dual_add_f32 v12, -1.0, v11 :: v_dual_add_f32 v13, -1.0, v14
	s_delay_alu instid0(VALU_DEP_1) | instskip(NEXT) | instid1(VALU_DEP_2)
	v_add_f32_e32 v15, 1.0, v12
	v_sub_f32_e32 v13, v11, v13
	s_delay_alu instid0(VALU_DEP_2) | instskip(NEXT) | instid1(VALU_DEP_2)
	v_sub_f32_e32 v11, v11, v15
	v_add_f32_e32 v13, v9, v13
	s_delay_alu instid0(VALU_DEP_2) | instskip(NEXT) | instid1(VALU_DEP_1)
	v_add_f32_e32 v9, v9, v11
	v_add_f32_e32 v16, v12, v9
	s_delay_alu instid0(VALU_DEP_1) | instskip(NEXT) | instid1(VALU_DEP_1)
	v_dual_add_f32 v15, v14, v13 :: v_dual_sub_f32 v12, v12, v16
	v_rcp_f32_e32 v11, v15
	v_sub_f32_e32 v14, v14, v15
	s_delay_alu instid0(VALU_DEP_1) | instskip(SKIP_2) | instid1(VALU_DEP_1)
	v_add_f32_e32 v13, v13, v14
	s_waitcnt_depctr 0xfff
	v_mul_f32_e32 v17, v16, v11
	v_mul_f32_e32 v46, v15, v17
	s_delay_alu instid0(VALU_DEP_1) | instskip(NEXT) | instid1(VALU_DEP_1)
	v_fma_f32 v14, v17, v15, -v46
	v_fmac_f32_e32 v14, v17, v13
	s_delay_alu instid0(VALU_DEP_1) | instskip(NEXT) | instid1(VALU_DEP_1)
	v_add_f32_e32 v47, v46, v14
	v_sub_f32_e32 v48, v16, v47
	s_delay_alu instid0(VALU_DEP_1) | instskip(SKIP_1) | instid1(VALU_DEP_2)
	v_sub_f32_e32 v16, v16, v48
	v_dual_add_f32 v9, v9, v12 :: v_dual_sub_f32 v12, v47, v46
	v_sub_f32_e32 v16, v16, v47
	s_delay_alu instid0(VALU_DEP_1) | instskip(NEXT) | instid1(VALU_DEP_1)
	v_dual_sub_f32 v12, v12, v14 :: v_dual_add_f32 v9, v9, v16
	v_add_f32_e32 v9, v12, v9
	s_delay_alu instid0(VALU_DEP_1) | instskip(NEXT) | instid1(VALU_DEP_1)
	v_add_f32_e32 v12, v48, v9
	v_mul_f32_e32 v14, v11, v12
	s_delay_alu instid0(VALU_DEP_1) | instskip(NEXT) | instid1(VALU_DEP_1)
	v_dual_sub_f32 v47, v48, v12 :: v_dual_mul_f32 v16, v15, v14
	v_add_f32_e32 v9, v9, v47
	s_delay_alu instid0(VALU_DEP_2) | instskip(NEXT) | instid1(VALU_DEP_1)
	v_fma_f32 v15, v14, v15, -v16
	v_fmac_f32_e32 v15, v14, v13
	s_delay_alu instid0(VALU_DEP_1) | instskip(NEXT) | instid1(VALU_DEP_1)
	v_add_f32_e32 v13, v16, v15
	v_sub_f32_e32 v46, v12, v13
	s_delay_alu instid0(VALU_DEP_1) | instskip(NEXT) | instid1(VALU_DEP_1)
	v_sub_f32_e32 v12, v12, v46
	v_sub_f32_e32 v12, v12, v13
	s_delay_alu instid0(VALU_DEP_1) | instskip(SKIP_2) | instid1(VALU_DEP_1)
	v_add_f32_e32 v9, v9, v12
	v_add_f32_e32 v12, v17, v14
	v_sub_f32_e32 v16, v13, v16
	v_sub_f32_e32 v13, v16, v15
	s_delay_alu instid0(VALU_DEP_1) | instskip(NEXT) | instid1(VALU_DEP_4)
	v_add_f32_e32 v9, v13, v9
	v_sub_f32_e32 v13, v12, v17
	s_delay_alu instid0(VALU_DEP_2) | instskip(NEXT) | instid1(VALU_DEP_2)
	v_add_f32_e32 v9, v46, v9
	v_sub_f32_e32 v13, v14, v13
	s_delay_alu instid0(VALU_DEP_2) | instskip(NEXT) | instid1(VALU_DEP_1)
	v_mul_f32_e32 v9, v11, v9
	v_add_f32_e32 v9, v13, v9
	s_delay_alu instid0(VALU_DEP_1) | instskip(NEXT) | instid1(VALU_DEP_1)
	v_add_f32_e32 v11, v12, v9
	v_mul_f32_e32 v13, v11, v11
	s_delay_alu instid0(VALU_DEP_1) | instskip(SKIP_1) | instid1(VALU_DEP_2)
	v_fmaak_f32 v14, s59, v13, 0x3ecc95a3
	v_mul_f32_e32 v15, v11, v13
	v_fmaak_f32 v13, v13, v14, 0x3f2aaada
	v_ldexp_f32 v14, v11, 1
	s_delay_alu instid0(VALU_DEP_2) | instskip(SKIP_1) | instid1(VALU_DEP_2)
	v_mul_f32_e32 v13, v15, v13
	v_sub_f32_e32 v11, v11, v12
	v_dual_mul_f32 v15, 0x3f317218, v8 :: v_dual_add_f32 v12, v14, v13
	s_delay_alu instid0(VALU_DEP_2) | instskip(NEXT) | instid1(VALU_DEP_2)
	v_sub_f32_e32 v9, v9, v11
	v_sub_f32_e32 v11, v12, v14
	s_delay_alu instid0(VALU_DEP_3) | instskip(NEXT) | instid1(VALU_DEP_3)
	v_fma_f32 v14, 0x3f317218, v8, -v15
	v_ldexp_f32 v9, v9, 1
	s_delay_alu instid0(VALU_DEP_2) | instskip(NEXT) | instid1(VALU_DEP_1)
	v_dual_sub_f32 v11, v13, v11 :: v_dual_fmac_f32 v14, 0xb102e308, v8
	v_dual_add_f32 v8, v9, v11 :: v_dual_add_f32 v9, v15, v14
	s_delay_alu instid0(VALU_DEP_1) | instskip(NEXT) | instid1(VALU_DEP_1)
	v_add_f32_e32 v11, v12, v8
	v_dual_add_f32 v13, v9, v11 :: v_dual_sub_f32 v12, v11, v12
	s_delay_alu instid0(VALU_DEP_1) | instskip(NEXT) | instid1(VALU_DEP_2)
	v_sub_f32_e32 v16, v13, v9
	v_dual_sub_f32 v15, v9, v15 :: v_dual_sub_f32 v8, v8, v12
	s_delay_alu instid0(VALU_DEP_1) | instskip(SKIP_1) | instid1(VALU_DEP_2)
	v_dual_sub_f32 v17, v13, v16 :: v_dual_sub_f32 v14, v14, v15
	v_sub_f32_e32 v11, v11, v16
	v_dual_sub_f32 v9, v9, v17 :: v_dual_add_f32 v12, v14, v8
	s_delay_alu instid0(VALU_DEP_1) | instskip(NEXT) | instid1(VALU_DEP_2)
	v_add_f32_e32 v9, v11, v9
	v_sub_f32_e32 v11, v12, v14
	s_delay_alu instid0(VALU_DEP_2) | instskip(NEXT) | instid1(VALU_DEP_2)
	v_add_f32_e32 v9, v12, v9
	v_sub_f32_e32 v12, v12, v11
	s_delay_alu instid0(VALU_DEP_2) | instskip(NEXT) | instid1(VALU_DEP_1)
	v_dual_sub_f32 v8, v8, v11 :: v_dual_add_f32 v15, v13, v9
	v_dual_sub_f32 v12, v14, v12 :: v_dual_sub_f32 v11, v15, v13
	s_delay_alu instid0(VALU_DEP_1) | instskip(NEXT) | instid1(VALU_DEP_1)
	v_dual_add_f32 v8, v8, v12 :: v_dual_sub_f32 v9, v9, v11
	v_add_f32_e32 v8, v8, v9
	s_delay_alu instid0(VALU_DEP_1) | instskip(NEXT) | instid1(VALU_DEP_1)
	v_add_f32_e32 v8, v15, v8
	v_cndmask_b32_e32 v46, v8, v10, vcc_lo
.LBB107_26:                             ;   in Loop: Header=BB107_12 Depth=1
	s_or_b32 exec_lo, exec_lo, s7
	v_cvt_f32_f16_e32 v8, v7
	s_delay_alu instid0(VALU_DEP_1) | instskip(NEXT) | instid1(VALU_DEP_1)
	v_add_f32_e32 v47, s48, v8
	v_cmp_ge_f32_e32 vcc_lo, 0x41a00000, v47
	s_and_b32 s6, s55, vcc_lo
	s_delay_alu instid0(SALU_CYCLE_1)
	s_and_saveexec_b32 s7, s6
	s_cbranch_execz .LBB107_28
; %bb.27:                               ;   in Loop: Header=BB107_12 Depth=1
	v_mul_f32_e32 v8, 0x3fb8aa3b, v47
	v_cmp_ngt_f32_e32 vcc_lo, 0xc2ce8ed0, v47
	s_delay_alu instid0(VALU_DEP_2) | instskip(SKIP_1) | instid1(VALU_DEP_2)
	v_rndne_f32_e32 v9, v8
	v_fma_f32 v10, 0x3fb8aa3b, v47, -v8
	v_sub_f32_e32 v8, v8, v9
	s_delay_alu instid0(VALU_DEP_2) | instskip(SKIP_1) | instid1(VALU_DEP_2)
	v_fmac_f32_e32 v10, 0x32a5705f, v47
	v_cvt_i32_f32_e32 v9, v9
	v_add_f32_e32 v8, v8, v10
	s_delay_alu instid0(VALU_DEP_1) | instskip(SKIP_2) | instid1(VALU_DEP_1)
	v_exp_f32_e32 v8, v8
	s_waitcnt_depctr 0xfff
	v_ldexp_f32 v8, v8, v9
	v_cndmask_b32_e32 v8, 0, v8, vcc_lo
	v_cmp_nlt_f32_e32 vcc_lo, 0x42b17218, v47
	s_delay_alu instid0(VALU_DEP_2) | instskip(NEXT) | instid1(VALU_DEP_1)
	v_cndmask_b32_e32 v10, 0x7f800000, v8, vcc_lo
	v_add_f32_e32 v11, 1.0, v10
	s_delay_alu instid0(VALU_DEP_1) | instskip(NEXT) | instid1(VALU_DEP_1)
	v_cvt_f64_f32_e32 v[8:9], v11
	v_frexp_exp_i32_f64_e32 v8, v[8:9]
	v_frexp_mant_f32_e32 v9, v11
	s_delay_alu instid0(VALU_DEP_1) | instskip(SKIP_1) | instid1(VALU_DEP_1)
	v_cmp_gt_f32_e32 vcc_lo, 0x3f2aaaab, v9
	v_add_f32_e32 v9, -1.0, v11
	v_sub_f32_e32 v13, v9, v11
	v_sub_f32_e32 v9, v10, v9
	s_delay_alu instid0(VALU_DEP_2) | instskip(NEXT) | instid1(VALU_DEP_1)
	v_add_f32_e32 v13, 1.0, v13
	v_add_f32_e32 v9, v9, v13
	v_cmp_gt_f32_e64 s6, 0x33800000, v10
	v_subrev_co_ci_u32_e32 v8, vcc_lo, 0, v8, vcc_lo
	v_cmp_eq_f32_e32 vcc_lo, 0x7f800000, v10
	s_delay_alu instid0(VALU_DEP_2) | instskip(SKIP_2) | instid1(VALU_DEP_2)
	v_sub_nc_u32_e32 v12, 0, v8
	v_cvt_f32_i32_e32 v8, v8
	s_or_b32 vcc_lo, s6, vcc_lo
	v_ldexp_f32 v11, v11, v12
	v_ldexp_f32 v9, v9, v12
	s_delay_alu instid0(VALU_DEP_2) | instskip(NEXT) | instid1(VALU_DEP_1)
	v_add_f32_e32 v14, 1.0, v11
	v_dual_add_f32 v12, -1.0, v11 :: v_dual_add_f32 v13, -1.0, v14
	s_delay_alu instid0(VALU_DEP_1) | instskip(NEXT) | instid1(VALU_DEP_2)
	v_add_f32_e32 v15, 1.0, v12
	v_sub_f32_e32 v13, v11, v13
	s_delay_alu instid0(VALU_DEP_2) | instskip(NEXT) | instid1(VALU_DEP_2)
	v_sub_f32_e32 v11, v11, v15
	v_add_f32_e32 v13, v9, v13
	s_delay_alu instid0(VALU_DEP_2) | instskip(NEXT) | instid1(VALU_DEP_2)
	v_add_f32_e32 v9, v9, v11
	v_add_f32_e32 v15, v14, v13
	s_delay_alu instid0(VALU_DEP_2) | instskip(NEXT) | instid1(VALU_DEP_2)
	v_add_f32_e32 v16, v12, v9
	v_rcp_f32_e32 v11, v15
	v_sub_f32_e32 v14, v14, v15
	s_delay_alu instid0(VALU_DEP_1) | instskip(SKIP_2) | instid1(VALU_DEP_1)
	v_dual_sub_f32 v12, v12, v16 :: v_dual_add_f32 v13, v13, v14
	s_waitcnt_depctr 0xfff
	v_mul_f32_e32 v17, v16, v11
	v_mul_f32_e32 v47, v15, v17
	s_delay_alu instid0(VALU_DEP_1) | instskip(NEXT) | instid1(VALU_DEP_1)
	v_fma_f32 v14, v17, v15, -v47
	v_fmac_f32_e32 v14, v17, v13
	s_delay_alu instid0(VALU_DEP_1) | instskip(NEXT) | instid1(VALU_DEP_1)
	v_add_f32_e32 v48, v47, v14
	v_sub_f32_e32 v49, v16, v48
	s_delay_alu instid0(VALU_DEP_1) | instskip(NEXT) | instid1(VALU_DEP_1)
	v_sub_f32_e32 v16, v16, v49
	v_sub_f32_e32 v16, v16, v48
	v_dual_add_f32 v9, v9, v12 :: v_dual_sub_f32 v12, v48, v47
	s_delay_alu instid0(VALU_DEP_1) | instskip(NEXT) | instid1(VALU_DEP_1)
	v_dual_add_f32 v9, v9, v16 :: v_dual_sub_f32 v12, v12, v14
	v_add_f32_e32 v9, v12, v9
	s_delay_alu instid0(VALU_DEP_1) | instskip(NEXT) | instid1(VALU_DEP_1)
	v_add_f32_e32 v12, v49, v9
	v_mul_f32_e32 v14, v11, v12
	s_delay_alu instid0(VALU_DEP_1) | instskip(SKIP_1) | instid1(VALU_DEP_2)
	v_mul_f32_e32 v16, v15, v14
	v_sub_f32_e32 v48, v49, v12
	v_fma_f32 v15, v14, v15, -v16
	s_delay_alu instid0(VALU_DEP_2) | instskip(NEXT) | instid1(VALU_DEP_2)
	v_add_f32_e32 v9, v9, v48
	v_fmac_f32_e32 v15, v14, v13
	s_delay_alu instid0(VALU_DEP_1) | instskip(NEXT) | instid1(VALU_DEP_1)
	v_add_f32_e32 v13, v16, v15
	v_sub_f32_e32 v47, v12, v13
	s_delay_alu instid0(VALU_DEP_1) | instskip(NEXT) | instid1(VALU_DEP_1)
	v_sub_f32_e32 v12, v12, v47
	v_sub_f32_e32 v12, v12, v13
	s_delay_alu instid0(VALU_DEP_1) | instskip(SKIP_2) | instid1(VALU_DEP_1)
	v_add_f32_e32 v9, v9, v12
	v_add_f32_e32 v12, v17, v14
	v_sub_f32_e32 v16, v13, v16
	v_sub_f32_e32 v13, v16, v15
	s_delay_alu instid0(VALU_DEP_1) | instskip(NEXT) | instid1(VALU_DEP_4)
	v_add_f32_e32 v9, v13, v9
	v_sub_f32_e32 v13, v12, v17
	s_delay_alu instid0(VALU_DEP_2) | instskip(NEXT) | instid1(VALU_DEP_2)
	v_add_f32_e32 v9, v47, v9
	v_sub_f32_e32 v13, v14, v13
	s_delay_alu instid0(VALU_DEP_2) | instskip(NEXT) | instid1(VALU_DEP_1)
	v_mul_f32_e32 v9, v11, v9
	v_add_f32_e32 v9, v13, v9
	s_delay_alu instid0(VALU_DEP_1) | instskip(NEXT) | instid1(VALU_DEP_1)
	v_add_f32_e32 v11, v12, v9
	v_mul_f32_e32 v13, v11, v11
	s_delay_alu instid0(VALU_DEP_1) | instskip(SKIP_1) | instid1(VALU_DEP_2)
	v_fmaak_f32 v14, s59, v13, 0x3ecc95a3
	v_mul_f32_e32 v15, v11, v13
	v_fmaak_f32 v13, v13, v14, 0x3f2aaada
	v_ldexp_f32 v14, v11, 1
	s_delay_alu instid0(VALU_DEP_2) | instskip(SKIP_1) | instid1(VALU_DEP_2)
	v_mul_f32_e32 v13, v15, v13
	v_sub_f32_e32 v11, v11, v12
	v_dual_mul_f32 v15, 0x3f317218, v8 :: v_dual_add_f32 v12, v14, v13
	s_delay_alu instid0(VALU_DEP_2) | instskip(NEXT) | instid1(VALU_DEP_2)
	v_sub_f32_e32 v9, v9, v11
	v_sub_f32_e32 v11, v12, v14
	s_delay_alu instid0(VALU_DEP_3) | instskip(NEXT) | instid1(VALU_DEP_3)
	v_fma_f32 v14, 0x3f317218, v8, -v15
	v_ldexp_f32 v9, v9, 1
	s_delay_alu instid0(VALU_DEP_2) | instskip(NEXT) | instid1(VALU_DEP_1)
	v_dual_sub_f32 v11, v13, v11 :: v_dual_fmac_f32 v14, 0xb102e308, v8
	v_dual_add_f32 v8, v9, v11 :: v_dual_add_f32 v9, v15, v14
	s_delay_alu instid0(VALU_DEP_1) | instskip(NEXT) | instid1(VALU_DEP_1)
	v_add_f32_e32 v11, v12, v8
	v_dual_add_f32 v13, v9, v11 :: v_dual_sub_f32 v12, v11, v12
	s_delay_alu instid0(VALU_DEP_1) | instskip(NEXT) | instid1(VALU_DEP_2)
	v_sub_f32_e32 v16, v13, v9
	v_dual_sub_f32 v15, v9, v15 :: v_dual_sub_f32 v8, v8, v12
	s_delay_alu instid0(VALU_DEP_1) | instskip(SKIP_1) | instid1(VALU_DEP_2)
	v_dual_sub_f32 v17, v13, v16 :: v_dual_sub_f32 v14, v14, v15
	v_sub_f32_e32 v11, v11, v16
	v_dual_sub_f32 v9, v9, v17 :: v_dual_add_f32 v12, v14, v8
	s_delay_alu instid0(VALU_DEP_1) | instskip(NEXT) | instid1(VALU_DEP_2)
	v_add_f32_e32 v9, v11, v9
	v_sub_f32_e32 v11, v12, v14
	s_delay_alu instid0(VALU_DEP_2) | instskip(NEXT) | instid1(VALU_DEP_2)
	v_add_f32_e32 v9, v12, v9
	v_sub_f32_e32 v12, v12, v11
	s_delay_alu instid0(VALU_DEP_2) | instskip(NEXT) | instid1(VALU_DEP_1)
	v_dual_sub_f32 v8, v8, v11 :: v_dual_add_f32 v15, v13, v9
	v_dual_sub_f32 v12, v14, v12 :: v_dual_sub_f32 v11, v15, v13
	s_delay_alu instid0(VALU_DEP_1) | instskip(NEXT) | instid1(VALU_DEP_1)
	v_dual_add_f32 v8, v8, v12 :: v_dual_sub_f32 v9, v9, v11
	v_add_f32_e32 v8, v8, v9
	s_delay_alu instid0(VALU_DEP_1) | instskip(NEXT) | instid1(VALU_DEP_1)
	v_add_f32_e32 v8, v15, v8
	v_cndmask_b32_e32 v47, v8, v10, vcc_lo
.LBB107_28:                             ;   in Loop: Header=BB107_12 Depth=1
	s_or_b32 exec_lo, exec_lo, s7
	v_cvt_f32_f16_e32 v8, v40
	s_delay_alu instid0(VALU_DEP_1) | instskip(NEXT) | instid1(VALU_DEP_1)
	v_add_f32_e32 v56, s48, v8
	v_cmp_ge_f32_e32 vcc_lo, 0x41a00000, v56
	s_and_b32 s6, s55, vcc_lo
	s_delay_alu instid0(SALU_CYCLE_1)
	s_and_saveexec_b32 s7, s6
	s_cbranch_execz .LBB107_30
; %bb.29:                               ;   in Loop: Header=BB107_12 Depth=1
	v_mul_f32_e32 v8, 0x3fb8aa3b, v56
	v_cmp_ngt_f32_e32 vcc_lo, 0xc2ce8ed0, v56
	s_delay_alu instid0(VALU_DEP_2) | instskip(SKIP_1) | instid1(VALU_DEP_2)
	v_rndne_f32_e32 v9, v8
	v_fma_f32 v10, 0x3fb8aa3b, v56, -v8
	v_sub_f32_e32 v8, v8, v9
	s_delay_alu instid0(VALU_DEP_2) | instskip(SKIP_1) | instid1(VALU_DEP_2)
	v_fmac_f32_e32 v10, 0x32a5705f, v56
	v_cvt_i32_f32_e32 v9, v9
	v_add_f32_e32 v8, v8, v10
	s_delay_alu instid0(VALU_DEP_1) | instskip(SKIP_2) | instid1(VALU_DEP_1)
	v_exp_f32_e32 v8, v8
	s_waitcnt_depctr 0xfff
	v_ldexp_f32 v8, v8, v9
	v_cndmask_b32_e32 v8, 0, v8, vcc_lo
	v_cmp_nlt_f32_e32 vcc_lo, 0x42b17218, v56
	s_delay_alu instid0(VALU_DEP_2) | instskip(NEXT) | instid1(VALU_DEP_1)
	v_cndmask_b32_e32 v10, 0x7f800000, v8, vcc_lo
	v_add_f32_e32 v11, 1.0, v10
	s_delay_alu instid0(VALU_DEP_1) | instskip(NEXT) | instid1(VALU_DEP_1)
	v_cvt_f64_f32_e32 v[8:9], v11
	v_frexp_exp_i32_f64_e32 v8, v[8:9]
	v_frexp_mant_f32_e32 v9, v11
	s_delay_alu instid0(VALU_DEP_1) | instskip(SKIP_1) | instid1(VALU_DEP_1)
	v_cmp_gt_f32_e32 vcc_lo, 0x3f2aaaab, v9
	v_add_f32_e32 v9, -1.0, v11
	v_sub_f32_e32 v13, v9, v11
	v_sub_f32_e32 v9, v10, v9
	s_delay_alu instid0(VALU_DEP_2) | instskip(NEXT) | instid1(VALU_DEP_1)
	v_add_f32_e32 v13, 1.0, v13
	v_add_f32_e32 v9, v9, v13
	v_cmp_gt_f32_e64 s6, 0x33800000, v10
	v_subrev_co_ci_u32_e32 v8, vcc_lo, 0, v8, vcc_lo
	v_cmp_eq_f32_e32 vcc_lo, 0x7f800000, v10
	s_delay_alu instid0(VALU_DEP_2) | instskip(SKIP_2) | instid1(VALU_DEP_2)
	v_sub_nc_u32_e32 v12, 0, v8
	v_cvt_f32_i32_e32 v8, v8
	s_or_b32 vcc_lo, s6, vcc_lo
	v_ldexp_f32 v11, v11, v12
	v_ldexp_f32 v9, v9, v12
	s_delay_alu instid0(VALU_DEP_2) | instskip(NEXT) | instid1(VALU_DEP_1)
	v_add_f32_e32 v14, 1.0, v11
	v_dual_add_f32 v12, -1.0, v11 :: v_dual_add_f32 v13, -1.0, v14
	s_delay_alu instid0(VALU_DEP_1) | instskip(NEXT) | instid1(VALU_DEP_2)
	v_add_f32_e32 v15, 1.0, v12
	v_sub_f32_e32 v13, v11, v13
	s_delay_alu instid0(VALU_DEP_2) | instskip(NEXT) | instid1(VALU_DEP_2)
	v_sub_f32_e32 v11, v11, v15
	v_add_f32_e32 v13, v9, v13
	s_delay_alu instid0(VALU_DEP_2) | instskip(NEXT) | instid1(VALU_DEP_1)
	v_add_f32_e32 v9, v9, v11
	v_add_f32_e32 v16, v12, v9
	s_delay_alu instid0(VALU_DEP_1) | instskip(NEXT) | instid1(VALU_DEP_1)
	v_dual_add_f32 v15, v14, v13 :: v_dual_sub_f32 v12, v12, v16
	v_rcp_f32_e32 v11, v15
	v_sub_f32_e32 v14, v14, v15
	s_delay_alu instid0(VALU_DEP_1) | instskip(SKIP_2) | instid1(VALU_DEP_1)
	v_add_f32_e32 v13, v13, v14
	s_waitcnt_depctr 0xfff
	v_mul_f32_e32 v17, v16, v11
	v_dual_mul_f32 v48, v15, v17 :: v_dual_add_f32 v9, v9, v12
	s_delay_alu instid0(VALU_DEP_1) | instskip(NEXT) | instid1(VALU_DEP_1)
	v_fma_f32 v14, v17, v15, -v48
	v_fmac_f32_e32 v14, v17, v13
	s_delay_alu instid0(VALU_DEP_1) | instskip(NEXT) | instid1(VALU_DEP_1)
	v_add_f32_e32 v49, v48, v14
	v_sub_f32_e32 v50, v16, v49
	v_sub_f32_e32 v12, v49, v48
	s_delay_alu instid0(VALU_DEP_2) | instskip(NEXT) | instid1(VALU_DEP_1)
	v_sub_f32_e32 v16, v16, v50
	v_sub_f32_e32 v16, v16, v49
	s_delay_alu instid0(VALU_DEP_1) | instskip(NEXT) | instid1(VALU_DEP_1)
	v_dual_sub_f32 v12, v12, v14 :: v_dual_add_f32 v9, v9, v16
	v_add_f32_e32 v9, v12, v9
	s_delay_alu instid0(VALU_DEP_1) | instskip(NEXT) | instid1(VALU_DEP_1)
	v_add_f32_e32 v12, v50, v9
	v_mul_f32_e32 v14, v11, v12
	s_delay_alu instid0(VALU_DEP_1) | instskip(NEXT) | instid1(VALU_DEP_1)
	v_dual_sub_f32 v49, v50, v12 :: v_dual_mul_f32 v16, v15, v14
	v_add_f32_e32 v9, v9, v49
	s_delay_alu instid0(VALU_DEP_2) | instskip(NEXT) | instid1(VALU_DEP_1)
	v_fma_f32 v15, v14, v15, -v16
	v_fmac_f32_e32 v15, v14, v13
	s_delay_alu instid0(VALU_DEP_1) | instskip(NEXT) | instid1(VALU_DEP_1)
	v_add_f32_e32 v13, v16, v15
	v_sub_f32_e32 v48, v12, v13
	s_delay_alu instid0(VALU_DEP_1) | instskip(NEXT) | instid1(VALU_DEP_1)
	v_sub_f32_e32 v12, v12, v48
	v_sub_f32_e32 v12, v12, v13
	s_delay_alu instid0(VALU_DEP_1) | instskip(SKIP_2) | instid1(VALU_DEP_1)
	v_add_f32_e32 v9, v9, v12
	v_add_f32_e32 v12, v17, v14
	v_sub_f32_e32 v16, v13, v16
	v_sub_f32_e32 v13, v16, v15
	s_delay_alu instid0(VALU_DEP_1) | instskip(NEXT) | instid1(VALU_DEP_4)
	v_add_f32_e32 v9, v13, v9
	v_sub_f32_e32 v13, v12, v17
	s_delay_alu instid0(VALU_DEP_2) | instskip(NEXT) | instid1(VALU_DEP_2)
	v_add_f32_e32 v9, v48, v9
	v_sub_f32_e32 v13, v14, v13
	s_delay_alu instid0(VALU_DEP_2) | instskip(NEXT) | instid1(VALU_DEP_1)
	v_mul_f32_e32 v9, v11, v9
	v_add_f32_e32 v9, v13, v9
	s_delay_alu instid0(VALU_DEP_1) | instskip(NEXT) | instid1(VALU_DEP_1)
	v_add_f32_e32 v11, v12, v9
	v_mul_f32_e32 v13, v11, v11
	s_delay_alu instid0(VALU_DEP_1) | instskip(SKIP_1) | instid1(VALU_DEP_2)
	v_fmaak_f32 v14, s59, v13, 0x3ecc95a3
	v_mul_f32_e32 v15, v11, v13
	v_fmaak_f32 v13, v13, v14, 0x3f2aaada
	v_ldexp_f32 v14, v11, 1
	v_sub_f32_e32 v11, v11, v12
	s_delay_alu instid0(VALU_DEP_3) | instskip(SKIP_1) | instid1(VALU_DEP_2)
	v_mul_f32_e32 v13, v15, v13
	v_mul_f32_e32 v15, 0x3f317218, v8
	v_dual_sub_f32 v9, v9, v11 :: v_dual_add_f32 v12, v14, v13
	s_delay_alu instid0(VALU_DEP_1) | instskip(NEXT) | instid1(VALU_DEP_2)
	v_ldexp_f32 v9, v9, 1
	v_sub_f32_e32 v11, v12, v14
	s_delay_alu instid0(VALU_DEP_4) | instskip(NEXT) | instid1(VALU_DEP_1)
	v_fma_f32 v14, 0x3f317218, v8, -v15
	v_dual_sub_f32 v11, v13, v11 :: v_dual_fmac_f32 v14, 0xb102e308, v8
	s_delay_alu instid0(VALU_DEP_1) | instskip(NEXT) | instid1(VALU_DEP_1)
	v_dual_add_f32 v8, v9, v11 :: v_dual_add_f32 v9, v15, v14
	v_add_f32_e32 v11, v12, v8
	s_delay_alu instid0(VALU_DEP_2) | instskip(NEXT) | instid1(VALU_DEP_2)
	v_sub_f32_e32 v15, v9, v15
	v_dual_add_f32 v13, v9, v11 :: v_dual_sub_f32 v12, v11, v12
	s_delay_alu instid0(VALU_DEP_2) | instskip(NEXT) | instid1(VALU_DEP_2)
	v_sub_f32_e32 v14, v14, v15
	v_sub_f32_e32 v16, v13, v9
	s_delay_alu instid0(VALU_DEP_3) | instskip(NEXT) | instid1(VALU_DEP_2)
	v_sub_f32_e32 v8, v8, v12
	v_sub_f32_e32 v17, v13, v16
	;; [unrolled: 1-line block ×3, first 2 shown]
	s_delay_alu instid0(VALU_DEP_2) | instskip(NEXT) | instid1(VALU_DEP_1)
	v_dual_add_f32 v12, v14, v8 :: v_dual_sub_f32 v9, v9, v17
	v_add_f32_e32 v9, v11, v9
	s_delay_alu instid0(VALU_DEP_2) | instskip(NEXT) | instid1(VALU_DEP_2)
	v_sub_f32_e32 v11, v12, v14
	v_add_f32_e32 v9, v12, v9
	s_delay_alu instid0(VALU_DEP_2) | instskip(NEXT) | instid1(VALU_DEP_2)
	v_sub_f32_e32 v12, v12, v11
	v_dual_sub_f32 v8, v8, v11 :: v_dual_add_f32 v15, v13, v9
	s_delay_alu instid0(VALU_DEP_1) | instskip(NEXT) | instid1(VALU_DEP_1)
	v_dual_sub_f32 v12, v14, v12 :: v_dual_sub_f32 v11, v15, v13
	v_dual_add_f32 v8, v8, v12 :: v_dual_sub_f32 v9, v9, v11
	s_delay_alu instid0(VALU_DEP_1) | instskip(NEXT) | instid1(VALU_DEP_1)
	v_add_f32_e32 v8, v8, v9
	v_add_f32_e32 v8, v15, v8
	s_delay_alu instid0(VALU_DEP_1)
	v_cndmask_b32_e32 v56, v8, v10, vcc_lo
.LBB107_30:                             ;   in Loop: Header=BB107_12 Depth=1
	s_or_b32 exec_lo, exec_lo, s7
	v_cvt_f32_f16_e32 v8, v3
	v_cvt_f32_f16_e32 v9, v36
	;; [unrolled: 1-line block ×8, first 2 shown]
	v_dual_mul_f32 v48, s49, v8 :: v_dual_mul_f32 v49, s49, v9
	s_delay_alu instid0(VALU_DEP_4) | instskip(NEXT) | instid1(VALU_DEP_4)
	v_dual_mul_f32 v50, s49, v10 :: v_dual_mul_f32 v51, s49, v13
	v_dual_mul_f32 v52, s49, v12 :: v_dual_mul_f32 v55, s49, v14
	s_delay_alu instid0(VALU_DEP_4)
	v_mul_f32_e32 v54, s49, v15
	v_mul_f32_e32 v53, s49, v11
	s_lshl_b32 s24, s61, 9
	s_and_b32 vcc_lo, exec_lo, s56
	s_barrier
	buffer_gl0_inv
	s_cbranch_vccz .LBB107_11
; %bb.31:                               ;   in Loop: Header=BB107_12 Depth=1
	v_dual_mul_f32 v59, v46, v9 :: v_dual_mul_f32 v60, v45, v10
	v_add_nc_u32_e32 v9, -1, v32
	s_sub_i32 s16, s34, s24
	s_cmp_lg_u32 s61, 0
	v_dual_mul_f32 v57, v56, v11 :: v_dual_mul_f32 v58, v47, v8
	s_delay_alu instid0(VALU_DEP_2)
	v_cmp_gt_i32_e32 vcc_lo, 0, v9
	v_and_b32_e32 v8, 15, v32
	v_and_b32_e32 v10, 16, v32
	;; [unrolled: 1-line block ×3, first 2 shown]
	v_add_co_u32 v65, s6, s41, v31
	v_cndmask_b32_e32 v9, v9, v32, vcc_lo
	v_cmp_gt_u32_e32 vcc_lo, s16, v19
	s_cselect_b32 s25, -1, 0
	s_cmp_eq_u32 s61, s58
	v_add_co_ci_u32_e64 v66, null, s50, 0, s6
	v_add_co_u32 v67, s6, s45, v31
	v_cmp_gt_u32_e64 s14, s16, v24
	v_cmp_gt_u32_e64 s15, s16, v25
	s_cselect_b32 s62, -1, 0
	s_or_b32 s13, s57, vcc_lo
	v_cmp_gt_u32_e32 vcc_lo, s16, v26
	v_cmp_gt_u32_e64 s17, s16, v27
	v_cmp_gt_u32_e64 s18, s16, v28
	;; [unrolled: 1-line block ×4, first 2 shown]
	v_dual_mul_f32 v61, v44, v12 :: v_dual_mul_f32 v62, v43, v13
	v_dual_mul_f32 v63, v42, v14 :: v_dual_mul_f32 v64, v41, v15
	v_add_co_ci_u32_e64 v68, null, s51, 0, s6
	v_cmp_ne_u32_e64 s6, 0, v8
	v_cmp_lt_u32_e64 s7, 1, v8
	v_cmp_lt_u32_e64 s8, 3, v8
	;; [unrolled: 1-line block ×3, first 2 shown]
	v_cmp_ne_u32_e64 s10, 0, v10
	v_cmp_eq_u32_e64 s11, 0, v11
	v_lshlrev_b32_e32 v69, 2, v9
	v_cmp_eq_u32_e64 s12, 0, v32
	s_mov_b32 s22, 0
	s_or_b32 s14, s57, s14
	s_or_b32 s15, s57, s15
	s_or_b32 s16, s57, vcc_lo
	s_or_b32 s17, s57, s17
	s_or_b32 s18, s57, s18
	;; [unrolled: 1-line block ×4, first 2 shown]
	s_mov_b32 s30, s22
	s_mov_b32 s38, s22
	;; [unrolled: 1-line block ×5, first 2 shown]
	s_branch .LBB107_33
.LBB107_32:                             ;   in Loop: Header=BB107_33 Depth=2
	s_or_b32 exec_lo, exec_lo, s21
	v_cndmask_b32_e64 v13, v87, v15, s12
	v_cndmask_b32_e64 v14, v86, v14, s12
	s_add_i32 s63, s63, -1
	s_add_i32 s64, s64, 8
	s_add_i32 s42, s42, s26
	v_fma_f32 v13, v13, v73, v71
	v_mul_f32_e32 v14, v14, v73
	s_add_i32 s38, s38, s44
	s_add_i32 s30, s30, s40
	;; [unrolled: 1-line block ×3, first 2 shown]
	v_cndmask_b32_e64 v13, v13, v71, s5
	v_cndmask_b32_e64 v14, v14, v73, s5
	s_cmp_eq_u32 s63, 0
	s_waitcnt lgkmcnt(0)
	s_delay_alu instid0(VALU_DEP_1) | instskip(NEXT) | instid1(VALU_DEP_1)
	v_fmac_f32_e32 v13, v12, v14
	v_fmac_f32_e32 v70, v13, v75
	s_delay_alu instid0(VALU_DEP_1) | instskip(SKIP_2) | instid1(VALU_DEP_3)
	v_fmac_f32_e32 v72, v70, v77
	v_fma_mix_f32 v54, v13, v8, v54 op_sel_hi:[0,1,0]
	v_fma_mix_f32 v55, v70, v8, v55 op_sel:[0,1,0] op_sel_hi:[0,1,0]
	v_fmac_f32_e32 v74, v72, v79
	v_fma_mix_f32 v51, v72, v9, v51 op_sel_hi:[0,1,0]
	s_delay_alu instid0(VALU_DEP_2) | instskip(SKIP_1) | instid1(VALU_DEP_2)
	v_fmac_f32_e32 v76, v74, v80
	v_fma_mix_f32 v52, v74, v9, v52 op_sel:[0,1,0] op_sel_hi:[0,1,0]
	v_fmac_f32_e32 v78, v76, v85
	v_fma_mix_f32 v50, v76, v10, v50 op_sel_hi:[0,1,0]
	s_delay_alu instid0(VALU_DEP_2) | instskip(SKIP_1) | instid1(VALU_DEP_2)
	v_fmac_f32_e32 v81, v78, v83
	v_fma_mix_f32 v49, v78, v10, v49 op_sel:[0,1,0] op_sel_hi:[0,1,0]
	v_fmac_f32_e32 v82, v81, v84
	v_fma_mix_f32 v48, v81, v11, v48 op_sel_hi:[0,1,0]
	s_delay_alu instid0(VALU_DEP_2)
	v_fma_mix_f32 v53, v82, v11, v53 op_sel:[0,1,0] op_sel_hi:[0,1,0]
	s_cbranch_scc1 .LBB107_11
.LBB107_33:                             ;   Parent Loop BB107_12 Depth=1
                                        ; =>  This Inner Loop Header: Depth=2
	s_lshl_b64 s[66:67], s[22:23], 2
	s_mov_b32 s31, s23
	s_add_u32 s66, s36, s66
	s_addc_u32 s67, s27, s67
	s_lshl_b64 s[68:69], s[30:31], 1
	s_mov_b32 s39, s23
	v_add_co_u32 v8, vcc_lo, v65, s68
	v_add_co_ci_u32_e32 v9, vcc_lo, s69, v66, vcc_lo
	s_lshl_b64 s[68:69], s[38:39], 1
	s_delay_alu instid0(SALU_CYCLE_1)
	v_add_co_u32 v10, vcc_lo, v67, s68
	v_add_co_ci_u32_e32 v11, vcc_lo, s69, v68, vcc_lo
	global_load_b32 v70, v18, s[66:67]
	global_load_b128 v[12:15], v[8:9], off
	global_load_b128 v[8:11], v[10:11], off
	s_and_not1_b32 vcc_lo, exec_lo, s25
	s_cbranch_vccnz .LBB107_35
; %bb.34:                               ;   in Loop: Header=BB107_33 Depth=2
	v_mov_b32_e32 v16, s64
	ds_load_b64 v[16:17], v16
	s_cbranch_execz .LBB107_36
	s_branch .LBB107_39
.LBB107_35:                             ;   in Loop: Header=BB107_33 Depth=2
                                        ; implicit-def: $vgpr16
.LBB107_36:                             ;   in Loop: Header=BB107_33 Depth=2
	s_waitcnt lgkmcnt(0)
	v_mov_b32_e32 v17, 0
	s_and_not1_b32 vcc_lo, exec_lo, s33
	s_cbranch_vccnz .LBB107_38
; %bb.37:                               ;   in Loop: Header=BB107_33 Depth=2
	s_mov_b32 s43, s23
	s_delay_alu instid0(SALU_CYCLE_1) | instskip(NEXT) | instid1(SALU_CYCLE_1)
	s_lshl_b64 s[66:67], s[42:43], 2
	s_add_u32 s66, s52, s66
	s_addc_u32 s67, s53, s67
	global_load_b32 v17, v18, s[66:67]
.LBB107_38:                             ;   in Loop: Header=BB107_33 Depth=2
	v_mov_b32_e32 v16, 1.0
.LBB107_39:                             ;   in Loop: Header=BB107_33 Depth=2
	s_waitcnt vmcnt(2)
	v_mul_f32_e32 v81, 0x3fb8aa3b, v70
	s_waitcnt vmcnt(1)
	v_cvt_f32_f16_e32 v70, v12
	v_lshrrev_b32_e32 v12, 16, v12
	v_cvt_f32_f16_e32 v72, v13
	v_cvt_f32_f16_e32 v76, v14
	v_lshrrev_b32_e32 v14, 16, v14
	v_lshrrev_b32_e32 v13, 16, v13
	v_cvt_f32_f16_e32 v12, v12
	v_cvt_f32_f16_e32 v82, v15
	v_lshrrev_b32_e32 v15, 16, v15
	v_mul_f32_e32 v70, v64, v70
	v_mul_f32_e32 v72, v62, v72
	v_dual_mul_f32 v12, v63, v12 :: v_dual_mul_f32 v71, v81, v41
	v_mul_f32_e32 v73, v81, v42
	v_mul_f32_e32 v74, v81, v43
	;; [unrolled: 1-line block ×3, first 2 shown]
	v_cvt_f32_f16_e32 v14, v14
	v_cmp_gt_f32_e32 vcc_lo, 0xc2fc0000, v71
	v_cmp_gt_f32_e64 s21, 0xc2fc0000, v73
	v_cvt_f32_f16_e32 v13, v13
	v_mul_f32_e32 v82, v58, v82
	v_cndmask_b32_e64 v72, 0, v72, s15
	v_cndmask_b32_e64 v71, 0, 0x42800000, vcc_lo
	v_cndmask_b32_e64 v73, 0, 0x42800000, s21
	v_cndmask_b32_e64 v75, 1.0, 0x1f800000, vcc_lo
	v_cmp_gt_f32_e32 vcc_lo, 0xc2fc0000, v74
	s_delay_alu instid0(VALU_DEP_4) | instskip(NEXT) | instid1(VALU_DEP_4)
	v_dual_mul_f32 v76, v60, v76 :: v_dual_fmac_f32 v71, v81, v41
	v_fmac_f32_e32 v73, v81, v42
	v_cndmask_b32_e64 v78, 1.0, 0x1f800000, s21
	v_cndmask_b32_e64 v74, 0, 0x42800000, vcc_lo
	v_cmp_gt_f32_e64 s21, 0xc2fc0000, v77
	v_exp_f32_e32 v71, v71
	v_exp_f32_e32 v73, v73
	v_mul_f32_e32 v14, v59, v14
	v_fmac_f32_e32 v74, v81, v43
	v_cndmask_b32_e64 v77, 0, 0x42800000, s21
	v_mul_f32_e32 v13, v61, v13
	v_cndmask_b32_e64 v76, 0, v76, s17
	v_cvt_f32_f16_e32 v15, v15
	s_delay_alu instid0(VALU_DEP_4) | instskip(NEXT) | instid1(TRANS32_DEP_1)
	v_fmac_f32_e32 v77, v81, v44
	v_dual_mul_f32 v75, v71, v75 :: v_dual_mul_f32 v78, v73, v78
	v_cndmask_b32_e64 v71, 0, v70, s13
	v_cndmask_b32_e64 v70, 0, v12, s14
	v_exp_f32_e32 v12, v74
	v_mul_f32_e32 v74, v81, v45
	v_cndmask_b32_e64 v73, 1.0, v75, s13
	v_cndmask_b32_e64 v75, 1.0, v78, s14
	v_cndmask_b32_e64 v78, 1.0, 0x1f800000, vcc_lo
	v_exp_f32_e32 v79, v77
	v_cmp_gt_f32_e32 vcc_lo, 0xc2fc0000, v74
	v_mul_f32_e32 v77, v81, v46
	v_mul_f32_e32 v85, v81, v56
	s_delay_alu instid0(TRANS32_DEP_2) | instskip(SKIP_3) | instid1(VALU_DEP_4)
	v_dual_mul_f32 v15, v57, v15 :: v_dual_mul_f32 v12, v12, v78
	v_cndmask_b32_e64 v74, 0, 0x42800000, vcc_lo
	v_cndmask_b32_e64 v78, 1.0, 0x1f800000, s21
	v_cmp_gt_f32_e64 s21, 0xc2fc0000, v77
	v_cndmask_b32_e64 v77, 1.0, v12, s15
	s_delay_alu instid0(VALU_DEP_4) | instskip(NEXT) | instid1(VALU_DEP_4)
	v_fmac_f32_e32 v74, v81, v45
	v_mul_f32_e32 v12, v79, v78
	s_delay_alu instid0(VALU_DEP_4) | instskip(SKIP_1) | instid1(VALU_DEP_4)
	v_cndmask_b32_e64 v80, 0, 0x42800000, s21
	v_mul_f32_e32 v78, v81, v47
	v_exp_f32_e32 v83, v74
	v_cndmask_b32_e64 v74, 0, v13, s16
	s_delay_alu instid0(VALU_DEP_3)
	v_fmac_f32_e32 v80, v81, v46
	v_cndmask_b32_e64 v13, 1.0, 0x1f800000, vcc_lo
	v_cmp_gt_f32_e32 vcc_lo, 0xc2fc0000, v78
	v_cndmask_b32_e64 v79, 1.0, v12, s16
	v_cndmask_b32_e64 v78, 0, v14, s18
	v_mul_f32_e32 v14, v75, v73
	v_exp_f32_e32 v12, v80
	v_cndmask_b32_e64 v84, 0, 0x42800000, vcc_lo
	v_mul_f32_e32 v13, v83, v13
	v_cndmask_b32_e64 v83, 1.0, 0x1f800000, s21
	v_cmp_gt_f32_e64 s21, 0xc2fc0000, v85
	s_delay_alu instid0(VALU_DEP_4) | instskip(NEXT) | instid1(VALU_DEP_4)
	v_fmac_f32_e32 v84, v81, v47
	v_cndmask_b32_e64 v80, 1.0, v13, s17
	s_delay_alu instid0(VALU_DEP_3) | instskip(NEXT) | instid1(TRANS32_DEP_1)
	v_cndmask_b32_e64 v13, 0, 0x42800000, s21
	v_mul_f32_e32 v12, v12, v83
	v_fma_f32 v83, v75, v71, v70
	v_exp_f32_e32 v84, v84
	s_delay_alu instid0(VALU_DEP_3) | instskip(NEXT) | instid1(VALU_DEP_3)
	v_fmac_f32_e32 v13, v81, v56
	v_cndmask_b32_e64 v85, 1.0, v12, s18
	v_mul_f32_e32 v12, v14, v77
	v_fma_f32 v14, v83, v77, v72
	v_cndmask_b32_e64 v81, 1.0, 0x1f800000, vcc_lo
	v_exp_f32_e32 v13, v13
	s_delay_alu instid0(VALU_DEP_2)
	v_fma_f32 v14, v14, v79, v74
	s_delay_alu instid0(TRANS32_DEP_2) | instid1(VALU_DEP_2)
	v_mul_f32_e32 v83, v84, v81
	v_cndmask_b32_e64 v81, 0, v82, s19
	v_cndmask_b32_e64 v82, 1.0, 0x1f800000, s21
	v_mul_f32_e32 v12, v12, v79
	v_fma_f32 v14, v14, v80, v76
	v_cndmask_b32_e64 v83, 1.0, v83, s19
	s_delay_alu instid0(TRANS32_DEP_1) | instid1(VALU_DEP_3)
	v_dual_mul_f32 v13, v13, v82 :: v_dual_mul_f32 v12, v12, v80
	s_delay_alu instid0(VALU_DEP_3) | instskip(SKIP_1) | instid1(VALU_DEP_3)
	v_fma_f32 v14, v14, v85, v78
	v_cndmask_b32_e64 v82, 0, v15, s20
	v_cndmask_b32_e64 v84, 1.0, v13, s20
	s_delay_alu instid0(VALU_DEP_4) | instskip(NEXT) | instid1(VALU_DEP_4)
	v_mul_f32_e32 v12, v12, v85
	v_fma_f32 v13, v14, v83, v81
	s_delay_alu instid0(VALU_DEP_2) | instskip(NEXT) | instid1(VALU_DEP_2)
	v_mul_f32_e32 v12, v12, v83
	v_fma_f32 v13, v13, v84, v82
	s_delay_alu instid0(VALU_DEP_2) | instskip(NEXT) | instid1(VALU_DEP_2)
	v_mul_f32_e32 v12, v12, v84
	v_mov_b32_dpp v14, v13 row_shr:1 row_mask:0xf bank_mask:0xf
	s_delay_alu instid0(VALU_DEP_2)
	v_mov_b32_dpp v15, v12 row_shr:1 row_mask:0xf bank_mask:0xf
	s_and_saveexec_b32 s21, s6
; %bb.40:                               ;   in Loop: Header=BB107_33 Depth=2
	s_delay_alu instid0(VALU_DEP_1) | instskip(NEXT) | instid1(VALU_DEP_1)
	v_mul_f32_e32 v15, v12, v15
	v_dual_fmac_f32 v13, v12, v14 :: v_dual_mov_b32 v12, v15
; %bb.41:                               ;   in Loop: Header=BB107_33 Depth=2
	s_or_b32 exec_lo, exec_lo, s21
	s_delay_alu instid0(VALU_DEP_1) | instskip(NEXT) | instid1(VALU_DEP_2)
	v_mov_b32_dpp v14, v12 row_shr:2 row_mask:0xf bank_mask:0xf
	v_mov_b32_dpp v15, v13 row_shr:2 row_mask:0xf bank_mask:0xf
	s_and_saveexec_b32 s21, s7
; %bb.42:                               ;   in Loop: Header=BB107_33 Depth=2
	s_delay_alu instid0(VALU_DEP_1) | instskip(NEXT) | instid1(VALU_DEP_3)
	v_fmac_f32_e32 v13, v12, v15
	v_mul_f32_e32 v12, v12, v14
; %bb.43:                               ;   in Loop: Header=BB107_33 Depth=2
	s_or_b32 exec_lo, exec_lo, s21
	s_delay_alu instid0(VALU_DEP_1) | instskip(NEXT) | instid1(VALU_DEP_3)
	v_mov_b32_dpp v14, v12 row_shr:4 row_mask:0xf bank_mask:0xf
	v_mov_b32_dpp v15, v13 row_shr:4 row_mask:0xf bank_mask:0xf
	s_and_saveexec_b32 s21, s8
; %bb.44:                               ;   in Loop: Header=BB107_33 Depth=2
	s_delay_alu instid0(VALU_DEP_1) | instskip(NEXT) | instid1(VALU_DEP_3)
	v_fmac_f32_e32 v13, v12, v15
	v_mul_f32_e32 v12, v12, v14
; %bb.45:                               ;   in Loop: Header=BB107_33 Depth=2
	s_or_b32 exec_lo, exec_lo, s21
	s_delay_alu instid0(VALU_DEP_1) | instskip(NEXT) | instid1(VALU_DEP_3)
	v_mov_b32_dpp v14, v12 row_shr:8 row_mask:0xf bank_mask:0xf
	v_mov_b32_dpp v15, v13 row_shr:8 row_mask:0xf bank_mask:0xf
	s_and_saveexec_b32 s21, s9
; %bb.46:                               ;   in Loop: Header=BB107_33 Depth=2
	s_delay_alu instid0(VALU_DEP_1) | instskip(NEXT) | instid1(VALU_DEP_3)
	v_fmac_f32_e32 v13, v12, v15
	v_mul_f32_e32 v12, v12, v14
; %bb.47:                               ;   in Loop: Header=BB107_33 Depth=2
	s_or_b32 exec_lo, exec_lo, s21
	ds_swizzle_b32 v15, v12 offset:swizzle(BROADCAST,32,15)
	ds_swizzle_b32 v14, v13 offset:swizzle(BROADCAST,32,15)
	s_and_saveexec_b32 s21, s10
	s_cbranch_execz .LBB107_49
; %bb.48:                               ;   in Loop: Header=BB107_33 Depth=2
	s_waitcnt lgkmcnt(1)
	v_mul_f32_e32 v15, v12, v15
	s_waitcnt lgkmcnt(0)
	s_delay_alu instid0(VALU_DEP_1)
	v_dual_fmac_f32 v13, v12, v14 :: v_dual_mov_b32 v12, v15
.LBB107_49:                             ;   in Loop: Header=BB107_33 Depth=2
	s_or_b32 exec_lo, exec_lo, s21
	s_and_saveexec_b32 s21, s1
	s_cbranch_execz .LBB107_51
; %bb.50:                               ;   in Loop: Header=BB107_33 Depth=2
	ds_store_b64 v20, v[12:13] offset:2112
.LBB107_51:                             ;   in Loop: Header=BB107_33 Depth=2
	s_or_b32 exec_lo, exec_lo, s21
	s_waitcnt vmcnt(0) lgkmcnt(0)
	s_waitcnt_vscnt null, 0x0
	s_barrier
	buffer_gl0_inv
	s_and_saveexec_b32 s21, s2
	s_cbranch_execz .LBB107_53
; %bb.52:                               ;   in Loop: Header=BB107_33 Depth=2
	ds_load_b64 v[14:15], v21 offset:2112
	s_waitcnt lgkmcnt(0)
	v_mov_b32_dpp v86, v14 row_shr:1 row_mask:0xf bank_mask:0xf
	v_mov_b32_dpp v87, v15 row_shr:1 row_mask:0xf bank_mask:0xf
	s_delay_alu instid0(VALU_DEP_2) | instskip(NEXT) | instid1(VALU_DEP_2)
	v_mul_f32_e32 v86, v14, v86
	v_fma_f32 v87, v14, v87, v15
	s_delay_alu instid0(VALU_DEP_2) | instskip(NEXT) | instid1(VALU_DEP_2)
	v_cndmask_b32_e64 v14, v86, v14, s11
	v_cndmask_b32_e64 v15, v87, v15, s11
	ds_store_b64 v21, v[14:15] offset:2112
.LBB107_53:                             ;   in Loop: Header=BB107_33 Depth=2
	s_or_b32 exec_lo, exec_lo, s21
	s_waitcnt lgkmcnt(0)
	s_barrier
	buffer_gl0_inv
                                        ; implicit-def: $vgpr15
	s_and_saveexec_b32 s21, s4
	s_cbranch_execz .LBB107_55
; %bb.54:                               ;   in Loop: Header=BB107_33 Depth=2
	ds_load_b64 v[14:15], v20 offset:2104
	s_waitcnt lgkmcnt(0)
	v_mul_f32_e32 v86, v12, v14
	s_delay_alu instid0(VALU_DEP_1)
	v_dual_fmac_f32 v13, v12, v15 :: v_dual_mov_b32 v12, v86
.LBB107_55:                             ;   in Loop: Header=BB107_33 Depth=2
	s_or_b32 exec_lo, exec_lo, s21
	ds_bpermute_b32 v86, v69, v12
	ds_bpermute_b32 v87, v69, v13
	s_and_saveexec_b32 s21, s3
	s_cbranch_execz .LBB107_59
; %bb.56:                               ;   in Loop: Header=BB107_33 Depth=2
	ds_load_b64 v[12:13], v18 offset:2120
	s_and_saveexec_b32 s31, s5
	s_cbranch_execz .LBB107_58
; %bb.57:                               ;   in Loop: Header=BB107_33 Depth=2
	ds_store_b64 v18, v[16:17] offset:2120
.LBB107_58:                             ;   in Loop: Header=BB107_33 Depth=2
	s_or_b32 exec_lo, exec_lo, s31
	s_waitcnt lgkmcnt(0)
	v_fmac_f32_e32 v13, v17, v12
	s_delay_alu instid0(VALU_DEP_1)
	v_dual_mul_f32 v16, v16, v12 :: v_dual_mov_b32 v17, v13
.LBB107_59:                             ;   in Loop: Header=BB107_33 Depth=2
	s_or_b32 exec_lo, exec_lo, s21
	s_waitcnt lgkmcnt(0)
	s_barrier
	buffer_gl0_inv
	ds_load_b32 v12, v18 offset:2124
	s_and_saveexec_b32 s21, s5
	s_cbranch_execz .LBB107_32
; %bb.60:                               ;   in Loop: Header=BB107_33 Depth=2
	v_mov_b32_e32 v13, s64
	s_and_not1_b32 vcc_lo, exec_lo, s62
	ds_store_b64 v13, v[16:17]
	s_cbranch_vccnz .LBB107_32
; %bb.61:                               ;   in Loop: Header=BB107_33 Depth=2
	s_mov_b32 s43, s23
	s_delay_alu instid0(SALU_CYCLE_1) | instskip(NEXT) | instid1(SALU_CYCLE_1)
	s_lshl_b64 s[66:67], s[42:43], 2
	s_add_u32 s66, s52, s66
	s_addc_u32 s67, s53, s67
	global_store_b32 v18, v17, s[66:67]
	s_branch .LBB107_32
.LBB107_62:
	s_nop 0
	s_sendmsg sendmsg(MSG_DEALLOC_VGPRS)
	s_endpgm
	.section	.rodata,"a",@progbits
	.p2align	6, 0x0
	.amdhsa_kernel _Z25selective_scan_fwd_kernelI32Selective_Scan_fwd_kernel_traitsILi64ELi8ELi1ELb1ELb1ELb1ELb0ELb0EN3c104HalfEffEEv13SSMParamsBase
		.amdhsa_group_segment_fixed_size 0
		.amdhsa_private_segment_fixed_size 0
		.amdhsa_kernarg_size 248
		.amdhsa_user_sgpr_count 14
		.amdhsa_user_sgpr_dispatch_ptr 0
		.amdhsa_user_sgpr_queue_ptr 0
		.amdhsa_user_sgpr_kernarg_segment_ptr 1
		.amdhsa_user_sgpr_dispatch_id 0
		.amdhsa_user_sgpr_private_segment_size 0
		.amdhsa_wavefront_size32 1
		.amdhsa_uses_dynamic_stack 0
		.amdhsa_enable_private_segment 0
		.amdhsa_system_sgpr_workgroup_id_x 1
		.amdhsa_system_sgpr_workgroup_id_y 1
		.amdhsa_system_sgpr_workgroup_id_z 0
		.amdhsa_system_sgpr_workgroup_info 0
		.amdhsa_system_vgpr_workitem_id 0
		.amdhsa_next_free_vgpr 88
		.amdhsa_next_free_sgpr 70
		.amdhsa_reserve_vcc 1
		.amdhsa_float_round_mode_32 0
		.amdhsa_float_round_mode_16_64 0
		.amdhsa_float_denorm_mode_32 3
		.amdhsa_float_denorm_mode_16_64 3
		.amdhsa_dx10_clamp 1
		.amdhsa_ieee_mode 1
		.amdhsa_fp16_overflow 0
		.amdhsa_workgroup_processor_mode 1
		.amdhsa_memory_ordered 1
		.amdhsa_forward_progress 0
		.amdhsa_shared_vgpr_count 0
		.amdhsa_exception_fp_ieee_invalid_op 0
		.amdhsa_exception_fp_denorm_src 0
		.amdhsa_exception_fp_ieee_div_zero 0
		.amdhsa_exception_fp_ieee_overflow 0
		.amdhsa_exception_fp_ieee_underflow 0
		.amdhsa_exception_fp_ieee_inexact 0
		.amdhsa_exception_int_div_zero 0
	.end_amdhsa_kernel
	.section	.text._Z25selective_scan_fwd_kernelI32Selective_Scan_fwd_kernel_traitsILi64ELi8ELi1ELb1ELb1ELb1ELb0ELb0EN3c104HalfEffEEv13SSMParamsBase,"axG",@progbits,_Z25selective_scan_fwd_kernelI32Selective_Scan_fwd_kernel_traitsILi64ELi8ELi1ELb1ELb1ELb1ELb0ELb0EN3c104HalfEffEEv13SSMParamsBase,comdat
.Lfunc_end107:
	.size	_Z25selective_scan_fwd_kernelI32Selective_Scan_fwd_kernel_traitsILi64ELi8ELi1ELb1ELb1ELb1ELb0ELb0EN3c104HalfEffEEv13SSMParamsBase, .Lfunc_end107-_Z25selective_scan_fwd_kernelI32Selective_Scan_fwd_kernel_traitsILi64ELi8ELi1ELb1ELb1ELb1ELb0ELb0EN3c104HalfEffEEv13SSMParamsBase
                                        ; -- End function
	.section	.AMDGPU.csdata,"",@progbits
; Kernel info:
; codeLenInByte = 9584
; NumSgprs: 72
; NumVgprs: 88
; ScratchSize: 0
; MemoryBound: 0
; FloatMode: 240
; IeeeMode: 1
; LDSByteSize: 0 bytes/workgroup (compile time only)
; SGPRBlocks: 8
; VGPRBlocks: 10
; NumSGPRsForWavesPerEU: 72
; NumVGPRsForWavesPerEU: 88
; Occupancy: 16
; WaveLimiterHint : 0
; COMPUTE_PGM_RSRC2:SCRATCH_EN: 0
; COMPUTE_PGM_RSRC2:USER_SGPR: 14
; COMPUTE_PGM_RSRC2:TRAP_HANDLER: 0
; COMPUTE_PGM_RSRC2:TGID_X_EN: 1
; COMPUTE_PGM_RSRC2:TGID_Y_EN: 1
; COMPUTE_PGM_RSRC2:TGID_Z_EN: 0
; COMPUTE_PGM_RSRC2:TIDIG_COMP_CNT: 0
	.section	.text._Z25selective_scan_fwd_kernelI32Selective_Scan_fwd_kernel_traitsILi64ELi8ELi1ELb0ELb1ELb1ELb1ELb1EN3c104HalfEffEEv13SSMParamsBase,"axG",@progbits,_Z25selective_scan_fwd_kernelI32Selective_Scan_fwd_kernel_traitsILi64ELi8ELi1ELb0ELb1ELb1ELb1ELb1EN3c104HalfEffEEv13SSMParamsBase,comdat
	.protected	_Z25selective_scan_fwd_kernelI32Selective_Scan_fwd_kernel_traitsILi64ELi8ELi1ELb0ELb1ELb1ELb1ELb1EN3c104HalfEffEEv13SSMParamsBase ; -- Begin function _Z25selective_scan_fwd_kernelI32Selective_Scan_fwd_kernel_traitsILi64ELi8ELi1ELb0ELb1ELb1ELb1ELb1EN3c104HalfEffEEv13SSMParamsBase
	.globl	_Z25selective_scan_fwd_kernelI32Selective_Scan_fwd_kernel_traitsILi64ELi8ELi1ELb0ELb1ELb1ELb1ELb1EN3c104HalfEffEEv13SSMParamsBase
	.p2align	8
	.type	_Z25selective_scan_fwd_kernelI32Selective_Scan_fwd_kernel_traitsILi64ELi8ELi1ELb0ELb1ELb1ELb1ELb1EN3c104HalfEffEEv13SSMParamsBase,@function
_Z25selective_scan_fwd_kernelI32Selective_Scan_fwd_kernel_traitsILi64ELi8ELi1ELb0ELb1ELb1ELb1ELb1EN3c104HalfEffEEv13SSMParamsBase: ; @_Z25selective_scan_fwd_kernelI32Selective_Scan_fwd_kernel_traitsILi64ELi8ELi1ELb0ELb1ELb1ELb1ELb1EN3c104HalfEffEEv13SSMParamsBase
; %bb.0:
	s_clause 0x2
	s_load_b32 s11, s[0:1], 0x18
	s_load_b256 s[52:59], s[0:1], 0xc8
	s_load_b128 s[4:7], s[0:1], 0xe8
	s_mov_b32 s12, s15
	s_ashr_i32 s15, s14, 31
	s_mov_b32 s33, 0
	s_lshl_b64 s[8:9], s[14:15], 2
	s_waitcnt lgkmcnt(0)
	s_abs_i32 s10, s11
	s_add_u32 s2, s58, s8
	v_cvt_f32_u32_e32 v1, s10
	s_addc_u32 s3, s59, s9
	s_cmp_eq_u64 s[6:7], 0
	s_delay_alu instid0(VALU_DEP_1) | instskip(SKIP_2) | instid1(VALU_DEP_1)
	v_rcp_iflag_f32_e32 v1, v1
	s_waitcnt_depctr 0xfff
	v_mul_f32_e32 v1, 0x4f7ffffe, v1
	v_cvt_u32_f32_e32 v1, v1
	s_delay_alu instid0(VALU_DEP_1)
	v_readfirstlane_b32 s34, v1
	s_cbranch_scc1 .LBB108_2
; %bb.1:
	v_mov_b32_e32 v1, 0
	s_add_u32 s6, s6, s14
	s_addc_u32 s7, s7, s15
	global_load_u8 v1, v1, s[6:7]
	s_waitcnt vmcnt(0)
	v_and_b32_e32 v1, 1, v1
	s_delay_alu instid0(VALU_DEP_1)
	v_cmp_eq_u32_e64 s33, 1, v1
.LBB108_2:
	s_load_b64 s[6:7], s[0:1], 0x20
	s_cmp_eq_u64 s[4:5], 0
	s_cbranch_scc1 .LBB108_4
; %bb.3:
	s_add_u32 s4, s4, s8
	s_addc_u32 s5, s5, s9
	s_load_b32 s14, s[4:5], 0x0
	s_waitcnt lgkmcnt(0)
	s_ashr_i32 s15, s14, 31
.LBB108_4:
	s_waitcnt lgkmcnt(0)
	s_cmp_eq_u64 s[6:7], s[14:15]
	s_cbranch_scc1 .LBB108_172
; %bb.5:
	s_load_b512 s[16:31], s[0:1], 0x88
	s_load_b64 s[58:59], s[2:3], 0x0
	s_mov_b32 s60, 0
	s_mov_b32 s61, 0
	s_waitcnt lgkmcnt(0)
	s_cmp_eq_u64 s[22:23], 0
	s_cbranch_scc1 .LBB108_7
; %bb.6:
	s_ashr_i32 s13, s12, 31
	s_delay_alu instid0(SALU_CYCLE_1) | instskip(NEXT) | instid1(SALU_CYCLE_1)
	s_lshl_b64 s[2:3], s[12:13], 2
	s_add_u32 s2, s22, s2
	s_addc_u32 s3, s23, s3
	s_load_b32 s61, s[2:3], 0x0
.LBB108_7:
	s_cmp_eq_u64 s[28:29], 0
	s_cbranch_scc1 .LBB108_9
; %bb.8:
	s_ashr_i32 s13, s12, 31
	s_delay_alu instid0(SALU_CYCLE_1) | instskip(NEXT) | instid1(SALU_CYCLE_1)
	s_lshl_b64 s[2:3], s[12:13], 2
	s_add_u32 s2, s28, s2
	s_addc_u32 s3, s29, s3
	s_load_b32 s60, s[2:3], 0x0
.LBB108_9:
	s_sub_i32 s29, s59, s58
	s_delay_alu instid0(SALU_CYCLE_1)
	s_cmp_lt_i32 s29, 1
	s_cbranch_scc1 .LBB108_172
; %bb.10:
	s_sub_i32 s2, 0, s10
	s_load_b256 s[36:43], s[0:1], 0x4c
	s_mul_i32 s2, s2, s34
	s_abs_i32 s3, s12
	s_mul_hi_u32 s2, s34, s2
	s_ashr_i32 s5, s11, 31
	s_add_i32 s34, s34, s2
	s_ashr_i32 s2, s12, 31
	s_mul_hi_u32 s4, s3, s34
	s_xor_b32 s5, s2, s5
	s_mul_i32 s6, s4, s10
	s_load_b256 s[44:51], s[0:1], 0x2c
	s_sub_i32 s2, s3, s6
	s_add_i32 s3, s4, 1
	s_sub_i32 s6, s2, s10
	s_cmp_ge_u32 s2, s10
	s_mov_b32 s35, 0
	s_cselect_b32 s3, s3, s4
	s_cselect_b32 s2, s6, s2
	s_add_i32 s4, s3, 1
	s_cmp_ge_u32 s2, s10
	s_waitcnt lgkmcnt(0)
	s_mul_i32 s34, s58, s38
	s_cselect_b32 s4, s4, s3
	s_lshl_b64 s[2:3], s[34:35], 1
	s_xor_b32 s4, s4, s5
	s_mul_i32 s34, s39, s12
	s_sub_i32 s6, s4, s5
	s_add_u32 s4, s24, s2
	s_addc_u32 s5, s25, s3
	s_lshl_b64 s[2:3], s[34:35], 1
	s_mul_i32 s34, s58, s40
	s_add_u32 s47, s4, s2
	s_addc_u32 s51, s5, s3
	s_lshl_b64 s[2:3], s[34:35], 1
	s_mul_i32 s34, s41, s12
	;; [unrolled: 4-line block ×4, first 2 shown]
	s_add_u32 s62, s16, s2
	s_addc_u32 s63, s17, s3
	s_load_b64 s[2:3], s[0:1], 0x7c
	s_lshl_b64 s[4:5], s[34:35], 1
	s_mul_i32 s34, s6, s49
	s_add_u32 s7, s18, s4
	s_addc_u32 s8, s19, s5
	s_load_b128 s[16:19], s[0:1], 0x6c
	s_lshl_b64 s[4:5], s[34:35], 1
	s_mul_i32 s34, s58, s50
	s_add_u32 s46, s7, s4
	v_dual_mov_b32 v13, 0 :: v_dual_lshlrev_b32 v10, 3, v0
	s_addc_u32 s49, s8, s5
	s_lshl_b64 s[4:5], s[34:35], 1
	s_mul_i32 s34, s6, s37
	s_add_u32 s7, s20, s4
	s_addc_u32 s6, s21, s5
	s_lshl_b64 s[4:5], s[34:35], 1
	v_mbcnt_lo_u32_b32 v1, -1, 0
	v_and_b32_e32 v2, 0x100, v10
	s_add_u32 s50, s7, s4
	s_waitcnt lgkmcnt(0)
	s_mul_i32 s34, s14, s2
	s_addc_u32 s64, s6, s5
	s_lshl_b64 s[4:5], s[34:35], 2
	s_load_b32 s37, s[0:1], 0x84
	s_add_u32 s4, s52, s4
	s_clause 0x1
	s_load_b32 s52, s[0:1], 0xc
	s_load_b32 s0, s[0:1], 0x28
	v_or_b32_e32 v11, v1, v2
	s_mul_i32 s34, s3, s12
	s_addc_u32 s5, s53, s5
	s_lshl_b64 s[2:3], s[34:35], 2
	v_and_b32_e32 v6, 32, v0
	v_or_b32_e32 v12, 0x60, v11
	v_or_b32_e32 v17, 0xa0, v11
	;; [unrolled: 1-line block ×3, first 2 shown]
	s_add_u32 s53, s4, s2
	v_or_b32_e32 v15, 64, v11
	v_lshrrev_b32_e32 v3, 5, v12
	v_or_b32_e32 v16, 0x80, v11
	v_or_b32_e32 v18, 0xc0, v11
	v_lshrrev_b32_e32 v7, 5, v17
	v_lshrrev_b32_e32 v24, 5, v19
	v_and_b32_e32 v3, 10, v3
	s_addc_u32 s65, s5, s3
	s_add_i32 s1, s29, 0x7ff
	v_lshrrev_b32_e32 v4, 5, v2
	s_lshr_b32 s66, s1, 11
	s_waitcnt lgkmcnt(0)
	s_bitcmp1_b32 s0, 0
	v_lshrrev_b32_e32 v5, 5, v15
	v_add_lshl_u32 v3, v3, v11, 1
	v_lshrrev_b32_e32 v8, 5, v16
	v_or_b32_e32 v9, v1, v6
	v_and_b32_e32 v7, 12, v7
	v_lshrrev_b32_e32 v23, 5, v18
	v_and_b32_e32 v26, 14, v24
	s_cselect_b32 s67, -1, 0
	s_cmp_gt_i32 s52, 0
	v_add_lshl_u32 v4, v4, v11, 1
	s_cselect_b32 s68, -1, 0
	s_add_i32 s0, 0, 0x420
	v_add_lshl_u32 v5, v5, v11, 1
	v_add_nc_u32_e32 v22, 0, v3
	v_add_lshl_u32 v8, v8, v11, 1
	v_lshrrev_b32_e32 v25, 2, v9
	v_add_lshl_u32 v7, v7, v11, 1
	v_add_lshl_u32 v33, v23, v11, 1
	;; [unrolled: 1-line block ×3, first 2 shown]
	v_add_nc_u32_e32 v30, s0, v3
	v_and_b32_e32 v3, 15, v1
	s_and_b32 s1, s29, 0x1ff
	v_and_b32_e32 v27, 14, v25
	v_add_nc_u32_e32 v25, 0, v33
	v_add_nc_u32_e32 v26, 0, v34
	;; [unrolled: 1-line block ×7, first 2 shown]
	s_cmp_eq_u32 s1, 0
	v_add_nc_u32_e32 v34, s0, v34
	v_cmp_ne_u32_e64 s0, 0, v3
	v_cmp_lt_u32_e64 s1, 1, v3
	v_cmp_lt_u32_e64 s2, 3, v3
	;; [unrolled: 1-line block ×3, first 2 shown]
	v_add_nc_u32_e32 v3, -1, v1
	v_add_nc_u32_e32 v20, 0, v4
	v_lshrrev_b32_e32 v4, 2, v0
	s_mul_i32 s34, s58, s16
	v_or_b32_e32 v6, 31, v6
	v_cmp_gt_i32_e32 vcc_lo, 0, v3
	s_cselect_b32 s69, -1, 0
	s_lshl_b64 s[14:15], s[34:35], 1
	v_and_b32_e32 v4, 8, v4
	s_add_i32 s70, s66, -1
	v_cndmask_b32_e32 v3, v3, v1, vcc_lo
	s_mul_i32 s34, s17, s12
	s_add_u32 s13, s30, s14
	s_addc_u32 s16, s31, s15
	s_lshl_b64 s[14:15], s[34:35], 1
	v_cmp_eq_u32_e64 s5, v6, v0
	v_cmp_gt_u32_e64 s6, 2, v0
	v_cmp_gt_u32_e64 s8, 32, v0
	v_cmp_lt_u32_e64 s9, 31, v0
	v_cmp_eq_u32_e64 s10, 0, v0
	s_mul_i32 s34, s58, s42
	v_lshlrev_b32_e32 v0, 1, v1
	s_add_u32 s13, s13, s14
	v_add_nc_u32_e32 v35, 0, v4
	v_and_b32_e32 v4, 1, v1
	s_addc_u32 s16, s16, s15
	s_lshl_b64 s[14:15], s[34:35], 1
	v_add_nc_u32_e32 v21, 0, v5
	v_and_b32_e32 v5, 16, v1
	s_mul_i32 s34, s43, s12
	s_add_u32 s17, s54, s14
	v_lshlrev_b32_e32 v37, 2, v3
	s_addc_u32 s20, s55, s15
	s_lshl_b64 s[14:15], s[34:35], 1
	v_add_co_u32 v3, s13, s13, v0
	s_mul_i32 s34, s58, s18
	v_cmp_eq_u32_e64 s7, 0, v4
	v_add_co_ci_u32_e64 v4, null, s16, 0, s13
	s_add_u32 s16, s17, s14
	v_cmp_ne_u32_e64 s4, 0, v5
	s_addc_u32 s17, s20, s15
	s_lshl_b64 s[14:15], s[34:35], 1
	v_lshlrev_b32_e32 v5, 1, v2
	s_mul_i32 s34, s19, s12
	s_add_u32 s14, s56, s14
	s_addc_u32 s15, s57, s15
	s_lshl_b64 s[12:13], s[34:35], 1
	v_add_co_u32 v38, vcc_lo, v3, v5
	s_add_u32 s12, s14, s12
	v_add_co_u32 v3, s14, s16, v0
	v_add_co_ci_u32_e32 v39, vcc_lo, 0, v4, vcc_lo
	v_add_co_ci_u32_e64 v4, null, s17, 0, s14
	s_addc_u32 s13, s15, s13
	v_add_co_u32 v0, s12, s12, v0
	v_lshl_add_u32 v9, v9, 3, v27
	v_add_co_ci_u32_e64 v6, null, s13, 0, s12
	v_add_co_u32 v40, vcc_lo, v3, v5
	v_add_co_ci_u32_e32 v41, vcc_lo, 0, v4, vcc_lo
	v_add_co_u32 v42, vcc_lo, v0, v5
	v_or_b32_e32 v14, 32, v11
	v_add_nc_u32_e32 v23, 0, v8
	v_add_nc_u32_e32 v24, 0, v7
	v_lshl_add_u32 v27, v9, 1, 0
	v_add_nc_u32_e32 v36, 0, v10
	v_cmp_eq_u32_e64 s11, 0, v1
	v_add_co_ci_u32_e32 v43, vcc_lo, 0, v6, vcc_lo
	v_or_b32_e32 v44, 1, v10
	v_or_b32_e32 v45, 2, v10
	;; [unrolled: 1-line block ×7, first 2 shown]
	v_lshlrev_b32_e32 v51, 1, v1
	v_lshlrev_b32_e32 v52, 1, v2
	s_mov_b32 s54, 0x3e9b6dac
	s_add_i32 s55, 0, 0x850
	s_mov_b32 s56, 0xbfb8aa3b
	s_mov_b32 s57, 0xb2a5705f
	;; [unrolled: 1-line block ×3, first 2 shown]
	s_branch .LBB108_12
.LBB108_11:                             ;   in Loop: Header=BB108_12 Depth=1
	s_or_b32 exec_lo, exec_lo, s12
	s_add_u32 s59, s59, 0x400
	s_addc_u32 s44, s44, 0
	s_add_u32 s47, s47, 0x400
	s_addc_u32 s51, s51, 0
	;; [unrolled: 2-line block ×4, first 2 shown]
	s_add_i32 s58, s58, 1
	s_delay_alu instid0(SALU_CYCLE_1)
	s_cmp_lg_u32 s58, s66
	s_cbranch_scc0 .LBB108_172
.LBB108_12:                             ; =>This Loop Header: Depth=1
                                        ;     Child Loop BB108_61 Depth 2
	v_add_co_u32 v0, s12, s47, v51
	s_delay_alu instid0(VALU_DEP_1) | instskip(SKIP_1) | instid1(VALU_DEP_2)
	v_add_co_ci_u32_e64 v1, null, s51, 0, s12
	s_lshl_b32 s30, s58, 9
	v_add_co_u32 v0, vcc_lo, v0, v52
	s_sub_i32 s23, s29, s30
	s_delay_alu instid0(VALU_DEP_2)
	v_add_co_ci_u32_e32 v1, vcc_lo, 0, v1, vcc_lo
	v_cmp_gt_u32_e64 s12, s23, v11
	s_waitcnt lgkmcnt(0)
	v_mov_b32_e32 v2, 0
	s_waitcnt_vscnt null, 0x0
	s_barrier
	buffer_gl0_inv
	s_and_saveexec_b32 s13, s12
	s_cbranch_execz .LBB108_14
; %bb.13:                               ;   in Loop: Header=BB108_12 Depth=1
	global_load_u16 v2, v[0:1], off
.LBB108_14:                             ;   in Loop: Header=BB108_12 Depth=1
	s_or_b32 exec_lo, exec_lo, s13
	v_cmp_gt_u32_e64 s13, s23, v14
	v_dual_mov_b32 v3, 0 :: v_dual_mov_b32 v4, 0
	s_delay_alu instid0(VALU_DEP_2)
	s_and_saveexec_b32 s14, s13
	s_cbranch_execz .LBB108_16
; %bb.15:                               ;   in Loop: Header=BB108_12 Depth=1
	global_load_u16 v4, v[0:1], off offset:64
.LBB108_16:                             ;   in Loop: Header=BB108_12 Depth=1
	s_or_b32 exec_lo, exec_lo, s14
	v_cmp_gt_u32_e64 s14, s23, v15
	s_delay_alu instid0(VALU_DEP_1)
	s_and_saveexec_b32 s15, s14
	s_cbranch_execz .LBB108_18
; %bb.17:                               ;   in Loop: Header=BB108_12 Depth=1
	global_load_u16 v3, v[0:1], off offset:128
.LBB108_18:                             ;   in Loop: Header=BB108_12 Depth=1
	s_or_b32 exec_lo, exec_lo, s15
	v_cmp_gt_u32_e64 s15, s23, v12
	v_mov_b32_e32 v5, 0
	v_mov_b32_e32 v7, 0
	s_delay_alu instid0(VALU_DEP_3)
	s_and_saveexec_b32 s16, s15
	s_cbranch_execz .LBB108_20
; %bb.19:                               ;   in Loop: Header=BB108_12 Depth=1
	global_load_u16 v7, v[0:1], off offset:192
.LBB108_20:                             ;   in Loop: Header=BB108_12 Depth=1
	s_or_b32 exec_lo, exec_lo, s16
	v_cmp_gt_u32_e64 s16, s23, v16
	s_delay_alu instid0(VALU_DEP_1)
	s_and_saveexec_b32 s17, s16
	s_cbranch_execz .LBB108_22
; %bb.21:                               ;   in Loop: Header=BB108_12 Depth=1
	global_load_u16 v5, v[0:1], off offset:256
.LBB108_22:                             ;   in Loop: Header=BB108_12 Depth=1
	s_or_b32 exec_lo, exec_lo, s17
	v_cmp_gt_u32_e64 s17, s23, v17
	v_dual_mov_b32 v8, 0 :: v_dual_mov_b32 v9, 0
	s_delay_alu instid0(VALU_DEP_2)
	s_and_saveexec_b32 s18, s17
	s_cbranch_execz .LBB108_24
; %bb.23:                               ;   in Loop: Header=BB108_12 Depth=1
	global_load_u16 v9, v[0:1], off offset:320
.LBB108_24:                             ;   in Loop: Header=BB108_12 Depth=1
	s_or_b32 exec_lo, exec_lo, s18
	v_cmp_gt_u32_e64 s18, s23, v18
	s_delay_alu instid0(VALU_DEP_1)
	s_and_saveexec_b32 s19, s18
	s_cbranch_execz .LBB108_26
; %bb.25:                               ;   in Loop: Header=BB108_12 Depth=1
	global_load_u16 v8, v[0:1], off offset:384
.LBB108_26:                             ;   in Loop: Header=BB108_12 Depth=1
	s_or_b32 exec_lo, exec_lo, s19
	v_cmp_gt_u32_e64 s19, s23, v19
	v_dual_mov_b32 v6, 0 :: v_dual_mov_b32 v53, 0
	s_delay_alu instid0(VALU_DEP_2)
	s_and_saveexec_b32 s20, s19
	s_cbranch_execz .LBB108_28
; %bb.27:                               ;   in Loop: Header=BB108_12 Depth=1
	global_load_u16 v53, v[0:1], off offset:448
.LBB108_28:                             ;   in Loop: Header=BB108_12 Depth=1
	s_or_b32 exec_lo, exec_lo, s20
	s_waitcnt vmcnt(0)
	ds_store_b16 v20, v2
	ds_store_b16 v20, v4 offset:64
	ds_store_b16 v21, v3 offset:128
	;; [unrolled: 1-line block ×7, first 2 shown]
	; wave barrier
	ds_load_b128 v[0:3], v27
	v_add_co_u32 v4, s20, s59, v51
	s_delay_alu instid0(VALU_DEP_1) | instskip(SKIP_1) | instid1(VALU_DEP_2)
	v_add_co_ci_u32_e64 v5, null, s44, 0, s20
	s_waitcnt lgkmcnt(0)
	v_add_co_u32 v4, vcc_lo, v4, v52
	s_delay_alu instid0(VALU_DEP_2)
	v_add_co_ci_u32_e32 v5, vcc_lo, 0, v5, vcc_lo
	s_barrier
	buffer_gl0_inv
	s_and_saveexec_b32 s20, s12
	s_cbranch_execz .LBB108_30
; %bb.29:                               ;   in Loop: Header=BB108_12 Depth=1
	global_load_u16 v6, v[4:5], off
.LBB108_30:                             ;   in Loop: Header=BB108_12 Depth=1
	s_or_b32 exec_lo, exec_lo, s20
	v_dual_mov_b32 v7, 0 :: v_dual_mov_b32 v8, 0
	s_and_saveexec_b32 s20, s13
	s_cbranch_execz .LBB108_32
; %bb.31:                               ;   in Loop: Header=BB108_12 Depth=1
	global_load_u16 v8, v[4:5], off offset:64
.LBB108_32:                             ;   in Loop: Header=BB108_12 Depth=1
	s_or_b32 exec_lo, exec_lo, s20
	s_and_saveexec_b32 s20, s14
	s_cbranch_execz .LBB108_34
; %bb.33:                               ;   in Loop: Header=BB108_12 Depth=1
	global_load_u16 v7, v[4:5], off offset:128
.LBB108_34:                             ;   in Loop: Header=BB108_12 Depth=1
	s_or_b32 exec_lo, exec_lo, s20
	v_mov_b32_e32 v9, 0
	v_mov_b32_e32 v53, 0
	s_and_saveexec_b32 s20, s15
	s_cbranch_execz .LBB108_36
; %bb.35:                               ;   in Loop: Header=BB108_12 Depth=1
	global_load_u16 v53, v[4:5], off offset:192
.LBB108_36:                             ;   in Loop: Header=BB108_12 Depth=1
	s_or_b32 exec_lo, exec_lo, s20
	s_and_saveexec_b32 s20, s16
	s_cbranch_execz .LBB108_38
; %bb.37:                               ;   in Loop: Header=BB108_12 Depth=1
	global_load_u16 v9, v[4:5], off offset:256
.LBB108_38:                             ;   in Loop: Header=BB108_12 Depth=1
	s_or_b32 exec_lo, exec_lo, s20
	v_dual_mov_b32 v54, 0 :: v_dual_mov_b32 v55, 0
	s_and_saveexec_b32 s20, s17
	s_cbranch_execnz .LBB108_155
; %bb.39:                               ;   in Loop: Header=BB108_12 Depth=1
	s_or_b32 exec_lo, exec_lo, s20
	s_and_saveexec_b32 s20, s18
	s_cbranch_execnz .LBB108_156
.LBB108_40:                             ;   in Loop: Header=BB108_12 Depth=1
	s_or_b32 exec_lo, exec_lo, s20
	v_mov_b32_e32 v56, 0
	s_and_saveexec_b32 s20, s19
	s_cbranch_execz .LBB108_42
.LBB108_41:                             ;   in Loop: Header=BB108_12 Depth=1
	global_load_u16 v56, v[4:5], off offset:448
.LBB108_42:                             ;   in Loop: Header=BB108_12 Depth=1
	s_or_b32 exec_lo, exec_lo, s20
	s_waitcnt vmcnt(0)
	ds_store_b16 v20, v6
	ds_store_b16 v20, v8 offset:64
	ds_store_b16 v21, v7 offset:128
	;; [unrolled: 1-line block ×7, first 2 shown]
	; wave barrier
	ds_load_b128 v[4:7], v27
	s_waitcnt lgkmcnt(0)
	v_cvt_f32_f16_e32 v8, v4
	s_delay_alu instid0(VALU_DEP_1) | instskip(NEXT) | instid1(VALU_DEP_1)
	v_add_f32_e32 v53, s60, v8
	v_cmp_ge_f32_e32 vcc_lo, 0x41a00000, v53
	s_and_b32 s20, s67, vcc_lo
	s_delay_alu instid0(SALU_CYCLE_1)
	s_and_saveexec_b32 s21, s20
	s_cbranch_execz .LBB108_44
; %bb.43:                               ;   in Loop: Header=BB108_12 Depth=1
	v_mul_f32_e32 v8, 0x3fb8aa3b, v53
	v_cmp_ngt_f32_e32 vcc_lo, 0xc2ce8ed0, v53
	s_delay_alu instid0(VALU_DEP_2) | instskip(SKIP_1) | instid1(VALU_DEP_2)
	v_rndne_f32_e32 v9, v8
	v_fma_f32 v54, 0x3fb8aa3b, v53, -v8
	v_sub_f32_e32 v8, v8, v9
	s_delay_alu instid0(VALU_DEP_2) | instskip(SKIP_1) | instid1(VALU_DEP_2)
	v_fmac_f32_e32 v54, 0x32a5705f, v53
	v_cvt_i32_f32_e32 v9, v9
	v_add_f32_e32 v8, v8, v54
	s_delay_alu instid0(VALU_DEP_1) | instskip(SKIP_2) | instid1(VALU_DEP_1)
	v_exp_f32_e32 v8, v8
	s_waitcnt_depctr 0xfff
	v_ldexp_f32 v8, v8, v9
	v_cndmask_b32_e32 v8, 0, v8, vcc_lo
	v_cmp_nlt_f32_e32 vcc_lo, 0x42b17218, v53
	s_delay_alu instid0(VALU_DEP_2) | instskip(NEXT) | instid1(VALU_DEP_1)
	v_cndmask_b32_e32 v53, 0x7f800000, v8, vcc_lo
	v_add_f32_e32 v54, 1.0, v53
	s_delay_alu instid0(VALU_DEP_1) | instskip(NEXT) | instid1(VALU_DEP_1)
	v_cvt_f64_f32_e32 v[8:9], v54
	v_frexp_exp_i32_f64_e32 v8, v[8:9]
	v_frexp_mant_f32_e32 v9, v54
	s_delay_alu instid0(VALU_DEP_1) | instskip(SKIP_1) | instid1(VALU_DEP_1)
	v_cmp_gt_f32_e32 vcc_lo, 0x3f2aaaab, v9
	v_add_f32_e32 v9, -1.0, v54
	v_sub_f32_e32 v56, v9, v54
	v_sub_f32_e32 v9, v53, v9
	v_cmp_gt_f32_e64 s20, 0x33800000, v53
	s_delay_alu instid0(VALU_DEP_3) | instskip(NEXT) | instid1(VALU_DEP_1)
	v_add_f32_e32 v56, 1.0, v56
	v_add_f32_e32 v9, v9, v56
	v_subrev_co_ci_u32_e32 v8, vcc_lo, 0, v8, vcc_lo
	v_cmp_eq_f32_e32 vcc_lo, 0x7f800000, v53
	s_delay_alu instid0(VALU_DEP_2) | instskip(SKIP_2) | instid1(VALU_DEP_2)
	v_sub_nc_u32_e32 v55, 0, v8
	v_cvt_f32_i32_e32 v8, v8
	s_or_b32 vcc_lo, s20, vcc_lo
	v_ldexp_f32 v54, v54, v55
	v_ldexp_f32 v9, v9, v55
	s_delay_alu instid0(VALU_DEP_2) | instskip(NEXT) | instid1(VALU_DEP_1)
	v_add_f32_e32 v57, 1.0, v54
	v_dual_add_f32 v55, -1.0, v54 :: v_dual_add_f32 v56, -1.0, v57
	s_delay_alu instid0(VALU_DEP_1) | instskip(NEXT) | instid1(VALU_DEP_2)
	v_add_f32_e32 v58, 1.0, v55
	v_sub_f32_e32 v56, v54, v56
	s_delay_alu instid0(VALU_DEP_2) | instskip(NEXT) | instid1(VALU_DEP_2)
	v_sub_f32_e32 v54, v54, v58
	v_add_f32_e32 v56, v9, v56
	s_delay_alu instid0(VALU_DEP_2) | instskip(NEXT) | instid1(VALU_DEP_1)
	v_add_f32_e32 v9, v9, v54
	v_dual_add_f32 v59, v55, v9 :: v_dual_add_f32 v58, v57, v56
	s_delay_alu instid0(VALU_DEP_1) | instskip(NEXT) | instid1(VALU_DEP_2)
	v_sub_f32_e32 v55, v55, v59
	v_rcp_f32_e32 v54, v58
	v_sub_f32_e32 v57, v57, v58
	s_delay_alu instid0(VALU_DEP_1) | instskip(SKIP_2) | instid1(VALU_DEP_1)
	v_dual_add_f32 v9, v9, v55 :: v_dual_add_f32 v56, v56, v57
	s_waitcnt_depctr 0xfff
	v_mul_f32_e32 v60, v59, v54
	v_mul_f32_e32 v61, v58, v60
	s_delay_alu instid0(VALU_DEP_1) | instskip(NEXT) | instid1(VALU_DEP_1)
	v_fma_f32 v57, v60, v58, -v61
	v_fmac_f32_e32 v57, v60, v56
	s_delay_alu instid0(VALU_DEP_1) | instskip(NEXT) | instid1(VALU_DEP_1)
	v_add_f32_e32 v62, v61, v57
	v_sub_f32_e32 v63, v59, v62
	s_delay_alu instid0(VALU_DEP_1) | instskip(NEXT) | instid1(VALU_DEP_1)
	v_sub_f32_e32 v59, v59, v63
	v_sub_f32_e32 v59, v59, v62
	;; [unrolled: 1-line block ×3, first 2 shown]
	s_delay_alu instid0(VALU_DEP_2) | instskip(NEXT) | instid1(VALU_DEP_2)
	v_add_f32_e32 v9, v9, v59
	v_sub_f32_e32 v55, v55, v57
	s_delay_alu instid0(VALU_DEP_1) | instskip(NEXT) | instid1(VALU_DEP_1)
	v_add_f32_e32 v9, v55, v9
	v_add_f32_e32 v55, v63, v9
	s_delay_alu instid0(VALU_DEP_1) | instskip(NEXT) | instid1(VALU_DEP_1)
	v_mul_f32_e32 v57, v54, v55
	v_dual_sub_f32 v62, v63, v55 :: v_dual_mul_f32 v59, v58, v57
	s_delay_alu instid0(VALU_DEP_1) | instskip(NEXT) | instid1(VALU_DEP_2)
	v_add_f32_e32 v9, v9, v62
	v_fma_f32 v58, v57, v58, -v59
	s_delay_alu instid0(VALU_DEP_1) | instskip(NEXT) | instid1(VALU_DEP_1)
	v_fmac_f32_e32 v58, v57, v56
	v_add_f32_e32 v56, v59, v58
	s_delay_alu instid0(VALU_DEP_1) | instskip(NEXT) | instid1(VALU_DEP_1)
	v_sub_f32_e32 v61, v55, v56
	v_sub_f32_e32 v55, v55, v61
	s_delay_alu instid0(VALU_DEP_1) | instskip(NEXT) | instid1(VALU_DEP_1)
	v_sub_f32_e32 v55, v55, v56
	v_add_f32_e32 v9, v9, v55
	v_add_f32_e32 v55, v60, v57
	v_sub_f32_e32 v59, v56, v59
	s_delay_alu instid0(VALU_DEP_1) | instskip(NEXT) | instid1(VALU_DEP_1)
	v_sub_f32_e32 v56, v59, v58
	v_dual_add_f32 v9, v56, v9 :: v_dual_sub_f32 v56, v55, v60
	s_delay_alu instid0(VALU_DEP_1) | instskip(NEXT) | instid1(VALU_DEP_1)
	v_add_f32_e32 v9, v61, v9
	v_dual_sub_f32 v56, v57, v56 :: v_dual_mul_f32 v9, v54, v9
	s_delay_alu instid0(VALU_DEP_1) | instskip(NEXT) | instid1(VALU_DEP_1)
	v_add_f32_e32 v9, v56, v9
	v_add_f32_e32 v54, v55, v9
	s_delay_alu instid0(VALU_DEP_1) | instskip(NEXT) | instid1(VALU_DEP_1)
	v_mul_f32_e32 v56, v54, v54
	v_fmaak_f32 v57, s54, v56, 0x3ecc95a3
	v_mul_f32_e32 v58, v54, v56
	s_delay_alu instid0(VALU_DEP_2) | instskip(SKIP_2) | instid1(VALU_DEP_3)
	v_fmaak_f32 v56, v56, v57, 0x3f2aaada
	v_ldexp_f32 v57, v54, 1
	v_sub_f32_e32 v54, v54, v55
	v_mul_f32_e32 v56, v58, v56
	v_mul_f32_e32 v58, 0x3f317218, v8
	s_delay_alu instid0(VALU_DEP_2) | instskip(NEXT) | instid1(VALU_DEP_1)
	v_add_f32_e32 v55, v57, v56
	v_dual_sub_f32 v9, v9, v54 :: v_dual_sub_f32 v54, v55, v57
	s_delay_alu instid0(VALU_DEP_3) | instskip(NEXT) | instid1(VALU_DEP_2)
	v_fma_f32 v57, 0x3f317218, v8, -v58
	v_ldexp_f32 v9, v9, 1
	s_delay_alu instid0(VALU_DEP_2) | instskip(NEXT) | instid1(VALU_DEP_1)
	v_dual_sub_f32 v54, v56, v54 :: v_dual_fmac_f32 v57, 0xb102e308, v8
	v_dual_add_f32 v8, v9, v54 :: v_dual_add_f32 v9, v58, v57
	s_delay_alu instid0(VALU_DEP_1) | instskip(NEXT) | instid1(VALU_DEP_1)
	v_add_f32_e32 v54, v55, v8
	v_add_f32_e32 v56, v9, v54
	s_delay_alu instid0(VALU_DEP_1) | instskip(NEXT) | instid1(VALU_DEP_1)
	v_sub_f32_e32 v59, v56, v9
	v_sub_f32_e32 v60, v56, v59
	;; [unrolled: 1-line block ×4, first 2 shown]
	s_delay_alu instid0(VALU_DEP_2) | instskip(SKIP_1) | instid1(VALU_DEP_1)
	v_sub_f32_e32 v8, v8, v55
	v_sub_f32_e32 v58, v9, v58
	;; [unrolled: 1-line block ×3, first 2 shown]
	s_delay_alu instid0(VALU_DEP_1) | instskip(SKIP_1) | instid1(VALU_DEP_1)
	v_add_f32_e32 v55, v57, v8
	v_sub_f32_e32 v9, v9, v60
	v_add_f32_e32 v9, v54, v9
	s_delay_alu instid0(VALU_DEP_3) | instskip(NEXT) | instid1(VALU_DEP_1)
	v_sub_f32_e32 v54, v55, v57
	v_dual_sub_f32 v8, v8, v54 :: v_dual_add_f32 v9, v55, v9
	s_delay_alu instid0(VALU_DEP_1) | instskip(NEXT) | instid1(VALU_DEP_1)
	v_dual_sub_f32 v55, v55, v54 :: v_dual_add_f32 v58, v56, v9
	v_dual_sub_f32 v55, v57, v55 :: v_dual_sub_f32 v54, v58, v56
	s_delay_alu instid0(VALU_DEP_1) | instskip(NEXT) | instid1(VALU_DEP_1)
	v_dual_add_f32 v8, v8, v55 :: v_dual_sub_f32 v9, v9, v54
	v_add_f32_e32 v8, v8, v9
	s_delay_alu instid0(VALU_DEP_1) | instskip(NEXT) | instid1(VALU_DEP_1)
	v_add_f32_e32 v8, v58, v8
	v_cndmask_b32_e32 v53, v8, v53, vcc_lo
.LBB108_44:                             ;   in Loop: Header=BB108_12 Depth=1
	s_or_b32 exec_lo, exec_lo, s21
	v_lshrrev_b32_e32 v4, 16, v4
	s_delay_alu instid0(VALU_DEP_1) | instskip(NEXT) | instid1(VALU_DEP_1)
	v_cvt_f32_f16_e32 v4, v4
	v_add_f32_e32 v54, s60, v4
	s_delay_alu instid0(VALU_DEP_1) | instskip(SKIP_1) | instid1(SALU_CYCLE_1)
	v_cmp_ge_f32_e32 vcc_lo, 0x41a00000, v54
	s_and_b32 s20, s67, vcc_lo
	s_and_saveexec_b32 s21, s20
	s_cbranch_execz .LBB108_46
; %bb.45:                               ;   in Loop: Header=BB108_12 Depth=1
	v_mul_f32_e32 v4, 0x3fb8aa3b, v54
	v_cmp_ngt_f32_e32 vcc_lo, 0xc2ce8ed0, v54
	s_delay_alu instid0(VALU_DEP_2) | instskip(SKIP_1) | instid1(VALU_DEP_1)
	v_rndne_f32_e32 v8, v4
	v_fma_f32 v9, 0x3fb8aa3b, v54, -v4
	v_dual_sub_f32 v4, v4, v8 :: v_dual_fmac_f32 v9, 0x32a5705f, v54
	v_cvt_i32_f32_e32 v8, v8
	s_delay_alu instid0(VALU_DEP_2) | instskip(NEXT) | instid1(VALU_DEP_1)
	v_add_f32_e32 v4, v4, v9
	v_exp_f32_e32 v4, v4
	s_waitcnt_depctr 0xfff
	v_ldexp_f32 v4, v4, v8
	s_delay_alu instid0(VALU_DEP_1) | instskip(SKIP_1) | instid1(VALU_DEP_2)
	v_cndmask_b32_e32 v4, 0, v4, vcc_lo
	v_cmp_nlt_f32_e32 vcc_lo, 0x42b17218, v54
	v_cndmask_b32_e32 v4, 0x7f800000, v4, vcc_lo
	s_delay_alu instid0(VALU_DEP_1) | instskip(NEXT) | instid1(VALU_DEP_1)
	v_add_f32_e32 v54, 1.0, v4
	v_cvt_f64_f32_e32 v[8:9], v54
	s_delay_alu instid0(VALU_DEP_1) | instskip(SKIP_1) | instid1(VALU_DEP_1)
	v_frexp_exp_i32_f64_e32 v8, v[8:9]
	v_frexp_mant_f32_e32 v9, v54
	v_cmp_gt_f32_e32 vcc_lo, 0x3f2aaaab, v9
	v_add_f32_e32 v9, -1.0, v54
	s_delay_alu instid0(VALU_DEP_1) | instskip(NEXT) | instid1(VALU_DEP_1)
	v_dual_sub_f32 v56, v9, v54 :: v_dual_sub_f32 v9, v4, v9
	v_add_f32_e32 v56, 1.0, v56
	s_delay_alu instid0(VALU_DEP_1) | instskip(SKIP_1) | instid1(VALU_DEP_1)
	v_add_f32_e32 v9, v9, v56
	v_subrev_co_ci_u32_e32 v8, vcc_lo, 0, v8, vcc_lo
	v_sub_nc_u32_e32 v55, 0, v8
	v_cvt_f32_i32_e32 v8, v8
	s_delay_alu instid0(VALU_DEP_2) | instskip(SKIP_1) | instid1(VALU_DEP_2)
	v_ldexp_f32 v54, v54, v55
	v_ldexp_f32 v9, v9, v55
	v_add_f32_e32 v57, 1.0, v54
	v_add_f32_e32 v55, -1.0, v54
	v_cmp_eq_f32_e32 vcc_lo, 0x7f800000, v4
	v_cmp_gt_f32_e64 s20, 0x33800000, v4
	s_delay_alu instid0(VALU_DEP_4) | instskip(NEXT) | instid1(VALU_DEP_4)
	v_add_f32_e32 v56, -1.0, v57
	v_add_f32_e32 v58, 1.0, v55
	s_delay_alu instid0(VALU_DEP_3) | instskip(NEXT) | instid1(VALU_DEP_2)
	s_or_b32 vcc_lo, s20, vcc_lo
	v_sub_f32_e32 v56, v54, v56
	s_delay_alu instid0(VALU_DEP_2) | instskip(NEXT) | instid1(VALU_DEP_2)
	v_sub_f32_e32 v54, v54, v58
	v_add_f32_e32 v56, v9, v56
	s_delay_alu instid0(VALU_DEP_2) | instskip(NEXT) | instid1(VALU_DEP_1)
	v_add_f32_e32 v9, v9, v54
	v_add_f32_e32 v59, v55, v9
	s_delay_alu instid0(VALU_DEP_1) | instskip(NEXT) | instid1(VALU_DEP_1)
	v_dual_sub_f32 v55, v55, v59 :: v_dual_add_f32 v58, v57, v56
	v_add_f32_e32 v9, v9, v55
	s_delay_alu instid0(VALU_DEP_2) | instskip(SKIP_1) | instid1(VALU_DEP_1)
	v_rcp_f32_e32 v54, v58
	v_sub_f32_e32 v57, v57, v58
	v_add_f32_e32 v56, v56, v57
	s_waitcnt_depctr 0xfff
	v_mul_f32_e32 v60, v59, v54
	s_delay_alu instid0(VALU_DEP_1) | instskip(NEXT) | instid1(VALU_DEP_1)
	v_mul_f32_e32 v61, v58, v60
	v_fma_f32 v57, v60, v58, -v61
	s_delay_alu instid0(VALU_DEP_1) | instskip(NEXT) | instid1(VALU_DEP_1)
	v_fmac_f32_e32 v57, v60, v56
	v_add_f32_e32 v62, v61, v57
	s_delay_alu instid0(VALU_DEP_1) | instskip(SKIP_1) | instid1(VALU_DEP_2)
	v_sub_f32_e32 v63, v59, v62
	v_sub_f32_e32 v55, v62, v61
	;; [unrolled: 1-line block ×3, first 2 shown]
	s_delay_alu instid0(VALU_DEP_2) | instskip(NEXT) | instid1(VALU_DEP_2)
	v_sub_f32_e32 v55, v55, v57
	v_sub_f32_e32 v59, v59, v62
	s_delay_alu instid0(VALU_DEP_1) | instskip(NEXT) | instid1(VALU_DEP_1)
	v_add_f32_e32 v9, v9, v59
	v_add_f32_e32 v9, v55, v9
	s_delay_alu instid0(VALU_DEP_1) | instskip(NEXT) | instid1(VALU_DEP_1)
	v_add_f32_e32 v55, v63, v9
	v_mul_f32_e32 v57, v54, v55
	s_delay_alu instid0(VALU_DEP_1) | instskip(NEXT) | instid1(VALU_DEP_1)
	v_dual_sub_f32 v62, v63, v55 :: v_dual_mul_f32 v59, v58, v57
	v_add_f32_e32 v9, v9, v62
	s_delay_alu instid0(VALU_DEP_2) | instskip(NEXT) | instid1(VALU_DEP_1)
	v_fma_f32 v58, v57, v58, -v59
	v_fmac_f32_e32 v58, v57, v56
	s_delay_alu instid0(VALU_DEP_1) | instskip(NEXT) | instid1(VALU_DEP_1)
	v_add_f32_e32 v56, v59, v58
	v_sub_f32_e32 v61, v55, v56
	s_delay_alu instid0(VALU_DEP_1) | instskip(NEXT) | instid1(VALU_DEP_1)
	v_sub_f32_e32 v55, v55, v61
	v_sub_f32_e32 v55, v55, v56
	s_delay_alu instid0(VALU_DEP_1) | instskip(SKIP_2) | instid1(VALU_DEP_1)
	v_add_f32_e32 v9, v9, v55
	v_add_f32_e32 v55, v60, v57
	v_sub_f32_e32 v59, v56, v59
	v_sub_f32_e32 v56, v59, v58
	s_delay_alu instid0(VALU_DEP_1) | instskip(NEXT) | instid1(VALU_DEP_1)
	v_dual_add_f32 v9, v56, v9 :: v_dual_sub_f32 v56, v55, v60
	v_add_f32_e32 v9, v61, v9
	s_delay_alu instid0(VALU_DEP_1) | instskip(NEXT) | instid1(VALU_DEP_1)
	v_dual_sub_f32 v56, v57, v56 :: v_dual_mul_f32 v9, v54, v9
	v_add_f32_e32 v9, v56, v9
	s_delay_alu instid0(VALU_DEP_1) | instskip(NEXT) | instid1(VALU_DEP_1)
	v_add_f32_e32 v54, v55, v9
	v_mul_f32_e32 v56, v54, v54
	s_delay_alu instid0(VALU_DEP_1) | instskip(SKIP_1) | instid1(VALU_DEP_2)
	v_fmaak_f32 v57, s54, v56, 0x3ecc95a3
	v_mul_f32_e32 v58, v54, v56
	v_fmaak_f32 v56, v56, v57, 0x3f2aaada
	v_ldexp_f32 v57, v54, 1
	v_sub_f32_e32 v54, v54, v55
	s_delay_alu instid0(VALU_DEP_3) | instskip(SKIP_1) | instid1(VALU_DEP_2)
	v_mul_f32_e32 v56, v58, v56
	v_mul_f32_e32 v58, 0x3f317218, v8
	v_add_f32_e32 v55, v57, v56
	s_delay_alu instid0(VALU_DEP_1) | instskip(NEXT) | instid1(VALU_DEP_3)
	v_dual_sub_f32 v9, v9, v54 :: v_dual_sub_f32 v54, v55, v57
	v_fma_f32 v57, 0x3f317218, v8, -v58
	s_delay_alu instid0(VALU_DEP_2) | instskip(NEXT) | instid1(VALU_DEP_2)
	v_ldexp_f32 v9, v9, 1
	v_dual_sub_f32 v54, v56, v54 :: v_dual_fmac_f32 v57, 0xb102e308, v8
	s_delay_alu instid0(VALU_DEP_1) | instskip(NEXT) | instid1(VALU_DEP_1)
	v_dual_add_f32 v8, v9, v54 :: v_dual_add_f32 v9, v58, v57
	v_add_f32_e32 v54, v55, v8
	s_delay_alu instid0(VALU_DEP_1) | instskip(NEXT) | instid1(VALU_DEP_1)
	v_add_f32_e32 v56, v9, v54
	v_sub_f32_e32 v59, v56, v9
	s_delay_alu instid0(VALU_DEP_1) | instskip(SKIP_2) | instid1(VALU_DEP_2)
	v_sub_f32_e32 v60, v56, v59
	v_sub_f32_e32 v55, v54, v55
	;; [unrolled: 1-line block ×5, first 2 shown]
	s_delay_alu instid0(VALU_DEP_1) | instskip(NEXT) | instid1(VALU_DEP_1)
	v_sub_f32_e32 v57, v57, v58
	v_add_f32_e32 v55, v57, v8
	v_sub_f32_e32 v9, v9, v60
	s_delay_alu instid0(VALU_DEP_1) | instskip(NEXT) | instid1(VALU_DEP_3)
	v_add_f32_e32 v9, v54, v9
	v_sub_f32_e32 v54, v55, v57
	s_delay_alu instid0(VALU_DEP_1) | instskip(NEXT) | instid1(VALU_DEP_1)
	v_dual_sub_f32 v8, v8, v54 :: v_dual_add_f32 v9, v55, v9
	v_dual_sub_f32 v55, v55, v54 :: v_dual_add_f32 v58, v56, v9
	s_delay_alu instid0(VALU_DEP_1) | instskip(NEXT) | instid1(VALU_DEP_1)
	v_dual_sub_f32 v55, v57, v55 :: v_dual_sub_f32 v54, v58, v56
	v_dual_add_f32 v8, v8, v55 :: v_dual_sub_f32 v9, v9, v54
	s_delay_alu instid0(VALU_DEP_1) | instskip(NEXT) | instid1(VALU_DEP_1)
	v_add_f32_e32 v8, v8, v9
	v_add_f32_e32 v8, v58, v8
	s_delay_alu instid0(VALU_DEP_1)
	v_cndmask_b32_e32 v54, v8, v4, vcc_lo
.LBB108_46:                             ;   in Loop: Header=BB108_12 Depth=1
	s_or_b32 exec_lo, exec_lo, s21
	v_cvt_f32_f16_e32 v4, v5
	s_delay_alu instid0(VALU_DEP_1) | instskip(NEXT) | instid1(VALU_DEP_1)
	v_add_f32_e32 v55, s60, v4
	v_cmp_ge_f32_e32 vcc_lo, 0x41a00000, v55
	s_and_b32 s20, s67, vcc_lo
	s_delay_alu instid0(SALU_CYCLE_1)
	s_and_saveexec_b32 s21, s20
	s_cbranch_execz .LBB108_48
; %bb.47:                               ;   in Loop: Header=BB108_12 Depth=1
	v_mul_f32_e32 v4, 0x3fb8aa3b, v55
	v_cmp_ngt_f32_e32 vcc_lo, 0xc2ce8ed0, v55
	s_delay_alu instid0(VALU_DEP_2) | instskip(SKIP_1) | instid1(VALU_DEP_1)
	v_rndne_f32_e32 v8, v4
	v_fma_f32 v9, 0x3fb8aa3b, v55, -v4
	v_dual_sub_f32 v4, v4, v8 :: v_dual_fmac_f32 v9, 0x32a5705f, v55
	v_cvt_i32_f32_e32 v8, v8
	s_delay_alu instid0(VALU_DEP_2) | instskip(NEXT) | instid1(VALU_DEP_1)
	v_add_f32_e32 v4, v4, v9
	v_exp_f32_e32 v4, v4
	s_waitcnt_depctr 0xfff
	v_ldexp_f32 v4, v4, v8
	s_delay_alu instid0(VALU_DEP_1) | instskip(SKIP_1) | instid1(VALU_DEP_2)
	v_cndmask_b32_e32 v4, 0, v4, vcc_lo
	v_cmp_nlt_f32_e32 vcc_lo, 0x42b17218, v55
	v_cndmask_b32_e32 v4, 0x7f800000, v4, vcc_lo
	s_delay_alu instid0(VALU_DEP_1) | instskip(NEXT) | instid1(VALU_DEP_1)
	v_add_f32_e32 v55, 1.0, v4
	v_cvt_f64_f32_e32 v[8:9], v55
	s_delay_alu instid0(VALU_DEP_1) | instskip(SKIP_1) | instid1(VALU_DEP_1)
	v_frexp_exp_i32_f64_e32 v8, v[8:9]
	v_frexp_mant_f32_e32 v9, v55
	v_cmp_gt_f32_e32 vcc_lo, 0x3f2aaaab, v9
	v_add_f32_e32 v9, -1.0, v55
	s_delay_alu instid0(VALU_DEP_1) | instskip(NEXT) | instid1(VALU_DEP_1)
	v_sub_f32_e32 v57, v9, v55
	v_add_f32_e32 v57, 1.0, v57
	v_subrev_co_ci_u32_e32 v8, vcc_lo, 0, v8, vcc_lo
	s_delay_alu instid0(VALU_DEP_1) | instskip(SKIP_1) | instid1(VALU_DEP_2)
	v_sub_nc_u32_e32 v56, 0, v8
	v_cvt_f32_i32_e32 v8, v8
	v_ldexp_f32 v55, v55, v56
	s_delay_alu instid0(VALU_DEP_1) | instskip(NEXT) | instid1(VALU_DEP_1)
	v_dual_sub_f32 v9, v4, v9 :: v_dual_add_f32 v58, 1.0, v55
	v_add_f32_e32 v9, v9, v57
	v_cmp_eq_f32_e32 vcc_lo, 0x7f800000, v4
	v_cmp_gt_f32_e64 s20, 0x33800000, v4
	s_delay_alu instid0(VALU_DEP_4) | instskip(NEXT) | instid1(VALU_DEP_4)
	v_add_f32_e32 v57, -1.0, v58
	v_ldexp_f32 v9, v9, v56
	v_add_f32_e32 v56, -1.0, v55
	s_delay_alu instid0(VALU_DEP_4) | instskip(NEXT) | instid1(VALU_DEP_3)
	s_or_b32 vcc_lo, s20, vcc_lo
	v_sub_f32_e32 v57, v55, v57
	s_delay_alu instid0(VALU_DEP_2) | instskip(NEXT) | instid1(VALU_DEP_2)
	v_add_f32_e32 v59, 1.0, v56
	v_add_f32_e32 v57, v9, v57
	s_delay_alu instid0(VALU_DEP_2) | instskip(NEXT) | instid1(VALU_DEP_1)
	v_sub_f32_e32 v55, v55, v59
	v_add_f32_e32 v9, v9, v55
	s_delay_alu instid0(VALU_DEP_1) | instskip(NEXT) | instid1(VALU_DEP_1)
	v_add_f32_e32 v60, v56, v9
	v_dual_add_f32 v59, v58, v57 :: v_dual_sub_f32 v56, v56, v60
	s_delay_alu instid0(VALU_DEP_1) | instskip(SKIP_1) | instid1(VALU_DEP_1)
	v_rcp_f32_e32 v55, v59
	v_sub_f32_e32 v58, v58, v59
	v_add_f32_e32 v57, v57, v58
	s_waitcnt_depctr 0xfff
	v_mul_f32_e32 v61, v60, v55
	s_delay_alu instid0(VALU_DEP_1) | instskip(NEXT) | instid1(VALU_DEP_1)
	v_mul_f32_e32 v62, v59, v61
	v_fma_f32 v58, v61, v59, -v62
	s_delay_alu instid0(VALU_DEP_1) | instskip(SKIP_1) | instid1(VALU_DEP_2)
	v_fmac_f32_e32 v58, v61, v57
	v_add_f32_e32 v9, v9, v56
	v_add_f32_e32 v63, v62, v58
	s_delay_alu instid0(VALU_DEP_1) | instskip(SKIP_1) | instid1(VALU_DEP_2)
	v_sub_f32_e32 v64, v60, v63
	v_sub_f32_e32 v56, v63, v62
	;; [unrolled: 1-line block ×3, first 2 shown]
	s_delay_alu instid0(VALU_DEP_2) | instskip(NEXT) | instid1(VALU_DEP_2)
	v_sub_f32_e32 v56, v56, v58
	v_sub_f32_e32 v60, v60, v63
	s_delay_alu instid0(VALU_DEP_1) | instskip(NEXT) | instid1(VALU_DEP_1)
	v_add_f32_e32 v9, v9, v60
	v_add_f32_e32 v9, v56, v9
	s_delay_alu instid0(VALU_DEP_1) | instskip(NEXT) | instid1(VALU_DEP_1)
	v_add_f32_e32 v56, v64, v9
	v_mul_f32_e32 v58, v55, v56
	s_delay_alu instid0(VALU_DEP_1) | instskip(NEXT) | instid1(VALU_DEP_1)
	v_dual_sub_f32 v63, v64, v56 :: v_dual_mul_f32 v60, v59, v58
	v_add_f32_e32 v9, v9, v63
	s_delay_alu instid0(VALU_DEP_2) | instskip(NEXT) | instid1(VALU_DEP_1)
	v_fma_f32 v59, v58, v59, -v60
	v_fmac_f32_e32 v59, v58, v57
	s_delay_alu instid0(VALU_DEP_1) | instskip(NEXT) | instid1(VALU_DEP_1)
	v_add_f32_e32 v57, v60, v59
	v_sub_f32_e32 v62, v56, v57
	s_delay_alu instid0(VALU_DEP_1) | instskip(NEXT) | instid1(VALU_DEP_1)
	v_sub_f32_e32 v56, v56, v62
	v_sub_f32_e32 v56, v56, v57
	s_delay_alu instid0(VALU_DEP_1) | instskip(SKIP_2) | instid1(VALU_DEP_1)
	v_add_f32_e32 v9, v9, v56
	v_add_f32_e32 v56, v61, v58
	v_sub_f32_e32 v60, v57, v60
	v_sub_f32_e32 v57, v60, v59
	s_delay_alu instid0(VALU_DEP_1) | instskip(NEXT) | instid1(VALU_DEP_4)
	v_add_f32_e32 v9, v57, v9
	v_sub_f32_e32 v57, v56, v61
	s_delay_alu instid0(VALU_DEP_2) | instskip(NEXT) | instid1(VALU_DEP_2)
	v_add_f32_e32 v9, v62, v9
	v_sub_f32_e32 v57, v58, v57
	s_delay_alu instid0(VALU_DEP_2) | instskip(NEXT) | instid1(VALU_DEP_1)
	v_mul_f32_e32 v9, v55, v9
	v_add_f32_e32 v9, v57, v9
	s_delay_alu instid0(VALU_DEP_1) | instskip(NEXT) | instid1(VALU_DEP_1)
	v_add_f32_e32 v55, v56, v9
	v_mul_f32_e32 v57, v55, v55
	s_delay_alu instid0(VALU_DEP_1) | instskip(SKIP_1) | instid1(VALU_DEP_2)
	v_fmaak_f32 v58, s54, v57, 0x3ecc95a3
	v_mul_f32_e32 v59, v55, v57
	v_fmaak_f32 v57, v57, v58, 0x3f2aaada
	v_ldexp_f32 v58, v55, 1
	v_sub_f32_e32 v55, v55, v56
	s_delay_alu instid0(VALU_DEP_3) | instskip(SKIP_1) | instid1(VALU_DEP_2)
	v_mul_f32_e32 v57, v59, v57
	v_mul_f32_e32 v59, 0x3f317218, v8
	v_dual_sub_f32 v9, v9, v55 :: v_dual_add_f32 v56, v58, v57
	s_delay_alu instid0(VALU_DEP_1) | instskip(NEXT) | instid1(VALU_DEP_2)
	v_ldexp_f32 v9, v9, 1
	v_sub_f32_e32 v55, v56, v58
	s_delay_alu instid0(VALU_DEP_4) | instskip(NEXT) | instid1(VALU_DEP_1)
	v_fma_f32 v58, 0x3f317218, v8, -v59
	v_dual_sub_f32 v55, v57, v55 :: v_dual_fmac_f32 v58, 0xb102e308, v8
	s_delay_alu instid0(VALU_DEP_1) | instskip(NEXT) | instid1(VALU_DEP_1)
	v_dual_add_f32 v8, v9, v55 :: v_dual_add_f32 v9, v59, v58
	v_add_f32_e32 v55, v56, v8
	s_delay_alu instid0(VALU_DEP_2) | instskip(NEXT) | instid1(VALU_DEP_2)
	v_sub_f32_e32 v59, v9, v59
	v_dual_add_f32 v57, v9, v55 :: v_dual_sub_f32 v56, v55, v56
	s_delay_alu instid0(VALU_DEP_2) | instskip(NEXT) | instid1(VALU_DEP_2)
	v_sub_f32_e32 v58, v58, v59
	v_sub_f32_e32 v60, v57, v9
	s_delay_alu instid0(VALU_DEP_3) | instskip(NEXT) | instid1(VALU_DEP_2)
	v_sub_f32_e32 v8, v8, v56
	v_sub_f32_e32 v61, v57, v60
	;; [unrolled: 1-line block ×3, first 2 shown]
	s_delay_alu instid0(VALU_DEP_2) | instskip(NEXT) | instid1(VALU_DEP_1)
	v_dual_add_f32 v56, v58, v8 :: v_dual_sub_f32 v9, v9, v61
	v_add_f32_e32 v9, v55, v9
	s_delay_alu instid0(VALU_DEP_2) | instskip(NEXT) | instid1(VALU_DEP_2)
	v_sub_f32_e32 v55, v56, v58
	v_add_f32_e32 v9, v56, v9
	s_delay_alu instid0(VALU_DEP_2) | instskip(NEXT) | instid1(VALU_DEP_2)
	v_sub_f32_e32 v56, v56, v55
	v_dual_sub_f32 v8, v8, v55 :: v_dual_add_f32 v59, v57, v9
	s_delay_alu instid0(VALU_DEP_1) | instskip(NEXT) | instid1(VALU_DEP_1)
	v_dual_sub_f32 v56, v58, v56 :: v_dual_sub_f32 v55, v59, v57
	v_dual_add_f32 v8, v8, v56 :: v_dual_sub_f32 v9, v9, v55
	s_delay_alu instid0(VALU_DEP_1) | instskip(NEXT) | instid1(VALU_DEP_1)
	v_add_f32_e32 v8, v8, v9
	v_add_f32_e32 v8, v59, v8
	s_delay_alu instid0(VALU_DEP_1)
	v_cndmask_b32_e32 v55, v8, v4, vcc_lo
.LBB108_48:                             ;   in Loop: Header=BB108_12 Depth=1
	s_or_b32 exec_lo, exec_lo, s21
	v_lshrrev_b32_e32 v4, 16, v5
	s_delay_alu instid0(VALU_DEP_1) | instskip(NEXT) | instid1(VALU_DEP_1)
	v_cvt_f32_f16_e32 v4, v4
	v_add_f32_e32 v56, s60, v4
	s_delay_alu instid0(VALU_DEP_1) | instskip(SKIP_1) | instid1(SALU_CYCLE_1)
	v_cmp_ge_f32_e32 vcc_lo, 0x41a00000, v56
	s_and_b32 s20, s67, vcc_lo
	s_and_saveexec_b32 s21, s20
	s_cbranch_execz .LBB108_50
; %bb.49:                               ;   in Loop: Header=BB108_12 Depth=1
	v_mul_f32_e32 v4, 0x3fb8aa3b, v56
	v_cmp_ngt_f32_e32 vcc_lo, 0xc2ce8ed0, v56
	s_delay_alu instid0(VALU_DEP_2) | instskip(SKIP_1) | instid1(VALU_DEP_2)
	v_rndne_f32_e32 v5, v4
	v_fma_f32 v8, 0x3fb8aa3b, v56, -v4
	v_sub_f32_e32 v4, v4, v5
	s_delay_alu instid0(VALU_DEP_2) | instskip(SKIP_1) | instid1(VALU_DEP_2)
	v_fmac_f32_e32 v8, 0x32a5705f, v56
	v_cvt_i32_f32_e32 v5, v5
	v_add_f32_e32 v4, v4, v8
	s_delay_alu instid0(VALU_DEP_1) | instskip(SKIP_2) | instid1(VALU_DEP_1)
	v_exp_f32_e32 v4, v4
	s_waitcnt_depctr 0xfff
	v_ldexp_f32 v4, v4, v5
	v_cndmask_b32_e32 v4, 0, v4, vcc_lo
	v_cmp_nlt_f32_e32 vcc_lo, 0x42b17218, v56
	s_delay_alu instid0(VALU_DEP_2) | instskip(NEXT) | instid1(VALU_DEP_1)
	v_cndmask_b32_e32 v8, 0x7f800000, v4, vcc_lo
	v_add_f32_e32 v9, 1.0, v8
	s_delay_alu instid0(VALU_DEP_1) | instskip(NEXT) | instid1(VALU_DEP_1)
	v_cvt_f64_f32_e32 v[4:5], v9
	v_frexp_exp_i32_f64_e32 v4, v[4:5]
	v_frexp_mant_f32_e32 v5, v9
	s_delay_alu instid0(VALU_DEP_1) | instskip(SKIP_1) | instid1(VALU_DEP_1)
	v_cmp_gt_f32_e32 vcc_lo, 0x3f2aaaab, v5
	v_add_f32_e32 v5, -1.0, v9
	v_sub_f32_e32 v57, v5, v9
	v_sub_f32_e32 v5, v8, v5
	s_delay_alu instid0(VALU_DEP_2) | instskip(NEXT) | instid1(VALU_DEP_1)
	v_add_f32_e32 v57, 1.0, v57
	v_add_f32_e32 v5, v5, v57
	v_cmp_gt_f32_e64 s20, 0x33800000, v8
	v_subrev_co_ci_u32_e32 v4, vcc_lo, 0, v4, vcc_lo
	v_cmp_eq_f32_e32 vcc_lo, 0x7f800000, v8
	s_delay_alu instid0(VALU_DEP_2) | instskip(SKIP_2) | instid1(VALU_DEP_2)
	v_sub_nc_u32_e32 v56, 0, v4
	v_cvt_f32_i32_e32 v4, v4
	s_or_b32 vcc_lo, s20, vcc_lo
	v_ldexp_f32 v9, v9, v56
	v_ldexp_f32 v5, v5, v56
	s_delay_alu instid0(VALU_DEP_2) | instskip(NEXT) | instid1(VALU_DEP_1)
	v_add_f32_e32 v56, -1.0, v9
	v_dual_add_f32 v58, 1.0, v9 :: v_dual_add_f32 v59, 1.0, v56
	s_delay_alu instid0(VALU_DEP_1) | instskip(NEXT) | instid1(VALU_DEP_1)
	v_add_f32_e32 v57, -1.0, v58
	v_sub_f32_e32 v57, v9, v57
	s_delay_alu instid0(VALU_DEP_3) | instskip(NEXT) | instid1(VALU_DEP_2)
	v_sub_f32_e32 v9, v9, v59
	v_add_f32_e32 v57, v5, v57
	s_delay_alu instid0(VALU_DEP_2) | instskip(NEXT) | instid1(VALU_DEP_1)
	v_add_f32_e32 v5, v5, v9
	v_add_f32_e32 v60, v56, v5
	s_delay_alu instid0(VALU_DEP_1) | instskip(NEXT) | instid1(VALU_DEP_1)
	v_dual_add_f32 v59, v58, v57 :: v_dual_sub_f32 v56, v56, v60
	v_rcp_f32_e32 v9, v59
	v_sub_f32_e32 v58, v58, v59
	s_delay_alu instid0(VALU_DEP_1) | instskip(SKIP_2) | instid1(VALU_DEP_1)
	v_add_f32_e32 v57, v57, v58
	s_waitcnt_depctr 0xfff
	v_mul_f32_e32 v61, v60, v9
	v_mul_f32_e32 v62, v59, v61
	s_delay_alu instid0(VALU_DEP_1) | instskip(NEXT) | instid1(VALU_DEP_1)
	v_fma_f32 v58, v61, v59, -v62
	v_fmac_f32_e32 v58, v61, v57
	s_delay_alu instid0(VALU_DEP_1) | instskip(NEXT) | instid1(VALU_DEP_1)
	v_add_f32_e32 v63, v62, v58
	v_sub_f32_e32 v64, v60, v63
	s_delay_alu instid0(VALU_DEP_1) | instskip(SKIP_1) | instid1(VALU_DEP_2)
	v_sub_f32_e32 v60, v60, v64
	v_dual_add_f32 v5, v5, v56 :: v_dual_sub_f32 v56, v63, v62
	v_sub_f32_e32 v60, v60, v63
	s_delay_alu instid0(VALU_DEP_1) | instskip(NEXT) | instid1(VALU_DEP_1)
	v_dual_sub_f32 v56, v56, v58 :: v_dual_add_f32 v5, v5, v60
	v_add_f32_e32 v5, v56, v5
	s_delay_alu instid0(VALU_DEP_1) | instskip(NEXT) | instid1(VALU_DEP_1)
	v_add_f32_e32 v56, v64, v5
	v_mul_f32_e32 v58, v9, v56
	s_delay_alu instid0(VALU_DEP_1) | instskip(NEXT) | instid1(VALU_DEP_1)
	v_dual_sub_f32 v63, v64, v56 :: v_dual_mul_f32 v60, v59, v58
	v_add_f32_e32 v5, v5, v63
	s_delay_alu instid0(VALU_DEP_2) | instskip(NEXT) | instid1(VALU_DEP_1)
	v_fma_f32 v59, v58, v59, -v60
	v_fmac_f32_e32 v59, v58, v57
	s_delay_alu instid0(VALU_DEP_1) | instskip(NEXT) | instid1(VALU_DEP_1)
	v_add_f32_e32 v57, v60, v59
	v_sub_f32_e32 v62, v56, v57
	s_delay_alu instid0(VALU_DEP_1) | instskip(NEXT) | instid1(VALU_DEP_1)
	v_sub_f32_e32 v56, v56, v62
	v_sub_f32_e32 v56, v56, v57
	s_delay_alu instid0(VALU_DEP_1) | instskip(SKIP_2) | instid1(VALU_DEP_1)
	v_add_f32_e32 v5, v5, v56
	v_add_f32_e32 v56, v61, v58
	v_sub_f32_e32 v60, v57, v60
	v_sub_f32_e32 v57, v60, v59
	s_delay_alu instid0(VALU_DEP_1) | instskip(NEXT) | instid1(VALU_DEP_4)
	v_add_f32_e32 v5, v57, v5
	v_sub_f32_e32 v57, v56, v61
	s_delay_alu instid0(VALU_DEP_2) | instskip(NEXT) | instid1(VALU_DEP_2)
	v_add_f32_e32 v5, v62, v5
	v_sub_f32_e32 v57, v58, v57
	s_delay_alu instid0(VALU_DEP_2) | instskip(NEXT) | instid1(VALU_DEP_1)
	v_mul_f32_e32 v5, v9, v5
	v_add_f32_e32 v5, v57, v5
	s_delay_alu instid0(VALU_DEP_1) | instskip(NEXT) | instid1(VALU_DEP_1)
	v_add_f32_e32 v9, v56, v5
	v_mul_f32_e32 v57, v9, v9
	s_delay_alu instid0(VALU_DEP_1) | instskip(SKIP_1) | instid1(VALU_DEP_2)
	v_fmaak_f32 v58, s54, v57, 0x3ecc95a3
	v_mul_f32_e32 v59, v9, v57
	v_fmaak_f32 v57, v57, v58, 0x3f2aaada
	v_ldexp_f32 v58, v9, 1
	s_delay_alu instid0(VALU_DEP_2) | instskip(NEXT) | instid1(VALU_DEP_1)
	v_mul_f32_e32 v57, v59, v57
	v_dual_sub_f32 v9, v9, v56 :: v_dual_add_f32 v56, v58, v57
	s_delay_alu instid0(VALU_DEP_1) | instskip(NEXT) | instid1(VALU_DEP_2)
	v_sub_f32_e32 v5, v5, v9
	v_sub_f32_e32 v9, v56, v58
	s_delay_alu instid0(VALU_DEP_2) | instskip(NEXT) | instid1(VALU_DEP_2)
	v_ldexp_f32 v5, v5, 1
	v_sub_f32_e32 v9, v57, v9
	v_mul_f32_e32 v59, 0x3f317218, v4
	s_delay_alu instid0(VALU_DEP_1) | instskip(NEXT) | instid1(VALU_DEP_1)
	v_fma_f32 v58, 0x3f317218, v4, -v59
	v_fmac_f32_e32 v58, 0xb102e308, v4
	s_delay_alu instid0(VALU_DEP_1) | instskip(NEXT) | instid1(VALU_DEP_1)
	v_dual_add_f32 v4, v5, v9 :: v_dual_add_f32 v5, v59, v58
	v_add_f32_e32 v9, v56, v4
	s_delay_alu instid0(VALU_DEP_1) | instskip(SKIP_1) | instid1(VALU_DEP_2)
	v_add_f32_e32 v57, v5, v9
	v_sub_f32_e32 v56, v9, v56
	v_sub_f32_e32 v60, v57, v5
	s_delay_alu instid0(VALU_DEP_2) | instskip(NEXT) | instid1(VALU_DEP_2)
	v_dual_sub_f32 v4, v4, v56 :: v_dual_sub_f32 v59, v5, v59
	v_sub_f32_e32 v61, v57, v60
	s_delay_alu instid0(VALU_DEP_2) | instskip(NEXT) | instid1(VALU_DEP_1)
	v_dual_sub_f32 v9, v9, v60 :: v_dual_sub_f32 v58, v58, v59
	v_dual_sub_f32 v5, v5, v61 :: v_dual_add_f32 v56, v58, v4
	s_delay_alu instid0(VALU_DEP_1) | instskip(NEXT) | instid1(VALU_DEP_2)
	v_add_f32_e32 v5, v9, v5
	v_sub_f32_e32 v9, v56, v58
	s_delay_alu instid0(VALU_DEP_2) | instskip(NEXT) | instid1(VALU_DEP_2)
	v_add_f32_e32 v5, v56, v5
	v_sub_f32_e32 v56, v56, v9
	v_sub_f32_e32 v4, v4, v9
	s_delay_alu instid0(VALU_DEP_2) | instskip(NEXT) | instid1(VALU_DEP_1)
	v_dual_add_f32 v59, v57, v5 :: v_dual_sub_f32 v56, v58, v56
	v_dual_sub_f32 v9, v59, v57 :: v_dual_add_f32 v4, v4, v56
	s_delay_alu instid0(VALU_DEP_1) | instskip(NEXT) | instid1(VALU_DEP_1)
	v_sub_f32_e32 v5, v5, v9
	v_add_f32_e32 v4, v4, v5
	s_delay_alu instid0(VALU_DEP_1) | instskip(NEXT) | instid1(VALU_DEP_1)
	v_add_f32_e32 v4, v59, v4
	v_cndmask_b32_e32 v56, v4, v8, vcc_lo
.LBB108_50:                             ;   in Loop: Header=BB108_12 Depth=1
	s_or_b32 exec_lo, exec_lo, s21
	v_cvt_f32_f16_e32 v4, v6
	s_delay_alu instid0(VALU_DEP_1) | instskip(NEXT) | instid1(VALU_DEP_1)
	v_add_f32_e32 v65, s60, v4
	v_cmp_ge_f32_e32 vcc_lo, 0x41a00000, v65
	s_and_b32 s20, s67, vcc_lo
	s_delay_alu instid0(SALU_CYCLE_1)
	s_and_saveexec_b32 s21, s20
	s_cbranch_execz .LBB108_52
; %bb.51:                               ;   in Loop: Header=BB108_12 Depth=1
	v_mul_f32_e32 v4, 0x3fb8aa3b, v65
	v_cmp_ngt_f32_e32 vcc_lo, 0xc2ce8ed0, v65
	s_delay_alu instid0(VALU_DEP_2) | instskip(SKIP_1) | instid1(VALU_DEP_2)
	v_rndne_f32_e32 v5, v4
	v_fma_f32 v8, 0x3fb8aa3b, v65, -v4
	v_sub_f32_e32 v4, v4, v5
	s_delay_alu instid0(VALU_DEP_2) | instskip(SKIP_1) | instid1(VALU_DEP_2)
	v_fmac_f32_e32 v8, 0x32a5705f, v65
	v_cvt_i32_f32_e32 v5, v5
	v_add_f32_e32 v4, v4, v8
	s_delay_alu instid0(VALU_DEP_1) | instskip(SKIP_2) | instid1(VALU_DEP_1)
	v_exp_f32_e32 v4, v4
	s_waitcnt_depctr 0xfff
	v_ldexp_f32 v4, v4, v5
	v_cndmask_b32_e32 v4, 0, v4, vcc_lo
	v_cmp_nlt_f32_e32 vcc_lo, 0x42b17218, v65
	s_delay_alu instid0(VALU_DEP_2) | instskip(NEXT) | instid1(VALU_DEP_1)
	v_cndmask_b32_e32 v8, 0x7f800000, v4, vcc_lo
	v_add_f32_e32 v9, 1.0, v8
	s_delay_alu instid0(VALU_DEP_1) | instskip(NEXT) | instid1(VALU_DEP_1)
	v_cvt_f64_f32_e32 v[4:5], v9
	v_frexp_exp_i32_f64_e32 v4, v[4:5]
	v_frexp_mant_f32_e32 v5, v9
	s_delay_alu instid0(VALU_DEP_1) | instskip(SKIP_1) | instid1(VALU_DEP_1)
	v_cmp_gt_f32_e32 vcc_lo, 0x3f2aaaab, v5
	v_add_f32_e32 v5, -1.0, v9
	v_sub_f32_e32 v58, v5, v9
	v_subrev_co_ci_u32_e32 v4, vcc_lo, 0, v4, vcc_lo
	s_delay_alu instid0(VALU_DEP_1) | instskip(SKIP_1) | instid1(VALU_DEP_2)
	v_sub_nc_u32_e32 v57, 0, v4
	v_cvt_f32_i32_e32 v4, v4
	v_ldexp_f32 v9, v9, v57
	s_delay_alu instid0(VALU_DEP_1) | instskip(SKIP_3) | instid1(VALU_DEP_3)
	v_dual_add_f32 v58, 1.0, v58 :: v_dual_add_f32 v59, 1.0, v9
	v_sub_f32_e32 v5, v8, v5
	v_cmp_eq_f32_e32 vcc_lo, 0x7f800000, v8
	v_cmp_gt_f32_e64 s20, 0x33800000, v8
	v_add_f32_e32 v5, v5, v58
	s_delay_alu instid0(VALU_DEP_2) | instskip(NEXT) | instid1(VALU_DEP_1)
	s_or_b32 vcc_lo, s20, vcc_lo
	v_ldexp_f32 v5, v5, v57
	v_dual_add_f32 v57, -1.0, v9 :: v_dual_add_f32 v58, -1.0, v59
	s_delay_alu instid0(VALU_DEP_1) | instskip(NEXT) | instid1(VALU_DEP_2)
	v_add_f32_e32 v60, 1.0, v57
	v_sub_f32_e32 v58, v9, v58
	s_delay_alu instid0(VALU_DEP_2) | instskip(NEXT) | instid1(VALU_DEP_2)
	v_sub_f32_e32 v9, v9, v60
	v_add_f32_e32 v58, v5, v58
	s_delay_alu instid0(VALU_DEP_1) | instskip(NEXT) | instid1(VALU_DEP_1)
	v_dual_add_f32 v5, v5, v9 :: v_dual_add_f32 v60, v59, v58
	v_add_f32_e32 v61, v57, v5
	s_delay_alu instid0(VALU_DEP_2) | instskip(SKIP_1) | instid1(VALU_DEP_1)
	v_rcp_f32_e32 v9, v60
	v_sub_f32_e32 v59, v59, v60
	v_dual_sub_f32 v57, v57, v61 :: v_dual_add_f32 v58, v58, v59
	s_delay_alu instid0(VALU_DEP_1) | instskip(SKIP_2) | instid1(VALU_DEP_1)
	v_add_f32_e32 v5, v5, v57
	s_waitcnt_depctr 0xfff
	v_mul_f32_e32 v62, v61, v9
	v_mul_f32_e32 v63, v60, v62
	s_delay_alu instid0(VALU_DEP_1) | instskip(NEXT) | instid1(VALU_DEP_1)
	v_fma_f32 v59, v62, v60, -v63
	v_fmac_f32_e32 v59, v62, v58
	s_delay_alu instid0(VALU_DEP_1) | instskip(NEXT) | instid1(VALU_DEP_1)
	v_add_f32_e32 v64, v63, v59
	v_sub_f32_e32 v65, v61, v64
	v_sub_f32_e32 v57, v64, v63
	s_delay_alu instid0(VALU_DEP_2) | instskip(NEXT) | instid1(VALU_DEP_2)
	v_sub_f32_e32 v61, v61, v65
	v_sub_f32_e32 v57, v57, v59
	s_delay_alu instid0(VALU_DEP_2) | instskip(NEXT) | instid1(VALU_DEP_1)
	v_sub_f32_e32 v61, v61, v64
	v_add_f32_e32 v5, v5, v61
	s_delay_alu instid0(VALU_DEP_1) | instskip(NEXT) | instid1(VALU_DEP_1)
	v_add_f32_e32 v5, v57, v5
	v_add_f32_e32 v57, v65, v5
	s_delay_alu instid0(VALU_DEP_1) | instskip(NEXT) | instid1(VALU_DEP_1)
	v_mul_f32_e32 v59, v9, v57
	v_mul_f32_e32 v61, v60, v59
	s_delay_alu instid0(VALU_DEP_1) | instskip(NEXT) | instid1(VALU_DEP_1)
	v_fma_f32 v60, v59, v60, -v61
	v_fmac_f32_e32 v60, v59, v58
	v_sub_f32_e32 v64, v65, v57
	s_delay_alu instid0(VALU_DEP_2) | instskip(NEXT) | instid1(VALU_DEP_2)
	v_add_f32_e32 v58, v61, v60
	v_add_f32_e32 v5, v5, v64
	s_delay_alu instid0(VALU_DEP_2) | instskip(NEXT) | instid1(VALU_DEP_1)
	v_sub_f32_e32 v63, v57, v58
	v_sub_f32_e32 v57, v57, v63
	s_delay_alu instid0(VALU_DEP_1) | instskip(NEXT) | instid1(VALU_DEP_1)
	v_sub_f32_e32 v57, v57, v58
	v_add_f32_e32 v5, v5, v57
	v_add_f32_e32 v57, v62, v59
	v_sub_f32_e32 v61, v58, v61
	s_delay_alu instid0(VALU_DEP_1) | instskip(NEXT) | instid1(VALU_DEP_1)
	v_sub_f32_e32 v58, v61, v60
	v_dual_add_f32 v5, v58, v5 :: v_dual_sub_f32 v58, v57, v62
	s_delay_alu instid0(VALU_DEP_1) | instskip(NEXT) | instid1(VALU_DEP_1)
	v_add_f32_e32 v5, v63, v5
	v_dual_sub_f32 v58, v59, v58 :: v_dual_mul_f32 v5, v9, v5
	s_delay_alu instid0(VALU_DEP_1) | instskip(NEXT) | instid1(VALU_DEP_1)
	v_add_f32_e32 v5, v58, v5
	v_add_f32_e32 v9, v57, v5
	s_delay_alu instid0(VALU_DEP_1) | instskip(NEXT) | instid1(VALU_DEP_1)
	v_mul_f32_e32 v58, v9, v9
	v_fmaak_f32 v59, s54, v58, 0x3ecc95a3
	v_mul_f32_e32 v60, v9, v58
	s_delay_alu instid0(VALU_DEP_2) | instskip(SKIP_1) | instid1(VALU_DEP_2)
	v_fmaak_f32 v58, v58, v59, 0x3f2aaada
	v_ldexp_f32 v59, v9, 1
	v_dual_sub_f32 v9, v9, v57 :: v_dual_mul_f32 v58, v60, v58
	s_delay_alu instid0(VALU_DEP_1) | instskip(NEXT) | instid1(VALU_DEP_2)
	v_dual_mul_f32 v60, 0x3f317218, v4 :: v_dual_sub_f32 v5, v5, v9
	v_add_f32_e32 v57, v59, v58
	s_delay_alu instid0(VALU_DEP_2) | instskip(NEXT) | instid1(VALU_DEP_2)
	v_ldexp_f32 v5, v5, 1
	v_sub_f32_e32 v9, v57, v59
	s_delay_alu instid0(VALU_DEP_4) | instskip(NEXT) | instid1(VALU_DEP_2)
	v_fma_f32 v59, 0x3f317218, v4, -v60
	v_sub_f32_e32 v9, v58, v9
	s_delay_alu instid0(VALU_DEP_1) | instskip(NEXT) | instid1(VALU_DEP_1)
	v_dual_fmac_f32 v59, 0xb102e308, v4 :: v_dual_add_f32 v4, v5, v9
	v_add_f32_e32 v5, v60, v59
	s_delay_alu instid0(VALU_DEP_2) | instskip(NEXT) | instid1(VALU_DEP_2)
	v_add_f32_e32 v9, v57, v4
	v_sub_f32_e32 v60, v5, v60
	s_delay_alu instid0(VALU_DEP_1) | instskip(SKIP_1) | instid1(VALU_DEP_2)
	v_dual_add_f32 v58, v5, v9 :: v_dual_sub_f32 v59, v59, v60
	v_sub_f32_e32 v57, v9, v57
	v_sub_f32_e32 v61, v58, v5
	s_delay_alu instid0(VALU_DEP_2) | instskip(NEXT) | instid1(VALU_DEP_2)
	v_sub_f32_e32 v4, v4, v57
	v_sub_f32_e32 v62, v58, v61
	;; [unrolled: 1-line block ×3, first 2 shown]
	s_delay_alu instid0(VALU_DEP_3) | instskip(NEXT) | instid1(VALU_DEP_3)
	v_add_f32_e32 v57, v59, v4
	v_sub_f32_e32 v5, v5, v62
	s_delay_alu instid0(VALU_DEP_1) | instskip(NEXT) | instid1(VALU_DEP_3)
	v_add_f32_e32 v5, v9, v5
	v_sub_f32_e32 v9, v57, v59
	s_delay_alu instid0(VALU_DEP_2) | instskip(NEXT) | instid1(VALU_DEP_2)
	v_add_f32_e32 v5, v57, v5
	v_sub_f32_e32 v57, v57, v9
	v_sub_f32_e32 v4, v4, v9
	s_delay_alu instid0(VALU_DEP_3) | instskip(NEXT) | instid1(VALU_DEP_3)
	v_add_f32_e32 v60, v58, v5
	v_sub_f32_e32 v57, v59, v57
	s_delay_alu instid0(VALU_DEP_2) | instskip(NEXT) | instid1(VALU_DEP_2)
	v_sub_f32_e32 v9, v60, v58
	v_add_f32_e32 v4, v4, v57
	s_delay_alu instid0(VALU_DEP_2) | instskip(NEXT) | instid1(VALU_DEP_1)
	v_sub_f32_e32 v5, v5, v9
	v_add_f32_e32 v4, v4, v5
	s_delay_alu instid0(VALU_DEP_1) | instskip(NEXT) | instid1(VALU_DEP_1)
	v_add_f32_e32 v4, v60, v4
	v_cndmask_b32_e32 v65, v4, v8, vcc_lo
.LBB108_52:                             ;   in Loop: Header=BB108_12 Depth=1
	s_or_b32 exec_lo, exec_lo, s21
	v_lshrrev_b32_e32 v4, 16, v6
	s_delay_alu instid0(VALU_DEP_1) | instskip(NEXT) | instid1(VALU_DEP_1)
	v_cvt_f32_f16_e32 v4, v4
	v_add_f32_e32 v66, s60, v4
	s_delay_alu instid0(VALU_DEP_1) | instskip(SKIP_1) | instid1(SALU_CYCLE_1)
	v_cmp_ge_f32_e32 vcc_lo, 0x41a00000, v66
	s_and_b32 s20, s67, vcc_lo
	s_and_saveexec_b32 s21, s20
	s_cbranch_execz .LBB108_54
; %bb.53:                               ;   in Loop: Header=BB108_12 Depth=1
	v_mul_f32_e32 v4, 0x3fb8aa3b, v66
	v_cmp_ngt_f32_e32 vcc_lo, 0xc2ce8ed0, v66
	s_delay_alu instid0(VALU_DEP_2) | instskip(SKIP_1) | instid1(VALU_DEP_2)
	v_rndne_f32_e32 v5, v4
	v_fma_f32 v6, 0x3fb8aa3b, v66, -v4
	v_sub_f32_e32 v4, v4, v5
	s_delay_alu instid0(VALU_DEP_2) | instskip(SKIP_1) | instid1(VALU_DEP_2)
	v_fmac_f32_e32 v6, 0x32a5705f, v66
	v_cvt_i32_f32_e32 v5, v5
	v_add_f32_e32 v4, v4, v6
	s_delay_alu instid0(VALU_DEP_1) | instskip(SKIP_2) | instid1(VALU_DEP_1)
	v_exp_f32_e32 v4, v4
	s_waitcnt_depctr 0xfff
	v_ldexp_f32 v4, v4, v5
	v_cndmask_b32_e32 v4, 0, v4, vcc_lo
	v_cmp_nlt_f32_e32 vcc_lo, 0x42b17218, v66
	s_delay_alu instid0(VALU_DEP_2) | instskip(NEXT) | instid1(VALU_DEP_1)
	v_cndmask_b32_e32 v6, 0x7f800000, v4, vcc_lo
	v_add_f32_e32 v8, 1.0, v6
	s_delay_alu instid0(VALU_DEP_1) | instskip(NEXT) | instid1(VALU_DEP_1)
	v_cvt_f64_f32_e32 v[4:5], v8
	v_frexp_exp_i32_f64_e32 v4, v[4:5]
	v_frexp_mant_f32_e32 v5, v8
	s_delay_alu instid0(VALU_DEP_1) | instskip(SKIP_1) | instid1(VALU_DEP_1)
	v_cmp_gt_f32_e32 vcc_lo, 0x3f2aaaab, v5
	v_add_f32_e32 v5, -1.0, v8
	v_sub_f32_e32 v57, v5, v8
	v_sub_f32_e32 v5, v6, v5
	s_delay_alu instid0(VALU_DEP_2) | instskip(NEXT) | instid1(VALU_DEP_1)
	v_add_f32_e32 v57, 1.0, v57
	v_add_f32_e32 v5, v5, v57
	v_subrev_co_ci_u32_e32 v4, vcc_lo, 0, v4, vcc_lo
	s_delay_alu instid0(VALU_DEP_1) | instskip(SKIP_1) | instid1(VALU_DEP_2)
	v_sub_nc_u32_e32 v9, 0, v4
	v_cvt_f32_i32_e32 v4, v4
	v_ldexp_f32 v8, v8, v9
	v_ldexp_f32 v5, v5, v9
	s_delay_alu instid0(VALU_DEP_2) | instskip(SKIP_1) | instid1(VALU_DEP_2)
	v_add_f32_e32 v58, 1.0, v8
	v_add_f32_e32 v9, -1.0, v8
	v_add_f32_e32 v57, -1.0, v58
	s_delay_alu instid0(VALU_DEP_2) | instskip(SKIP_2) | instid1(VALU_DEP_4)
	v_add_f32_e32 v59, 1.0, v9
	v_cmp_eq_f32_e32 vcc_lo, 0x7f800000, v6
	v_cmp_gt_f32_e64 s20, 0x33800000, v6
	v_sub_f32_e32 v57, v8, v57
	s_delay_alu instid0(VALU_DEP_4) | instskip(NEXT) | instid1(VALU_DEP_3)
	v_sub_f32_e32 v8, v8, v59
	s_or_b32 vcc_lo, s20, vcc_lo
	s_delay_alu instid0(VALU_DEP_2) | instskip(NEXT) | instid1(VALU_DEP_2)
	v_add_f32_e32 v57, v5, v57
	v_add_f32_e32 v5, v5, v8
	s_delay_alu instid0(VALU_DEP_1) | instskip(NEXT) | instid1(VALU_DEP_3)
	v_add_f32_e32 v60, v9, v5
	v_add_f32_e32 v59, v58, v57
	s_delay_alu instid0(VALU_DEP_1) | instskip(SKIP_1) | instid1(VALU_DEP_1)
	v_rcp_f32_e32 v8, v59
	v_sub_f32_e32 v58, v58, v59
	v_add_f32_e32 v57, v57, v58
	s_waitcnt_depctr 0xfff
	v_mul_f32_e32 v61, v60, v8
	s_delay_alu instid0(VALU_DEP_1) | instskip(NEXT) | instid1(VALU_DEP_1)
	v_mul_f32_e32 v62, v59, v61
	v_fma_f32 v58, v61, v59, -v62
	s_delay_alu instid0(VALU_DEP_1) | instskip(NEXT) | instid1(VALU_DEP_1)
	v_fmac_f32_e32 v58, v61, v57
	v_add_f32_e32 v63, v62, v58
	s_delay_alu instid0(VALU_DEP_1) | instskip(NEXT) | instid1(VALU_DEP_1)
	v_dual_sub_f32 v9, v9, v60 :: v_dual_sub_f32 v64, v60, v63
	v_sub_f32_e32 v60, v60, v64
	s_delay_alu instid0(VALU_DEP_1) | instskip(SKIP_1) | instid1(VALU_DEP_2)
	v_dual_sub_f32 v60, v60, v63 :: v_dual_add_f32 v5, v5, v9
	v_sub_f32_e32 v9, v63, v62
	v_add_f32_e32 v5, v5, v60
	s_delay_alu instid0(VALU_DEP_2) | instskip(NEXT) | instid1(VALU_DEP_1)
	v_sub_f32_e32 v9, v9, v58
	v_add_f32_e32 v5, v9, v5
	s_delay_alu instid0(VALU_DEP_1) | instskip(NEXT) | instid1(VALU_DEP_1)
	v_add_f32_e32 v9, v64, v5
	v_mul_f32_e32 v58, v8, v9
	s_delay_alu instid0(VALU_DEP_1) | instskip(NEXT) | instid1(VALU_DEP_1)
	v_mul_f32_e32 v60, v59, v58
	v_fma_f32 v59, v58, v59, -v60
	s_delay_alu instid0(VALU_DEP_1) | instskip(NEXT) | instid1(VALU_DEP_1)
	v_fmac_f32_e32 v59, v58, v57
	v_add_f32_e32 v57, v60, v59
	s_delay_alu instid0(VALU_DEP_1) | instskip(SKIP_2) | instid1(VALU_DEP_2)
	v_sub_f32_e32 v60, v57, v60
	v_sub_f32_e32 v62, v9, v57
	v_sub_f32_e32 v63, v64, v9
	v_sub_f32_e32 v9, v9, v62
	s_delay_alu instid0(VALU_DEP_2) | instskip(NEXT) | instid1(VALU_DEP_2)
	v_add_f32_e32 v5, v5, v63
	v_sub_f32_e32 v9, v9, v57
	v_sub_f32_e32 v57, v60, v59
	s_delay_alu instid0(VALU_DEP_2) | instskip(SKIP_1) | instid1(VALU_DEP_2)
	v_add_f32_e32 v5, v5, v9
	v_add_f32_e32 v9, v61, v58
	;; [unrolled: 1-line block ×3, first 2 shown]
	s_delay_alu instid0(VALU_DEP_2) | instskip(NEXT) | instid1(VALU_DEP_2)
	v_sub_f32_e32 v57, v9, v61
	v_add_f32_e32 v5, v62, v5
	s_delay_alu instid0(VALU_DEP_2) | instskip(NEXT) | instid1(VALU_DEP_2)
	v_sub_f32_e32 v57, v58, v57
	v_mul_f32_e32 v5, v8, v5
	s_delay_alu instid0(VALU_DEP_1) | instskip(NEXT) | instid1(VALU_DEP_1)
	v_add_f32_e32 v5, v57, v5
	v_add_f32_e32 v8, v9, v5
	s_delay_alu instid0(VALU_DEP_1) | instskip(NEXT) | instid1(VALU_DEP_1)
	v_mul_f32_e32 v57, v8, v8
	v_fmaak_f32 v58, s54, v57, 0x3ecc95a3
	v_mul_f32_e32 v59, v8, v57
	s_delay_alu instid0(VALU_DEP_2) | instskip(SKIP_2) | instid1(VALU_DEP_3)
	v_fmaak_f32 v57, v57, v58, 0x3f2aaada
	v_ldexp_f32 v58, v8, 1
	v_sub_f32_e32 v8, v8, v9
	v_mul_f32_e32 v57, v59, v57
	v_mul_f32_e32 v59, 0x3f317218, v4
	s_delay_alu instid0(VALU_DEP_3) | instskip(NEXT) | instid1(VALU_DEP_3)
	v_sub_f32_e32 v5, v5, v8
	v_add_f32_e32 v9, v58, v57
	s_delay_alu instid0(VALU_DEP_2) | instskip(NEXT) | instid1(VALU_DEP_2)
	v_ldexp_f32 v5, v5, 1
	v_sub_f32_e32 v8, v9, v58
	v_fma_f32 v58, 0x3f317218, v4, -v59
	s_delay_alu instid0(VALU_DEP_2) | instskip(NEXT) | instid1(VALU_DEP_2)
	v_sub_f32_e32 v8, v57, v8
	v_fmac_f32_e32 v58, 0xb102e308, v4
	s_delay_alu instid0(VALU_DEP_1) | instskip(NEXT) | instid1(VALU_DEP_1)
	v_dual_add_f32 v4, v5, v8 :: v_dual_add_f32 v5, v59, v58
	v_add_f32_e32 v8, v9, v4
	s_delay_alu instid0(VALU_DEP_1) | instskip(SKIP_1) | instid1(VALU_DEP_2)
	v_add_f32_e32 v57, v5, v8
	v_sub_f32_e32 v9, v8, v9
	v_sub_f32_e32 v60, v57, v5
	s_delay_alu instid0(VALU_DEP_2) | instskip(NEXT) | instid1(VALU_DEP_1)
	v_dual_sub_f32 v59, v5, v59 :: v_dual_sub_f32 v4, v4, v9
	v_dual_sub_f32 v61, v57, v60 :: v_dual_sub_f32 v58, v58, v59
	s_delay_alu instid0(VALU_DEP_1) | instskip(NEXT) | instid1(VALU_DEP_2)
	v_dual_sub_f32 v8, v8, v60 :: v_dual_sub_f32 v5, v5, v61
	v_add_f32_e32 v9, v58, v4
	s_delay_alu instid0(VALU_DEP_1) | instskip(NEXT) | instid1(VALU_DEP_1)
	v_dual_add_f32 v5, v8, v5 :: v_dual_sub_f32 v8, v9, v58
	v_add_f32_e32 v5, v9, v5
	s_delay_alu instid0(VALU_DEP_2) | instskip(NEXT) | instid1(VALU_DEP_2)
	v_sub_f32_e32 v9, v9, v8
	v_dual_sub_f32 v4, v4, v8 :: v_dual_add_f32 v59, v57, v5
	s_delay_alu instid0(VALU_DEP_2) | instskip(NEXT) | instid1(VALU_DEP_2)
	v_sub_f32_e32 v9, v58, v9
	v_sub_f32_e32 v8, v59, v57
	s_delay_alu instid0(VALU_DEP_1) | instskip(NEXT) | instid1(VALU_DEP_1)
	v_dual_add_f32 v4, v4, v9 :: v_dual_sub_f32 v5, v5, v8
	v_add_f32_e32 v4, v4, v5
	s_delay_alu instid0(VALU_DEP_1) | instskip(NEXT) | instid1(VALU_DEP_1)
	v_add_f32_e32 v4, v59, v4
	v_cndmask_b32_e32 v66, v4, v6, vcc_lo
.LBB108_54:                             ;   in Loop: Header=BB108_12 Depth=1
	s_or_b32 exec_lo, exec_lo, s21
	v_cvt_f32_f16_e32 v4, v7
	s_delay_alu instid0(VALU_DEP_1) | instskip(NEXT) | instid1(VALU_DEP_1)
	v_add_f32_e32 v67, s60, v4
	v_cmp_ge_f32_e32 vcc_lo, 0x41a00000, v67
	s_and_b32 s20, s67, vcc_lo
	s_delay_alu instid0(SALU_CYCLE_1)
	s_and_saveexec_b32 s21, s20
	s_cbranch_execz .LBB108_56
; %bb.55:                               ;   in Loop: Header=BB108_12 Depth=1
	v_mul_f32_e32 v4, 0x3fb8aa3b, v67
	v_cmp_ngt_f32_e32 vcc_lo, 0xc2ce8ed0, v67
	s_delay_alu instid0(VALU_DEP_2) | instskip(SKIP_1) | instid1(VALU_DEP_2)
	v_rndne_f32_e32 v5, v4
	v_fma_f32 v6, 0x3fb8aa3b, v67, -v4
	v_sub_f32_e32 v4, v4, v5
	s_delay_alu instid0(VALU_DEP_2) | instskip(SKIP_1) | instid1(VALU_DEP_2)
	v_fmac_f32_e32 v6, 0x32a5705f, v67
	v_cvt_i32_f32_e32 v5, v5
	v_add_f32_e32 v4, v4, v6
	s_delay_alu instid0(VALU_DEP_1) | instskip(SKIP_2) | instid1(VALU_DEP_1)
	v_exp_f32_e32 v4, v4
	s_waitcnt_depctr 0xfff
	v_ldexp_f32 v4, v4, v5
	v_cndmask_b32_e32 v4, 0, v4, vcc_lo
	v_cmp_nlt_f32_e32 vcc_lo, 0x42b17218, v67
	s_delay_alu instid0(VALU_DEP_2) | instskip(NEXT) | instid1(VALU_DEP_1)
	v_cndmask_b32_e32 v6, 0x7f800000, v4, vcc_lo
	v_add_f32_e32 v8, 1.0, v6
	s_delay_alu instid0(VALU_DEP_1) | instskip(NEXT) | instid1(VALU_DEP_1)
	v_cvt_f64_f32_e32 v[4:5], v8
	v_frexp_exp_i32_f64_e32 v4, v[4:5]
	v_frexp_mant_f32_e32 v5, v8
	s_delay_alu instid0(VALU_DEP_1) | instskip(SKIP_1) | instid1(VALU_DEP_1)
	v_cmp_gt_f32_e32 vcc_lo, 0x3f2aaaab, v5
	v_add_f32_e32 v5, -1.0, v8
	v_sub_f32_e32 v57, v5, v8
	v_sub_f32_e32 v5, v6, v5
	s_delay_alu instid0(VALU_DEP_2) | instskip(NEXT) | instid1(VALU_DEP_1)
	v_add_f32_e32 v57, 1.0, v57
	v_add_f32_e32 v5, v5, v57
	v_subrev_co_ci_u32_e32 v4, vcc_lo, 0, v4, vcc_lo
	s_delay_alu instid0(VALU_DEP_1) | instskip(SKIP_1) | instid1(VALU_DEP_2)
	v_sub_nc_u32_e32 v9, 0, v4
	v_cvt_f32_i32_e32 v4, v4
	v_ldexp_f32 v8, v8, v9
	v_ldexp_f32 v5, v5, v9
	s_delay_alu instid0(VALU_DEP_2) | instskip(SKIP_1) | instid1(VALU_DEP_2)
	v_add_f32_e32 v58, 1.0, v8
	v_add_f32_e32 v9, -1.0, v8
	v_add_f32_e32 v57, -1.0, v58
	s_delay_alu instid0(VALU_DEP_2) | instskip(SKIP_2) | instid1(VALU_DEP_4)
	v_add_f32_e32 v59, 1.0, v9
	v_cmp_eq_f32_e32 vcc_lo, 0x7f800000, v6
	v_cmp_gt_f32_e64 s20, 0x33800000, v6
	v_sub_f32_e32 v57, v8, v57
	s_delay_alu instid0(VALU_DEP_4) | instskip(NEXT) | instid1(VALU_DEP_3)
	v_sub_f32_e32 v8, v8, v59
	s_or_b32 vcc_lo, s20, vcc_lo
	s_delay_alu instid0(VALU_DEP_2) | instskip(NEXT) | instid1(VALU_DEP_2)
	v_add_f32_e32 v57, v5, v57
	v_add_f32_e32 v5, v5, v8
	s_delay_alu instid0(VALU_DEP_1) | instskip(NEXT) | instid1(VALU_DEP_3)
	v_add_f32_e32 v60, v9, v5
	v_add_f32_e32 v59, v58, v57
	s_delay_alu instid0(VALU_DEP_1) | instskip(SKIP_1) | instid1(VALU_DEP_1)
	v_rcp_f32_e32 v8, v59
	v_sub_f32_e32 v58, v58, v59
	v_add_f32_e32 v57, v57, v58
	s_waitcnt_depctr 0xfff
	v_mul_f32_e32 v61, v60, v8
	s_delay_alu instid0(VALU_DEP_1) | instskip(NEXT) | instid1(VALU_DEP_1)
	v_mul_f32_e32 v62, v59, v61
	v_fma_f32 v58, v61, v59, -v62
	s_delay_alu instid0(VALU_DEP_1) | instskip(NEXT) | instid1(VALU_DEP_1)
	v_fmac_f32_e32 v58, v61, v57
	v_add_f32_e32 v63, v62, v58
	s_delay_alu instid0(VALU_DEP_1) | instskip(NEXT) | instid1(VALU_DEP_1)
	v_dual_sub_f32 v9, v9, v60 :: v_dual_sub_f32 v64, v60, v63
	v_sub_f32_e32 v60, v60, v64
	s_delay_alu instid0(VALU_DEP_1) | instskip(SKIP_1) | instid1(VALU_DEP_2)
	v_dual_sub_f32 v60, v60, v63 :: v_dual_add_f32 v5, v5, v9
	v_sub_f32_e32 v9, v63, v62
	v_add_f32_e32 v5, v5, v60
	s_delay_alu instid0(VALU_DEP_2) | instskip(NEXT) | instid1(VALU_DEP_1)
	v_sub_f32_e32 v9, v9, v58
	v_add_f32_e32 v5, v9, v5
	s_delay_alu instid0(VALU_DEP_1) | instskip(NEXT) | instid1(VALU_DEP_1)
	v_add_f32_e32 v9, v64, v5
	v_mul_f32_e32 v58, v8, v9
	s_delay_alu instid0(VALU_DEP_1) | instskip(NEXT) | instid1(VALU_DEP_1)
	v_mul_f32_e32 v60, v59, v58
	v_fma_f32 v59, v58, v59, -v60
	s_delay_alu instid0(VALU_DEP_1) | instskip(NEXT) | instid1(VALU_DEP_1)
	v_fmac_f32_e32 v59, v58, v57
	v_add_f32_e32 v57, v60, v59
	s_delay_alu instid0(VALU_DEP_1) | instskip(SKIP_2) | instid1(VALU_DEP_2)
	v_sub_f32_e32 v60, v57, v60
	v_sub_f32_e32 v62, v9, v57
	v_sub_f32_e32 v63, v64, v9
	v_sub_f32_e32 v9, v9, v62
	s_delay_alu instid0(VALU_DEP_2) | instskip(NEXT) | instid1(VALU_DEP_2)
	v_add_f32_e32 v5, v5, v63
	v_sub_f32_e32 v9, v9, v57
	v_sub_f32_e32 v57, v60, v59
	s_delay_alu instid0(VALU_DEP_2) | instskip(SKIP_1) | instid1(VALU_DEP_2)
	v_add_f32_e32 v5, v5, v9
	v_add_f32_e32 v9, v61, v58
	;; [unrolled: 1-line block ×3, first 2 shown]
	s_delay_alu instid0(VALU_DEP_2) | instskip(NEXT) | instid1(VALU_DEP_2)
	v_sub_f32_e32 v57, v9, v61
	v_add_f32_e32 v5, v62, v5
	s_delay_alu instid0(VALU_DEP_2) | instskip(NEXT) | instid1(VALU_DEP_2)
	v_sub_f32_e32 v57, v58, v57
	v_mul_f32_e32 v5, v8, v5
	s_delay_alu instid0(VALU_DEP_1) | instskip(NEXT) | instid1(VALU_DEP_1)
	v_add_f32_e32 v5, v57, v5
	v_add_f32_e32 v8, v9, v5
	s_delay_alu instid0(VALU_DEP_1) | instskip(NEXT) | instid1(VALU_DEP_1)
	v_mul_f32_e32 v57, v8, v8
	v_fmaak_f32 v58, s54, v57, 0x3ecc95a3
	v_mul_f32_e32 v59, v8, v57
	s_delay_alu instid0(VALU_DEP_2) | instskip(SKIP_2) | instid1(VALU_DEP_3)
	v_fmaak_f32 v57, v57, v58, 0x3f2aaada
	v_ldexp_f32 v58, v8, 1
	v_sub_f32_e32 v8, v8, v9
	v_mul_f32_e32 v57, v59, v57
	v_mul_f32_e32 v59, 0x3f317218, v4
	s_delay_alu instid0(VALU_DEP_3) | instskip(NEXT) | instid1(VALU_DEP_3)
	v_sub_f32_e32 v5, v5, v8
	v_add_f32_e32 v9, v58, v57
	s_delay_alu instid0(VALU_DEP_2) | instskip(NEXT) | instid1(VALU_DEP_2)
	v_ldexp_f32 v5, v5, 1
	v_sub_f32_e32 v8, v9, v58
	v_fma_f32 v58, 0x3f317218, v4, -v59
	s_delay_alu instid0(VALU_DEP_2) | instskip(NEXT) | instid1(VALU_DEP_2)
	v_sub_f32_e32 v8, v57, v8
	v_fmac_f32_e32 v58, 0xb102e308, v4
	s_delay_alu instid0(VALU_DEP_1) | instskip(NEXT) | instid1(VALU_DEP_1)
	v_dual_add_f32 v4, v5, v8 :: v_dual_add_f32 v5, v59, v58
	v_add_f32_e32 v8, v9, v4
	s_delay_alu instid0(VALU_DEP_1) | instskip(SKIP_1) | instid1(VALU_DEP_2)
	v_add_f32_e32 v57, v5, v8
	v_sub_f32_e32 v9, v8, v9
	v_sub_f32_e32 v60, v57, v5
	s_delay_alu instid0(VALU_DEP_2) | instskip(NEXT) | instid1(VALU_DEP_1)
	v_dual_sub_f32 v59, v5, v59 :: v_dual_sub_f32 v4, v4, v9
	v_dual_sub_f32 v61, v57, v60 :: v_dual_sub_f32 v58, v58, v59
	s_delay_alu instid0(VALU_DEP_1) | instskip(NEXT) | instid1(VALU_DEP_2)
	v_dual_sub_f32 v8, v8, v60 :: v_dual_sub_f32 v5, v5, v61
	v_add_f32_e32 v9, v58, v4
	s_delay_alu instid0(VALU_DEP_1) | instskip(NEXT) | instid1(VALU_DEP_1)
	v_dual_add_f32 v5, v8, v5 :: v_dual_sub_f32 v8, v9, v58
	v_add_f32_e32 v5, v9, v5
	s_delay_alu instid0(VALU_DEP_2) | instskip(NEXT) | instid1(VALU_DEP_2)
	v_sub_f32_e32 v9, v9, v8
	v_dual_sub_f32 v4, v4, v8 :: v_dual_add_f32 v59, v57, v5
	s_delay_alu instid0(VALU_DEP_2) | instskip(NEXT) | instid1(VALU_DEP_2)
	v_sub_f32_e32 v9, v58, v9
	v_sub_f32_e32 v8, v59, v57
	s_delay_alu instid0(VALU_DEP_1) | instskip(NEXT) | instid1(VALU_DEP_1)
	v_dual_add_f32 v4, v4, v9 :: v_dual_sub_f32 v5, v5, v8
	v_add_f32_e32 v4, v4, v5
	s_delay_alu instid0(VALU_DEP_1) | instskip(NEXT) | instid1(VALU_DEP_1)
	v_add_f32_e32 v4, v59, v4
	v_cndmask_b32_e32 v67, v4, v6, vcc_lo
.LBB108_56:                             ;   in Loop: Header=BB108_12 Depth=1
	s_or_b32 exec_lo, exec_lo, s21
	v_lshrrev_b32_e32 v4, 16, v7
	s_delay_alu instid0(VALU_DEP_1) | instskip(NEXT) | instid1(VALU_DEP_1)
	v_cvt_f32_f16_e32 v4, v4
	v_add_f32_e32 v68, s60, v4
	s_delay_alu instid0(VALU_DEP_1) | instskip(SKIP_1) | instid1(SALU_CYCLE_1)
	v_cmp_ge_f32_e32 vcc_lo, 0x41a00000, v68
	s_and_b32 s20, s67, vcc_lo
	s_and_saveexec_b32 s21, s20
	s_cbranch_execz .LBB108_58
; %bb.57:                               ;   in Loop: Header=BB108_12 Depth=1
	v_mul_f32_e32 v4, 0x3fb8aa3b, v68
	v_cmp_ngt_f32_e32 vcc_lo, 0xc2ce8ed0, v68
	s_delay_alu instid0(VALU_DEP_2) | instskip(SKIP_1) | instid1(VALU_DEP_2)
	v_rndne_f32_e32 v5, v4
	v_fma_f32 v6, 0x3fb8aa3b, v68, -v4
	v_sub_f32_e32 v4, v4, v5
	s_delay_alu instid0(VALU_DEP_2) | instskip(SKIP_1) | instid1(VALU_DEP_2)
	v_fmac_f32_e32 v6, 0x32a5705f, v68
	v_cvt_i32_f32_e32 v5, v5
	v_add_f32_e32 v4, v4, v6
	s_delay_alu instid0(VALU_DEP_1) | instskip(SKIP_2) | instid1(VALU_DEP_1)
	v_exp_f32_e32 v4, v4
	s_waitcnt_depctr 0xfff
	v_ldexp_f32 v4, v4, v5
	v_cndmask_b32_e32 v4, 0, v4, vcc_lo
	v_cmp_nlt_f32_e32 vcc_lo, 0x42b17218, v68
	s_delay_alu instid0(VALU_DEP_2) | instskip(NEXT) | instid1(VALU_DEP_1)
	v_cndmask_b32_e32 v6, 0x7f800000, v4, vcc_lo
	v_add_f32_e32 v7, 1.0, v6
	s_delay_alu instid0(VALU_DEP_1) | instskip(NEXT) | instid1(VALU_DEP_1)
	v_cvt_f64_f32_e32 v[4:5], v7
	v_frexp_exp_i32_f64_e32 v4, v[4:5]
	v_frexp_mant_f32_e32 v5, v7
	s_delay_alu instid0(VALU_DEP_1) | instskip(SKIP_1) | instid1(VALU_DEP_1)
	v_cmp_gt_f32_e32 vcc_lo, 0x3f2aaaab, v5
	v_add_f32_e32 v5, -1.0, v7
	v_sub_f32_e32 v9, v5, v7
	s_delay_alu instid0(VALU_DEP_1) | instskip(SKIP_1) | instid1(VALU_DEP_1)
	v_add_f32_e32 v9, 1.0, v9
	v_subrev_co_ci_u32_e32 v4, vcc_lo, 0, v4, vcc_lo
	v_sub_nc_u32_e32 v8, 0, v4
	v_cvt_f32_i32_e32 v4, v4
	s_delay_alu instid0(VALU_DEP_2) | instskip(NEXT) | instid1(VALU_DEP_1)
	v_ldexp_f32 v7, v7, v8
	v_add_f32_e32 v57, 1.0, v7
	v_sub_f32_e32 v5, v6, v5
	v_cmp_eq_f32_e32 vcc_lo, 0x7f800000, v6
	v_cmp_gt_f32_e64 s20, 0x33800000, v6
	s_delay_alu instid0(VALU_DEP_3) | instskip(NEXT) | instid1(VALU_DEP_2)
	v_add_f32_e32 v5, v5, v9
	s_or_b32 vcc_lo, s20, vcc_lo
	s_delay_alu instid0(VALU_DEP_1) | instskip(SKIP_1) | instid1(VALU_DEP_1)
	v_ldexp_f32 v5, v5, v8
	v_dual_add_f32 v8, -1.0, v7 :: v_dual_add_f32 v9, -1.0, v57
	v_dual_add_f32 v58, 1.0, v8 :: v_dual_sub_f32 v9, v7, v9
	s_delay_alu instid0(VALU_DEP_1) | instskip(NEXT) | instid1(VALU_DEP_1)
	v_add_f32_e32 v9, v5, v9
	v_dual_sub_f32 v7, v7, v58 :: v_dual_add_f32 v58, v57, v9
	s_delay_alu instid0(VALU_DEP_1) | instskip(NEXT) | instid1(VALU_DEP_2)
	v_add_f32_e32 v5, v5, v7
	v_rcp_f32_e32 v7, v58
	s_delay_alu instid0(VALU_DEP_1) | instskip(NEXT) | instid1(VALU_DEP_1)
	v_add_f32_e32 v59, v8, v5
	v_dual_sub_f32 v57, v57, v58 :: v_dual_sub_f32 v8, v8, v59
	s_waitcnt_depctr 0xfff
	v_dual_mul_f32 v60, v59, v7 :: v_dual_add_f32 v9, v9, v57
	v_add_f32_e32 v5, v5, v8
	s_delay_alu instid0(VALU_DEP_2) | instskip(NEXT) | instid1(VALU_DEP_1)
	v_mul_f32_e32 v61, v58, v60
	v_fma_f32 v57, v60, v58, -v61
	s_delay_alu instid0(VALU_DEP_1) | instskip(NEXT) | instid1(VALU_DEP_1)
	v_fmac_f32_e32 v57, v60, v9
	v_add_f32_e32 v62, v61, v57
	s_delay_alu instid0(VALU_DEP_1) | instskip(NEXT) | instid1(VALU_DEP_1)
	v_sub_f32_e32 v63, v59, v62
	v_dual_sub_f32 v59, v59, v63 :: v_dual_sub_f32 v8, v62, v61
	s_delay_alu instid0(VALU_DEP_1) | instskip(NEXT) | instid1(VALU_DEP_1)
	v_dual_sub_f32 v59, v59, v62 :: v_dual_sub_f32 v8, v8, v57
	v_add_f32_e32 v5, v5, v59
	s_delay_alu instid0(VALU_DEP_1) | instskip(NEXT) | instid1(VALU_DEP_1)
	v_add_f32_e32 v5, v8, v5
	v_add_f32_e32 v8, v63, v5
	s_delay_alu instid0(VALU_DEP_1) | instskip(NEXT) | instid1(VALU_DEP_1)
	v_mul_f32_e32 v57, v7, v8
	v_mul_f32_e32 v59, v58, v57
	s_delay_alu instid0(VALU_DEP_1) | instskip(NEXT) | instid1(VALU_DEP_1)
	v_fma_f32 v58, v57, v58, -v59
	v_fmac_f32_e32 v58, v57, v9
	v_sub_f32_e32 v62, v63, v8
	s_delay_alu instid0(VALU_DEP_2) | instskip(NEXT) | instid1(VALU_DEP_2)
	v_add_f32_e32 v9, v59, v58
	v_add_f32_e32 v5, v5, v62
	s_delay_alu instid0(VALU_DEP_2) | instskip(NEXT) | instid1(VALU_DEP_1)
	v_sub_f32_e32 v61, v8, v9
	v_dual_sub_f32 v59, v9, v59 :: v_dual_sub_f32 v8, v8, v61
	s_delay_alu instid0(VALU_DEP_1) | instskip(NEXT) | instid1(VALU_DEP_1)
	v_dual_sub_f32 v8, v8, v9 :: v_dual_sub_f32 v9, v59, v58
	v_dual_add_f32 v5, v5, v8 :: v_dual_add_f32 v8, v60, v57
	s_delay_alu instid0(VALU_DEP_1) | instskip(NEXT) | instid1(VALU_DEP_2)
	v_add_f32_e32 v5, v9, v5
	v_sub_f32_e32 v9, v8, v60
	s_delay_alu instid0(VALU_DEP_2) | instskip(NEXT) | instid1(VALU_DEP_2)
	v_add_f32_e32 v5, v61, v5
	v_sub_f32_e32 v9, v57, v9
	s_delay_alu instid0(VALU_DEP_2) | instskip(NEXT) | instid1(VALU_DEP_1)
	v_mul_f32_e32 v5, v7, v5
	v_add_f32_e32 v5, v9, v5
	s_delay_alu instid0(VALU_DEP_1) | instskip(NEXT) | instid1(VALU_DEP_1)
	v_add_f32_e32 v7, v8, v5
	v_mul_f32_e32 v9, v7, v7
	s_delay_alu instid0(VALU_DEP_1) | instskip(SKIP_1) | instid1(VALU_DEP_2)
	v_fmaak_f32 v57, s54, v9, 0x3ecc95a3
	v_mul_f32_e32 v58, v7, v9
	v_fmaak_f32 v9, v9, v57, 0x3f2aaada
	v_ldexp_f32 v57, v7, 1
	s_delay_alu instid0(VALU_DEP_2) | instskip(SKIP_2) | instid1(VALU_DEP_3)
	v_mul_f32_e32 v9, v58, v9
	v_sub_f32_e32 v7, v7, v8
	v_mul_f32_e32 v58, 0x3f317218, v4
	v_add_f32_e32 v8, v57, v9
	s_delay_alu instid0(VALU_DEP_3) | instskip(NEXT) | instid1(VALU_DEP_2)
	v_sub_f32_e32 v5, v5, v7
	v_sub_f32_e32 v7, v8, v57
	s_delay_alu instid0(VALU_DEP_4) | instskip(NEXT) | instid1(VALU_DEP_3)
	v_fma_f32 v57, 0x3f317218, v4, -v58
	v_ldexp_f32 v5, v5, 1
	s_delay_alu instid0(VALU_DEP_3) | instskip(NEXT) | instid1(VALU_DEP_1)
	v_sub_f32_e32 v7, v9, v7
	v_dual_fmac_f32 v57, 0xb102e308, v4 :: v_dual_add_f32 v4, v5, v7
	s_delay_alu instid0(VALU_DEP_1) | instskip(NEXT) | instid1(VALU_DEP_1)
	v_add_f32_e32 v5, v58, v57
	v_dual_add_f32 v7, v8, v4 :: v_dual_sub_f32 v58, v5, v58
	s_delay_alu instid0(VALU_DEP_1) | instskip(NEXT) | instid1(VALU_DEP_2)
	v_dual_add_f32 v9, v5, v7 :: v_dual_sub_f32 v8, v7, v8
	v_sub_f32_e32 v57, v57, v58
	s_delay_alu instid0(VALU_DEP_2) | instskip(NEXT) | instid1(VALU_DEP_1)
	v_dual_sub_f32 v59, v9, v5 :: v_dual_sub_f32 v4, v4, v8
	v_sub_f32_e32 v60, v9, v59
	s_delay_alu instid0(VALU_DEP_2) | instskip(NEXT) | instid1(VALU_DEP_2)
	v_dual_sub_f32 v7, v7, v59 :: v_dual_add_f32 v8, v57, v4
	v_sub_f32_e32 v5, v5, v60
	s_delay_alu instid0(VALU_DEP_1) | instskip(NEXT) | instid1(VALU_DEP_3)
	v_add_f32_e32 v5, v7, v5
	v_sub_f32_e32 v7, v8, v57
	s_delay_alu instid0(VALU_DEP_2) | instskip(NEXT) | instid1(VALU_DEP_2)
	v_add_f32_e32 v5, v8, v5
	v_sub_f32_e32 v8, v8, v7
	v_sub_f32_e32 v4, v4, v7
	s_delay_alu instid0(VALU_DEP_3) | instskip(NEXT) | instid1(VALU_DEP_1)
	v_add_f32_e32 v58, v9, v5
	v_dual_sub_f32 v8, v57, v8 :: v_dual_sub_f32 v7, v58, v9
	s_delay_alu instid0(VALU_DEP_1) | instskip(NEXT) | instid1(VALU_DEP_1)
	v_dual_add_f32 v4, v4, v8 :: v_dual_sub_f32 v5, v5, v7
	v_add_f32_e32 v4, v4, v5
	s_delay_alu instid0(VALU_DEP_1) | instskip(NEXT) | instid1(VALU_DEP_1)
	v_add_f32_e32 v4, v58, v4
	v_cndmask_b32_e32 v68, v4, v6, vcc_lo
.LBB108_58:                             ;   in Loop: Header=BB108_12 Depth=1
	s_or_b32 exec_lo, exec_lo, s21
	v_lshrrev_b32_e32 v5, 16, v2
	v_lshrrev_b32_e32 v6, 16, v3
	;; [unrolled: 1-line block ×4, first 2 shown]
	v_cvt_f32_f16_e32 v4, v3
	v_cvt_f32_f16_e32 v2, v2
	;; [unrolled: 1-line block ×8, first 2 shown]
	v_dual_mul_f32 v60, s61, v4 :: v_dual_mul_f32 v57, s61, v3
	v_dual_mul_f32 v62, s61, v2 :: v_dual_mul_f32 v59, s61, v5
	s_delay_alu instid0(VALU_DEP_4) | instskip(NEXT) | instid1(VALU_DEP_4)
	v_dual_mul_f32 v63, s61, v1 :: v_dual_mul_f32 v58, s61, v6
	v_dual_mul_f32 v64, s61, v0 :: v_dual_mul_f32 v61, s61, v7
	s_and_b32 vcc_lo, exec_lo, s68
	s_barrier
	buffer_gl0_inv
	s_cbranch_vccz .LBB108_122
; %bb.59:                               ;   in Loop: Header=BB108_12 Depth=1
	v_dual_mul_f32 v69, v68, v7 :: v_dual_mul_f32 v74, v67, v4
	v_add_co_u32 v7, s20, s46, v51
	s_delay_alu instid0(VALU_DEP_1) | instskip(SKIP_1) | instid1(VALU_DEP_1)
	v_add_co_ci_u32_e64 v8, null, s49, 0, s20
	v_add_co_u32 v9, s20, s50, v51
	v_add_co_ci_u32_e64 v73, null, s64, 0, s20
	s_delay_alu instid0(VALU_DEP_4) | instskip(NEXT) | instid1(VALU_DEP_4)
	v_add_co_u32 v70, vcc_lo, v7, v52
	v_add_co_ci_u32_e32 v71, vcc_lo, 0, v8, vcc_lo
	s_delay_alu instid0(VALU_DEP_4) | instskip(NEXT) | instid1(VALU_DEP_4)
	v_add_co_u32 v72, vcc_lo, v9, v52
	v_add_co_ci_u32_e32 v73, vcc_lo, 0, v73, vcc_lo
	v_cmp_gt_u32_e32 vcc_lo, s23, v10
	s_cmp_lg_u32 s58, 0
	v_cmp_gt_u32_e64 s21, s23, v44
	s_cselect_b32 s31, -1, 0
	s_cmp_eq_u32 s58, s70
	v_cmp_gt_u32_e64 s22, s23, v45
	s_cselect_b32 s71, -1, 0
	s_or_b32 s20, s69, vcc_lo
	v_cmp_gt_u32_e32 vcc_lo, s23, v46
	v_cmp_gt_u32_e64 s24, s23, v47
	v_cmp_gt_u32_e64 s25, s23, v48
	v_cmp_gt_u32_e64 s26, s23, v49
	v_cmp_gt_u32_e64 s27, s23, v50
	v_dual_mul_f32 v75, v66, v3 :: v_dual_mul_f32 v76, v65, v2
	v_dual_mul_f32 v77, v56, v5 :: v_dual_mul_f32 v80, v53, v0
	;; [unrolled: 1-line block ×3, first 2 shown]
	s_mov_b32 s34, 0
	s_or_b32 s21, s69, s21
	s_or_b32 s22, s69, s22
	s_or_b32 s23, s69, vcc_lo
	s_or_b32 s24, s69, s24
	s_or_b32 s25, s69, s25
	;; [unrolled: 1-line block ×4, first 2 shown]
	s_mov_b32 s38, s34
	s_mov_b32 s40, s34
	;; [unrolled: 1-line block ×5, first 2 shown]
	s_branch .LBB108_61
.LBB108_60:                             ;   in Loop: Header=BB108_61 Depth=2
	s_or_b32 exec_lo, exec_lo, s28
	v_cndmask_b32_e64 v5, v98, v7, s11
	v_cndmask_b32_e64 v6, v97, v6, s11
	s_add_i32 s72, s72, -1
	s_add_i32 s73, s73, 8
	s_add_i32 s42, s42, s37
	v_fma_f32 v5, v5, v84, v82
	v_mul_f32_e32 v6, v6, v84
	s_add_i32 s40, s40, s36
	s_add_i32 s38, s38, s48
	;; [unrolled: 1-line block ×3, first 2 shown]
	v_cndmask_b32_e64 v5, v5, v82, s10
	v_cndmask_b32_e64 v6, v6, v84, s10
	s_cmp_eq_u32 s72, 0
	s_waitcnt lgkmcnt(0)
	s_delay_alu instid0(VALU_DEP_1) | instskip(NEXT) | instid1(VALU_DEP_1)
	v_fmac_f32_e32 v5, v4, v6
	v_fmac_f32_e32 v81, v5, v86
	v_fma_mix_f32 v64, v5, v0, v64 op_sel_hi:[0,1,0]
	s_delay_alu instid0(VALU_DEP_2) | instskip(SKIP_1) | instid1(VALU_DEP_2)
	v_fmac_f32_e32 v83, v81, v88
	v_fma_mix_f32 v58, v81, v0, v58 op_sel:[0,1,0] op_sel_hi:[0,1,0]
	v_fmac_f32_e32 v85, v83, v90
	v_fma_mix_f32 v63, v83, v1, v63 op_sel_hi:[0,1,0]
	s_delay_alu instid0(VALU_DEP_2) | instskip(SKIP_1) | instid1(VALU_DEP_2)
	v_fmac_f32_e32 v87, v85, v91
	v_fma_mix_f32 v59, v85, v1, v59 op_sel:[0,1,0] op_sel_hi:[0,1,0]
	v_fmac_f32_e32 v89, v87, v96
	v_fma_mix_f32 v62, v87, v2, v62 op_sel_hi:[0,1,0]
	s_delay_alu instid0(VALU_DEP_2) | instskip(SKIP_1) | instid1(VALU_DEP_2)
	v_fmac_f32_e32 v92, v89, v94
	v_fma_mix_f32 v57, v89, v2, v57 op_sel:[0,1,0] op_sel_hi:[0,1,0]
	v_fmac_f32_e32 v93, v92, v95
	v_fma_mix_f32 v60, v92, v3, v60 op_sel_hi:[0,1,0]
	s_delay_alu instid0(VALU_DEP_2)
	v_fma_mix_f32 v61, v93, v3, v61 op_sel:[0,1,0] op_sel_hi:[0,1,0]
	s_cbranch_scc1 .LBB108_122
.LBB108_61:                             ;   Parent Loop BB108_12 Depth=1
                                        ; =>  This Inner Loop Header: Depth=2
	s_lshl_b64 s[74:75], s[34:35], 2
	s_mov_b32 s39, s35
	s_add_u32 s74, s62, s74
	s_addc_u32 s75, s63, s75
	v_dual_mov_b32 v2, 0 :: v_dual_mov_b32 v3, 0
	global_load_b32 v81, v13, s[74:75]
	s_lshl_b64 s[74:75], s[38:39], 1
	s_delay_alu instid0(SALU_CYCLE_1)
	v_add_co_u32 v0, vcc_lo, v70, s74
	v_add_co_ci_u32_e32 v1, vcc_lo, s75, v71, vcc_lo
	s_and_saveexec_b32 s28, s12
	s_cbranch_execnz .LBB108_81
; %bb.62:                               ;   in Loop: Header=BB108_61 Depth=2
	s_or_b32 exec_lo, exec_lo, s28
	s_and_saveexec_b32 s28, s13
	s_cbranch_execnz .LBB108_82
.LBB108_63:                             ;   in Loop: Header=BB108_61 Depth=2
	s_or_b32 exec_lo, exec_lo, s28
	v_mov_b32_e32 v4, 0
	s_and_saveexec_b32 s28, s14
	s_cbranch_execnz .LBB108_83
.LBB108_64:                             ;   in Loop: Header=BB108_61 Depth=2
	s_or_b32 exec_lo, exec_lo, s28
	s_and_saveexec_b32 s28, s15
	s_cbranch_execnz .LBB108_84
.LBB108_65:                             ;   in Loop: Header=BB108_61 Depth=2
	s_or_b32 exec_lo, exec_lo, s28
	v_mov_b32_e32 v5, 0
	s_and_saveexec_b32 s28, s16
	s_cbranch_execnz .LBB108_85
.LBB108_66:                             ;   in Loop: Header=BB108_61 Depth=2
	s_or_b32 exec_lo, exec_lo, s28
	s_and_saveexec_b32 s28, s17
	s_cbranch_execnz .LBB108_86
.LBB108_67:                             ;   in Loop: Header=BB108_61 Depth=2
	s_or_b32 exec_lo, exec_lo, s28
	v_mov_b32_e32 v6, 0
	s_and_saveexec_b32 s28, s18
	s_cbranch_execnz .LBB108_87
.LBB108_68:                             ;   in Loop: Header=BB108_61 Depth=2
	s_or_b32 exec_lo, exec_lo, s28
	s_and_saveexec_b32 s28, s19
	s_cbranch_execz .LBB108_70
.LBB108_69:                             ;   in Loop: Header=BB108_61 Depth=2
	global_load_u16 v0, v[0:1], off offset:448
	s_waitcnt vmcnt(0)
	v_lshl_or_b32 v6, v0, 16, v6
.LBB108_70:                             ;   in Loop: Header=BB108_61 Depth=2
	s_or_b32 exec_lo, exec_lo, s28
	s_waitcnt vmcnt(0)
	ds_store_b16 v20, v3
	ds_store_b16 v20, v2 offset:64
	ds_store_b16 v21, v4 offset:128
	ds_store_b16_d16_hi v22, v4 offset:192
	ds_store_b16 v23, v5 offset:256
	ds_store_b16_d16_hi v24, v5 offset:320
	;; [unrolled: 2-line block ×3, first 2 shown]
	; wave barrier
	ds_load_b128 v[4:7], v27
	s_mov_b32 s41, s35
	v_dual_mov_b32 v2, 0 :: v_dual_mov_b32 v3, 0
	s_lshl_b64 s[74:75], s[40:41], 1
	s_delay_alu instid0(SALU_CYCLE_1)
	v_add_co_u32 v0, vcc_lo, v72, s74
	v_add_co_ci_u32_e32 v1, vcc_lo, s75, v73, vcc_lo
	s_and_saveexec_b32 s28, s12
	s_cbranch_execnz .LBB108_88
; %bb.71:                               ;   in Loop: Header=BB108_61 Depth=2
	s_or_b32 exec_lo, exec_lo, s28
	s_and_saveexec_b32 s28, s13
	s_cbranch_execnz .LBB108_89
.LBB108_72:                             ;   in Loop: Header=BB108_61 Depth=2
	s_or_b32 exec_lo, exec_lo, s28
	v_mov_b32_e32 v8, 0
	s_and_saveexec_b32 s28, s14
	s_cbranch_execnz .LBB108_90
.LBB108_73:                             ;   in Loop: Header=BB108_61 Depth=2
	s_or_b32 exec_lo, exec_lo, s28
	s_and_saveexec_b32 s28, s15
	s_cbranch_execnz .LBB108_91
.LBB108_74:                             ;   in Loop: Header=BB108_61 Depth=2
	s_or_b32 exec_lo, exec_lo, s28
	v_mov_b32_e32 v9, 0
	s_and_saveexec_b32 s28, s16
	s_cbranch_execnz .LBB108_92
.LBB108_75:                             ;   in Loop: Header=BB108_61 Depth=2
	s_or_b32 exec_lo, exec_lo, s28
	s_and_saveexec_b32 s28, s17
	s_cbranch_execnz .LBB108_93
.LBB108_76:                             ;   in Loop: Header=BB108_61 Depth=2
	s_or_b32 exec_lo, exec_lo, s28
	v_mov_b32_e32 v82, 0
	s_and_saveexec_b32 s28, s18
	s_cbranch_execnz .LBB108_94
.LBB108_77:                             ;   in Loop: Header=BB108_61 Depth=2
	s_or_b32 exec_lo, exec_lo, s28
	s_and_saveexec_b32 s28, s19
	s_cbranch_execz .LBB108_79
.LBB108_78:                             ;   in Loop: Header=BB108_61 Depth=2
	global_load_u16 v0, v[0:1], off offset:448
	s_waitcnt vmcnt(0)
	v_lshl_or_b32 v82, v0, 16, v82
.LBB108_79:                             ;   in Loop: Header=BB108_61 Depth=2
	s_or_b32 exec_lo, exec_lo, s28
	s_waitcnt vmcnt(0)
	ds_store_b16 v20, v3 offset:1056
	ds_store_b16 v28, v2 offset:64
	;; [unrolled: 1-line block ×3, first 2 shown]
	ds_store_b16_d16_hi v30, v8 offset:192
	ds_store_b16 v31, v9 offset:256
	ds_store_b16_d16_hi v32, v9 offset:320
	ds_store_b16 v33, v82 offset:384
	ds_store_b16_d16_hi v34, v82 offset:448
	; wave barrier
	ds_load_b128 v[0:3], v27 offset:1056
	s_and_not1_b32 vcc_lo, exec_lo, s31
	s_cbranch_vccnz .LBB108_95
; %bb.80:                               ;   in Loop: Header=BB108_61 Depth=2
	v_mov_b32_e32 v8, s73
	ds_load_b64 v[8:9], v8
	s_cbranch_execz .LBB108_96
	s_branch .LBB108_99
.LBB108_81:                             ;   in Loop: Header=BB108_61 Depth=2
	global_load_u16 v3, v[0:1], off
	s_or_b32 exec_lo, exec_lo, s28
	s_and_saveexec_b32 s28, s13
	s_cbranch_execz .LBB108_63
.LBB108_82:                             ;   in Loop: Header=BB108_61 Depth=2
	global_load_u16 v2, v[0:1], off offset:64
	s_or_b32 exec_lo, exec_lo, s28
	v_mov_b32_e32 v4, 0
	s_and_saveexec_b32 s28, s14
	s_cbranch_execz .LBB108_64
.LBB108_83:                             ;   in Loop: Header=BB108_61 Depth=2
	global_load_u16 v4, v[0:1], off offset:128
	s_or_b32 exec_lo, exec_lo, s28
	s_and_saveexec_b32 s28, s15
	s_cbranch_execz .LBB108_65
.LBB108_84:                             ;   in Loop: Header=BB108_61 Depth=2
	global_load_u16 v5, v[0:1], off offset:192
	s_waitcnt vmcnt(0)
	v_lshl_or_b32 v4, v5, 16, v4
	s_or_b32 exec_lo, exec_lo, s28
	v_mov_b32_e32 v5, 0
	s_and_saveexec_b32 s28, s16
	s_cbranch_execz .LBB108_66
.LBB108_85:                             ;   in Loop: Header=BB108_61 Depth=2
	global_load_u16 v5, v[0:1], off offset:256
	s_or_b32 exec_lo, exec_lo, s28
	s_and_saveexec_b32 s28, s17
	s_cbranch_execz .LBB108_67
.LBB108_86:                             ;   in Loop: Header=BB108_61 Depth=2
	global_load_u16 v6, v[0:1], off offset:320
	s_waitcnt vmcnt(0)
	v_lshl_or_b32 v5, v6, 16, v5
	s_or_b32 exec_lo, exec_lo, s28
	v_mov_b32_e32 v6, 0
	s_and_saveexec_b32 s28, s18
	s_cbranch_execz .LBB108_68
.LBB108_87:                             ;   in Loop: Header=BB108_61 Depth=2
	global_load_u16 v6, v[0:1], off offset:384
	s_or_b32 exec_lo, exec_lo, s28
	s_and_saveexec_b32 s28, s19
	s_cbranch_execnz .LBB108_69
	s_branch .LBB108_70
.LBB108_88:                             ;   in Loop: Header=BB108_61 Depth=2
	global_load_u16 v3, v[0:1], off
	s_or_b32 exec_lo, exec_lo, s28
	s_and_saveexec_b32 s28, s13
	s_cbranch_execz .LBB108_72
.LBB108_89:                             ;   in Loop: Header=BB108_61 Depth=2
	global_load_u16 v2, v[0:1], off offset:64
	s_or_b32 exec_lo, exec_lo, s28
	v_mov_b32_e32 v8, 0
	s_and_saveexec_b32 s28, s14
	s_cbranch_execz .LBB108_73
.LBB108_90:                             ;   in Loop: Header=BB108_61 Depth=2
	global_load_u16 v8, v[0:1], off offset:128
	s_or_b32 exec_lo, exec_lo, s28
	s_and_saveexec_b32 s28, s15
	s_cbranch_execz .LBB108_74
.LBB108_91:                             ;   in Loop: Header=BB108_61 Depth=2
	global_load_u16 v9, v[0:1], off offset:192
	s_waitcnt vmcnt(0)
	v_lshl_or_b32 v8, v9, 16, v8
	s_or_b32 exec_lo, exec_lo, s28
	v_mov_b32_e32 v9, 0
	s_and_saveexec_b32 s28, s16
	s_cbranch_execz .LBB108_75
.LBB108_92:                             ;   in Loop: Header=BB108_61 Depth=2
	global_load_u16 v9, v[0:1], off offset:256
	s_or_b32 exec_lo, exec_lo, s28
	s_and_saveexec_b32 s28, s17
	s_cbranch_execz .LBB108_76
.LBB108_93:                             ;   in Loop: Header=BB108_61 Depth=2
	global_load_u16 v82, v[0:1], off offset:320
	s_waitcnt vmcnt(0)
	v_lshl_or_b32 v9, v82, 16, v9
	s_or_b32 exec_lo, exec_lo, s28
	v_mov_b32_e32 v82, 0
	s_and_saveexec_b32 s28, s18
	s_cbranch_execz .LBB108_77
.LBB108_94:                             ;   in Loop: Header=BB108_61 Depth=2
	global_load_u16 v82, v[0:1], off offset:384
	s_or_b32 exec_lo, exec_lo, s28
	s_and_saveexec_b32 s28, s19
	s_cbranch_execnz .LBB108_78
	s_branch .LBB108_79
.LBB108_95:                             ;   in Loop: Header=BB108_61 Depth=2
                                        ; implicit-def: $vgpr8
.LBB108_96:                             ;   in Loop: Header=BB108_61 Depth=2
	s_waitcnt lgkmcnt(0)
	v_mov_b32_e32 v9, 0
	s_and_not1_b32 vcc_lo, exec_lo, s33
	s_cbranch_vccnz .LBB108_98
; %bb.97:                               ;   in Loop: Header=BB108_61 Depth=2
	s_mov_b32 s43, s35
	s_delay_alu instid0(SALU_CYCLE_1) | instskip(NEXT) | instid1(SALU_CYCLE_1)
	s_lshl_b64 s[74:75], s[42:43], 2
	s_add_u32 s74, s53, s74
	s_addc_u32 s75, s65, s75
	global_load_b32 v9, v13, s[74:75]
.LBB108_98:                             ;   in Loop: Header=BB108_61 Depth=2
	v_mov_b32_e32 v8, 1.0
.LBB108_99:                             ;   in Loop: Header=BB108_61 Depth=2
	s_waitcnt lgkmcnt(9)
	v_lshrrev_b32_e32 v82, 16, v5
	v_lshrrev_b32_e32 v85, 16, v7
	v_cvt_f32_f16_e32 v7, v7
	v_lshrrev_b32_e32 v83, 16, v6
	v_cvt_f32_f16_e32 v5, v5
	v_cvt_f32_f16_e32 v87, v82
	v_mul_f32_e32 v92, 0x3fb8aa3b, v81
	v_cvt_f32_f16_e32 v93, v85
	v_lshrrev_b32_e32 v81, 16, v4
	v_cvt_f32_f16_e32 v4, v4
	s_delay_alu instid0(VALU_DEP_4)
	v_dual_mul_f32 v87, v77, v87 :: v_dual_mul_f32 v84, v92, v53
	v_mul_f32_e32 v7, v74, v7
	v_cvt_f32_f16_e32 v89, v83
	v_cvt_f32_f16_e32 v81, v81
	v_mul_f32_e32 v83, v92, v55
	v_cmp_gt_f32_e32 vcc_lo, 0xc2fc0000, v84
	v_mul_f32_e32 v4, v80, v4
	v_cvt_f32_f16_e32 v6, v6
	v_mul_f32_e32 v95, v92, v68
	v_mul_f32_e32 v5, v78, v5
	v_cndmask_b32_e64 v84, 0, 0x42800000, vcc_lo
	v_cndmask_b32_e64 v85, 1.0, 0x1f800000, vcc_lo
	v_dual_mul_f32 v6, v76, v6 :: v_dual_mul_f32 v89, v75, v89
	v_mul_f32_e32 v93, v69, v93
	s_delay_alu instid0(VALU_DEP_4) | instskip(NEXT) | instid1(VALU_DEP_3)
	v_fmac_f32_e32 v84, v92, v53
	v_cndmask_b32_e64 v89, 0, v89, s25
	s_delay_alu instid0(VALU_DEP_3) | instskip(NEXT) | instid1(VALU_DEP_3)
	v_cndmask_b32_e64 v93, 0, v93, s27
	v_exp_f32_e32 v82, v84
	s_waitcnt_depctr 0xfff
	v_dual_mul_f32 v86, v92, v54 :: v_dual_mul_f32 v85, v82, v85
	s_delay_alu instid0(VALU_DEP_1) | instskip(SKIP_3) | instid1(VALU_DEP_4)
	v_cmp_gt_f32_e64 s28, 0xc2fc0000, v86
	v_cndmask_b32_e64 v82, 0, v4, s20
	v_mul_f32_e32 v4, v79, v81
	v_cmp_gt_f32_e32 vcc_lo, 0xc2fc0000, v83
	v_cndmask_b32_e64 v86, 0, 0x42800000, s28
	v_cndmask_b32_e64 v88, 1.0, 0x1f800000, s28
	s_delay_alu instid0(VALU_DEP_4) | instskip(SKIP_1) | instid1(VALU_DEP_4)
	v_cndmask_b32_e64 v81, 0, v4, s21
	v_cndmask_b32_e64 v83, 0, 0x42800000, vcc_lo
	v_fmac_f32_e32 v86, v92, v54
	s_delay_alu instid0(VALU_DEP_1) | instskip(SKIP_1) | instid1(VALU_DEP_1)
	v_exp_f32_e32 v84, v86
	v_mul_f32_e32 v86, v92, v56
	v_cmp_gt_f32_e64 s28, 0xc2fc0000, v86
	s_waitcnt_depctr 0xfff
	v_mul_f32_e32 v88, v84, v88
	v_cndmask_b32_e64 v84, 1.0, v85, s20
	v_cndmask_b32_e64 v85, 0, 0x42800000, s28
	s_delay_alu instid0(VALU_DEP_3) | instskip(SKIP_1) | instid1(VALU_DEP_3)
	v_cndmask_b32_e64 v86, 1.0, v88, s21
	v_cndmask_b32_e64 v88, 1.0, 0x1f800000, vcc_lo
	v_fmac_f32_e32 v85, v92, v56
	s_delay_alu instid0(VALU_DEP_1) | instskip(SKIP_1) | instid1(VALU_DEP_1)
	v_exp_f32_e32 v85, v85
	v_fmac_f32_e32 v83, v92, v55
	v_exp_f32_e32 v4, v83
	v_mul_f32_e32 v83, v92, v65
	s_delay_alu instid0(VALU_DEP_1)
	v_cmp_gt_f32_e32 vcc_lo, 0xc2fc0000, v83
	v_cndmask_b32_e64 v83, 0, v5, s22
	v_cndmask_b32_e64 v5, 1.0, 0x1f800000, s28
	s_waitcnt_depctr 0xfff
	v_mul_f32_e32 v4, v4, v88
	v_cndmask_b32_e64 v90, 0, 0x42800000, vcc_lo
	s_delay_alu instid0(VALU_DEP_2) | instskip(SKIP_1) | instid1(VALU_DEP_3)
	v_cndmask_b32_e64 v88, 1.0, v4, s22
	v_mul_f32_e32 v91, v92, v66
	v_fmac_f32_e32 v90, v92, v65
	v_mul_f32_e32 v4, v85, v5
	v_cndmask_b32_e64 v5, 1.0, 0x1f800000, vcc_lo
	v_cndmask_b32_e64 v85, 0, v87, s23
	v_cmp_gt_f32_e64 s28, 0xc2fc0000, v91
	v_exp_f32_e32 v94, v90
	v_cndmask_b32_e64 v90, 1.0, v4, s23
	v_cndmask_b32_e64 v87, 0, v6, s24
	s_delay_alu instid0(VALU_DEP_3) | instskip(SKIP_3) | instid1(VALU_DEP_4)
	v_cndmask_b32_e64 v91, 0, 0x42800000, s28
	v_cndmask_b32_e64 v6, 1.0, 0x1f800000, s28
	v_cmp_gt_f32_e64 s28, 0xc2fc0000, v95
	v_fma_f32 v95, v86, v82, v81
	v_fmac_f32_e32 v91, v92, v66
	s_delay_alu instid0(TRANS32_DEP_1) | instskip(NEXT) | instid1(VALU_DEP_2)
	v_mul_f32_e32 v5, v94, v5
	v_exp_f32_e32 v4, v91
	v_mul_f32_e32 v91, v92, v67
	s_delay_alu instid0(VALU_DEP_1) | instskip(NEXT) | instid1(VALU_DEP_3)
	v_cmp_gt_f32_e32 vcc_lo, 0xc2fc0000, v91
	v_cndmask_b32_e64 v91, 1.0, v5, s24
	v_cndmask_b32_e64 v5, 0, 0x42800000, s28
	s_waitcnt_depctr 0xfff
	v_mul_f32_e32 v4, v4, v6
	v_cndmask_b32_e64 v94, 0, 0x42800000, vcc_lo
	v_mul_f32_e32 v6, v86, v84
	v_fmac_f32_e32 v5, v92, v68
	s_delay_alu instid0(VALU_DEP_4) | instskip(NEXT) | instid1(VALU_DEP_4)
	v_cndmask_b32_e64 v96, 1.0, v4, s25
	v_fmac_f32_e32 v94, v92, v67
	s_delay_alu instid0(VALU_DEP_4)
	v_mul_f32_e32 v4, v6, v88
	v_fma_f32 v6, v95, v88, v83
	v_cndmask_b32_e64 v92, 1.0, 0x1f800000, vcc_lo
	v_exp_f32_e32 v5, v5
	v_exp_f32_e32 v94, v94
	v_mul_f32_e32 v4, v4, v90
	v_fma_f32 v6, v6, v90, v85
	s_delay_alu instid0(VALU_DEP_2) | instskip(NEXT) | instid1(VALU_DEP_2)
	v_mul_f32_e32 v4, v4, v91
	v_fma_f32 v6, v6, v91, v87
	s_waitcnt_depctr 0xfff
	v_mul_f32_e32 v94, v94, v92
	v_cndmask_b32_e64 v92, 0, v7, s26
	v_cndmask_b32_e64 v7, 1.0, 0x1f800000, s28
	v_mul_f32_e32 v4, v4, v96
	v_fma_f32 v6, v6, v96, v89
	v_cndmask_b32_e64 v94, 1.0, v94, s26
	s_delay_alu instid0(VALU_DEP_1) | instskip(NEXT) | instid1(VALU_DEP_1)
	v_dual_mul_f32 v5, v5, v7 :: v_dual_mul_f32 v4, v4, v94
	v_cndmask_b32_e64 v95, 1.0, v5, s27
	s_delay_alu instid0(VALU_DEP_4) | instskip(NEXT) | instid1(VALU_DEP_2)
	v_fma_f32 v5, v6, v94, v92
	v_mul_f32_e32 v4, v4, v95
	s_delay_alu instid0(VALU_DEP_2) | instskip(NEXT) | instid1(VALU_DEP_2)
	v_fma_f32 v5, v5, v95, v93
	v_mov_b32_dpp v7, v4 row_shr:1 row_mask:0xf bank_mask:0xf
	s_delay_alu instid0(VALU_DEP_2)
	v_mov_b32_dpp v6, v5 row_shr:1 row_mask:0xf bank_mask:0xf
	s_and_saveexec_b32 s28, s0
; %bb.100:                              ;   in Loop: Header=BB108_61 Depth=2
	s_delay_alu instid0(VALU_DEP_2) | instskip(NEXT) | instid1(VALU_DEP_1)
	v_mul_f32_e32 v7, v4, v7
	v_dual_fmac_f32 v5, v4, v6 :: v_dual_mov_b32 v4, v7
; %bb.101:                              ;   in Loop: Header=BB108_61 Depth=2
	s_or_b32 exec_lo, exec_lo, s28
	s_delay_alu instid0(VALU_DEP_1) | instskip(NEXT) | instid1(VALU_DEP_2)
	v_mov_b32_dpp v6, v4 row_shr:2 row_mask:0xf bank_mask:0xf
	v_mov_b32_dpp v7, v5 row_shr:2 row_mask:0xf bank_mask:0xf
	s_and_saveexec_b32 s28, s1
; %bb.102:                              ;   in Loop: Header=BB108_61 Depth=2
	s_delay_alu instid0(VALU_DEP_1) | instskip(NEXT) | instid1(VALU_DEP_3)
	v_fmac_f32_e32 v5, v4, v7
	v_mul_f32_e32 v4, v4, v6
; %bb.103:                              ;   in Loop: Header=BB108_61 Depth=2
	s_or_b32 exec_lo, exec_lo, s28
	s_delay_alu instid0(VALU_DEP_1) | instskip(NEXT) | instid1(VALU_DEP_3)
	v_mov_b32_dpp v6, v4 row_shr:4 row_mask:0xf bank_mask:0xf
	v_mov_b32_dpp v7, v5 row_shr:4 row_mask:0xf bank_mask:0xf
	s_and_saveexec_b32 s28, s2
; %bb.104:                              ;   in Loop: Header=BB108_61 Depth=2
	s_delay_alu instid0(VALU_DEP_1) | instskip(NEXT) | instid1(VALU_DEP_3)
	v_fmac_f32_e32 v5, v4, v7
	v_mul_f32_e32 v4, v4, v6
; %bb.105:                              ;   in Loop: Header=BB108_61 Depth=2
	s_or_b32 exec_lo, exec_lo, s28
	s_delay_alu instid0(VALU_DEP_1) | instskip(NEXT) | instid1(VALU_DEP_3)
	v_mov_b32_dpp v6, v4 row_shr:8 row_mask:0xf bank_mask:0xf
	v_mov_b32_dpp v7, v5 row_shr:8 row_mask:0xf bank_mask:0xf
	s_and_saveexec_b32 s28, s3
; %bb.106:                              ;   in Loop: Header=BB108_61 Depth=2
	s_delay_alu instid0(VALU_DEP_1) | instskip(NEXT) | instid1(VALU_DEP_3)
	v_fmac_f32_e32 v5, v4, v7
	v_mul_f32_e32 v4, v4, v6
; %bb.107:                              ;   in Loop: Header=BB108_61 Depth=2
	s_or_b32 exec_lo, exec_lo, s28
	ds_swizzle_b32 v7, v4 offset:swizzle(BROADCAST,32,15)
	ds_swizzle_b32 v6, v5 offset:swizzle(BROADCAST,32,15)
	s_and_saveexec_b32 s28, s4
	s_cbranch_execz .LBB108_109
; %bb.108:                              ;   in Loop: Header=BB108_61 Depth=2
	s_waitcnt lgkmcnt(1)
	v_mul_f32_e32 v7, v4, v7
	s_waitcnt lgkmcnt(0)
	s_delay_alu instid0(VALU_DEP_1)
	v_dual_fmac_f32 v5, v4, v6 :: v_dual_mov_b32 v4, v7
.LBB108_109:                            ;   in Loop: Header=BB108_61 Depth=2
	s_or_b32 exec_lo, exec_lo, s28
	s_and_saveexec_b32 s28, s5
	s_cbranch_execz .LBB108_111
; %bb.110:                              ;   in Loop: Header=BB108_61 Depth=2
	ds_store_b64 v35, v[4:5] offset:2112
.LBB108_111:                            ;   in Loop: Header=BB108_61 Depth=2
	s_or_b32 exec_lo, exec_lo, s28
	s_waitcnt vmcnt(0) lgkmcnt(0)
	s_waitcnt_vscnt null, 0x0
	s_barrier
	buffer_gl0_inv
	s_and_saveexec_b32 s28, s6
	s_cbranch_execz .LBB108_113
; %bb.112:                              ;   in Loop: Header=BB108_61 Depth=2
	ds_load_b64 v[6:7], v36 offset:2112
	s_waitcnt lgkmcnt(0)
	v_mov_b32_dpp v97, v6 row_shr:1 row_mask:0xf bank_mask:0xf
	v_mov_b32_dpp v98, v7 row_shr:1 row_mask:0xf bank_mask:0xf
	s_delay_alu instid0(VALU_DEP_2) | instskip(NEXT) | instid1(VALU_DEP_2)
	v_mul_f32_e32 v97, v6, v97
	v_fma_f32 v98, v6, v98, v7
	s_delay_alu instid0(VALU_DEP_2) | instskip(NEXT) | instid1(VALU_DEP_2)
	v_cndmask_b32_e64 v6, v97, v6, s7
	v_cndmask_b32_e64 v7, v98, v7, s7
	ds_store_b64 v36, v[6:7] offset:2112
.LBB108_113:                            ;   in Loop: Header=BB108_61 Depth=2
	s_or_b32 exec_lo, exec_lo, s28
	s_waitcnt lgkmcnt(0)
	s_barrier
	buffer_gl0_inv
                                        ; implicit-def: $vgpr7
	s_and_saveexec_b32 s28, s9
	s_cbranch_execz .LBB108_115
; %bb.114:                              ;   in Loop: Header=BB108_61 Depth=2
	ds_load_b64 v[6:7], v35 offset:2104
	s_waitcnt lgkmcnt(0)
	v_mul_f32_e32 v97, v4, v6
	s_delay_alu instid0(VALU_DEP_1)
	v_dual_fmac_f32 v5, v4, v7 :: v_dual_mov_b32 v4, v97
.LBB108_115:                            ;   in Loop: Header=BB108_61 Depth=2
	s_or_b32 exec_lo, exec_lo, s28
	ds_bpermute_b32 v97, v37, v4
	ds_bpermute_b32 v98, v37, v5
	s_and_saveexec_b32 s28, s8
	s_cbranch_execz .LBB108_119
; %bb.116:                              ;   in Loop: Header=BB108_61 Depth=2
	ds_load_b64 v[4:5], v13 offset:2120
	s_and_saveexec_b32 s39, s10
	s_cbranch_execz .LBB108_118
; %bb.117:                              ;   in Loop: Header=BB108_61 Depth=2
	ds_store_b64 v13, v[8:9] offset:2120
.LBB108_118:                            ;   in Loop: Header=BB108_61 Depth=2
	s_or_b32 exec_lo, exec_lo, s39
	s_waitcnt lgkmcnt(0)
	v_fmac_f32_e32 v5, v9, v4
	s_delay_alu instid0(VALU_DEP_1)
	v_dual_mul_f32 v8, v8, v4 :: v_dual_mov_b32 v9, v5
.LBB108_119:                            ;   in Loop: Header=BB108_61 Depth=2
	s_or_b32 exec_lo, exec_lo, s28
	s_waitcnt lgkmcnt(0)
	s_barrier
	buffer_gl0_inv
	ds_load_b32 v4, v13 offset:2124
	s_and_saveexec_b32 s28, s10
	s_cbranch_execz .LBB108_60
; %bb.120:                              ;   in Loop: Header=BB108_61 Depth=2
	v_mov_b32_e32 v5, s73
	s_and_not1_b32 vcc_lo, exec_lo, s71
	ds_store_b64 v5, v[8:9]
	s_cbranch_vccnz .LBB108_60
; %bb.121:                              ;   in Loop: Header=BB108_61 Depth=2
	s_mov_b32 s43, s35
	s_delay_alu instid0(SALU_CYCLE_1) | instskip(NEXT) | instid1(SALU_CYCLE_1)
	s_lshl_b64 s[74:75], s[42:43], 2
	s_add_u32 s74, s53, s74
	s_addc_u32 s75, s65, s75
	global_store_b32 v13, v9, s[74:75]
	s_branch .LBB108_60
.LBB108_122:                            ;   in Loop: Header=BB108_12 Depth=1
	v_cvt_f16_f32_e32 v0, v64
	v_cvt_f16_f32_e32 v1, v63
	;; [unrolled: 1-line block ×8, first 2 shown]
	s_waitcnt_vscnt null, 0x0
	v_pack_b32_f16 v3, v3, v4
	v_pack_b32_f16 v2, v2, v5
	;; [unrolled: 1-line block ×4, first 2 shown]
	s_barrier
	buffer_gl0_inv
	s_mov_b32 s31, s35
	ds_store_b128 v27, v[0:3]
	; wave barrier
	ds_load_u16 v8, v20 offset:64
	ds_load_u16 v7, v21 offset:128
	;; [unrolled: 1-line block ×7, first 2 shown]
	s_lshl_b64 s[24:25], s[30:31], 1
	s_delay_alu instid0(SALU_CYCLE_1)
	v_add_co_u32 v0, vcc_lo, v38, s24
	v_add_co_ci_u32_e32 v1, vcc_lo, s25, v39, vcc_lo
	s_and_saveexec_b32 s20, s12
	s_cbranch_execnz .LBB108_157
; %bb.123:                              ;   in Loop: Header=BB108_12 Depth=1
	s_or_b32 exec_lo, exec_lo, s20
	s_and_saveexec_b32 s20, s13
	s_cbranch_execnz .LBB108_158
.LBB108_124:                            ;   in Loop: Header=BB108_12 Depth=1
	s_or_b32 exec_lo, exec_lo, s20
	s_and_saveexec_b32 s20, s14
	s_cbranch_execnz .LBB108_159
.LBB108_125:                            ;   in Loop: Header=BB108_12 Depth=1
	s_or_b32 exec_lo, exec_lo, s20
	s_and_saveexec_b32 s20, s15
	s_cbranch_execnz .LBB108_160
.LBB108_126:                            ;   in Loop: Header=BB108_12 Depth=1
	s_or_b32 exec_lo, exec_lo, s20
	s_and_saveexec_b32 s20, s16
	s_cbranch_execnz .LBB108_161
.LBB108_127:                            ;   in Loop: Header=BB108_12 Depth=1
	s_or_b32 exec_lo, exec_lo, s20
	s_and_saveexec_b32 s20, s17
	s_cbranch_execnz .LBB108_162
.LBB108_128:                            ;   in Loop: Header=BB108_12 Depth=1
	s_or_b32 exec_lo, exec_lo, s20
	s_and_saveexec_b32 s20, s18
	s_cbranch_execnz .LBB108_163
.LBB108_129:                            ;   in Loop: Header=BB108_12 Depth=1
	s_or_b32 exec_lo, exec_lo, s20
	s_and_saveexec_b32 s20, s19
	s_cbranch_execz .LBB108_131
.LBB108_130:                            ;   in Loop: Header=BB108_12 Depth=1
	s_waitcnt lgkmcnt(0)
	global_store_b16 v[0:1], v2, off offset:448
.LBB108_131:                            ;   in Loop: Header=BB108_12 Depth=1
	s_or_b32 exec_lo, exec_lo, s20
	v_add_co_u32 v0, vcc_lo, v40, s24
	v_add_co_ci_u32_e32 v1, vcc_lo, s25, v41, vcc_lo
	s_waitcnt lgkmcnt(0)
	v_dual_mov_b32 v2, 0 :: v_dual_mov_b32 v3, 0
	s_waitcnt_vscnt null, 0x0
	s_barrier
	buffer_gl0_inv
	s_and_saveexec_b32 s20, s12
	s_cbranch_execz .LBB108_133
; %bb.132:                              ;   in Loop: Header=BB108_12 Depth=1
	global_load_u16 v3, v[0:1], off
.LBB108_133:                            ;   in Loop: Header=BB108_12 Depth=1
	s_or_b32 exec_lo, exec_lo, s20
	s_and_saveexec_b32 s20, s13
	s_cbranch_execz .LBB108_135
; %bb.134:                              ;   in Loop: Header=BB108_12 Depth=1
	global_load_u16 v2, v[0:1], off offset:64
.LBB108_135:                            ;   in Loop: Header=BB108_12 Depth=1
	s_or_b32 exec_lo, exec_lo, s20
	v_dual_mov_b32 v4, 0 :: v_dual_mov_b32 v5, 0
	s_and_saveexec_b32 s20, s14
	s_cbranch_execz .LBB108_137
; %bb.136:                              ;   in Loop: Header=BB108_12 Depth=1
	global_load_u16 v5, v[0:1], off offset:128
.LBB108_137:                            ;   in Loop: Header=BB108_12 Depth=1
	s_or_b32 exec_lo, exec_lo, s20
	s_and_saveexec_b32 s20, s15
	s_cbranch_execz .LBB108_139
; %bb.138:                              ;   in Loop: Header=BB108_12 Depth=1
	global_load_u16 v4, v[0:1], off offset:192
.LBB108_139:                            ;   in Loop: Header=BB108_12 Depth=1
	s_or_b32 exec_lo, exec_lo, s20
	v_dual_mov_b32 v6, 0 :: v_dual_mov_b32 v7, 0
	s_and_saveexec_b32 s20, s16
	s_cbranch_execz .LBB108_141
; %bb.140:                              ;   in Loop: Header=BB108_12 Depth=1
	global_load_u16 v7, v[0:1], off offset:256
.LBB108_141:                            ;   in Loop: Header=BB108_12 Depth=1
	;; [unrolled: 13-line block ×3, first 2 shown]
	s_or_b32 exec_lo, exec_lo, s20
	s_and_saveexec_b32 s20, s19
	s_cbranch_execz .LBB108_147
; %bb.146:                              ;   in Loop: Header=BB108_12 Depth=1
	global_load_u16 v8, v[0:1], off offset:448
.LBB108_147:                            ;   in Loop: Header=BB108_12 Depth=1
	s_or_b32 exec_lo, exec_lo, s20
	s_waitcnt vmcnt(0)
	ds_store_b16 v20, v3
	ds_store_b16 v20, v2 offset:64
	ds_store_b16 v21, v5 offset:128
	;; [unrolled: 1-line block ×7, first 2 shown]
	; wave barrier
	ds_load_b128 v[0:3], v27
	s_waitcnt lgkmcnt(0)
	s_barrier
	buffer_gl0_inv
	v_cvt_f32_f16_e32 v6, v1
	v_lshrrev_b32_e32 v4, 16, v0
	v_cvt_f32_f16_e32 v7, v0
	v_lshrrev_b32_e32 v5, 16, v1
	s_delay_alu instid0(VALU_DEP_4) | instskip(NEXT) | instid1(VALU_DEP_4)
	v_mul_f32_e32 v8, 0xbfb8aa3b, v6
	v_cvt_f32_f16_e32 v4, v4
	s_delay_alu instid0(VALU_DEP_4) | instskip(NEXT) | instid1(VALU_DEP_4)
	v_mul_f32_e32 v9, 0xbfb8aa3b, v7
	v_cvt_f32_f16_e32 v5, v5
	v_cmp_nlt_f32_e32 vcc_lo, 0x42ce8ed0, v6
	v_rndne_f32_e32 v55, v8
	v_fma_mix_f32 v56, v1, s56, -v8 op_sel_hi:[1,0,0]
	s_delay_alu instid0(VALU_DEP_4)
	v_dual_mul_f32 v53, 0xbfb8aa3b, v4 :: v_dual_mul_f32 v54, 0xbfb8aa3b, v5
	v_rndne_f32_e32 v65, v9
	v_fma_mix_f32 v66, v0, s56, -v9 op_sel_hi:[1,0,0]
	v_sub_f32_e32 v8, v8, v55
	v_fma_mix_f32 v56, v1, s57, v56 op_sel_hi:[1,0,0]
	v_rndne_f32_e32 v67, v53
	v_sub_f32_e32 v9, v9, v65
	v_fma_mix_f32 v68, v0, s56, -v53 op_sel:[1,0,0] op_sel_hi:[1,0,0]
	v_fma_mix_f32 v66, v0, s57, v66 op_sel_hi:[1,0,0]
	v_add_f32_e32 v8, v8, v56
	v_rndne_f32_e32 v69, v54
	v_fma_mix_f32 v70, v1, s56, -v54 op_sel:[1,0,0] op_sel_hi:[1,0,0]
	v_sub_f32_e32 v53, v53, v67
	v_fma_mix_f32 v0, v0, s57, v68 op_sel:[1,0,0] op_sel_hi:[1,0,0]
	s_delay_alu instid0(VALU_DEP_4) | instskip(SKIP_2) | instid1(VALU_DEP_3)
	v_dual_add_f32 v9, v9, v66 :: v_dual_sub_f32 v54, v54, v69
	v_exp_f32_e32 v8, v8
	v_fma_mix_f32 v1, v1, s57, v70 op_sel:[1,0,0] op_sel_hi:[1,0,0]
	v_add_f32_e32 v0, v53, v0
	s_delay_alu instid0(VALU_DEP_3)
	v_exp_f32_e32 v9, v9
	v_cvt_i32_f32_e32 v55, v55
	v_cvt_i32_f32_e32 v56, v65
	v_add_f32_e32 v1, v54, v1
	v_exp_f32_e32 v0, v0
	v_cvt_i32_f32_e32 v65, v67
	v_cvt_i32_f32_e32 v66, v69
	v_ldexp_f32 v8, v8, v55
	v_exp_f32_e32 v1, v1
	v_lshrrev_b32_e32 v54, 16, v2
	v_ldexp_f32 v9, v9, v56
	v_cvt_f32_f16_e32 v67, v3
	v_cndmask_b32_e32 v8, 0, v8, vcc_lo
	v_cmp_nlt_f32_e32 vcc_lo, 0x42ce8ed0, v7
	v_ldexp_f32 v0, v0, v65
	v_cvt_f32_f16_e32 v54, v54
	v_lshrrev_b32_e32 v53, 16, v3
	v_cndmask_b32_e32 v9, 0, v9, vcc_lo
	v_cmp_nlt_f32_e32 vcc_lo, 0x42ce8ed0, v4
	v_ldexp_f32 v1, v1, v66
	s_delay_alu instid0(VALU_DEP_4) | instskip(SKIP_2) | instid1(VALU_DEP_4)
	v_cvt_f32_f16_e32 v53, v53
	v_cndmask_b32_e32 v0, 0, v0, vcc_lo
	v_cmp_nlt_f32_e32 vcc_lo, 0x42ce8ed0, v5
	v_cndmask_b32_e32 v1, 0, v1, vcc_lo
	v_cmp_ngt_f32_e32 vcc_lo, 0xc2b17218, v6
	v_cndmask_b32_e32 v8, 0x7f800000, v8, vcc_lo
	v_cmp_ngt_f32_e32 vcc_lo, 0xc2b17218, v4
	;; [unrolled: 2-line block ×4, first 2 shown]
	s_delay_alu instid0(VALU_DEP_2) | instskip(SKIP_1) | instid1(VALU_DEP_2)
	v_dual_add_f32 v1, 1.0, v1 :: v_dual_add_f32 v8, 1.0, v8
	v_cndmask_b32_e32 v9, 0x7f800000, v9, vcc_lo
	v_div_scale_f32 v65, null, v1, v1, v5
	s_delay_alu instid0(VALU_DEP_3) | instskip(NEXT) | instid1(VALU_DEP_3)
	v_div_scale_f32 v55, null, v8, v8, v6
	v_dual_add_f32 v9, 1.0, v9 :: v_dual_add_f32 v0, 1.0, v0
	s_delay_alu instid0(VALU_DEP_3) | instskip(NEXT) | instid1(VALU_DEP_2)
	v_rcp_f32_e32 v69, v65
	v_rcp_f32_e32 v66, v55
	v_div_scale_f32 v70, s20, v6, v8, v6
	s_delay_alu instid0(VALU_DEP_2) | instskip(SKIP_2) | instid1(VALU_DEP_3)
	v_div_scale_f32 v56, null, v0, v0, v4
	v_div_scale_f32 v76, s21, v5, v1, v5
	v_div_scale_f32 v72, vcc_lo, v4, v0, v4
	v_rcp_f32_e32 v68, v56
	s_waitcnt_depctr 0xfff
	v_fma_f32 v73, -v55, v66, 1.0
	v_fma_f32 v75, -v65, v69, 1.0
	v_div_scale_f32 v71, null, v9, v9, v7
	s_delay_alu instid0(VALU_DEP_2) | instskip(SKIP_2) | instid1(VALU_DEP_3)
	v_dual_fmac_f32 v66, v73, v66 :: v_dual_fmac_f32 v69, v75, v69
	v_mul_f32_e32 v73, 0xbfb8aa3b, v54
	v_fma_f32 v74, -v56, v68, 1.0
	v_dual_mul_f32 v75, v70, v66 :: v_dual_mul_f32 v78, v76, v69
	s_delay_alu instid0(VALU_DEP_3) | instskip(SKIP_1) | instid1(VALU_DEP_4)
	v_rndne_f32_e32 v80, v73
	v_fma_mix_f32 v84, v2, s56, -v73 op_sel:[1,0,0] op_sel_hi:[1,0,0]
	v_fmac_f32_e32 v68, v74, v68
	s_delay_alu instid0(VALU_DEP_4) | instskip(SKIP_2) | instid1(VALU_DEP_3)
	v_fma_f32 v81, -v55, v75, v70
	v_fma_f32 v83, -v65, v78, v76
	v_rcp_f32_e32 v74, v71
	v_mul_f32_e32 v77, v72, v68
	s_delay_alu instid0(VALU_DEP_2) | instskip(NEXT) | instid1(VALU_DEP_2)
	v_dual_fmac_f32 v75, v81, v66 :: v_dual_fmac_f32 v78, v83, v69
	v_fma_f32 v82, -v56, v77, v72
	s_delay_alu instid0(VALU_DEP_2)
	v_fma_f32 v65, -v65, v78, v76
	v_mul_f32_e32 v76, 0xbfb8aa3b, v67
	s_waitcnt_depctr 0xfff
	v_fma_f32 v85, -v71, v74, 1.0
	v_fmac_f32_e32 v77, v82, v68
	v_mul_f32_e32 v79, 0xbfb8aa3b, v53
	v_fma_f32 v55, -v55, v75, v70
	v_fma_mix_f32 v70, v2, s57, v84 op_sel:[1,0,0] op_sel_hi:[1,0,0]
	v_fmac_f32_e32 v74, v85, v74
	v_fma_f32 v56, -v56, v77, v72
	v_rndne_f32_e32 v72, v79
	s_delay_alu instid0(VALU_DEP_2)
	v_div_fmas_f32 v56, v56, v68, v77
	s_mov_b32 vcc_lo, s21
	v_fma_mix_f32 v68, v3, s56, -v79 op_sel:[1,0,0] op_sel_hi:[1,0,0]
	v_div_fmas_f32 v65, v65, v69, v78
	s_mov_b32 vcc_lo, s20
	v_div_fixup_f32 v4, v56, v0, v4
	v_div_fmas_f32 v55, v55, v66, v75
	v_cvt_f32_f16_e32 v66, v2
	v_fma_mix_f32 v68, v3, s57, v68 op_sel:[1,0,0] op_sel_hi:[1,0,0]
	v_fma_mix_f32 v75, v3, s56, -v76 op_sel_hi:[1,0,0]
	v_cmp_nlt_f32_e32 vcc_lo, 0x42ce8ed0, v54
	v_div_fixup_f32 v5, v65, v1, v5
	v_mul_f32_e32 v77, 0xbfb8aa3b, v66
	v_div_fixup_f32 v0, v55, v8, v6
	v_fma_mix_f32 v3, v3, s57, v75 op_sel_hi:[1,0,0]
	s_delay_alu instid0(VALU_DEP_3) | instskip(NEXT) | instid1(VALU_DEP_1)
	v_fma_mix_f32 v78, v2, s56, -v77 op_sel_hi:[1,0,0]
	v_fma_mix_f32 v2, v2, s57, v78 op_sel_hi:[1,0,0]
	v_sub_f32_e32 v73, v73, v80
	s_delay_alu instid0(VALU_DEP_1) | instskip(SKIP_2) | instid1(VALU_DEP_3)
	v_dual_add_f32 v69, v73, v70 :: v_dual_sub_f32 v70, v79, v72
	v_rndne_f32_e32 v73, v76
	v_cvt_i32_f32_e32 v72, v72
	v_exp_f32_e32 v69, v69
	s_delay_alu instid0(VALU_DEP_3) | instskip(SKIP_3) | instid1(VALU_DEP_4)
	v_add_f32_e32 v68, v70, v68
	v_cvt_i32_f32_e32 v70, v80
	v_rndne_f32_e32 v75, v77
	v_sub_f32_e32 v76, v76, v73
	v_exp_f32_e32 v68, v68
	s_waitcnt_depctr 0xfff
	v_ldexp_f32 v69, v69, v70
	s_delay_alu instid0(VALU_DEP_1) | instskip(SKIP_2) | instid1(VALU_DEP_3)
	v_dual_sub_f32 v70, v77, v75 :: v_dual_cndmask_b32 v69, 0, v69
	v_cmp_ngt_f32_e32 vcc_lo, 0xc2b17218, v54
	v_ldexp_f32 v68, v68, v72
	v_add_f32_e32 v2, v70, v2
	v_cvt_i32_f32_e32 v70, v73
	v_cndmask_b32_e32 v69, 0x7f800000, v69, vcc_lo
	v_cmp_nlt_f32_e32 vcc_lo, 0x42ce8ed0, v53
	v_add_f32_e32 v3, v76, v3
	v_exp_f32_e32 v2, v2
	v_cndmask_b32_e32 v68, 0, v68, vcc_lo
	s_delay_alu instid0(VALU_DEP_2) | instskip(SKIP_4) | instid1(VALU_DEP_1)
	v_exp_f32_e32 v3, v3
	v_cmp_nlt_f32_e32 vcc_lo, 0x42ce8ed0, v67
	s_waitcnt_depctr 0xfff
	v_ldexp_f32 v3, v3, v70
	v_cvt_i32_f32_e32 v70, v75
	v_ldexp_f32 v2, v2, v70
	s_delay_alu instid0(VALU_DEP_3) | instskip(SKIP_3) | instid1(VALU_DEP_2)
	v_cndmask_b32_e32 v3, 0, v3, vcc_lo
	v_cmp_ngt_f32_e32 vcc_lo, 0xc2b17218, v53
	v_cndmask_b32_e32 v68, 0x7f800000, v68, vcc_lo
	v_cmp_ngt_f32_e32 vcc_lo, 0xc2b17218, v67
	v_dual_add_f32 v68, 1.0, v68 :: v_dual_add_f32 v69, 1.0, v69
	v_cndmask_b32_e32 v3, 0x7f800000, v3, vcc_lo
	v_cmp_nlt_f32_e32 vcc_lo, 0x42ce8ed0, v66
	s_delay_alu instid0(VALU_DEP_3) | instskip(NEXT) | instid1(VALU_DEP_4)
	v_div_scale_f32 v73, null, v68, v68, v53
	v_div_scale_f32 v70, null, v69, v69, v54
	v_cndmask_b32_e32 v2, 0, v2, vcc_lo
	s_delay_alu instid0(VALU_DEP_3) | instskip(SKIP_1) | instid1(VALU_DEP_3)
	v_rcp_f32_e32 v77, v73
	v_cmp_ngt_f32_e32 vcc_lo, 0xc2b17218, v66
	v_rcp_f32_e32 v72, v70
	s_waitcnt_depctr 0xfff
	v_fma_f32 v82, -v73, v77, 1.0
	v_cndmask_b32_e32 v2, 0x7f800000, v2, vcc_lo
	v_div_scale_f32 v76, vcc_lo, v7, v9, v7
	v_fma_f32 v78, -v70, v72, 1.0
	s_delay_alu instid0(VALU_DEP_3) | instskip(NEXT) | instid1(VALU_DEP_3)
	v_dual_fmac_f32 v77, v82, v77 :: v_dual_add_f32 v2, 1.0, v2
	v_dual_add_f32 v3, 1.0, v3 :: v_dual_mul_f32 v80, v76, v74
	v_div_scale_f32 v82, s21, v53, v68, v53
	s_delay_alu instid0(VALU_DEP_3) | instskip(NEXT) | instid1(VALU_DEP_3)
	v_div_scale_f32 v81, null, v2, v2, v66
	v_div_scale_f32 v75, null, v3, v3, v67
	s_delay_alu instid0(VALU_DEP_4) | instskip(NEXT) | instid1(VALU_DEP_3)
	v_fma_f32 v84, -v71, v80, v76
	v_rcp_f32_e32 v83, v81
	s_delay_alu instid0(VALU_DEP_2)
	v_rcp_f32_e32 v79, v75
	s_waitcnt_depctr 0xfff
	v_fma_f32 v87, -v81, v83, 1.0
	v_fmac_f32_e32 v80, v84, v74
	v_fma_f32 v85, -v75, v79, 1.0
	v_fmac_f32_e32 v72, v78, v72
	v_div_scale_f32 v78, s20, v54, v69, v54
	v_fmac_f32_e32 v83, v87, v83
	s_delay_alu instid0(VALU_DEP_4) | instskip(SKIP_1) | instid1(VALU_DEP_4)
	v_fmac_f32_e32 v79, v85, v79
	v_div_scale_f32 v85, s22, v67, v3, v67
	v_mul_f32_e32 v86, v78, v72
	v_div_scale_f32 v87, s23, v66, v2, v66
	s_delay_alu instid0(VALU_DEP_3) | instskip(SKIP_1) | instid1(VALU_DEP_4)
	v_mul_f32_e32 v89, v85, v79
	v_fma_f32 v71, -v71, v80, v76
	v_fma_f32 v84, -v70, v86, v78
	s_delay_alu instid0(VALU_DEP_4) | instskip(NEXT) | instid1(VALU_DEP_3)
	v_mul_f32_e32 v90, v87, v83
	v_div_fmas_f32 v71, v71, v74, v80
	s_delay_alu instid0(VALU_DEP_3)
	v_fmac_f32_e32 v86, v84, v72
	v_fma_f32 v84, -v75, v89, v85
	v_mul_f32_e32 v88, v82, v77
	v_fma_f32 v74, -v81, v90, v87
	s_mov_b32 vcc_lo, s20
	v_fma_f32 v70, -v70, v86, v78
	v_fmac_f32_e32 v89, v84, v79
	v_fma_f32 v76, -v73, v88, v82
	v_fmac_f32_e32 v90, v74, v83
	v_div_fixup_f32 v6, v71, v9, v7
	v_div_fmas_f32 v70, v70, v72, v86
	s_mov_b32 vcc_lo, s21
	v_fmac_f32_e32 v88, v76, v77
	v_fma_f32 v74, -v81, v90, v87
	s_delay_alu instid0(VALU_DEP_3) | instskip(NEXT) | instid1(VALU_DEP_3)
	v_div_fixup_f32 v7, v70, v69, v54
	v_fma_f32 v72, -v73, v88, v82
	v_fma_f32 v73, -v75, v89, v85
	s_delay_alu instid0(VALU_DEP_2) | instskip(SKIP_1) | instid1(VALU_DEP_2)
	v_div_fmas_f32 v72, v72, v77, v88
	s_mov_b32 vcc_lo, s22
	v_div_fmas_f32 v73, v73, v79, v89
	s_mov_b32 vcc_lo, s23
	s_delay_alu instid0(VALU_DEP_2) | instskip(SKIP_1) | instid1(VALU_DEP_3)
	v_div_fixup_f32 v8, v72, v68, v53
	v_div_fmas_f32 v74, v74, v83, v90
	v_div_fixup_f32 v1, v73, v3, v67
	s_delay_alu instid0(VALU_DEP_2) | instskip(NEXT) | instid1(VALU_DEP_2)
	v_div_fixup_f32 v2, v74, v2, v66
	v_fma_mixlo_f16 v3, v60, v1, 0
	v_fma_mixlo_f16 v1, v63, v0, 0
	v_fma_mixlo_f16 v0, v64, v6, 0
	s_delay_alu instid0(VALU_DEP_4) | instskip(NEXT) | instid1(VALU_DEP_4)
	v_fma_mixlo_f16 v2, v62, v2, 0
	v_fma_mixhi_f16 v3, v61, v8, 0
	s_delay_alu instid0(VALU_DEP_4) | instskip(NEXT) | instid1(VALU_DEP_4)
	v_fma_mixhi_f16 v1, v59, v5, 0
	v_fma_mixhi_f16 v0, v58, v4, 0
	s_delay_alu instid0(VALU_DEP_4)
	v_fma_mixhi_f16 v2, v57, v7, 0
	ds_store_b128 v27, v[0:3]
	; wave barrier
	ds_load_u16 v8, v20 offset:64
	ds_load_u16 v7, v21 offset:128
	;; [unrolled: 1-line block ×7, first 2 shown]
	v_add_co_u32 v0, vcc_lo, v42, s24
	v_add_co_ci_u32_e32 v1, vcc_lo, s25, v43, vcc_lo
	s_and_saveexec_b32 s20, s12
	s_cbranch_execnz .LBB108_164
; %bb.148:                              ;   in Loop: Header=BB108_12 Depth=1
	s_or_b32 exec_lo, exec_lo, s20
	s_and_saveexec_b32 s12, s13
	s_cbranch_execnz .LBB108_165
.LBB108_149:                            ;   in Loop: Header=BB108_12 Depth=1
	s_or_b32 exec_lo, exec_lo, s12
	s_and_saveexec_b32 s12, s14
	s_cbranch_execnz .LBB108_166
.LBB108_150:                            ;   in Loop: Header=BB108_12 Depth=1
	s_or_b32 exec_lo, exec_lo, s12
	s_and_saveexec_b32 s12, s15
	s_cbranch_execnz .LBB108_167
.LBB108_151:                            ;   in Loop: Header=BB108_12 Depth=1
	s_or_b32 exec_lo, exec_lo, s12
	s_and_saveexec_b32 s12, s16
	s_cbranch_execnz .LBB108_168
.LBB108_152:                            ;   in Loop: Header=BB108_12 Depth=1
	s_or_b32 exec_lo, exec_lo, s12
	s_and_saveexec_b32 s12, s17
	s_cbranch_execnz .LBB108_169
.LBB108_153:                            ;   in Loop: Header=BB108_12 Depth=1
	s_or_b32 exec_lo, exec_lo, s12
	s_and_saveexec_b32 s12, s18
	s_cbranch_execnz .LBB108_170
.LBB108_154:                            ;   in Loop: Header=BB108_12 Depth=1
	s_or_b32 exec_lo, exec_lo, s12
	s_and_saveexec_b32 s12, s19
	s_cbranch_execz .LBB108_11
	s_branch .LBB108_171
.LBB108_155:                            ;   in Loop: Header=BB108_12 Depth=1
	global_load_u16 v55, v[4:5], off offset:320
	s_or_b32 exec_lo, exec_lo, s20
	s_and_saveexec_b32 s20, s18
	s_cbranch_execz .LBB108_40
.LBB108_156:                            ;   in Loop: Header=BB108_12 Depth=1
	global_load_u16 v54, v[4:5], off offset:384
	s_or_b32 exec_lo, exec_lo, s20
	v_mov_b32_e32 v56, 0
	s_and_saveexec_b32 s20, s19
	s_cbranch_execnz .LBB108_41
	s_branch .LBB108_42
.LBB108_157:                            ;   in Loop: Header=BB108_12 Depth=1
	ds_load_u16 v9, v20
	s_waitcnt lgkmcnt(0)
	global_store_b16 v[0:1], v9, off
	s_or_b32 exec_lo, exec_lo, s20
	s_and_saveexec_b32 s20, s13
	s_cbranch_execz .LBB108_124
.LBB108_158:                            ;   in Loop: Header=BB108_12 Depth=1
	s_waitcnt lgkmcnt(6)
	global_store_b16 v[0:1], v8, off offset:64
	s_or_b32 exec_lo, exec_lo, s20
	s_and_saveexec_b32 s20, s14
	s_cbranch_execz .LBB108_125
.LBB108_159:                            ;   in Loop: Header=BB108_12 Depth=1
	s_waitcnt lgkmcnt(5)
	global_store_b16 v[0:1], v7, off offset:128
	s_or_b32 exec_lo, exec_lo, s20
	s_and_saveexec_b32 s20, s15
	s_cbranch_execz .LBB108_126
.LBB108_160:                            ;   in Loop: Header=BB108_12 Depth=1
	s_waitcnt lgkmcnt(4)
	global_store_b16 v[0:1], v6, off offset:192
	s_or_b32 exec_lo, exec_lo, s20
	s_and_saveexec_b32 s20, s16
	s_cbranch_execz .LBB108_127
.LBB108_161:                            ;   in Loop: Header=BB108_12 Depth=1
	s_waitcnt lgkmcnt(3)
	global_store_b16 v[0:1], v5, off offset:256
	s_or_b32 exec_lo, exec_lo, s20
	s_and_saveexec_b32 s20, s17
	s_cbranch_execz .LBB108_128
.LBB108_162:                            ;   in Loop: Header=BB108_12 Depth=1
	s_waitcnt lgkmcnt(2)
	global_store_b16 v[0:1], v4, off offset:320
	s_or_b32 exec_lo, exec_lo, s20
	s_and_saveexec_b32 s20, s18
	s_cbranch_execz .LBB108_129
.LBB108_163:                            ;   in Loop: Header=BB108_12 Depth=1
	s_waitcnt lgkmcnt(1)
	global_store_b16 v[0:1], v3, off offset:384
	s_or_b32 exec_lo, exec_lo, s20
	s_and_saveexec_b32 s20, s19
	s_cbranch_execnz .LBB108_130
	s_branch .LBB108_131
.LBB108_164:                            ;   in Loop: Header=BB108_12 Depth=1
	ds_load_u16 v9, v20
	s_waitcnt lgkmcnt(0)
	global_store_b16 v[0:1], v9, off
	s_or_b32 exec_lo, exec_lo, s20
	s_and_saveexec_b32 s12, s13
	s_cbranch_execz .LBB108_149
.LBB108_165:                            ;   in Loop: Header=BB108_12 Depth=1
	s_waitcnt lgkmcnt(6)
	global_store_b16 v[0:1], v8, off offset:64
	s_or_b32 exec_lo, exec_lo, s12
	s_and_saveexec_b32 s12, s14
	s_cbranch_execz .LBB108_150
.LBB108_166:                            ;   in Loop: Header=BB108_12 Depth=1
	s_waitcnt lgkmcnt(5)
	global_store_b16 v[0:1], v7, off offset:128
	s_or_b32 exec_lo, exec_lo, s12
	s_and_saveexec_b32 s12, s15
	s_cbranch_execz .LBB108_151
.LBB108_167:                            ;   in Loop: Header=BB108_12 Depth=1
	s_waitcnt lgkmcnt(4)
	global_store_b16 v[0:1], v6, off offset:192
	s_or_b32 exec_lo, exec_lo, s12
	s_and_saveexec_b32 s12, s16
	s_cbranch_execz .LBB108_152
.LBB108_168:                            ;   in Loop: Header=BB108_12 Depth=1
	s_waitcnt lgkmcnt(3)
	global_store_b16 v[0:1], v5, off offset:256
	s_or_b32 exec_lo, exec_lo, s12
	s_and_saveexec_b32 s12, s17
	s_cbranch_execz .LBB108_153
.LBB108_169:                            ;   in Loop: Header=BB108_12 Depth=1
	s_waitcnt lgkmcnt(2)
	global_store_b16 v[0:1], v4, off offset:320
	s_or_b32 exec_lo, exec_lo, s12
	s_and_saveexec_b32 s12, s18
	s_cbranch_execz .LBB108_154
.LBB108_170:                            ;   in Loop: Header=BB108_12 Depth=1
	s_waitcnt lgkmcnt(1)
	global_store_b16 v[0:1], v3, off offset:384
	s_or_b32 exec_lo, exec_lo, s12
	s_and_saveexec_b32 s12, s19
	s_cbranch_execz .LBB108_11
.LBB108_171:                            ;   in Loop: Header=BB108_12 Depth=1
	s_waitcnt lgkmcnt(0)
	global_store_b16 v[0:1], v2, off offset:448
	s_branch .LBB108_11
.LBB108_172:
	s_nop 0
	s_sendmsg sendmsg(MSG_DEALLOC_VGPRS)
	s_endpgm
	.section	.rodata,"a",@progbits
	.p2align	6, 0x0
	.amdhsa_kernel _Z25selective_scan_fwd_kernelI32Selective_Scan_fwd_kernel_traitsILi64ELi8ELi1ELb0ELb1ELb1ELb1ELb1EN3c104HalfEffEEv13SSMParamsBase
		.amdhsa_group_segment_fixed_size 0
		.amdhsa_private_segment_fixed_size 0
		.amdhsa_kernarg_size 248
		.amdhsa_user_sgpr_count 14
		.amdhsa_user_sgpr_dispatch_ptr 0
		.amdhsa_user_sgpr_queue_ptr 0
		.amdhsa_user_sgpr_kernarg_segment_ptr 1
		.amdhsa_user_sgpr_dispatch_id 0
		.amdhsa_user_sgpr_private_segment_size 0
		.amdhsa_wavefront_size32 1
		.amdhsa_uses_dynamic_stack 0
		.amdhsa_enable_private_segment 0
		.amdhsa_system_sgpr_workgroup_id_x 1
		.amdhsa_system_sgpr_workgroup_id_y 1
		.amdhsa_system_sgpr_workgroup_id_z 0
		.amdhsa_system_sgpr_workgroup_info 0
		.amdhsa_system_vgpr_workitem_id 0
		.amdhsa_next_free_vgpr 99
		.amdhsa_next_free_sgpr 76
		.amdhsa_reserve_vcc 1
		.amdhsa_float_round_mode_32 0
		.amdhsa_float_round_mode_16_64 0
		.amdhsa_float_denorm_mode_32 3
		.amdhsa_float_denorm_mode_16_64 3
		.amdhsa_dx10_clamp 1
		.amdhsa_ieee_mode 1
		.amdhsa_fp16_overflow 0
		.amdhsa_workgroup_processor_mode 1
		.amdhsa_memory_ordered 1
		.amdhsa_forward_progress 0
		.amdhsa_shared_vgpr_count 0
		.amdhsa_exception_fp_ieee_invalid_op 0
		.amdhsa_exception_fp_denorm_src 0
		.amdhsa_exception_fp_ieee_div_zero 0
		.amdhsa_exception_fp_ieee_overflow 0
		.amdhsa_exception_fp_ieee_underflow 0
		.amdhsa_exception_fp_ieee_inexact 0
		.amdhsa_exception_int_div_zero 0
	.end_amdhsa_kernel
	.section	.text._Z25selective_scan_fwd_kernelI32Selective_Scan_fwd_kernel_traitsILi64ELi8ELi1ELb0ELb1ELb1ELb1ELb1EN3c104HalfEffEEv13SSMParamsBase,"axG",@progbits,_Z25selective_scan_fwd_kernelI32Selective_Scan_fwd_kernel_traitsILi64ELi8ELi1ELb0ELb1ELb1ELb1ELb1EN3c104HalfEffEEv13SSMParamsBase,comdat
.Lfunc_end108:
	.size	_Z25selective_scan_fwd_kernelI32Selective_Scan_fwd_kernel_traitsILi64ELi8ELi1ELb0ELb1ELb1ELb1ELb1EN3c104HalfEffEEv13SSMParamsBase, .Lfunc_end108-_Z25selective_scan_fwd_kernelI32Selective_Scan_fwd_kernel_traitsILi64ELi8ELi1ELb0ELb1ELb1ELb1ELb1EN3c104HalfEffEEv13SSMParamsBase
                                        ; -- End function
	.section	.AMDGPU.csdata,"",@progbits
; Kernel info:
; codeLenInByte = 14124
; NumSgprs: 78
; NumVgprs: 99
; ScratchSize: 0
; MemoryBound: 0
; FloatMode: 240
; IeeeMode: 1
; LDSByteSize: 0 bytes/workgroup (compile time only)
; SGPRBlocks: 9
; VGPRBlocks: 12
; NumSGPRsForWavesPerEU: 78
; NumVGPRsForWavesPerEU: 99
; Occupancy: 12
; WaveLimiterHint : 1
; COMPUTE_PGM_RSRC2:SCRATCH_EN: 0
; COMPUTE_PGM_RSRC2:USER_SGPR: 14
; COMPUTE_PGM_RSRC2:TRAP_HANDLER: 0
; COMPUTE_PGM_RSRC2:TGID_X_EN: 1
; COMPUTE_PGM_RSRC2:TGID_Y_EN: 1
; COMPUTE_PGM_RSRC2:TGID_Z_EN: 0
; COMPUTE_PGM_RSRC2:TIDIG_COMP_CNT: 0
	.section	.text._Z25selective_scan_fwd_kernelI32Selective_Scan_fwd_kernel_traitsILi64ELi8ELi1ELb0ELb1ELb1ELb1ELb0EN3c104HalfEffEEv13SSMParamsBase,"axG",@progbits,_Z25selective_scan_fwd_kernelI32Selective_Scan_fwd_kernel_traitsILi64ELi8ELi1ELb0ELb1ELb1ELb1ELb0EN3c104HalfEffEEv13SSMParamsBase,comdat
	.protected	_Z25selective_scan_fwd_kernelI32Selective_Scan_fwd_kernel_traitsILi64ELi8ELi1ELb0ELb1ELb1ELb1ELb0EN3c104HalfEffEEv13SSMParamsBase ; -- Begin function _Z25selective_scan_fwd_kernelI32Selective_Scan_fwd_kernel_traitsILi64ELi8ELi1ELb0ELb1ELb1ELb1ELb0EN3c104HalfEffEEv13SSMParamsBase
	.globl	_Z25selective_scan_fwd_kernelI32Selective_Scan_fwd_kernel_traitsILi64ELi8ELi1ELb0ELb1ELb1ELb1ELb0EN3c104HalfEffEEv13SSMParamsBase
	.p2align	8
	.type	_Z25selective_scan_fwd_kernelI32Selective_Scan_fwd_kernel_traitsILi64ELi8ELi1ELb0ELb1ELb1ELb1ELb0EN3c104HalfEffEEv13SSMParamsBase,@function
_Z25selective_scan_fwd_kernelI32Selective_Scan_fwd_kernel_traitsILi64ELi8ELi1ELb0ELb1ELb1ELb1ELb0EN3c104HalfEffEEv13SSMParamsBase: ; @_Z25selective_scan_fwd_kernelI32Selective_Scan_fwd_kernel_traitsILi64ELi8ELi1ELb0ELb1ELb1ELb1ELb0EN3c104HalfEffEEv13SSMParamsBase
; %bb.0:
	s_clause 0x1
	s_load_b32 s9, s[0:1], 0x18
	s_load_b128 s[4:7], s[0:1], 0xe8
	s_mov_b32 s12, s15
	s_mov_b32 s33, 0
	s_waitcnt lgkmcnt(0)
	s_abs_i32 s8, s9
	s_cmp_eq_u64 s[6:7], 0
	v_cvt_f32_u32_e32 v1, s8
	s_delay_alu instid0(VALU_DEP_1) | instskip(SKIP_2) | instid1(VALU_DEP_1)
	v_rcp_iflag_f32_e32 v1, v1
	s_waitcnt_depctr 0xfff
	v_mul_f32_e32 v1, 0x4f7ffffe, v1
	v_cvt_u32_f32_e32 v1, v1
	s_delay_alu instid0(VALU_DEP_1)
	v_readfirstlane_b32 s10, v1
	s_cbranch_scc1 .LBB109_2
; %bb.1:
	v_mov_b32_e32 v1, 0
	s_ashr_i32 s3, s14, 31
	s_add_u32 s2, s6, s14
	s_addc_u32 s3, s7, s3
	global_load_u8 v1, v1, s[2:3]
	s_waitcnt vmcnt(0)
	v_and_b32_e32 v1, 1, v1
	s_delay_alu instid0(VALU_DEP_1)
	v_cmp_eq_u32_e64 s33, 1, v1
.LBB109_2:
	s_load_b64 s[6:7], s[0:1], 0x20
	s_cmp_eq_u64 s[4:5], 0
	s_cbranch_scc1 .LBB109_4
; %bb.3:
	s_ashr_i32 s15, s14, 31
	s_delay_alu instid0(SALU_CYCLE_1) | instskip(NEXT) | instid1(SALU_CYCLE_1)
	s_lshl_b64 s[2:3], s[14:15], 2
	s_add_u32 s2, s4, s2
	s_addc_u32 s3, s5, s3
	s_load_b32 s2, s[2:3], 0x0
	s_waitcnt lgkmcnt(0)
	s_ashr_i32 s3, s2, 31
	s_delay_alu instid0(SALU_CYCLE_1)
	s_cmp_eq_u64 s[6:7], s[2:3]
	s_cbranch_scc0 .LBB109_5
	s_branch .LBB109_172
.LBB109_4:
	s_mov_b32 s2, s14
	s_delay_alu instid0(SALU_CYCLE_1)
	s_ashr_i32 s3, s2, 31
	s_waitcnt lgkmcnt(0)
	s_cmp_eq_u64 s[6:7], s[2:3]
	s_cbranch_scc1 .LBB109_172
.LBB109_5:
	s_clause 0x1
	s_load_b512 s[16:31], s[0:1], 0x88
	s_load_b64 s[34:35], s[0:1], 0x8
	s_mov_b32 s54, 0
	s_mov_b32 s55, 0
	s_waitcnt lgkmcnt(0)
	s_cmp_eq_u64 s[22:23], 0
	s_cbranch_scc1 .LBB109_7
; %bb.6:
	s_ashr_i32 s13, s12, 31
	s_delay_alu instid0(SALU_CYCLE_1) | instskip(NEXT) | instid1(SALU_CYCLE_1)
	s_lshl_b64 s[4:5], s[12:13], 2
	s_add_u32 s4, s22, s4
	s_addc_u32 s5, s23, s5
	s_load_b32 s55, s[4:5], 0x0
.LBB109_7:
	s_cmp_eq_u64 s[28:29], 0
	s_cbranch_scc1 .LBB109_9
; %bb.8:
	s_ashr_i32 s13, s12, 31
	s_delay_alu instid0(SALU_CYCLE_1) | instskip(NEXT) | instid1(SALU_CYCLE_1)
	s_lshl_b64 s[4:5], s[12:13], 2
	s_add_u32 s4, s28, s4
	s_addc_u32 s5, s29, s5
	s_load_b32 s54, s[4:5], 0x0
.LBB109_9:
	s_cmp_lt_i32 s34, 1
	s_cbranch_scc1 .LBB109_172
; %bb.10:
	s_sub_i32 s3, 0, s8
	s_load_b256 s[36:43], s[0:1], 0x4c
	s_mul_i32 s3, s3, s10
	s_abs_i32 s4, s12
	s_mul_hi_u32 s3, s10, s3
	s_ashr_i32 s6, s9, 31
	s_add_i32 s10, s10, s3
	s_ashr_i32 s3, s12, 31
	s_mul_hi_u32 s5, s4, s10
	s_xor_b32 s3, s3, s6
	s_mul_i32 s7, s5, s8
	s_add_i32 s6, s5, 1
	s_sub_i32 s4, s4, s7
	s_load_b256 s[44:51], s[0:1], 0x2c
	s_sub_i32 s7, s4, s8
	s_cmp_ge_u32 s4, s8
	s_mov_b32 s53, 0
	s_cselect_b32 s5, s6, s5
	s_cselect_b32 s4, s7, s4
	s_add_i32 s6, s5, 1
	s_cmp_ge_u32 s4, s8
	s_waitcnt lgkmcnt(0)
	s_mul_i32 s52, s38, s14
	s_cselect_b32 s6, s6, s5
	s_lshl_b64 s[4:5], s[52:53], 1
	s_xor_b32 s6, s6, s3
	s_mul_i32 s52, s39, s12
	s_sub_i32 s3, s6, s3
	s_add_u32 s6, s24, s4
	s_addc_u32 s7, s25, s5
	s_lshl_b64 s[4:5], s[52:53], 1
	s_mul_i32 s52, s40, s14
	s_add_u32 s29, s6, s4
	s_addc_u32 s47, s7, s5
	s_lshl_b64 s[4:5], s[52:53], 1
	s_mul_i32 s52, s41, s12
	;; [unrolled: 4-line block ×3, first 2 shown]
	s_add_u32 s51, s6, s4
	s_addc_u32 s44, s7, s5
	s_lshl_b64 s[4:5], s[52:53], 2
	v_dual_mov_b32 v13, 0 :: v_dual_lshlrev_b32 v10, 3, v0
	s_add_u32 s56, s16, s4
	s_addc_u32 s57, s17, s5
	s_load_b64 s[4:5], s[0:1], 0x7c
	s_mul_i32 s52, s46, s14
	s_load_b128 s[24:27], s[0:1], 0xc8
	s_lshl_b64 s[6:7], s[52:53], 1
	s_mul_i32 s52, s3, s49
	s_add_u32 s8, s18, s6
	v_mbcnt_lo_u32_b32 v1, -1, 0
	v_and_b32_e32 v2, 0x100, v10
	s_addc_u32 s9, s19, s7
	s_lshl_b64 s[6:7], s[52:53], 1
	s_mul_i32 s52, s50, s14
	s_add_u32 s46, s8, s6
	s_load_b128 s[16:19], s[0:1], 0x6c
	s_addc_u32 s49, s9, s7
	s_lshl_b64 s[6:7], s[52:53], 1
	s_load_b64 s[22:23], s[0:1], 0xd8
	s_mul_i32 s52, s3, s37
	s_clause 0x1
	s_load_b32 s37, s[0:1], 0x84
	s_load_b32 s0, s[0:1], 0x28
	v_or_b32_e32 v11, v1, v2
	s_add_u32 s8, s20, s6
	s_addc_u32 s3, s21, s7
	s_lshl_b64 s[6:7], s[52:53], 1
	s_waitcnt lgkmcnt(0)
	s_mul_i32 s52, s2, s4
	v_or_b32_e32 v12, 0x60, v11
	s_add_u32 s50, s8, s6
	s_addc_u32 s58, s3, s7
	s_lshl_b64 s[2:3], s[52:53], 2
	v_or_b32_e32 v17, 0xa0, v11
	v_lshrrev_b32_e32 v3, 5, v12
	v_or_b32_e32 v19, 0xe0, v11
	s_mul_i32 s52, s5, s12
	s_add_u32 s4, s24, s2
	s_addc_u32 s5, s25, s3
	s_lshl_b64 s[2:3], s[52:53], 2
	v_or_b32_e32 v15, 64, v11
	s_add_u32 s59, s4, s2
	v_or_b32_e32 v16, 0x80, v11
	v_and_b32_e32 v3, 10, v3
	v_or_b32_e32 v18, 0xc0, v11
	v_and_b32_e32 v6, 32, v0
	v_lshrrev_b32_e32 v7, 5, v17
	v_lshrrev_b32_e32 v24, 5, v19
	s_addc_u32 s60, s5, s3
	s_add_i32 s1, s34, 0x7ff
	v_lshrrev_b32_e32 v4, 5, v2
	s_lshr_b32 s61, s1, 11
	s_bitcmp1_b32 s0, 0
	v_lshrrev_b32_e32 v5, 5, v15
	v_add_lshl_u32 v3, v3, v11, 1
	v_lshrrev_b32_e32 v8, 5, v16
	v_or_b32_e32 v9, v1, v6
	v_and_b32_e32 v7, 12, v7
	v_lshrrev_b32_e32 v23, 5, v18
	v_and_b32_e32 v26, 14, v24
	s_cselect_b32 s62, -1, 0
	s_cmp_gt_i32 s35, 0
	v_add_lshl_u32 v4, v4, v11, 1
	s_cselect_b32 s63, -1, 0
	s_add_i32 s0, 0, 0x420
	v_add_lshl_u32 v5, v5, v11, 1
	v_add_nc_u32_e32 v22, 0, v3
	v_add_lshl_u32 v8, v8, v11, 1
	v_lshrrev_b32_e32 v25, 2, v9
	v_add_lshl_u32 v7, v7, v11, 1
	v_add_lshl_u32 v33, v23, v11, 1
	;; [unrolled: 1-line block ×3, first 2 shown]
	v_add_nc_u32_e32 v30, s0, v3
	v_and_b32_e32 v3, 15, v1
	s_and_b32 s1, s34, 0x1ff
	v_and_b32_e32 v27, 14, v25
	v_add_nc_u32_e32 v25, 0, v33
	v_add_nc_u32_e32 v26, 0, v34
	;; [unrolled: 1-line block ×7, first 2 shown]
	s_cmp_eq_u32 s1, 0
	v_add_nc_u32_e32 v34, s0, v34
	v_cmp_ne_u32_e64 s0, 0, v3
	v_cmp_lt_u32_e64 s1, 1, v3
	v_cmp_lt_u32_e64 s2, 3, v3
	;; [unrolled: 1-line block ×3, first 2 shown]
	v_add_nc_u32_e32 v3, -1, v1
	v_add_nc_u32_e32 v20, 0, v4
	v_lshrrev_b32_e32 v4, 2, v0
	s_mul_i32 s52, s16, s14
	s_cselect_b32 s64, -1, 0
	v_or_b32_e32 v6, 31, v6
	v_cmp_gt_i32_e32 vcc_lo, 0, v3
	s_lshl_b64 s[20:21], s[52:53], 1
	s_add_i32 s65, s61, -1
	s_mul_i32 s52, s17, s12
	v_dual_cndmask_b32 v3, v3, v1 :: v_dual_and_b32 v4, 8, v4
	s_add_u32 s13, s30, s20
	s_addc_u32 s15, s31, s21
	s_lshl_b64 s[16:17], s[52:53], 1
	s_mul_i32 s52, s42, s14
	v_cmp_eq_u32_e64 s5, v6, v0
	v_cmp_gt_u32_e64 s6, 2, v0
	v_cmp_gt_u32_e64 s8, 32, v0
	v_cmp_lt_u32_e64 s9, 31, v0
	v_cmp_eq_u32_e64 s10, 0, v0
	s_add_u32 s13, s13, s16
	v_lshlrev_b32_e32 v0, 1, v1
	s_addc_u32 s15, s15, s17
	s_lshl_b64 s[16:17], s[52:53], 1
	v_add_nc_u32_e32 v21, 0, v5
	v_and_b32_e32 v5, 16, v1
	v_add_nc_u32_e32 v35, 0, v4
	v_and_b32_e32 v4, 1, v1
	s_mul_i32 s52, s43, s12
	s_add_u32 s20, s26, s16
	s_addc_u32 s21, s27, s17
	s_lshl_b64 s[16:17], s[52:53], 1
	v_lshlrev_b32_e32 v37, 2, v3
	v_add_co_u32 v3, s13, s13, v0
	s_mul_i32 s52, s18, s14
	s_add_u32 s16, s20, s16
	v_cmp_ne_u32_e64 s4, 0, v5
	v_cmp_eq_u32_e64 s7, 0, v4
	v_add_co_ci_u32_e64 v4, null, s15, 0, s13
	s_addc_u32 s17, s21, s17
	s_lshl_b64 s[14:15], s[52:53], 1
	v_lshlrev_b32_e32 v5, 1, v2
	s_mul_i32 s52, s19, s12
	s_add_u32 s14, s22, s14
	s_addc_u32 s15, s23, s15
	s_lshl_b64 s[12:13], s[52:53], 1
	v_add_co_u32 v38, vcc_lo, v3, v5
	s_add_u32 s12, s14, s12
	v_add_co_u32 v3, s14, s16, v0
	v_add_co_ci_u32_e32 v39, vcc_lo, 0, v4, vcc_lo
	v_add_co_ci_u32_e64 v4, null, s17, 0, s14
	s_addc_u32 s13, s15, s13
	v_add_co_u32 v0, s12, s12, v0
	v_lshl_add_u32 v9, v9, 3, v27
	v_add_co_ci_u32_e64 v6, null, s13, 0, s12
	v_add_co_u32 v40, vcc_lo, v3, v5
	v_add_co_ci_u32_e32 v41, vcc_lo, 0, v4, vcc_lo
	v_add_co_u32 v42, vcc_lo, v0, v5
	v_or_b32_e32 v14, 32, v11
	v_add_nc_u32_e32 v23, 0, v8
	v_add_nc_u32_e32 v24, 0, v7
	v_lshl_add_u32 v27, v9, 1, 0
	v_add_nc_u32_e32 v36, 0, v10
	v_cmp_eq_u32_e64 s11, 0, v1
	v_add_co_ci_u32_e32 v43, vcc_lo, 0, v6, vcc_lo
	v_or_b32_e32 v44, 1, v10
	v_or_b32_e32 v45, 2, v10
	;; [unrolled: 1-line block ×7, first 2 shown]
	v_lshlrev_b32_e32 v51, 1, v1
	v_lshlrev_b32_e32 v52, 1, v2
	s_mov_b32 s66, 0x3e9b6dac
	s_add_i32 s67, 0, 0x850
	s_mov_b32 s68, 0xbfb8aa3b
	s_mov_b32 s69, 0xb2a5705f
	;; [unrolled: 1-line block ×3, first 2 shown]
	s_branch .LBB109_12
.LBB109_11:                             ;   in Loop: Header=BB109_12 Depth=1
	s_or_b32 exec_lo, exec_lo, s12
	s_add_u32 s51, s51, 0x400
	s_addc_u32 s44, s44, 0
	s_add_u32 s29, s29, 0x400
	s_addc_u32 s47, s47, 0
	;; [unrolled: 2-line block ×4, first 2 shown]
	s_add_i32 s70, s70, 1
	s_delay_alu instid0(SALU_CYCLE_1)
	s_cmp_lg_u32 s70, s61
	s_cbranch_scc0 .LBB109_172
.LBB109_12:                             ; =>This Loop Header: Depth=1
                                        ;     Child Loop BB109_61 Depth 2
	v_add_co_u32 v0, s12, s29, v51
	s_delay_alu instid0(VALU_DEP_1) | instskip(SKIP_1) | instid1(VALU_DEP_2)
	v_add_co_ci_u32_e64 v1, null, s47, 0, s12
	s_lshl_b32 s30, s70, 9
	v_add_co_u32 v0, vcc_lo, v0, v52
	s_sub_i32 s23, s34, s30
	s_delay_alu instid0(VALU_DEP_2)
	v_add_co_ci_u32_e32 v1, vcc_lo, 0, v1, vcc_lo
	v_cmp_gt_u32_e64 s12, s23, v11
	s_waitcnt lgkmcnt(0)
	v_mov_b32_e32 v2, 0
	s_waitcnt_vscnt null, 0x0
	s_barrier
	buffer_gl0_inv
	s_and_saveexec_b32 s13, s12
	s_cbranch_execz .LBB109_14
; %bb.13:                               ;   in Loop: Header=BB109_12 Depth=1
	global_load_u16 v2, v[0:1], off
.LBB109_14:                             ;   in Loop: Header=BB109_12 Depth=1
	s_or_b32 exec_lo, exec_lo, s13
	v_cmp_gt_u32_e64 s13, s23, v14
	v_dual_mov_b32 v3, 0 :: v_dual_mov_b32 v4, 0
	s_delay_alu instid0(VALU_DEP_2)
	s_and_saveexec_b32 s14, s13
	s_cbranch_execz .LBB109_16
; %bb.15:                               ;   in Loop: Header=BB109_12 Depth=1
	global_load_u16 v4, v[0:1], off offset:64
.LBB109_16:                             ;   in Loop: Header=BB109_12 Depth=1
	s_or_b32 exec_lo, exec_lo, s14
	v_cmp_gt_u32_e64 s14, s23, v15
	s_delay_alu instid0(VALU_DEP_1)
	s_and_saveexec_b32 s15, s14
	s_cbranch_execz .LBB109_18
; %bb.17:                               ;   in Loop: Header=BB109_12 Depth=1
	global_load_u16 v3, v[0:1], off offset:128
.LBB109_18:                             ;   in Loop: Header=BB109_12 Depth=1
	s_or_b32 exec_lo, exec_lo, s15
	v_cmp_gt_u32_e64 s15, s23, v12
	v_mov_b32_e32 v5, 0
	v_mov_b32_e32 v7, 0
	s_delay_alu instid0(VALU_DEP_3)
	s_and_saveexec_b32 s16, s15
	s_cbranch_execz .LBB109_20
; %bb.19:                               ;   in Loop: Header=BB109_12 Depth=1
	global_load_u16 v7, v[0:1], off offset:192
.LBB109_20:                             ;   in Loop: Header=BB109_12 Depth=1
	s_or_b32 exec_lo, exec_lo, s16
	v_cmp_gt_u32_e64 s16, s23, v16
	s_delay_alu instid0(VALU_DEP_1)
	s_and_saveexec_b32 s17, s16
	s_cbranch_execz .LBB109_22
; %bb.21:                               ;   in Loop: Header=BB109_12 Depth=1
	global_load_u16 v5, v[0:1], off offset:256
.LBB109_22:                             ;   in Loop: Header=BB109_12 Depth=1
	s_or_b32 exec_lo, exec_lo, s17
	v_cmp_gt_u32_e64 s17, s23, v17
	v_dual_mov_b32 v8, 0 :: v_dual_mov_b32 v9, 0
	s_delay_alu instid0(VALU_DEP_2)
	s_and_saveexec_b32 s18, s17
	s_cbranch_execz .LBB109_24
; %bb.23:                               ;   in Loop: Header=BB109_12 Depth=1
	global_load_u16 v9, v[0:1], off offset:320
.LBB109_24:                             ;   in Loop: Header=BB109_12 Depth=1
	s_or_b32 exec_lo, exec_lo, s18
	v_cmp_gt_u32_e64 s18, s23, v18
	s_delay_alu instid0(VALU_DEP_1)
	s_and_saveexec_b32 s19, s18
	s_cbranch_execz .LBB109_26
; %bb.25:                               ;   in Loop: Header=BB109_12 Depth=1
	global_load_u16 v8, v[0:1], off offset:384
.LBB109_26:                             ;   in Loop: Header=BB109_12 Depth=1
	s_or_b32 exec_lo, exec_lo, s19
	v_cmp_gt_u32_e64 s19, s23, v19
	v_dual_mov_b32 v6, 0 :: v_dual_mov_b32 v53, 0
	s_delay_alu instid0(VALU_DEP_2)
	s_and_saveexec_b32 s20, s19
	s_cbranch_execz .LBB109_28
; %bb.27:                               ;   in Loop: Header=BB109_12 Depth=1
	global_load_u16 v53, v[0:1], off offset:448
.LBB109_28:                             ;   in Loop: Header=BB109_12 Depth=1
	s_or_b32 exec_lo, exec_lo, s20
	s_waitcnt vmcnt(0)
	ds_store_b16 v20, v2
	ds_store_b16 v20, v4 offset:64
	ds_store_b16 v21, v3 offset:128
	;; [unrolled: 1-line block ×7, first 2 shown]
	; wave barrier
	ds_load_b128 v[0:3], v27
	v_add_co_u32 v4, s20, s51, v51
	s_delay_alu instid0(VALU_DEP_1) | instskip(SKIP_1) | instid1(VALU_DEP_2)
	v_add_co_ci_u32_e64 v5, null, s44, 0, s20
	s_waitcnt lgkmcnt(0)
	v_add_co_u32 v4, vcc_lo, v4, v52
	s_delay_alu instid0(VALU_DEP_2)
	v_add_co_ci_u32_e32 v5, vcc_lo, 0, v5, vcc_lo
	s_barrier
	buffer_gl0_inv
	s_and_saveexec_b32 s20, s12
	s_cbranch_execz .LBB109_30
; %bb.29:                               ;   in Loop: Header=BB109_12 Depth=1
	global_load_u16 v6, v[4:5], off
.LBB109_30:                             ;   in Loop: Header=BB109_12 Depth=1
	s_or_b32 exec_lo, exec_lo, s20
	v_dual_mov_b32 v7, 0 :: v_dual_mov_b32 v8, 0
	s_and_saveexec_b32 s20, s13
	s_cbranch_execz .LBB109_32
; %bb.31:                               ;   in Loop: Header=BB109_12 Depth=1
	global_load_u16 v8, v[4:5], off offset:64
.LBB109_32:                             ;   in Loop: Header=BB109_12 Depth=1
	s_or_b32 exec_lo, exec_lo, s20
	s_and_saveexec_b32 s20, s14
	s_cbranch_execz .LBB109_34
; %bb.33:                               ;   in Loop: Header=BB109_12 Depth=1
	global_load_u16 v7, v[4:5], off offset:128
.LBB109_34:                             ;   in Loop: Header=BB109_12 Depth=1
	s_or_b32 exec_lo, exec_lo, s20
	v_mov_b32_e32 v9, 0
	v_mov_b32_e32 v53, 0
	s_and_saveexec_b32 s20, s15
	s_cbranch_execz .LBB109_36
; %bb.35:                               ;   in Loop: Header=BB109_12 Depth=1
	global_load_u16 v53, v[4:5], off offset:192
.LBB109_36:                             ;   in Loop: Header=BB109_12 Depth=1
	s_or_b32 exec_lo, exec_lo, s20
	s_and_saveexec_b32 s20, s16
	s_cbranch_execz .LBB109_38
; %bb.37:                               ;   in Loop: Header=BB109_12 Depth=1
	global_load_u16 v9, v[4:5], off offset:256
.LBB109_38:                             ;   in Loop: Header=BB109_12 Depth=1
	s_or_b32 exec_lo, exec_lo, s20
	v_dual_mov_b32 v54, 0 :: v_dual_mov_b32 v55, 0
	s_and_saveexec_b32 s20, s17
	s_cbranch_execnz .LBB109_155
; %bb.39:                               ;   in Loop: Header=BB109_12 Depth=1
	s_or_b32 exec_lo, exec_lo, s20
	s_and_saveexec_b32 s20, s18
	s_cbranch_execnz .LBB109_156
.LBB109_40:                             ;   in Loop: Header=BB109_12 Depth=1
	s_or_b32 exec_lo, exec_lo, s20
	v_mov_b32_e32 v56, 0
	s_and_saveexec_b32 s20, s19
	s_cbranch_execz .LBB109_42
.LBB109_41:                             ;   in Loop: Header=BB109_12 Depth=1
	global_load_u16 v56, v[4:5], off offset:448
.LBB109_42:                             ;   in Loop: Header=BB109_12 Depth=1
	s_or_b32 exec_lo, exec_lo, s20
	s_waitcnt vmcnt(0)
	ds_store_b16 v20, v6
	ds_store_b16 v20, v8 offset:64
	ds_store_b16 v21, v7 offset:128
	;; [unrolled: 1-line block ×7, first 2 shown]
	; wave barrier
	ds_load_b128 v[4:7], v27
	s_waitcnt lgkmcnt(0)
	v_cvt_f32_f16_e32 v8, v4
	s_delay_alu instid0(VALU_DEP_1) | instskip(NEXT) | instid1(VALU_DEP_1)
	v_add_f32_e32 v53, s54, v8
	v_cmp_ge_f32_e32 vcc_lo, 0x41a00000, v53
	s_and_b32 s20, s62, vcc_lo
	s_delay_alu instid0(SALU_CYCLE_1)
	s_and_saveexec_b32 s21, s20
	s_cbranch_execz .LBB109_44
; %bb.43:                               ;   in Loop: Header=BB109_12 Depth=1
	v_mul_f32_e32 v8, 0x3fb8aa3b, v53
	v_cmp_ngt_f32_e32 vcc_lo, 0xc2ce8ed0, v53
	s_delay_alu instid0(VALU_DEP_2) | instskip(SKIP_1) | instid1(VALU_DEP_2)
	v_rndne_f32_e32 v9, v8
	v_fma_f32 v54, 0x3fb8aa3b, v53, -v8
	v_sub_f32_e32 v8, v8, v9
	s_delay_alu instid0(VALU_DEP_2) | instskip(SKIP_1) | instid1(VALU_DEP_2)
	v_fmac_f32_e32 v54, 0x32a5705f, v53
	v_cvt_i32_f32_e32 v9, v9
	v_add_f32_e32 v8, v8, v54
	s_delay_alu instid0(VALU_DEP_1) | instskip(SKIP_2) | instid1(VALU_DEP_1)
	v_exp_f32_e32 v8, v8
	s_waitcnt_depctr 0xfff
	v_ldexp_f32 v8, v8, v9
	v_cndmask_b32_e32 v8, 0, v8, vcc_lo
	v_cmp_nlt_f32_e32 vcc_lo, 0x42b17218, v53
	s_delay_alu instid0(VALU_DEP_2) | instskip(NEXT) | instid1(VALU_DEP_1)
	v_cndmask_b32_e32 v53, 0x7f800000, v8, vcc_lo
	v_add_f32_e32 v54, 1.0, v53
	s_delay_alu instid0(VALU_DEP_1) | instskip(NEXT) | instid1(VALU_DEP_1)
	v_cvt_f64_f32_e32 v[8:9], v54
	v_frexp_exp_i32_f64_e32 v8, v[8:9]
	v_frexp_mant_f32_e32 v9, v54
	s_delay_alu instid0(VALU_DEP_1) | instskip(SKIP_1) | instid1(VALU_DEP_1)
	v_cmp_gt_f32_e32 vcc_lo, 0x3f2aaaab, v9
	v_add_f32_e32 v9, -1.0, v54
	v_sub_f32_e32 v56, v9, v54
	v_sub_f32_e32 v9, v53, v9
	v_cmp_gt_f32_e64 s20, 0x33800000, v53
	s_delay_alu instid0(VALU_DEP_3) | instskip(NEXT) | instid1(VALU_DEP_1)
	v_add_f32_e32 v56, 1.0, v56
	v_add_f32_e32 v9, v9, v56
	v_subrev_co_ci_u32_e32 v8, vcc_lo, 0, v8, vcc_lo
	v_cmp_eq_f32_e32 vcc_lo, 0x7f800000, v53
	s_delay_alu instid0(VALU_DEP_2) | instskip(SKIP_2) | instid1(VALU_DEP_2)
	v_sub_nc_u32_e32 v55, 0, v8
	v_cvt_f32_i32_e32 v8, v8
	s_or_b32 vcc_lo, s20, vcc_lo
	v_ldexp_f32 v54, v54, v55
	v_ldexp_f32 v9, v9, v55
	s_delay_alu instid0(VALU_DEP_2) | instskip(NEXT) | instid1(VALU_DEP_1)
	v_add_f32_e32 v57, 1.0, v54
	v_dual_add_f32 v55, -1.0, v54 :: v_dual_add_f32 v56, -1.0, v57
	s_delay_alu instid0(VALU_DEP_1) | instskip(NEXT) | instid1(VALU_DEP_2)
	v_add_f32_e32 v58, 1.0, v55
	v_sub_f32_e32 v56, v54, v56
	s_delay_alu instid0(VALU_DEP_2) | instskip(NEXT) | instid1(VALU_DEP_2)
	v_sub_f32_e32 v54, v54, v58
	v_add_f32_e32 v56, v9, v56
	s_delay_alu instid0(VALU_DEP_2) | instskip(NEXT) | instid1(VALU_DEP_1)
	v_add_f32_e32 v9, v9, v54
	v_dual_add_f32 v59, v55, v9 :: v_dual_add_f32 v58, v57, v56
	s_delay_alu instid0(VALU_DEP_1) | instskip(NEXT) | instid1(VALU_DEP_2)
	v_sub_f32_e32 v55, v55, v59
	v_rcp_f32_e32 v54, v58
	v_sub_f32_e32 v57, v57, v58
	s_delay_alu instid0(VALU_DEP_1) | instskip(SKIP_2) | instid1(VALU_DEP_1)
	v_dual_add_f32 v9, v9, v55 :: v_dual_add_f32 v56, v56, v57
	s_waitcnt_depctr 0xfff
	v_mul_f32_e32 v60, v59, v54
	v_mul_f32_e32 v61, v58, v60
	s_delay_alu instid0(VALU_DEP_1) | instskip(NEXT) | instid1(VALU_DEP_1)
	v_fma_f32 v57, v60, v58, -v61
	v_fmac_f32_e32 v57, v60, v56
	s_delay_alu instid0(VALU_DEP_1) | instskip(NEXT) | instid1(VALU_DEP_1)
	v_add_f32_e32 v62, v61, v57
	v_sub_f32_e32 v63, v59, v62
	s_delay_alu instid0(VALU_DEP_1) | instskip(NEXT) | instid1(VALU_DEP_1)
	v_sub_f32_e32 v59, v59, v63
	v_sub_f32_e32 v59, v59, v62
	v_sub_f32_e32 v55, v62, v61
	s_delay_alu instid0(VALU_DEP_2) | instskip(NEXT) | instid1(VALU_DEP_2)
	v_add_f32_e32 v9, v9, v59
	v_sub_f32_e32 v55, v55, v57
	s_delay_alu instid0(VALU_DEP_1) | instskip(NEXT) | instid1(VALU_DEP_1)
	v_add_f32_e32 v9, v55, v9
	v_add_f32_e32 v55, v63, v9
	s_delay_alu instid0(VALU_DEP_1) | instskip(NEXT) | instid1(VALU_DEP_1)
	v_mul_f32_e32 v57, v54, v55
	v_dual_sub_f32 v62, v63, v55 :: v_dual_mul_f32 v59, v58, v57
	s_delay_alu instid0(VALU_DEP_1) | instskip(NEXT) | instid1(VALU_DEP_2)
	v_add_f32_e32 v9, v9, v62
	v_fma_f32 v58, v57, v58, -v59
	s_delay_alu instid0(VALU_DEP_1) | instskip(NEXT) | instid1(VALU_DEP_1)
	v_fmac_f32_e32 v58, v57, v56
	v_add_f32_e32 v56, v59, v58
	s_delay_alu instid0(VALU_DEP_1) | instskip(NEXT) | instid1(VALU_DEP_1)
	v_sub_f32_e32 v61, v55, v56
	v_sub_f32_e32 v55, v55, v61
	s_delay_alu instid0(VALU_DEP_1) | instskip(NEXT) | instid1(VALU_DEP_1)
	v_sub_f32_e32 v55, v55, v56
	v_add_f32_e32 v9, v9, v55
	v_add_f32_e32 v55, v60, v57
	v_sub_f32_e32 v59, v56, v59
	s_delay_alu instid0(VALU_DEP_1) | instskip(NEXT) | instid1(VALU_DEP_1)
	v_sub_f32_e32 v56, v59, v58
	v_dual_add_f32 v9, v56, v9 :: v_dual_sub_f32 v56, v55, v60
	s_delay_alu instid0(VALU_DEP_1) | instskip(NEXT) | instid1(VALU_DEP_1)
	v_add_f32_e32 v9, v61, v9
	v_dual_sub_f32 v56, v57, v56 :: v_dual_mul_f32 v9, v54, v9
	s_delay_alu instid0(VALU_DEP_1) | instskip(NEXT) | instid1(VALU_DEP_1)
	v_add_f32_e32 v9, v56, v9
	v_add_f32_e32 v54, v55, v9
	s_delay_alu instid0(VALU_DEP_1) | instskip(NEXT) | instid1(VALU_DEP_1)
	v_mul_f32_e32 v56, v54, v54
	v_fmaak_f32 v57, s66, v56, 0x3ecc95a3
	v_mul_f32_e32 v58, v54, v56
	s_delay_alu instid0(VALU_DEP_2) | instskip(SKIP_2) | instid1(VALU_DEP_3)
	v_fmaak_f32 v56, v56, v57, 0x3f2aaada
	v_ldexp_f32 v57, v54, 1
	v_sub_f32_e32 v54, v54, v55
	v_mul_f32_e32 v56, v58, v56
	v_mul_f32_e32 v58, 0x3f317218, v8
	s_delay_alu instid0(VALU_DEP_2) | instskip(NEXT) | instid1(VALU_DEP_1)
	v_add_f32_e32 v55, v57, v56
	v_dual_sub_f32 v9, v9, v54 :: v_dual_sub_f32 v54, v55, v57
	s_delay_alu instid0(VALU_DEP_3) | instskip(NEXT) | instid1(VALU_DEP_2)
	v_fma_f32 v57, 0x3f317218, v8, -v58
	v_ldexp_f32 v9, v9, 1
	s_delay_alu instid0(VALU_DEP_2) | instskip(NEXT) | instid1(VALU_DEP_1)
	v_dual_sub_f32 v54, v56, v54 :: v_dual_fmac_f32 v57, 0xb102e308, v8
	v_dual_add_f32 v8, v9, v54 :: v_dual_add_f32 v9, v58, v57
	s_delay_alu instid0(VALU_DEP_1) | instskip(NEXT) | instid1(VALU_DEP_1)
	v_add_f32_e32 v54, v55, v8
	v_add_f32_e32 v56, v9, v54
	s_delay_alu instid0(VALU_DEP_1) | instskip(NEXT) | instid1(VALU_DEP_1)
	v_sub_f32_e32 v59, v56, v9
	v_sub_f32_e32 v60, v56, v59
	;; [unrolled: 1-line block ×4, first 2 shown]
	s_delay_alu instid0(VALU_DEP_2) | instskip(SKIP_1) | instid1(VALU_DEP_1)
	v_sub_f32_e32 v8, v8, v55
	v_sub_f32_e32 v58, v9, v58
	;; [unrolled: 1-line block ×3, first 2 shown]
	s_delay_alu instid0(VALU_DEP_1) | instskip(SKIP_1) | instid1(VALU_DEP_1)
	v_add_f32_e32 v55, v57, v8
	v_sub_f32_e32 v9, v9, v60
	v_add_f32_e32 v9, v54, v9
	s_delay_alu instid0(VALU_DEP_3) | instskip(NEXT) | instid1(VALU_DEP_1)
	v_sub_f32_e32 v54, v55, v57
	v_dual_sub_f32 v8, v8, v54 :: v_dual_add_f32 v9, v55, v9
	s_delay_alu instid0(VALU_DEP_1) | instskip(NEXT) | instid1(VALU_DEP_1)
	v_dual_sub_f32 v55, v55, v54 :: v_dual_add_f32 v58, v56, v9
	v_dual_sub_f32 v55, v57, v55 :: v_dual_sub_f32 v54, v58, v56
	s_delay_alu instid0(VALU_DEP_1) | instskip(NEXT) | instid1(VALU_DEP_1)
	v_dual_add_f32 v8, v8, v55 :: v_dual_sub_f32 v9, v9, v54
	v_add_f32_e32 v8, v8, v9
	s_delay_alu instid0(VALU_DEP_1) | instskip(NEXT) | instid1(VALU_DEP_1)
	v_add_f32_e32 v8, v58, v8
	v_cndmask_b32_e32 v53, v8, v53, vcc_lo
.LBB109_44:                             ;   in Loop: Header=BB109_12 Depth=1
	s_or_b32 exec_lo, exec_lo, s21
	v_lshrrev_b32_e32 v4, 16, v4
	s_delay_alu instid0(VALU_DEP_1) | instskip(NEXT) | instid1(VALU_DEP_1)
	v_cvt_f32_f16_e32 v4, v4
	v_add_f32_e32 v54, s54, v4
	s_delay_alu instid0(VALU_DEP_1) | instskip(SKIP_1) | instid1(SALU_CYCLE_1)
	v_cmp_ge_f32_e32 vcc_lo, 0x41a00000, v54
	s_and_b32 s20, s62, vcc_lo
	s_and_saveexec_b32 s21, s20
	s_cbranch_execz .LBB109_46
; %bb.45:                               ;   in Loop: Header=BB109_12 Depth=1
	v_mul_f32_e32 v4, 0x3fb8aa3b, v54
	v_cmp_ngt_f32_e32 vcc_lo, 0xc2ce8ed0, v54
	s_delay_alu instid0(VALU_DEP_2) | instskip(SKIP_1) | instid1(VALU_DEP_1)
	v_rndne_f32_e32 v8, v4
	v_fma_f32 v9, 0x3fb8aa3b, v54, -v4
	v_dual_sub_f32 v4, v4, v8 :: v_dual_fmac_f32 v9, 0x32a5705f, v54
	v_cvt_i32_f32_e32 v8, v8
	s_delay_alu instid0(VALU_DEP_2) | instskip(NEXT) | instid1(VALU_DEP_1)
	v_add_f32_e32 v4, v4, v9
	v_exp_f32_e32 v4, v4
	s_waitcnt_depctr 0xfff
	v_ldexp_f32 v4, v4, v8
	s_delay_alu instid0(VALU_DEP_1) | instskip(SKIP_1) | instid1(VALU_DEP_2)
	v_cndmask_b32_e32 v4, 0, v4, vcc_lo
	v_cmp_nlt_f32_e32 vcc_lo, 0x42b17218, v54
	v_cndmask_b32_e32 v4, 0x7f800000, v4, vcc_lo
	s_delay_alu instid0(VALU_DEP_1) | instskip(NEXT) | instid1(VALU_DEP_1)
	v_add_f32_e32 v54, 1.0, v4
	v_cvt_f64_f32_e32 v[8:9], v54
	s_delay_alu instid0(VALU_DEP_1) | instskip(SKIP_1) | instid1(VALU_DEP_1)
	v_frexp_exp_i32_f64_e32 v8, v[8:9]
	v_frexp_mant_f32_e32 v9, v54
	v_cmp_gt_f32_e32 vcc_lo, 0x3f2aaaab, v9
	v_add_f32_e32 v9, -1.0, v54
	s_delay_alu instid0(VALU_DEP_1) | instskip(NEXT) | instid1(VALU_DEP_1)
	v_dual_sub_f32 v56, v9, v54 :: v_dual_sub_f32 v9, v4, v9
	v_add_f32_e32 v56, 1.0, v56
	s_delay_alu instid0(VALU_DEP_1) | instskip(SKIP_1) | instid1(VALU_DEP_1)
	v_add_f32_e32 v9, v9, v56
	v_subrev_co_ci_u32_e32 v8, vcc_lo, 0, v8, vcc_lo
	v_sub_nc_u32_e32 v55, 0, v8
	v_cvt_f32_i32_e32 v8, v8
	s_delay_alu instid0(VALU_DEP_2) | instskip(SKIP_1) | instid1(VALU_DEP_2)
	v_ldexp_f32 v54, v54, v55
	v_ldexp_f32 v9, v9, v55
	v_add_f32_e32 v57, 1.0, v54
	v_add_f32_e32 v55, -1.0, v54
	v_cmp_eq_f32_e32 vcc_lo, 0x7f800000, v4
	v_cmp_gt_f32_e64 s20, 0x33800000, v4
	s_delay_alu instid0(VALU_DEP_4) | instskip(NEXT) | instid1(VALU_DEP_4)
	v_add_f32_e32 v56, -1.0, v57
	v_add_f32_e32 v58, 1.0, v55
	s_delay_alu instid0(VALU_DEP_3) | instskip(NEXT) | instid1(VALU_DEP_2)
	s_or_b32 vcc_lo, s20, vcc_lo
	v_sub_f32_e32 v56, v54, v56
	s_delay_alu instid0(VALU_DEP_2) | instskip(NEXT) | instid1(VALU_DEP_2)
	v_sub_f32_e32 v54, v54, v58
	v_add_f32_e32 v56, v9, v56
	s_delay_alu instid0(VALU_DEP_2) | instskip(NEXT) | instid1(VALU_DEP_1)
	v_add_f32_e32 v9, v9, v54
	v_add_f32_e32 v59, v55, v9
	s_delay_alu instid0(VALU_DEP_1) | instskip(NEXT) | instid1(VALU_DEP_1)
	v_dual_sub_f32 v55, v55, v59 :: v_dual_add_f32 v58, v57, v56
	v_add_f32_e32 v9, v9, v55
	s_delay_alu instid0(VALU_DEP_2) | instskip(SKIP_1) | instid1(VALU_DEP_1)
	v_rcp_f32_e32 v54, v58
	v_sub_f32_e32 v57, v57, v58
	v_add_f32_e32 v56, v56, v57
	s_waitcnt_depctr 0xfff
	v_mul_f32_e32 v60, v59, v54
	s_delay_alu instid0(VALU_DEP_1) | instskip(NEXT) | instid1(VALU_DEP_1)
	v_mul_f32_e32 v61, v58, v60
	v_fma_f32 v57, v60, v58, -v61
	s_delay_alu instid0(VALU_DEP_1) | instskip(NEXT) | instid1(VALU_DEP_1)
	v_fmac_f32_e32 v57, v60, v56
	v_add_f32_e32 v62, v61, v57
	s_delay_alu instid0(VALU_DEP_1) | instskip(SKIP_1) | instid1(VALU_DEP_2)
	v_sub_f32_e32 v63, v59, v62
	v_sub_f32_e32 v55, v62, v61
	;; [unrolled: 1-line block ×3, first 2 shown]
	s_delay_alu instid0(VALU_DEP_2) | instskip(NEXT) | instid1(VALU_DEP_2)
	v_sub_f32_e32 v55, v55, v57
	v_sub_f32_e32 v59, v59, v62
	s_delay_alu instid0(VALU_DEP_1) | instskip(NEXT) | instid1(VALU_DEP_1)
	v_add_f32_e32 v9, v9, v59
	v_add_f32_e32 v9, v55, v9
	s_delay_alu instid0(VALU_DEP_1) | instskip(NEXT) | instid1(VALU_DEP_1)
	v_add_f32_e32 v55, v63, v9
	v_mul_f32_e32 v57, v54, v55
	s_delay_alu instid0(VALU_DEP_1) | instskip(NEXT) | instid1(VALU_DEP_1)
	v_dual_sub_f32 v62, v63, v55 :: v_dual_mul_f32 v59, v58, v57
	v_add_f32_e32 v9, v9, v62
	s_delay_alu instid0(VALU_DEP_2) | instskip(NEXT) | instid1(VALU_DEP_1)
	v_fma_f32 v58, v57, v58, -v59
	v_fmac_f32_e32 v58, v57, v56
	s_delay_alu instid0(VALU_DEP_1) | instskip(NEXT) | instid1(VALU_DEP_1)
	v_add_f32_e32 v56, v59, v58
	v_sub_f32_e32 v61, v55, v56
	s_delay_alu instid0(VALU_DEP_1) | instskip(NEXT) | instid1(VALU_DEP_1)
	v_sub_f32_e32 v55, v55, v61
	v_sub_f32_e32 v55, v55, v56
	s_delay_alu instid0(VALU_DEP_1) | instskip(SKIP_2) | instid1(VALU_DEP_1)
	v_add_f32_e32 v9, v9, v55
	v_add_f32_e32 v55, v60, v57
	v_sub_f32_e32 v59, v56, v59
	v_sub_f32_e32 v56, v59, v58
	s_delay_alu instid0(VALU_DEP_1) | instskip(NEXT) | instid1(VALU_DEP_1)
	v_dual_add_f32 v9, v56, v9 :: v_dual_sub_f32 v56, v55, v60
	v_add_f32_e32 v9, v61, v9
	s_delay_alu instid0(VALU_DEP_1) | instskip(NEXT) | instid1(VALU_DEP_1)
	v_dual_sub_f32 v56, v57, v56 :: v_dual_mul_f32 v9, v54, v9
	v_add_f32_e32 v9, v56, v9
	s_delay_alu instid0(VALU_DEP_1) | instskip(NEXT) | instid1(VALU_DEP_1)
	v_add_f32_e32 v54, v55, v9
	v_mul_f32_e32 v56, v54, v54
	s_delay_alu instid0(VALU_DEP_1) | instskip(SKIP_1) | instid1(VALU_DEP_2)
	v_fmaak_f32 v57, s66, v56, 0x3ecc95a3
	v_mul_f32_e32 v58, v54, v56
	v_fmaak_f32 v56, v56, v57, 0x3f2aaada
	v_ldexp_f32 v57, v54, 1
	v_sub_f32_e32 v54, v54, v55
	s_delay_alu instid0(VALU_DEP_3) | instskip(SKIP_1) | instid1(VALU_DEP_2)
	v_mul_f32_e32 v56, v58, v56
	v_mul_f32_e32 v58, 0x3f317218, v8
	v_add_f32_e32 v55, v57, v56
	s_delay_alu instid0(VALU_DEP_1) | instskip(NEXT) | instid1(VALU_DEP_3)
	v_dual_sub_f32 v9, v9, v54 :: v_dual_sub_f32 v54, v55, v57
	v_fma_f32 v57, 0x3f317218, v8, -v58
	s_delay_alu instid0(VALU_DEP_2) | instskip(NEXT) | instid1(VALU_DEP_2)
	v_ldexp_f32 v9, v9, 1
	v_dual_sub_f32 v54, v56, v54 :: v_dual_fmac_f32 v57, 0xb102e308, v8
	s_delay_alu instid0(VALU_DEP_1) | instskip(NEXT) | instid1(VALU_DEP_1)
	v_dual_add_f32 v8, v9, v54 :: v_dual_add_f32 v9, v58, v57
	v_add_f32_e32 v54, v55, v8
	s_delay_alu instid0(VALU_DEP_1) | instskip(NEXT) | instid1(VALU_DEP_1)
	v_add_f32_e32 v56, v9, v54
	v_sub_f32_e32 v59, v56, v9
	s_delay_alu instid0(VALU_DEP_1) | instskip(SKIP_2) | instid1(VALU_DEP_2)
	v_sub_f32_e32 v60, v56, v59
	v_sub_f32_e32 v55, v54, v55
	;; [unrolled: 1-line block ×5, first 2 shown]
	s_delay_alu instid0(VALU_DEP_1) | instskip(NEXT) | instid1(VALU_DEP_1)
	v_sub_f32_e32 v57, v57, v58
	v_add_f32_e32 v55, v57, v8
	v_sub_f32_e32 v9, v9, v60
	s_delay_alu instid0(VALU_DEP_1) | instskip(NEXT) | instid1(VALU_DEP_3)
	v_add_f32_e32 v9, v54, v9
	v_sub_f32_e32 v54, v55, v57
	s_delay_alu instid0(VALU_DEP_1) | instskip(NEXT) | instid1(VALU_DEP_1)
	v_dual_sub_f32 v8, v8, v54 :: v_dual_add_f32 v9, v55, v9
	v_dual_sub_f32 v55, v55, v54 :: v_dual_add_f32 v58, v56, v9
	s_delay_alu instid0(VALU_DEP_1) | instskip(NEXT) | instid1(VALU_DEP_1)
	v_dual_sub_f32 v55, v57, v55 :: v_dual_sub_f32 v54, v58, v56
	v_dual_add_f32 v8, v8, v55 :: v_dual_sub_f32 v9, v9, v54
	s_delay_alu instid0(VALU_DEP_1) | instskip(NEXT) | instid1(VALU_DEP_1)
	v_add_f32_e32 v8, v8, v9
	v_add_f32_e32 v8, v58, v8
	s_delay_alu instid0(VALU_DEP_1)
	v_cndmask_b32_e32 v54, v8, v4, vcc_lo
.LBB109_46:                             ;   in Loop: Header=BB109_12 Depth=1
	s_or_b32 exec_lo, exec_lo, s21
	v_cvt_f32_f16_e32 v4, v5
	s_delay_alu instid0(VALU_DEP_1) | instskip(NEXT) | instid1(VALU_DEP_1)
	v_add_f32_e32 v55, s54, v4
	v_cmp_ge_f32_e32 vcc_lo, 0x41a00000, v55
	s_and_b32 s20, s62, vcc_lo
	s_delay_alu instid0(SALU_CYCLE_1)
	s_and_saveexec_b32 s21, s20
	s_cbranch_execz .LBB109_48
; %bb.47:                               ;   in Loop: Header=BB109_12 Depth=1
	v_mul_f32_e32 v4, 0x3fb8aa3b, v55
	v_cmp_ngt_f32_e32 vcc_lo, 0xc2ce8ed0, v55
	s_delay_alu instid0(VALU_DEP_2) | instskip(SKIP_1) | instid1(VALU_DEP_1)
	v_rndne_f32_e32 v8, v4
	v_fma_f32 v9, 0x3fb8aa3b, v55, -v4
	v_dual_sub_f32 v4, v4, v8 :: v_dual_fmac_f32 v9, 0x32a5705f, v55
	v_cvt_i32_f32_e32 v8, v8
	s_delay_alu instid0(VALU_DEP_2) | instskip(NEXT) | instid1(VALU_DEP_1)
	v_add_f32_e32 v4, v4, v9
	v_exp_f32_e32 v4, v4
	s_waitcnt_depctr 0xfff
	v_ldexp_f32 v4, v4, v8
	s_delay_alu instid0(VALU_DEP_1) | instskip(SKIP_1) | instid1(VALU_DEP_2)
	v_cndmask_b32_e32 v4, 0, v4, vcc_lo
	v_cmp_nlt_f32_e32 vcc_lo, 0x42b17218, v55
	v_cndmask_b32_e32 v4, 0x7f800000, v4, vcc_lo
	s_delay_alu instid0(VALU_DEP_1) | instskip(NEXT) | instid1(VALU_DEP_1)
	v_add_f32_e32 v55, 1.0, v4
	v_cvt_f64_f32_e32 v[8:9], v55
	s_delay_alu instid0(VALU_DEP_1) | instskip(SKIP_1) | instid1(VALU_DEP_1)
	v_frexp_exp_i32_f64_e32 v8, v[8:9]
	v_frexp_mant_f32_e32 v9, v55
	v_cmp_gt_f32_e32 vcc_lo, 0x3f2aaaab, v9
	v_add_f32_e32 v9, -1.0, v55
	s_delay_alu instid0(VALU_DEP_1) | instskip(NEXT) | instid1(VALU_DEP_1)
	v_sub_f32_e32 v57, v9, v55
	v_add_f32_e32 v57, 1.0, v57
	v_subrev_co_ci_u32_e32 v8, vcc_lo, 0, v8, vcc_lo
	s_delay_alu instid0(VALU_DEP_1) | instskip(SKIP_1) | instid1(VALU_DEP_2)
	v_sub_nc_u32_e32 v56, 0, v8
	v_cvt_f32_i32_e32 v8, v8
	v_ldexp_f32 v55, v55, v56
	s_delay_alu instid0(VALU_DEP_1) | instskip(NEXT) | instid1(VALU_DEP_1)
	v_dual_sub_f32 v9, v4, v9 :: v_dual_add_f32 v58, 1.0, v55
	v_add_f32_e32 v9, v9, v57
	v_cmp_eq_f32_e32 vcc_lo, 0x7f800000, v4
	v_cmp_gt_f32_e64 s20, 0x33800000, v4
	s_delay_alu instid0(VALU_DEP_4) | instskip(NEXT) | instid1(VALU_DEP_4)
	v_add_f32_e32 v57, -1.0, v58
	v_ldexp_f32 v9, v9, v56
	v_add_f32_e32 v56, -1.0, v55
	s_delay_alu instid0(VALU_DEP_4) | instskip(NEXT) | instid1(VALU_DEP_3)
	s_or_b32 vcc_lo, s20, vcc_lo
	v_sub_f32_e32 v57, v55, v57
	s_delay_alu instid0(VALU_DEP_2) | instskip(NEXT) | instid1(VALU_DEP_2)
	v_add_f32_e32 v59, 1.0, v56
	v_add_f32_e32 v57, v9, v57
	s_delay_alu instid0(VALU_DEP_2) | instskip(NEXT) | instid1(VALU_DEP_1)
	v_sub_f32_e32 v55, v55, v59
	v_add_f32_e32 v9, v9, v55
	s_delay_alu instid0(VALU_DEP_1) | instskip(NEXT) | instid1(VALU_DEP_1)
	v_add_f32_e32 v60, v56, v9
	v_dual_add_f32 v59, v58, v57 :: v_dual_sub_f32 v56, v56, v60
	s_delay_alu instid0(VALU_DEP_1) | instskip(SKIP_1) | instid1(VALU_DEP_1)
	v_rcp_f32_e32 v55, v59
	v_sub_f32_e32 v58, v58, v59
	v_add_f32_e32 v57, v57, v58
	s_waitcnt_depctr 0xfff
	v_mul_f32_e32 v61, v60, v55
	s_delay_alu instid0(VALU_DEP_1) | instskip(NEXT) | instid1(VALU_DEP_1)
	v_mul_f32_e32 v62, v59, v61
	v_fma_f32 v58, v61, v59, -v62
	s_delay_alu instid0(VALU_DEP_1) | instskip(SKIP_1) | instid1(VALU_DEP_2)
	v_fmac_f32_e32 v58, v61, v57
	v_add_f32_e32 v9, v9, v56
	v_add_f32_e32 v63, v62, v58
	s_delay_alu instid0(VALU_DEP_1) | instskip(SKIP_1) | instid1(VALU_DEP_2)
	v_sub_f32_e32 v64, v60, v63
	v_sub_f32_e32 v56, v63, v62
	;; [unrolled: 1-line block ×3, first 2 shown]
	s_delay_alu instid0(VALU_DEP_2) | instskip(NEXT) | instid1(VALU_DEP_2)
	v_sub_f32_e32 v56, v56, v58
	v_sub_f32_e32 v60, v60, v63
	s_delay_alu instid0(VALU_DEP_1) | instskip(NEXT) | instid1(VALU_DEP_1)
	v_add_f32_e32 v9, v9, v60
	v_add_f32_e32 v9, v56, v9
	s_delay_alu instid0(VALU_DEP_1) | instskip(NEXT) | instid1(VALU_DEP_1)
	v_add_f32_e32 v56, v64, v9
	v_mul_f32_e32 v58, v55, v56
	s_delay_alu instid0(VALU_DEP_1) | instskip(NEXT) | instid1(VALU_DEP_1)
	v_dual_sub_f32 v63, v64, v56 :: v_dual_mul_f32 v60, v59, v58
	v_add_f32_e32 v9, v9, v63
	s_delay_alu instid0(VALU_DEP_2) | instskip(NEXT) | instid1(VALU_DEP_1)
	v_fma_f32 v59, v58, v59, -v60
	v_fmac_f32_e32 v59, v58, v57
	s_delay_alu instid0(VALU_DEP_1) | instskip(NEXT) | instid1(VALU_DEP_1)
	v_add_f32_e32 v57, v60, v59
	v_sub_f32_e32 v62, v56, v57
	s_delay_alu instid0(VALU_DEP_1) | instskip(NEXT) | instid1(VALU_DEP_1)
	v_sub_f32_e32 v56, v56, v62
	v_sub_f32_e32 v56, v56, v57
	s_delay_alu instid0(VALU_DEP_1) | instskip(SKIP_2) | instid1(VALU_DEP_1)
	v_add_f32_e32 v9, v9, v56
	v_add_f32_e32 v56, v61, v58
	v_sub_f32_e32 v60, v57, v60
	v_sub_f32_e32 v57, v60, v59
	s_delay_alu instid0(VALU_DEP_1) | instskip(NEXT) | instid1(VALU_DEP_4)
	v_add_f32_e32 v9, v57, v9
	v_sub_f32_e32 v57, v56, v61
	s_delay_alu instid0(VALU_DEP_2) | instskip(NEXT) | instid1(VALU_DEP_2)
	v_add_f32_e32 v9, v62, v9
	v_sub_f32_e32 v57, v58, v57
	s_delay_alu instid0(VALU_DEP_2) | instskip(NEXT) | instid1(VALU_DEP_1)
	v_mul_f32_e32 v9, v55, v9
	v_add_f32_e32 v9, v57, v9
	s_delay_alu instid0(VALU_DEP_1) | instskip(NEXT) | instid1(VALU_DEP_1)
	v_add_f32_e32 v55, v56, v9
	v_mul_f32_e32 v57, v55, v55
	s_delay_alu instid0(VALU_DEP_1) | instskip(SKIP_1) | instid1(VALU_DEP_2)
	v_fmaak_f32 v58, s66, v57, 0x3ecc95a3
	v_mul_f32_e32 v59, v55, v57
	v_fmaak_f32 v57, v57, v58, 0x3f2aaada
	v_ldexp_f32 v58, v55, 1
	v_sub_f32_e32 v55, v55, v56
	s_delay_alu instid0(VALU_DEP_3) | instskip(SKIP_1) | instid1(VALU_DEP_2)
	v_mul_f32_e32 v57, v59, v57
	v_mul_f32_e32 v59, 0x3f317218, v8
	v_dual_sub_f32 v9, v9, v55 :: v_dual_add_f32 v56, v58, v57
	s_delay_alu instid0(VALU_DEP_1) | instskip(NEXT) | instid1(VALU_DEP_2)
	v_ldexp_f32 v9, v9, 1
	v_sub_f32_e32 v55, v56, v58
	s_delay_alu instid0(VALU_DEP_4) | instskip(NEXT) | instid1(VALU_DEP_1)
	v_fma_f32 v58, 0x3f317218, v8, -v59
	v_dual_sub_f32 v55, v57, v55 :: v_dual_fmac_f32 v58, 0xb102e308, v8
	s_delay_alu instid0(VALU_DEP_1) | instskip(NEXT) | instid1(VALU_DEP_1)
	v_dual_add_f32 v8, v9, v55 :: v_dual_add_f32 v9, v59, v58
	v_add_f32_e32 v55, v56, v8
	s_delay_alu instid0(VALU_DEP_2) | instskip(NEXT) | instid1(VALU_DEP_2)
	v_sub_f32_e32 v59, v9, v59
	v_dual_add_f32 v57, v9, v55 :: v_dual_sub_f32 v56, v55, v56
	s_delay_alu instid0(VALU_DEP_2) | instskip(NEXT) | instid1(VALU_DEP_2)
	v_sub_f32_e32 v58, v58, v59
	v_sub_f32_e32 v60, v57, v9
	s_delay_alu instid0(VALU_DEP_3) | instskip(NEXT) | instid1(VALU_DEP_2)
	v_sub_f32_e32 v8, v8, v56
	v_sub_f32_e32 v61, v57, v60
	;; [unrolled: 1-line block ×3, first 2 shown]
	s_delay_alu instid0(VALU_DEP_2) | instskip(NEXT) | instid1(VALU_DEP_1)
	v_dual_add_f32 v56, v58, v8 :: v_dual_sub_f32 v9, v9, v61
	v_add_f32_e32 v9, v55, v9
	s_delay_alu instid0(VALU_DEP_2) | instskip(NEXT) | instid1(VALU_DEP_2)
	v_sub_f32_e32 v55, v56, v58
	v_add_f32_e32 v9, v56, v9
	s_delay_alu instid0(VALU_DEP_2) | instskip(NEXT) | instid1(VALU_DEP_2)
	v_sub_f32_e32 v56, v56, v55
	v_dual_sub_f32 v8, v8, v55 :: v_dual_add_f32 v59, v57, v9
	s_delay_alu instid0(VALU_DEP_1) | instskip(NEXT) | instid1(VALU_DEP_1)
	v_dual_sub_f32 v56, v58, v56 :: v_dual_sub_f32 v55, v59, v57
	v_dual_add_f32 v8, v8, v56 :: v_dual_sub_f32 v9, v9, v55
	s_delay_alu instid0(VALU_DEP_1) | instskip(NEXT) | instid1(VALU_DEP_1)
	v_add_f32_e32 v8, v8, v9
	v_add_f32_e32 v8, v59, v8
	s_delay_alu instid0(VALU_DEP_1)
	v_cndmask_b32_e32 v55, v8, v4, vcc_lo
.LBB109_48:                             ;   in Loop: Header=BB109_12 Depth=1
	s_or_b32 exec_lo, exec_lo, s21
	v_lshrrev_b32_e32 v4, 16, v5
	s_delay_alu instid0(VALU_DEP_1) | instskip(NEXT) | instid1(VALU_DEP_1)
	v_cvt_f32_f16_e32 v4, v4
	v_add_f32_e32 v56, s54, v4
	s_delay_alu instid0(VALU_DEP_1) | instskip(SKIP_1) | instid1(SALU_CYCLE_1)
	v_cmp_ge_f32_e32 vcc_lo, 0x41a00000, v56
	s_and_b32 s20, s62, vcc_lo
	s_and_saveexec_b32 s21, s20
	s_cbranch_execz .LBB109_50
; %bb.49:                               ;   in Loop: Header=BB109_12 Depth=1
	v_mul_f32_e32 v4, 0x3fb8aa3b, v56
	v_cmp_ngt_f32_e32 vcc_lo, 0xc2ce8ed0, v56
	s_delay_alu instid0(VALU_DEP_2) | instskip(SKIP_1) | instid1(VALU_DEP_2)
	v_rndne_f32_e32 v5, v4
	v_fma_f32 v8, 0x3fb8aa3b, v56, -v4
	v_sub_f32_e32 v4, v4, v5
	s_delay_alu instid0(VALU_DEP_2) | instskip(SKIP_1) | instid1(VALU_DEP_2)
	v_fmac_f32_e32 v8, 0x32a5705f, v56
	v_cvt_i32_f32_e32 v5, v5
	v_add_f32_e32 v4, v4, v8
	s_delay_alu instid0(VALU_DEP_1) | instskip(SKIP_2) | instid1(VALU_DEP_1)
	v_exp_f32_e32 v4, v4
	s_waitcnt_depctr 0xfff
	v_ldexp_f32 v4, v4, v5
	v_cndmask_b32_e32 v4, 0, v4, vcc_lo
	v_cmp_nlt_f32_e32 vcc_lo, 0x42b17218, v56
	s_delay_alu instid0(VALU_DEP_2) | instskip(NEXT) | instid1(VALU_DEP_1)
	v_cndmask_b32_e32 v8, 0x7f800000, v4, vcc_lo
	v_add_f32_e32 v9, 1.0, v8
	s_delay_alu instid0(VALU_DEP_1) | instskip(NEXT) | instid1(VALU_DEP_1)
	v_cvt_f64_f32_e32 v[4:5], v9
	v_frexp_exp_i32_f64_e32 v4, v[4:5]
	v_frexp_mant_f32_e32 v5, v9
	s_delay_alu instid0(VALU_DEP_1) | instskip(SKIP_1) | instid1(VALU_DEP_1)
	v_cmp_gt_f32_e32 vcc_lo, 0x3f2aaaab, v5
	v_add_f32_e32 v5, -1.0, v9
	v_sub_f32_e32 v57, v5, v9
	v_sub_f32_e32 v5, v8, v5
	s_delay_alu instid0(VALU_DEP_2) | instskip(NEXT) | instid1(VALU_DEP_1)
	v_add_f32_e32 v57, 1.0, v57
	v_add_f32_e32 v5, v5, v57
	v_cmp_gt_f32_e64 s20, 0x33800000, v8
	v_subrev_co_ci_u32_e32 v4, vcc_lo, 0, v4, vcc_lo
	v_cmp_eq_f32_e32 vcc_lo, 0x7f800000, v8
	s_delay_alu instid0(VALU_DEP_2) | instskip(SKIP_2) | instid1(VALU_DEP_2)
	v_sub_nc_u32_e32 v56, 0, v4
	v_cvt_f32_i32_e32 v4, v4
	s_or_b32 vcc_lo, s20, vcc_lo
	v_ldexp_f32 v9, v9, v56
	v_ldexp_f32 v5, v5, v56
	s_delay_alu instid0(VALU_DEP_2) | instskip(NEXT) | instid1(VALU_DEP_1)
	v_add_f32_e32 v56, -1.0, v9
	v_dual_add_f32 v58, 1.0, v9 :: v_dual_add_f32 v59, 1.0, v56
	s_delay_alu instid0(VALU_DEP_1) | instskip(NEXT) | instid1(VALU_DEP_1)
	v_add_f32_e32 v57, -1.0, v58
	v_sub_f32_e32 v57, v9, v57
	s_delay_alu instid0(VALU_DEP_3) | instskip(NEXT) | instid1(VALU_DEP_2)
	v_sub_f32_e32 v9, v9, v59
	v_add_f32_e32 v57, v5, v57
	s_delay_alu instid0(VALU_DEP_2) | instskip(NEXT) | instid1(VALU_DEP_1)
	v_add_f32_e32 v5, v5, v9
	v_add_f32_e32 v60, v56, v5
	s_delay_alu instid0(VALU_DEP_1) | instskip(NEXT) | instid1(VALU_DEP_1)
	v_dual_add_f32 v59, v58, v57 :: v_dual_sub_f32 v56, v56, v60
	v_rcp_f32_e32 v9, v59
	v_sub_f32_e32 v58, v58, v59
	s_delay_alu instid0(VALU_DEP_1) | instskip(SKIP_2) | instid1(VALU_DEP_1)
	v_add_f32_e32 v57, v57, v58
	s_waitcnt_depctr 0xfff
	v_mul_f32_e32 v61, v60, v9
	v_mul_f32_e32 v62, v59, v61
	s_delay_alu instid0(VALU_DEP_1) | instskip(NEXT) | instid1(VALU_DEP_1)
	v_fma_f32 v58, v61, v59, -v62
	v_fmac_f32_e32 v58, v61, v57
	s_delay_alu instid0(VALU_DEP_1) | instskip(NEXT) | instid1(VALU_DEP_1)
	v_add_f32_e32 v63, v62, v58
	v_sub_f32_e32 v64, v60, v63
	s_delay_alu instid0(VALU_DEP_1) | instskip(SKIP_1) | instid1(VALU_DEP_2)
	v_sub_f32_e32 v60, v60, v64
	v_dual_add_f32 v5, v5, v56 :: v_dual_sub_f32 v56, v63, v62
	v_sub_f32_e32 v60, v60, v63
	s_delay_alu instid0(VALU_DEP_1) | instskip(NEXT) | instid1(VALU_DEP_1)
	v_dual_sub_f32 v56, v56, v58 :: v_dual_add_f32 v5, v5, v60
	v_add_f32_e32 v5, v56, v5
	s_delay_alu instid0(VALU_DEP_1) | instskip(NEXT) | instid1(VALU_DEP_1)
	v_add_f32_e32 v56, v64, v5
	v_mul_f32_e32 v58, v9, v56
	s_delay_alu instid0(VALU_DEP_1) | instskip(NEXT) | instid1(VALU_DEP_1)
	v_dual_sub_f32 v63, v64, v56 :: v_dual_mul_f32 v60, v59, v58
	v_add_f32_e32 v5, v5, v63
	s_delay_alu instid0(VALU_DEP_2) | instskip(NEXT) | instid1(VALU_DEP_1)
	v_fma_f32 v59, v58, v59, -v60
	v_fmac_f32_e32 v59, v58, v57
	s_delay_alu instid0(VALU_DEP_1) | instskip(NEXT) | instid1(VALU_DEP_1)
	v_add_f32_e32 v57, v60, v59
	v_sub_f32_e32 v62, v56, v57
	s_delay_alu instid0(VALU_DEP_1) | instskip(NEXT) | instid1(VALU_DEP_1)
	v_sub_f32_e32 v56, v56, v62
	v_sub_f32_e32 v56, v56, v57
	s_delay_alu instid0(VALU_DEP_1) | instskip(SKIP_2) | instid1(VALU_DEP_1)
	v_add_f32_e32 v5, v5, v56
	v_add_f32_e32 v56, v61, v58
	v_sub_f32_e32 v60, v57, v60
	v_sub_f32_e32 v57, v60, v59
	s_delay_alu instid0(VALU_DEP_1) | instskip(NEXT) | instid1(VALU_DEP_4)
	v_add_f32_e32 v5, v57, v5
	v_sub_f32_e32 v57, v56, v61
	s_delay_alu instid0(VALU_DEP_2) | instskip(NEXT) | instid1(VALU_DEP_2)
	v_add_f32_e32 v5, v62, v5
	v_sub_f32_e32 v57, v58, v57
	s_delay_alu instid0(VALU_DEP_2) | instskip(NEXT) | instid1(VALU_DEP_1)
	v_mul_f32_e32 v5, v9, v5
	v_add_f32_e32 v5, v57, v5
	s_delay_alu instid0(VALU_DEP_1) | instskip(NEXT) | instid1(VALU_DEP_1)
	v_add_f32_e32 v9, v56, v5
	v_mul_f32_e32 v57, v9, v9
	s_delay_alu instid0(VALU_DEP_1) | instskip(SKIP_1) | instid1(VALU_DEP_2)
	v_fmaak_f32 v58, s66, v57, 0x3ecc95a3
	v_mul_f32_e32 v59, v9, v57
	v_fmaak_f32 v57, v57, v58, 0x3f2aaada
	v_ldexp_f32 v58, v9, 1
	s_delay_alu instid0(VALU_DEP_2) | instskip(NEXT) | instid1(VALU_DEP_1)
	v_mul_f32_e32 v57, v59, v57
	v_dual_sub_f32 v9, v9, v56 :: v_dual_add_f32 v56, v58, v57
	s_delay_alu instid0(VALU_DEP_1) | instskip(NEXT) | instid1(VALU_DEP_2)
	v_sub_f32_e32 v5, v5, v9
	v_sub_f32_e32 v9, v56, v58
	s_delay_alu instid0(VALU_DEP_2) | instskip(NEXT) | instid1(VALU_DEP_2)
	v_ldexp_f32 v5, v5, 1
	v_sub_f32_e32 v9, v57, v9
	v_mul_f32_e32 v59, 0x3f317218, v4
	s_delay_alu instid0(VALU_DEP_1) | instskip(NEXT) | instid1(VALU_DEP_1)
	v_fma_f32 v58, 0x3f317218, v4, -v59
	v_fmac_f32_e32 v58, 0xb102e308, v4
	s_delay_alu instid0(VALU_DEP_1) | instskip(NEXT) | instid1(VALU_DEP_1)
	v_dual_add_f32 v4, v5, v9 :: v_dual_add_f32 v5, v59, v58
	v_add_f32_e32 v9, v56, v4
	s_delay_alu instid0(VALU_DEP_1) | instskip(SKIP_1) | instid1(VALU_DEP_2)
	v_add_f32_e32 v57, v5, v9
	v_sub_f32_e32 v56, v9, v56
	v_sub_f32_e32 v60, v57, v5
	s_delay_alu instid0(VALU_DEP_2) | instskip(NEXT) | instid1(VALU_DEP_2)
	v_dual_sub_f32 v4, v4, v56 :: v_dual_sub_f32 v59, v5, v59
	v_sub_f32_e32 v61, v57, v60
	s_delay_alu instid0(VALU_DEP_2) | instskip(NEXT) | instid1(VALU_DEP_1)
	v_dual_sub_f32 v9, v9, v60 :: v_dual_sub_f32 v58, v58, v59
	v_dual_sub_f32 v5, v5, v61 :: v_dual_add_f32 v56, v58, v4
	s_delay_alu instid0(VALU_DEP_1) | instskip(NEXT) | instid1(VALU_DEP_2)
	v_add_f32_e32 v5, v9, v5
	v_sub_f32_e32 v9, v56, v58
	s_delay_alu instid0(VALU_DEP_2) | instskip(NEXT) | instid1(VALU_DEP_2)
	v_add_f32_e32 v5, v56, v5
	v_sub_f32_e32 v56, v56, v9
	v_sub_f32_e32 v4, v4, v9
	s_delay_alu instid0(VALU_DEP_2) | instskip(NEXT) | instid1(VALU_DEP_1)
	v_dual_add_f32 v59, v57, v5 :: v_dual_sub_f32 v56, v58, v56
	v_dual_sub_f32 v9, v59, v57 :: v_dual_add_f32 v4, v4, v56
	s_delay_alu instid0(VALU_DEP_1) | instskip(NEXT) | instid1(VALU_DEP_1)
	v_sub_f32_e32 v5, v5, v9
	v_add_f32_e32 v4, v4, v5
	s_delay_alu instid0(VALU_DEP_1) | instskip(NEXT) | instid1(VALU_DEP_1)
	v_add_f32_e32 v4, v59, v4
	v_cndmask_b32_e32 v56, v4, v8, vcc_lo
.LBB109_50:                             ;   in Loop: Header=BB109_12 Depth=1
	s_or_b32 exec_lo, exec_lo, s21
	v_cvt_f32_f16_e32 v4, v6
	s_delay_alu instid0(VALU_DEP_1) | instskip(NEXT) | instid1(VALU_DEP_1)
	v_add_f32_e32 v65, s54, v4
	v_cmp_ge_f32_e32 vcc_lo, 0x41a00000, v65
	s_and_b32 s20, s62, vcc_lo
	s_delay_alu instid0(SALU_CYCLE_1)
	s_and_saveexec_b32 s21, s20
	s_cbranch_execz .LBB109_52
; %bb.51:                               ;   in Loop: Header=BB109_12 Depth=1
	v_mul_f32_e32 v4, 0x3fb8aa3b, v65
	v_cmp_ngt_f32_e32 vcc_lo, 0xc2ce8ed0, v65
	s_delay_alu instid0(VALU_DEP_2) | instskip(SKIP_1) | instid1(VALU_DEP_2)
	v_rndne_f32_e32 v5, v4
	v_fma_f32 v8, 0x3fb8aa3b, v65, -v4
	v_sub_f32_e32 v4, v4, v5
	s_delay_alu instid0(VALU_DEP_2) | instskip(SKIP_1) | instid1(VALU_DEP_2)
	v_fmac_f32_e32 v8, 0x32a5705f, v65
	v_cvt_i32_f32_e32 v5, v5
	v_add_f32_e32 v4, v4, v8
	s_delay_alu instid0(VALU_DEP_1) | instskip(SKIP_2) | instid1(VALU_DEP_1)
	v_exp_f32_e32 v4, v4
	s_waitcnt_depctr 0xfff
	v_ldexp_f32 v4, v4, v5
	v_cndmask_b32_e32 v4, 0, v4, vcc_lo
	v_cmp_nlt_f32_e32 vcc_lo, 0x42b17218, v65
	s_delay_alu instid0(VALU_DEP_2) | instskip(NEXT) | instid1(VALU_DEP_1)
	v_cndmask_b32_e32 v8, 0x7f800000, v4, vcc_lo
	v_add_f32_e32 v9, 1.0, v8
	s_delay_alu instid0(VALU_DEP_1) | instskip(NEXT) | instid1(VALU_DEP_1)
	v_cvt_f64_f32_e32 v[4:5], v9
	v_frexp_exp_i32_f64_e32 v4, v[4:5]
	v_frexp_mant_f32_e32 v5, v9
	s_delay_alu instid0(VALU_DEP_1) | instskip(SKIP_1) | instid1(VALU_DEP_1)
	v_cmp_gt_f32_e32 vcc_lo, 0x3f2aaaab, v5
	v_add_f32_e32 v5, -1.0, v9
	v_sub_f32_e32 v58, v5, v9
	v_subrev_co_ci_u32_e32 v4, vcc_lo, 0, v4, vcc_lo
	s_delay_alu instid0(VALU_DEP_1) | instskip(SKIP_1) | instid1(VALU_DEP_2)
	v_sub_nc_u32_e32 v57, 0, v4
	v_cvt_f32_i32_e32 v4, v4
	v_ldexp_f32 v9, v9, v57
	s_delay_alu instid0(VALU_DEP_1) | instskip(SKIP_3) | instid1(VALU_DEP_3)
	v_dual_add_f32 v58, 1.0, v58 :: v_dual_add_f32 v59, 1.0, v9
	v_sub_f32_e32 v5, v8, v5
	v_cmp_eq_f32_e32 vcc_lo, 0x7f800000, v8
	v_cmp_gt_f32_e64 s20, 0x33800000, v8
	v_add_f32_e32 v5, v5, v58
	s_delay_alu instid0(VALU_DEP_2) | instskip(NEXT) | instid1(VALU_DEP_1)
	s_or_b32 vcc_lo, s20, vcc_lo
	v_ldexp_f32 v5, v5, v57
	v_dual_add_f32 v57, -1.0, v9 :: v_dual_add_f32 v58, -1.0, v59
	s_delay_alu instid0(VALU_DEP_1) | instskip(NEXT) | instid1(VALU_DEP_2)
	v_add_f32_e32 v60, 1.0, v57
	v_sub_f32_e32 v58, v9, v58
	s_delay_alu instid0(VALU_DEP_2) | instskip(NEXT) | instid1(VALU_DEP_2)
	v_sub_f32_e32 v9, v9, v60
	v_add_f32_e32 v58, v5, v58
	s_delay_alu instid0(VALU_DEP_1) | instskip(NEXT) | instid1(VALU_DEP_1)
	v_dual_add_f32 v5, v5, v9 :: v_dual_add_f32 v60, v59, v58
	v_add_f32_e32 v61, v57, v5
	s_delay_alu instid0(VALU_DEP_2) | instskip(SKIP_1) | instid1(VALU_DEP_1)
	v_rcp_f32_e32 v9, v60
	v_sub_f32_e32 v59, v59, v60
	v_dual_sub_f32 v57, v57, v61 :: v_dual_add_f32 v58, v58, v59
	s_delay_alu instid0(VALU_DEP_1) | instskip(SKIP_2) | instid1(VALU_DEP_1)
	v_add_f32_e32 v5, v5, v57
	s_waitcnt_depctr 0xfff
	v_mul_f32_e32 v62, v61, v9
	v_mul_f32_e32 v63, v60, v62
	s_delay_alu instid0(VALU_DEP_1) | instskip(NEXT) | instid1(VALU_DEP_1)
	v_fma_f32 v59, v62, v60, -v63
	v_fmac_f32_e32 v59, v62, v58
	s_delay_alu instid0(VALU_DEP_1) | instskip(NEXT) | instid1(VALU_DEP_1)
	v_add_f32_e32 v64, v63, v59
	v_sub_f32_e32 v65, v61, v64
	v_sub_f32_e32 v57, v64, v63
	s_delay_alu instid0(VALU_DEP_2) | instskip(NEXT) | instid1(VALU_DEP_2)
	v_sub_f32_e32 v61, v61, v65
	v_sub_f32_e32 v57, v57, v59
	s_delay_alu instid0(VALU_DEP_2) | instskip(NEXT) | instid1(VALU_DEP_1)
	v_sub_f32_e32 v61, v61, v64
	v_add_f32_e32 v5, v5, v61
	s_delay_alu instid0(VALU_DEP_1) | instskip(NEXT) | instid1(VALU_DEP_1)
	v_add_f32_e32 v5, v57, v5
	v_add_f32_e32 v57, v65, v5
	s_delay_alu instid0(VALU_DEP_1) | instskip(NEXT) | instid1(VALU_DEP_1)
	v_mul_f32_e32 v59, v9, v57
	v_mul_f32_e32 v61, v60, v59
	s_delay_alu instid0(VALU_DEP_1) | instskip(NEXT) | instid1(VALU_DEP_1)
	v_fma_f32 v60, v59, v60, -v61
	v_fmac_f32_e32 v60, v59, v58
	v_sub_f32_e32 v64, v65, v57
	s_delay_alu instid0(VALU_DEP_2) | instskip(NEXT) | instid1(VALU_DEP_2)
	v_add_f32_e32 v58, v61, v60
	v_add_f32_e32 v5, v5, v64
	s_delay_alu instid0(VALU_DEP_2) | instskip(NEXT) | instid1(VALU_DEP_1)
	v_sub_f32_e32 v63, v57, v58
	v_sub_f32_e32 v57, v57, v63
	s_delay_alu instid0(VALU_DEP_1) | instskip(NEXT) | instid1(VALU_DEP_1)
	v_sub_f32_e32 v57, v57, v58
	v_add_f32_e32 v5, v5, v57
	v_add_f32_e32 v57, v62, v59
	v_sub_f32_e32 v61, v58, v61
	s_delay_alu instid0(VALU_DEP_1) | instskip(NEXT) | instid1(VALU_DEP_1)
	v_sub_f32_e32 v58, v61, v60
	v_dual_add_f32 v5, v58, v5 :: v_dual_sub_f32 v58, v57, v62
	s_delay_alu instid0(VALU_DEP_1) | instskip(NEXT) | instid1(VALU_DEP_1)
	v_add_f32_e32 v5, v63, v5
	v_dual_sub_f32 v58, v59, v58 :: v_dual_mul_f32 v5, v9, v5
	s_delay_alu instid0(VALU_DEP_1) | instskip(NEXT) | instid1(VALU_DEP_1)
	v_add_f32_e32 v5, v58, v5
	v_add_f32_e32 v9, v57, v5
	s_delay_alu instid0(VALU_DEP_1) | instskip(NEXT) | instid1(VALU_DEP_1)
	v_mul_f32_e32 v58, v9, v9
	v_fmaak_f32 v59, s66, v58, 0x3ecc95a3
	v_mul_f32_e32 v60, v9, v58
	s_delay_alu instid0(VALU_DEP_2) | instskip(SKIP_1) | instid1(VALU_DEP_2)
	v_fmaak_f32 v58, v58, v59, 0x3f2aaada
	v_ldexp_f32 v59, v9, 1
	v_dual_sub_f32 v9, v9, v57 :: v_dual_mul_f32 v58, v60, v58
	s_delay_alu instid0(VALU_DEP_1) | instskip(NEXT) | instid1(VALU_DEP_2)
	v_dual_mul_f32 v60, 0x3f317218, v4 :: v_dual_sub_f32 v5, v5, v9
	v_add_f32_e32 v57, v59, v58
	s_delay_alu instid0(VALU_DEP_2) | instskip(NEXT) | instid1(VALU_DEP_2)
	v_ldexp_f32 v5, v5, 1
	v_sub_f32_e32 v9, v57, v59
	s_delay_alu instid0(VALU_DEP_4) | instskip(NEXT) | instid1(VALU_DEP_2)
	v_fma_f32 v59, 0x3f317218, v4, -v60
	v_sub_f32_e32 v9, v58, v9
	s_delay_alu instid0(VALU_DEP_1) | instskip(NEXT) | instid1(VALU_DEP_1)
	v_dual_fmac_f32 v59, 0xb102e308, v4 :: v_dual_add_f32 v4, v5, v9
	v_add_f32_e32 v5, v60, v59
	s_delay_alu instid0(VALU_DEP_2) | instskip(NEXT) | instid1(VALU_DEP_2)
	v_add_f32_e32 v9, v57, v4
	v_sub_f32_e32 v60, v5, v60
	s_delay_alu instid0(VALU_DEP_1) | instskip(SKIP_1) | instid1(VALU_DEP_2)
	v_dual_add_f32 v58, v5, v9 :: v_dual_sub_f32 v59, v59, v60
	v_sub_f32_e32 v57, v9, v57
	v_sub_f32_e32 v61, v58, v5
	s_delay_alu instid0(VALU_DEP_2) | instskip(NEXT) | instid1(VALU_DEP_2)
	v_sub_f32_e32 v4, v4, v57
	v_sub_f32_e32 v62, v58, v61
	v_sub_f32_e32 v9, v9, v61
	s_delay_alu instid0(VALU_DEP_3) | instskip(NEXT) | instid1(VALU_DEP_3)
	v_add_f32_e32 v57, v59, v4
	v_sub_f32_e32 v5, v5, v62
	s_delay_alu instid0(VALU_DEP_1) | instskip(NEXT) | instid1(VALU_DEP_3)
	v_add_f32_e32 v5, v9, v5
	v_sub_f32_e32 v9, v57, v59
	s_delay_alu instid0(VALU_DEP_2) | instskip(NEXT) | instid1(VALU_DEP_2)
	v_add_f32_e32 v5, v57, v5
	v_sub_f32_e32 v57, v57, v9
	v_sub_f32_e32 v4, v4, v9
	s_delay_alu instid0(VALU_DEP_3) | instskip(NEXT) | instid1(VALU_DEP_3)
	v_add_f32_e32 v60, v58, v5
	v_sub_f32_e32 v57, v59, v57
	s_delay_alu instid0(VALU_DEP_2) | instskip(NEXT) | instid1(VALU_DEP_2)
	v_sub_f32_e32 v9, v60, v58
	v_add_f32_e32 v4, v4, v57
	s_delay_alu instid0(VALU_DEP_2) | instskip(NEXT) | instid1(VALU_DEP_1)
	v_sub_f32_e32 v5, v5, v9
	v_add_f32_e32 v4, v4, v5
	s_delay_alu instid0(VALU_DEP_1) | instskip(NEXT) | instid1(VALU_DEP_1)
	v_add_f32_e32 v4, v60, v4
	v_cndmask_b32_e32 v65, v4, v8, vcc_lo
.LBB109_52:                             ;   in Loop: Header=BB109_12 Depth=1
	s_or_b32 exec_lo, exec_lo, s21
	v_lshrrev_b32_e32 v4, 16, v6
	s_delay_alu instid0(VALU_DEP_1) | instskip(NEXT) | instid1(VALU_DEP_1)
	v_cvt_f32_f16_e32 v4, v4
	v_add_f32_e32 v66, s54, v4
	s_delay_alu instid0(VALU_DEP_1) | instskip(SKIP_1) | instid1(SALU_CYCLE_1)
	v_cmp_ge_f32_e32 vcc_lo, 0x41a00000, v66
	s_and_b32 s20, s62, vcc_lo
	s_and_saveexec_b32 s21, s20
	s_cbranch_execz .LBB109_54
; %bb.53:                               ;   in Loop: Header=BB109_12 Depth=1
	v_mul_f32_e32 v4, 0x3fb8aa3b, v66
	v_cmp_ngt_f32_e32 vcc_lo, 0xc2ce8ed0, v66
	s_delay_alu instid0(VALU_DEP_2) | instskip(SKIP_1) | instid1(VALU_DEP_2)
	v_rndne_f32_e32 v5, v4
	v_fma_f32 v6, 0x3fb8aa3b, v66, -v4
	v_sub_f32_e32 v4, v4, v5
	s_delay_alu instid0(VALU_DEP_2) | instskip(SKIP_1) | instid1(VALU_DEP_2)
	v_fmac_f32_e32 v6, 0x32a5705f, v66
	v_cvt_i32_f32_e32 v5, v5
	v_add_f32_e32 v4, v4, v6
	s_delay_alu instid0(VALU_DEP_1) | instskip(SKIP_2) | instid1(VALU_DEP_1)
	v_exp_f32_e32 v4, v4
	s_waitcnt_depctr 0xfff
	v_ldexp_f32 v4, v4, v5
	v_cndmask_b32_e32 v4, 0, v4, vcc_lo
	v_cmp_nlt_f32_e32 vcc_lo, 0x42b17218, v66
	s_delay_alu instid0(VALU_DEP_2) | instskip(NEXT) | instid1(VALU_DEP_1)
	v_cndmask_b32_e32 v6, 0x7f800000, v4, vcc_lo
	v_add_f32_e32 v8, 1.0, v6
	s_delay_alu instid0(VALU_DEP_1) | instskip(NEXT) | instid1(VALU_DEP_1)
	v_cvt_f64_f32_e32 v[4:5], v8
	v_frexp_exp_i32_f64_e32 v4, v[4:5]
	v_frexp_mant_f32_e32 v5, v8
	s_delay_alu instid0(VALU_DEP_1) | instskip(SKIP_1) | instid1(VALU_DEP_1)
	v_cmp_gt_f32_e32 vcc_lo, 0x3f2aaaab, v5
	v_add_f32_e32 v5, -1.0, v8
	v_sub_f32_e32 v57, v5, v8
	v_sub_f32_e32 v5, v6, v5
	s_delay_alu instid0(VALU_DEP_2) | instskip(NEXT) | instid1(VALU_DEP_1)
	v_add_f32_e32 v57, 1.0, v57
	v_add_f32_e32 v5, v5, v57
	v_subrev_co_ci_u32_e32 v4, vcc_lo, 0, v4, vcc_lo
	s_delay_alu instid0(VALU_DEP_1) | instskip(SKIP_1) | instid1(VALU_DEP_2)
	v_sub_nc_u32_e32 v9, 0, v4
	v_cvt_f32_i32_e32 v4, v4
	v_ldexp_f32 v8, v8, v9
	v_ldexp_f32 v5, v5, v9
	s_delay_alu instid0(VALU_DEP_2) | instskip(SKIP_1) | instid1(VALU_DEP_2)
	v_add_f32_e32 v58, 1.0, v8
	v_add_f32_e32 v9, -1.0, v8
	v_add_f32_e32 v57, -1.0, v58
	s_delay_alu instid0(VALU_DEP_2) | instskip(SKIP_2) | instid1(VALU_DEP_4)
	v_add_f32_e32 v59, 1.0, v9
	v_cmp_eq_f32_e32 vcc_lo, 0x7f800000, v6
	v_cmp_gt_f32_e64 s20, 0x33800000, v6
	v_sub_f32_e32 v57, v8, v57
	s_delay_alu instid0(VALU_DEP_4) | instskip(NEXT) | instid1(VALU_DEP_3)
	v_sub_f32_e32 v8, v8, v59
	s_or_b32 vcc_lo, s20, vcc_lo
	s_delay_alu instid0(VALU_DEP_2) | instskip(NEXT) | instid1(VALU_DEP_2)
	v_add_f32_e32 v57, v5, v57
	v_add_f32_e32 v5, v5, v8
	s_delay_alu instid0(VALU_DEP_1) | instskip(NEXT) | instid1(VALU_DEP_3)
	v_add_f32_e32 v60, v9, v5
	v_add_f32_e32 v59, v58, v57
	s_delay_alu instid0(VALU_DEP_1) | instskip(SKIP_1) | instid1(VALU_DEP_1)
	v_rcp_f32_e32 v8, v59
	v_sub_f32_e32 v58, v58, v59
	v_add_f32_e32 v57, v57, v58
	s_waitcnt_depctr 0xfff
	v_mul_f32_e32 v61, v60, v8
	s_delay_alu instid0(VALU_DEP_1) | instskip(NEXT) | instid1(VALU_DEP_1)
	v_mul_f32_e32 v62, v59, v61
	v_fma_f32 v58, v61, v59, -v62
	s_delay_alu instid0(VALU_DEP_1) | instskip(NEXT) | instid1(VALU_DEP_1)
	v_fmac_f32_e32 v58, v61, v57
	v_add_f32_e32 v63, v62, v58
	s_delay_alu instid0(VALU_DEP_1) | instskip(NEXT) | instid1(VALU_DEP_1)
	v_dual_sub_f32 v9, v9, v60 :: v_dual_sub_f32 v64, v60, v63
	v_sub_f32_e32 v60, v60, v64
	s_delay_alu instid0(VALU_DEP_1) | instskip(SKIP_1) | instid1(VALU_DEP_2)
	v_dual_sub_f32 v60, v60, v63 :: v_dual_add_f32 v5, v5, v9
	v_sub_f32_e32 v9, v63, v62
	v_add_f32_e32 v5, v5, v60
	s_delay_alu instid0(VALU_DEP_2) | instskip(NEXT) | instid1(VALU_DEP_1)
	v_sub_f32_e32 v9, v9, v58
	v_add_f32_e32 v5, v9, v5
	s_delay_alu instid0(VALU_DEP_1) | instskip(NEXT) | instid1(VALU_DEP_1)
	v_add_f32_e32 v9, v64, v5
	v_mul_f32_e32 v58, v8, v9
	s_delay_alu instid0(VALU_DEP_1) | instskip(NEXT) | instid1(VALU_DEP_1)
	v_mul_f32_e32 v60, v59, v58
	v_fma_f32 v59, v58, v59, -v60
	s_delay_alu instid0(VALU_DEP_1) | instskip(NEXT) | instid1(VALU_DEP_1)
	v_fmac_f32_e32 v59, v58, v57
	v_add_f32_e32 v57, v60, v59
	s_delay_alu instid0(VALU_DEP_1) | instskip(SKIP_2) | instid1(VALU_DEP_2)
	v_sub_f32_e32 v60, v57, v60
	v_sub_f32_e32 v62, v9, v57
	;; [unrolled: 1-line block ×4, first 2 shown]
	s_delay_alu instid0(VALU_DEP_2) | instskip(NEXT) | instid1(VALU_DEP_2)
	v_add_f32_e32 v5, v5, v63
	v_sub_f32_e32 v9, v9, v57
	v_sub_f32_e32 v57, v60, v59
	s_delay_alu instid0(VALU_DEP_2) | instskip(SKIP_1) | instid1(VALU_DEP_2)
	v_add_f32_e32 v5, v5, v9
	v_add_f32_e32 v9, v61, v58
	;; [unrolled: 1-line block ×3, first 2 shown]
	s_delay_alu instid0(VALU_DEP_2) | instskip(NEXT) | instid1(VALU_DEP_2)
	v_sub_f32_e32 v57, v9, v61
	v_add_f32_e32 v5, v62, v5
	s_delay_alu instid0(VALU_DEP_2) | instskip(NEXT) | instid1(VALU_DEP_2)
	v_sub_f32_e32 v57, v58, v57
	v_mul_f32_e32 v5, v8, v5
	s_delay_alu instid0(VALU_DEP_1) | instskip(NEXT) | instid1(VALU_DEP_1)
	v_add_f32_e32 v5, v57, v5
	v_add_f32_e32 v8, v9, v5
	s_delay_alu instid0(VALU_DEP_1) | instskip(NEXT) | instid1(VALU_DEP_1)
	v_mul_f32_e32 v57, v8, v8
	v_fmaak_f32 v58, s66, v57, 0x3ecc95a3
	v_mul_f32_e32 v59, v8, v57
	s_delay_alu instid0(VALU_DEP_2) | instskip(SKIP_2) | instid1(VALU_DEP_3)
	v_fmaak_f32 v57, v57, v58, 0x3f2aaada
	v_ldexp_f32 v58, v8, 1
	v_sub_f32_e32 v8, v8, v9
	v_mul_f32_e32 v57, v59, v57
	v_mul_f32_e32 v59, 0x3f317218, v4
	s_delay_alu instid0(VALU_DEP_3) | instskip(NEXT) | instid1(VALU_DEP_3)
	v_sub_f32_e32 v5, v5, v8
	v_add_f32_e32 v9, v58, v57
	s_delay_alu instid0(VALU_DEP_2) | instskip(NEXT) | instid1(VALU_DEP_2)
	v_ldexp_f32 v5, v5, 1
	v_sub_f32_e32 v8, v9, v58
	v_fma_f32 v58, 0x3f317218, v4, -v59
	s_delay_alu instid0(VALU_DEP_2) | instskip(NEXT) | instid1(VALU_DEP_2)
	v_sub_f32_e32 v8, v57, v8
	v_fmac_f32_e32 v58, 0xb102e308, v4
	s_delay_alu instid0(VALU_DEP_1) | instskip(NEXT) | instid1(VALU_DEP_1)
	v_dual_add_f32 v4, v5, v8 :: v_dual_add_f32 v5, v59, v58
	v_add_f32_e32 v8, v9, v4
	s_delay_alu instid0(VALU_DEP_1) | instskip(SKIP_1) | instid1(VALU_DEP_2)
	v_add_f32_e32 v57, v5, v8
	v_sub_f32_e32 v9, v8, v9
	v_sub_f32_e32 v60, v57, v5
	s_delay_alu instid0(VALU_DEP_2) | instskip(NEXT) | instid1(VALU_DEP_1)
	v_dual_sub_f32 v59, v5, v59 :: v_dual_sub_f32 v4, v4, v9
	v_dual_sub_f32 v61, v57, v60 :: v_dual_sub_f32 v58, v58, v59
	s_delay_alu instid0(VALU_DEP_1) | instskip(NEXT) | instid1(VALU_DEP_2)
	v_dual_sub_f32 v8, v8, v60 :: v_dual_sub_f32 v5, v5, v61
	v_add_f32_e32 v9, v58, v4
	s_delay_alu instid0(VALU_DEP_1) | instskip(NEXT) | instid1(VALU_DEP_1)
	v_dual_add_f32 v5, v8, v5 :: v_dual_sub_f32 v8, v9, v58
	v_add_f32_e32 v5, v9, v5
	s_delay_alu instid0(VALU_DEP_2) | instskip(NEXT) | instid1(VALU_DEP_2)
	v_sub_f32_e32 v9, v9, v8
	v_dual_sub_f32 v4, v4, v8 :: v_dual_add_f32 v59, v57, v5
	s_delay_alu instid0(VALU_DEP_2) | instskip(NEXT) | instid1(VALU_DEP_2)
	v_sub_f32_e32 v9, v58, v9
	v_sub_f32_e32 v8, v59, v57
	s_delay_alu instid0(VALU_DEP_1) | instskip(NEXT) | instid1(VALU_DEP_1)
	v_dual_add_f32 v4, v4, v9 :: v_dual_sub_f32 v5, v5, v8
	v_add_f32_e32 v4, v4, v5
	s_delay_alu instid0(VALU_DEP_1) | instskip(NEXT) | instid1(VALU_DEP_1)
	v_add_f32_e32 v4, v59, v4
	v_cndmask_b32_e32 v66, v4, v6, vcc_lo
.LBB109_54:                             ;   in Loop: Header=BB109_12 Depth=1
	s_or_b32 exec_lo, exec_lo, s21
	v_cvt_f32_f16_e32 v4, v7
	s_delay_alu instid0(VALU_DEP_1) | instskip(NEXT) | instid1(VALU_DEP_1)
	v_add_f32_e32 v67, s54, v4
	v_cmp_ge_f32_e32 vcc_lo, 0x41a00000, v67
	s_and_b32 s20, s62, vcc_lo
	s_delay_alu instid0(SALU_CYCLE_1)
	s_and_saveexec_b32 s21, s20
	s_cbranch_execz .LBB109_56
; %bb.55:                               ;   in Loop: Header=BB109_12 Depth=1
	v_mul_f32_e32 v4, 0x3fb8aa3b, v67
	v_cmp_ngt_f32_e32 vcc_lo, 0xc2ce8ed0, v67
	s_delay_alu instid0(VALU_DEP_2) | instskip(SKIP_1) | instid1(VALU_DEP_2)
	v_rndne_f32_e32 v5, v4
	v_fma_f32 v6, 0x3fb8aa3b, v67, -v4
	v_sub_f32_e32 v4, v4, v5
	s_delay_alu instid0(VALU_DEP_2) | instskip(SKIP_1) | instid1(VALU_DEP_2)
	v_fmac_f32_e32 v6, 0x32a5705f, v67
	v_cvt_i32_f32_e32 v5, v5
	v_add_f32_e32 v4, v4, v6
	s_delay_alu instid0(VALU_DEP_1) | instskip(SKIP_2) | instid1(VALU_DEP_1)
	v_exp_f32_e32 v4, v4
	s_waitcnt_depctr 0xfff
	v_ldexp_f32 v4, v4, v5
	v_cndmask_b32_e32 v4, 0, v4, vcc_lo
	v_cmp_nlt_f32_e32 vcc_lo, 0x42b17218, v67
	s_delay_alu instid0(VALU_DEP_2) | instskip(NEXT) | instid1(VALU_DEP_1)
	v_cndmask_b32_e32 v6, 0x7f800000, v4, vcc_lo
	v_add_f32_e32 v8, 1.0, v6
	s_delay_alu instid0(VALU_DEP_1) | instskip(NEXT) | instid1(VALU_DEP_1)
	v_cvt_f64_f32_e32 v[4:5], v8
	v_frexp_exp_i32_f64_e32 v4, v[4:5]
	v_frexp_mant_f32_e32 v5, v8
	s_delay_alu instid0(VALU_DEP_1) | instskip(SKIP_1) | instid1(VALU_DEP_1)
	v_cmp_gt_f32_e32 vcc_lo, 0x3f2aaaab, v5
	v_add_f32_e32 v5, -1.0, v8
	v_sub_f32_e32 v57, v5, v8
	v_sub_f32_e32 v5, v6, v5
	s_delay_alu instid0(VALU_DEP_2) | instskip(NEXT) | instid1(VALU_DEP_1)
	v_add_f32_e32 v57, 1.0, v57
	v_add_f32_e32 v5, v5, v57
	v_subrev_co_ci_u32_e32 v4, vcc_lo, 0, v4, vcc_lo
	s_delay_alu instid0(VALU_DEP_1) | instskip(SKIP_1) | instid1(VALU_DEP_2)
	v_sub_nc_u32_e32 v9, 0, v4
	v_cvt_f32_i32_e32 v4, v4
	v_ldexp_f32 v8, v8, v9
	v_ldexp_f32 v5, v5, v9
	s_delay_alu instid0(VALU_DEP_2) | instskip(SKIP_1) | instid1(VALU_DEP_2)
	v_add_f32_e32 v58, 1.0, v8
	v_add_f32_e32 v9, -1.0, v8
	v_add_f32_e32 v57, -1.0, v58
	s_delay_alu instid0(VALU_DEP_2) | instskip(SKIP_2) | instid1(VALU_DEP_4)
	v_add_f32_e32 v59, 1.0, v9
	v_cmp_eq_f32_e32 vcc_lo, 0x7f800000, v6
	v_cmp_gt_f32_e64 s20, 0x33800000, v6
	v_sub_f32_e32 v57, v8, v57
	s_delay_alu instid0(VALU_DEP_4) | instskip(NEXT) | instid1(VALU_DEP_3)
	v_sub_f32_e32 v8, v8, v59
	s_or_b32 vcc_lo, s20, vcc_lo
	s_delay_alu instid0(VALU_DEP_2) | instskip(NEXT) | instid1(VALU_DEP_2)
	v_add_f32_e32 v57, v5, v57
	v_add_f32_e32 v5, v5, v8
	s_delay_alu instid0(VALU_DEP_1) | instskip(NEXT) | instid1(VALU_DEP_3)
	v_add_f32_e32 v60, v9, v5
	v_add_f32_e32 v59, v58, v57
	s_delay_alu instid0(VALU_DEP_1) | instskip(SKIP_1) | instid1(VALU_DEP_1)
	v_rcp_f32_e32 v8, v59
	v_sub_f32_e32 v58, v58, v59
	v_add_f32_e32 v57, v57, v58
	s_waitcnt_depctr 0xfff
	v_mul_f32_e32 v61, v60, v8
	s_delay_alu instid0(VALU_DEP_1) | instskip(NEXT) | instid1(VALU_DEP_1)
	v_mul_f32_e32 v62, v59, v61
	v_fma_f32 v58, v61, v59, -v62
	s_delay_alu instid0(VALU_DEP_1) | instskip(NEXT) | instid1(VALU_DEP_1)
	v_fmac_f32_e32 v58, v61, v57
	v_add_f32_e32 v63, v62, v58
	s_delay_alu instid0(VALU_DEP_1) | instskip(NEXT) | instid1(VALU_DEP_1)
	v_dual_sub_f32 v9, v9, v60 :: v_dual_sub_f32 v64, v60, v63
	v_sub_f32_e32 v60, v60, v64
	s_delay_alu instid0(VALU_DEP_1) | instskip(SKIP_1) | instid1(VALU_DEP_2)
	v_dual_sub_f32 v60, v60, v63 :: v_dual_add_f32 v5, v5, v9
	v_sub_f32_e32 v9, v63, v62
	v_add_f32_e32 v5, v5, v60
	s_delay_alu instid0(VALU_DEP_2) | instskip(NEXT) | instid1(VALU_DEP_1)
	v_sub_f32_e32 v9, v9, v58
	v_add_f32_e32 v5, v9, v5
	s_delay_alu instid0(VALU_DEP_1) | instskip(NEXT) | instid1(VALU_DEP_1)
	v_add_f32_e32 v9, v64, v5
	v_mul_f32_e32 v58, v8, v9
	s_delay_alu instid0(VALU_DEP_1) | instskip(NEXT) | instid1(VALU_DEP_1)
	v_mul_f32_e32 v60, v59, v58
	v_fma_f32 v59, v58, v59, -v60
	s_delay_alu instid0(VALU_DEP_1) | instskip(NEXT) | instid1(VALU_DEP_1)
	v_fmac_f32_e32 v59, v58, v57
	v_add_f32_e32 v57, v60, v59
	s_delay_alu instid0(VALU_DEP_1) | instskip(SKIP_2) | instid1(VALU_DEP_2)
	v_sub_f32_e32 v60, v57, v60
	v_sub_f32_e32 v62, v9, v57
	;; [unrolled: 1-line block ×4, first 2 shown]
	s_delay_alu instid0(VALU_DEP_2) | instskip(NEXT) | instid1(VALU_DEP_2)
	v_add_f32_e32 v5, v5, v63
	v_sub_f32_e32 v9, v9, v57
	v_sub_f32_e32 v57, v60, v59
	s_delay_alu instid0(VALU_DEP_2) | instskip(SKIP_1) | instid1(VALU_DEP_2)
	v_add_f32_e32 v5, v5, v9
	v_add_f32_e32 v9, v61, v58
	v_add_f32_e32 v5, v57, v5
	s_delay_alu instid0(VALU_DEP_2) | instskip(NEXT) | instid1(VALU_DEP_2)
	v_sub_f32_e32 v57, v9, v61
	v_add_f32_e32 v5, v62, v5
	s_delay_alu instid0(VALU_DEP_2) | instskip(NEXT) | instid1(VALU_DEP_2)
	v_sub_f32_e32 v57, v58, v57
	v_mul_f32_e32 v5, v8, v5
	s_delay_alu instid0(VALU_DEP_1) | instskip(NEXT) | instid1(VALU_DEP_1)
	v_add_f32_e32 v5, v57, v5
	v_add_f32_e32 v8, v9, v5
	s_delay_alu instid0(VALU_DEP_1) | instskip(NEXT) | instid1(VALU_DEP_1)
	v_mul_f32_e32 v57, v8, v8
	v_fmaak_f32 v58, s66, v57, 0x3ecc95a3
	v_mul_f32_e32 v59, v8, v57
	s_delay_alu instid0(VALU_DEP_2) | instskip(SKIP_2) | instid1(VALU_DEP_3)
	v_fmaak_f32 v57, v57, v58, 0x3f2aaada
	v_ldexp_f32 v58, v8, 1
	v_sub_f32_e32 v8, v8, v9
	v_mul_f32_e32 v57, v59, v57
	v_mul_f32_e32 v59, 0x3f317218, v4
	s_delay_alu instid0(VALU_DEP_3) | instskip(NEXT) | instid1(VALU_DEP_3)
	v_sub_f32_e32 v5, v5, v8
	v_add_f32_e32 v9, v58, v57
	s_delay_alu instid0(VALU_DEP_2) | instskip(NEXT) | instid1(VALU_DEP_2)
	v_ldexp_f32 v5, v5, 1
	v_sub_f32_e32 v8, v9, v58
	v_fma_f32 v58, 0x3f317218, v4, -v59
	s_delay_alu instid0(VALU_DEP_2) | instskip(NEXT) | instid1(VALU_DEP_2)
	v_sub_f32_e32 v8, v57, v8
	v_fmac_f32_e32 v58, 0xb102e308, v4
	s_delay_alu instid0(VALU_DEP_1) | instskip(NEXT) | instid1(VALU_DEP_1)
	v_dual_add_f32 v4, v5, v8 :: v_dual_add_f32 v5, v59, v58
	v_add_f32_e32 v8, v9, v4
	s_delay_alu instid0(VALU_DEP_1) | instskip(SKIP_1) | instid1(VALU_DEP_2)
	v_add_f32_e32 v57, v5, v8
	v_sub_f32_e32 v9, v8, v9
	v_sub_f32_e32 v60, v57, v5
	s_delay_alu instid0(VALU_DEP_2) | instskip(NEXT) | instid1(VALU_DEP_1)
	v_dual_sub_f32 v59, v5, v59 :: v_dual_sub_f32 v4, v4, v9
	v_dual_sub_f32 v61, v57, v60 :: v_dual_sub_f32 v58, v58, v59
	s_delay_alu instid0(VALU_DEP_1) | instskip(NEXT) | instid1(VALU_DEP_2)
	v_dual_sub_f32 v8, v8, v60 :: v_dual_sub_f32 v5, v5, v61
	v_add_f32_e32 v9, v58, v4
	s_delay_alu instid0(VALU_DEP_1) | instskip(NEXT) | instid1(VALU_DEP_1)
	v_dual_add_f32 v5, v8, v5 :: v_dual_sub_f32 v8, v9, v58
	v_add_f32_e32 v5, v9, v5
	s_delay_alu instid0(VALU_DEP_2) | instskip(NEXT) | instid1(VALU_DEP_2)
	v_sub_f32_e32 v9, v9, v8
	v_dual_sub_f32 v4, v4, v8 :: v_dual_add_f32 v59, v57, v5
	s_delay_alu instid0(VALU_DEP_2) | instskip(NEXT) | instid1(VALU_DEP_2)
	v_sub_f32_e32 v9, v58, v9
	v_sub_f32_e32 v8, v59, v57
	s_delay_alu instid0(VALU_DEP_1) | instskip(NEXT) | instid1(VALU_DEP_1)
	v_dual_add_f32 v4, v4, v9 :: v_dual_sub_f32 v5, v5, v8
	v_add_f32_e32 v4, v4, v5
	s_delay_alu instid0(VALU_DEP_1) | instskip(NEXT) | instid1(VALU_DEP_1)
	v_add_f32_e32 v4, v59, v4
	v_cndmask_b32_e32 v67, v4, v6, vcc_lo
.LBB109_56:                             ;   in Loop: Header=BB109_12 Depth=1
	s_or_b32 exec_lo, exec_lo, s21
	v_lshrrev_b32_e32 v4, 16, v7
	s_delay_alu instid0(VALU_DEP_1) | instskip(NEXT) | instid1(VALU_DEP_1)
	v_cvt_f32_f16_e32 v4, v4
	v_add_f32_e32 v68, s54, v4
	s_delay_alu instid0(VALU_DEP_1) | instskip(SKIP_1) | instid1(SALU_CYCLE_1)
	v_cmp_ge_f32_e32 vcc_lo, 0x41a00000, v68
	s_and_b32 s20, s62, vcc_lo
	s_and_saveexec_b32 s21, s20
	s_cbranch_execz .LBB109_58
; %bb.57:                               ;   in Loop: Header=BB109_12 Depth=1
	v_mul_f32_e32 v4, 0x3fb8aa3b, v68
	v_cmp_ngt_f32_e32 vcc_lo, 0xc2ce8ed0, v68
	s_delay_alu instid0(VALU_DEP_2) | instskip(SKIP_1) | instid1(VALU_DEP_2)
	v_rndne_f32_e32 v5, v4
	v_fma_f32 v6, 0x3fb8aa3b, v68, -v4
	v_sub_f32_e32 v4, v4, v5
	s_delay_alu instid0(VALU_DEP_2) | instskip(SKIP_1) | instid1(VALU_DEP_2)
	v_fmac_f32_e32 v6, 0x32a5705f, v68
	v_cvt_i32_f32_e32 v5, v5
	v_add_f32_e32 v4, v4, v6
	s_delay_alu instid0(VALU_DEP_1) | instskip(SKIP_2) | instid1(VALU_DEP_1)
	v_exp_f32_e32 v4, v4
	s_waitcnt_depctr 0xfff
	v_ldexp_f32 v4, v4, v5
	v_cndmask_b32_e32 v4, 0, v4, vcc_lo
	v_cmp_nlt_f32_e32 vcc_lo, 0x42b17218, v68
	s_delay_alu instid0(VALU_DEP_2) | instskip(NEXT) | instid1(VALU_DEP_1)
	v_cndmask_b32_e32 v6, 0x7f800000, v4, vcc_lo
	v_add_f32_e32 v7, 1.0, v6
	s_delay_alu instid0(VALU_DEP_1) | instskip(NEXT) | instid1(VALU_DEP_1)
	v_cvt_f64_f32_e32 v[4:5], v7
	v_frexp_exp_i32_f64_e32 v4, v[4:5]
	v_frexp_mant_f32_e32 v5, v7
	s_delay_alu instid0(VALU_DEP_1) | instskip(SKIP_1) | instid1(VALU_DEP_1)
	v_cmp_gt_f32_e32 vcc_lo, 0x3f2aaaab, v5
	v_add_f32_e32 v5, -1.0, v7
	v_sub_f32_e32 v9, v5, v7
	s_delay_alu instid0(VALU_DEP_1) | instskip(SKIP_1) | instid1(VALU_DEP_1)
	v_add_f32_e32 v9, 1.0, v9
	v_subrev_co_ci_u32_e32 v4, vcc_lo, 0, v4, vcc_lo
	v_sub_nc_u32_e32 v8, 0, v4
	v_cvt_f32_i32_e32 v4, v4
	s_delay_alu instid0(VALU_DEP_2) | instskip(NEXT) | instid1(VALU_DEP_1)
	v_ldexp_f32 v7, v7, v8
	v_add_f32_e32 v57, 1.0, v7
	v_sub_f32_e32 v5, v6, v5
	v_cmp_eq_f32_e32 vcc_lo, 0x7f800000, v6
	v_cmp_gt_f32_e64 s20, 0x33800000, v6
	s_delay_alu instid0(VALU_DEP_3) | instskip(NEXT) | instid1(VALU_DEP_2)
	v_add_f32_e32 v5, v5, v9
	s_or_b32 vcc_lo, s20, vcc_lo
	s_delay_alu instid0(VALU_DEP_1) | instskip(SKIP_1) | instid1(VALU_DEP_1)
	v_ldexp_f32 v5, v5, v8
	v_dual_add_f32 v8, -1.0, v7 :: v_dual_add_f32 v9, -1.0, v57
	v_dual_add_f32 v58, 1.0, v8 :: v_dual_sub_f32 v9, v7, v9
	s_delay_alu instid0(VALU_DEP_1) | instskip(NEXT) | instid1(VALU_DEP_1)
	v_add_f32_e32 v9, v5, v9
	v_dual_sub_f32 v7, v7, v58 :: v_dual_add_f32 v58, v57, v9
	s_delay_alu instid0(VALU_DEP_1) | instskip(NEXT) | instid1(VALU_DEP_2)
	v_add_f32_e32 v5, v5, v7
	v_rcp_f32_e32 v7, v58
	s_delay_alu instid0(VALU_DEP_1) | instskip(NEXT) | instid1(VALU_DEP_1)
	v_add_f32_e32 v59, v8, v5
	v_dual_sub_f32 v57, v57, v58 :: v_dual_sub_f32 v8, v8, v59
	s_waitcnt_depctr 0xfff
	v_dual_mul_f32 v60, v59, v7 :: v_dual_add_f32 v9, v9, v57
	v_add_f32_e32 v5, v5, v8
	s_delay_alu instid0(VALU_DEP_2) | instskip(NEXT) | instid1(VALU_DEP_1)
	v_mul_f32_e32 v61, v58, v60
	v_fma_f32 v57, v60, v58, -v61
	s_delay_alu instid0(VALU_DEP_1) | instskip(NEXT) | instid1(VALU_DEP_1)
	v_fmac_f32_e32 v57, v60, v9
	v_add_f32_e32 v62, v61, v57
	s_delay_alu instid0(VALU_DEP_1) | instskip(NEXT) | instid1(VALU_DEP_1)
	v_sub_f32_e32 v63, v59, v62
	v_dual_sub_f32 v59, v59, v63 :: v_dual_sub_f32 v8, v62, v61
	s_delay_alu instid0(VALU_DEP_1) | instskip(NEXT) | instid1(VALU_DEP_1)
	v_dual_sub_f32 v59, v59, v62 :: v_dual_sub_f32 v8, v8, v57
	v_add_f32_e32 v5, v5, v59
	s_delay_alu instid0(VALU_DEP_1) | instskip(NEXT) | instid1(VALU_DEP_1)
	v_add_f32_e32 v5, v8, v5
	v_add_f32_e32 v8, v63, v5
	s_delay_alu instid0(VALU_DEP_1) | instskip(NEXT) | instid1(VALU_DEP_1)
	v_mul_f32_e32 v57, v7, v8
	v_mul_f32_e32 v59, v58, v57
	s_delay_alu instid0(VALU_DEP_1) | instskip(NEXT) | instid1(VALU_DEP_1)
	v_fma_f32 v58, v57, v58, -v59
	v_fmac_f32_e32 v58, v57, v9
	v_sub_f32_e32 v62, v63, v8
	s_delay_alu instid0(VALU_DEP_2) | instskip(NEXT) | instid1(VALU_DEP_2)
	v_add_f32_e32 v9, v59, v58
	v_add_f32_e32 v5, v5, v62
	s_delay_alu instid0(VALU_DEP_2) | instskip(NEXT) | instid1(VALU_DEP_1)
	v_sub_f32_e32 v61, v8, v9
	v_dual_sub_f32 v59, v9, v59 :: v_dual_sub_f32 v8, v8, v61
	s_delay_alu instid0(VALU_DEP_1) | instskip(NEXT) | instid1(VALU_DEP_1)
	v_dual_sub_f32 v8, v8, v9 :: v_dual_sub_f32 v9, v59, v58
	v_dual_add_f32 v5, v5, v8 :: v_dual_add_f32 v8, v60, v57
	s_delay_alu instid0(VALU_DEP_1) | instskip(NEXT) | instid1(VALU_DEP_2)
	v_add_f32_e32 v5, v9, v5
	v_sub_f32_e32 v9, v8, v60
	s_delay_alu instid0(VALU_DEP_2) | instskip(NEXT) | instid1(VALU_DEP_2)
	v_add_f32_e32 v5, v61, v5
	v_sub_f32_e32 v9, v57, v9
	s_delay_alu instid0(VALU_DEP_2) | instskip(NEXT) | instid1(VALU_DEP_1)
	v_mul_f32_e32 v5, v7, v5
	v_add_f32_e32 v5, v9, v5
	s_delay_alu instid0(VALU_DEP_1) | instskip(NEXT) | instid1(VALU_DEP_1)
	v_add_f32_e32 v7, v8, v5
	v_mul_f32_e32 v9, v7, v7
	s_delay_alu instid0(VALU_DEP_1) | instskip(SKIP_1) | instid1(VALU_DEP_2)
	v_fmaak_f32 v57, s66, v9, 0x3ecc95a3
	v_mul_f32_e32 v58, v7, v9
	v_fmaak_f32 v9, v9, v57, 0x3f2aaada
	v_ldexp_f32 v57, v7, 1
	s_delay_alu instid0(VALU_DEP_2) | instskip(SKIP_2) | instid1(VALU_DEP_3)
	v_mul_f32_e32 v9, v58, v9
	v_sub_f32_e32 v7, v7, v8
	v_mul_f32_e32 v58, 0x3f317218, v4
	v_add_f32_e32 v8, v57, v9
	s_delay_alu instid0(VALU_DEP_3) | instskip(NEXT) | instid1(VALU_DEP_2)
	v_sub_f32_e32 v5, v5, v7
	v_sub_f32_e32 v7, v8, v57
	s_delay_alu instid0(VALU_DEP_4) | instskip(NEXT) | instid1(VALU_DEP_3)
	v_fma_f32 v57, 0x3f317218, v4, -v58
	v_ldexp_f32 v5, v5, 1
	s_delay_alu instid0(VALU_DEP_3) | instskip(NEXT) | instid1(VALU_DEP_1)
	v_sub_f32_e32 v7, v9, v7
	v_dual_fmac_f32 v57, 0xb102e308, v4 :: v_dual_add_f32 v4, v5, v7
	s_delay_alu instid0(VALU_DEP_1) | instskip(NEXT) | instid1(VALU_DEP_1)
	v_add_f32_e32 v5, v58, v57
	v_dual_add_f32 v7, v8, v4 :: v_dual_sub_f32 v58, v5, v58
	s_delay_alu instid0(VALU_DEP_1) | instskip(NEXT) | instid1(VALU_DEP_2)
	v_dual_add_f32 v9, v5, v7 :: v_dual_sub_f32 v8, v7, v8
	v_sub_f32_e32 v57, v57, v58
	s_delay_alu instid0(VALU_DEP_2) | instskip(NEXT) | instid1(VALU_DEP_1)
	v_dual_sub_f32 v59, v9, v5 :: v_dual_sub_f32 v4, v4, v8
	v_sub_f32_e32 v60, v9, v59
	s_delay_alu instid0(VALU_DEP_2) | instskip(NEXT) | instid1(VALU_DEP_2)
	v_dual_sub_f32 v7, v7, v59 :: v_dual_add_f32 v8, v57, v4
	v_sub_f32_e32 v5, v5, v60
	s_delay_alu instid0(VALU_DEP_1) | instskip(NEXT) | instid1(VALU_DEP_3)
	v_add_f32_e32 v5, v7, v5
	v_sub_f32_e32 v7, v8, v57
	s_delay_alu instid0(VALU_DEP_2) | instskip(NEXT) | instid1(VALU_DEP_2)
	v_add_f32_e32 v5, v8, v5
	v_sub_f32_e32 v8, v8, v7
	v_sub_f32_e32 v4, v4, v7
	s_delay_alu instid0(VALU_DEP_3) | instskip(NEXT) | instid1(VALU_DEP_1)
	v_add_f32_e32 v58, v9, v5
	v_dual_sub_f32 v8, v57, v8 :: v_dual_sub_f32 v7, v58, v9
	s_delay_alu instid0(VALU_DEP_1) | instskip(NEXT) | instid1(VALU_DEP_1)
	v_dual_add_f32 v4, v4, v8 :: v_dual_sub_f32 v5, v5, v7
	v_add_f32_e32 v4, v4, v5
	s_delay_alu instid0(VALU_DEP_1) | instskip(NEXT) | instid1(VALU_DEP_1)
	v_add_f32_e32 v4, v58, v4
	v_cndmask_b32_e32 v68, v4, v6, vcc_lo
.LBB109_58:                             ;   in Loop: Header=BB109_12 Depth=1
	s_or_b32 exec_lo, exec_lo, s21
	v_lshrrev_b32_e32 v5, 16, v2
	v_lshrrev_b32_e32 v6, 16, v3
	;; [unrolled: 1-line block ×4, first 2 shown]
	v_cvt_f32_f16_e32 v4, v3
	v_cvt_f32_f16_e32 v2, v2
	;; [unrolled: 1-line block ×8, first 2 shown]
	v_dual_mul_f32 v60, s55, v4 :: v_dual_mul_f32 v57, s55, v3
	v_dual_mul_f32 v62, s55, v2 :: v_dual_mul_f32 v59, s55, v5
	s_delay_alu instid0(VALU_DEP_4) | instskip(NEXT) | instid1(VALU_DEP_4)
	v_dual_mul_f32 v63, s55, v1 :: v_dual_mul_f32 v58, s55, v6
	v_dual_mul_f32 v64, s55, v0 :: v_dual_mul_f32 v61, s55, v7
	s_and_b32 vcc_lo, exec_lo, s63
	s_barrier
	buffer_gl0_inv
	s_cbranch_vccz .LBB109_122
; %bb.59:                               ;   in Loop: Header=BB109_12 Depth=1
	v_dual_mul_f32 v69, v68, v7 :: v_dual_mul_f32 v74, v67, v4
	v_add_co_u32 v7, s20, s46, v51
	s_delay_alu instid0(VALU_DEP_1) | instskip(SKIP_1) | instid1(VALU_DEP_1)
	v_add_co_ci_u32_e64 v8, null, s49, 0, s20
	v_add_co_u32 v9, s20, s50, v51
	v_add_co_ci_u32_e64 v73, null, s58, 0, s20
	s_delay_alu instid0(VALU_DEP_4) | instskip(NEXT) | instid1(VALU_DEP_4)
	v_add_co_u32 v70, vcc_lo, v7, v52
	v_add_co_ci_u32_e32 v71, vcc_lo, 0, v8, vcc_lo
	s_delay_alu instid0(VALU_DEP_4) | instskip(NEXT) | instid1(VALU_DEP_4)
	v_add_co_u32 v72, vcc_lo, v9, v52
	v_add_co_ci_u32_e32 v73, vcc_lo, 0, v73, vcc_lo
	v_cmp_gt_u32_e32 vcc_lo, s23, v10
	s_cmp_lg_u32 s70, 0
	v_cmp_gt_u32_e64 s21, s23, v44
	s_cselect_b32 s31, -1, 0
	s_cmp_eq_u32 s70, s65
	v_cmp_gt_u32_e64 s22, s23, v45
	s_cselect_b32 s71, -1, 0
	s_or_b32 s20, s64, vcc_lo
	v_cmp_gt_u32_e32 vcc_lo, s23, v46
	v_cmp_gt_u32_e64 s24, s23, v47
	v_cmp_gt_u32_e64 s25, s23, v48
	;; [unrolled: 1-line block ×4, first 2 shown]
	v_dual_mul_f32 v75, v66, v3 :: v_dual_mul_f32 v76, v65, v2
	v_dual_mul_f32 v77, v56, v5 :: v_dual_mul_f32 v80, v53, v0
	;; [unrolled: 1-line block ×3, first 2 shown]
	s_mov_b32 s52, 0
	s_or_b32 s21, s64, s21
	s_or_b32 s22, s64, s22
	s_or_b32 s23, s64, vcc_lo
	s_or_b32 s24, s64, s24
	s_or_b32 s25, s64, s25
	;; [unrolled: 1-line block ×4, first 2 shown]
	s_mov_b32 s38, s52
	s_mov_b32 s40, s52
	;; [unrolled: 1-line block ×5, first 2 shown]
	s_branch .LBB109_61
.LBB109_60:                             ;   in Loop: Header=BB109_61 Depth=2
	s_or_b32 exec_lo, exec_lo, s28
	v_cndmask_b32_e64 v5, v98, v7, s11
	v_cndmask_b32_e64 v6, v97, v6, s11
	s_add_i32 s72, s72, -1
	s_add_i32 s73, s73, 8
	s_add_i32 s42, s42, s37
	v_fma_f32 v5, v5, v84, v82
	v_mul_f32_e32 v6, v6, v84
	s_add_i32 s40, s40, s36
	s_add_i32 s38, s38, s48
	;; [unrolled: 1-line block ×3, first 2 shown]
	v_cndmask_b32_e64 v5, v5, v82, s10
	v_cndmask_b32_e64 v6, v6, v84, s10
	s_cmp_eq_u32 s72, 0
	s_waitcnt lgkmcnt(0)
	s_delay_alu instid0(VALU_DEP_1) | instskip(NEXT) | instid1(VALU_DEP_1)
	v_fmac_f32_e32 v5, v4, v6
	v_fmac_f32_e32 v81, v5, v86
	v_fma_mix_f32 v64, v5, v0, v64 op_sel_hi:[0,1,0]
	s_delay_alu instid0(VALU_DEP_2) | instskip(SKIP_1) | instid1(VALU_DEP_2)
	v_fmac_f32_e32 v83, v81, v88
	v_fma_mix_f32 v58, v81, v0, v58 op_sel:[0,1,0] op_sel_hi:[0,1,0]
	v_fmac_f32_e32 v85, v83, v90
	v_fma_mix_f32 v63, v83, v1, v63 op_sel_hi:[0,1,0]
	s_delay_alu instid0(VALU_DEP_2) | instskip(SKIP_1) | instid1(VALU_DEP_2)
	v_fmac_f32_e32 v87, v85, v91
	v_fma_mix_f32 v59, v85, v1, v59 op_sel:[0,1,0] op_sel_hi:[0,1,0]
	;; [unrolled: 5-line block ×3, first 2 shown]
	v_fmac_f32_e32 v93, v92, v95
	v_fma_mix_f32 v60, v92, v3, v60 op_sel_hi:[0,1,0]
	s_delay_alu instid0(VALU_DEP_2)
	v_fma_mix_f32 v61, v93, v3, v61 op_sel:[0,1,0] op_sel_hi:[0,1,0]
	s_cbranch_scc1 .LBB109_122
.LBB109_61:                             ;   Parent Loop BB109_12 Depth=1
                                        ; =>  This Inner Loop Header: Depth=2
	s_lshl_b64 s[74:75], s[52:53], 2
	s_mov_b32 s39, s53
	s_add_u32 s74, s56, s74
	s_addc_u32 s75, s57, s75
	v_dual_mov_b32 v2, 0 :: v_dual_mov_b32 v3, 0
	global_load_b32 v81, v13, s[74:75]
	s_lshl_b64 s[74:75], s[38:39], 1
	s_delay_alu instid0(SALU_CYCLE_1)
	v_add_co_u32 v0, vcc_lo, v70, s74
	v_add_co_ci_u32_e32 v1, vcc_lo, s75, v71, vcc_lo
	s_and_saveexec_b32 s28, s12
	s_cbranch_execnz .LBB109_81
; %bb.62:                               ;   in Loop: Header=BB109_61 Depth=2
	s_or_b32 exec_lo, exec_lo, s28
	s_and_saveexec_b32 s28, s13
	s_cbranch_execnz .LBB109_82
.LBB109_63:                             ;   in Loop: Header=BB109_61 Depth=2
	s_or_b32 exec_lo, exec_lo, s28
	v_mov_b32_e32 v4, 0
	s_and_saveexec_b32 s28, s14
	s_cbranch_execnz .LBB109_83
.LBB109_64:                             ;   in Loop: Header=BB109_61 Depth=2
	s_or_b32 exec_lo, exec_lo, s28
	s_and_saveexec_b32 s28, s15
	s_cbranch_execnz .LBB109_84
.LBB109_65:                             ;   in Loop: Header=BB109_61 Depth=2
	s_or_b32 exec_lo, exec_lo, s28
	v_mov_b32_e32 v5, 0
	s_and_saveexec_b32 s28, s16
	s_cbranch_execnz .LBB109_85
.LBB109_66:                             ;   in Loop: Header=BB109_61 Depth=2
	s_or_b32 exec_lo, exec_lo, s28
	s_and_saveexec_b32 s28, s17
	s_cbranch_execnz .LBB109_86
.LBB109_67:                             ;   in Loop: Header=BB109_61 Depth=2
	s_or_b32 exec_lo, exec_lo, s28
	v_mov_b32_e32 v6, 0
	s_and_saveexec_b32 s28, s18
	s_cbranch_execnz .LBB109_87
.LBB109_68:                             ;   in Loop: Header=BB109_61 Depth=2
	s_or_b32 exec_lo, exec_lo, s28
	s_and_saveexec_b32 s28, s19
	s_cbranch_execz .LBB109_70
.LBB109_69:                             ;   in Loop: Header=BB109_61 Depth=2
	global_load_u16 v0, v[0:1], off offset:448
	s_waitcnt vmcnt(0)
	v_lshl_or_b32 v6, v0, 16, v6
.LBB109_70:                             ;   in Loop: Header=BB109_61 Depth=2
	s_or_b32 exec_lo, exec_lo, s28
	s_waitcnt vmcnt(0)
	ds_store_b16 v20, v3
	ds_store_b16 v20, v2 offset:64
	ds_store_b16 v21, v4 offset:128
	ds_store_b16_d16_hi v22, v4 offset:192
	ds_store_b16 v23, v5 offset:256
	ds_store_b16_d16_hi v24, v5 offset:320
	;; [unrolled: 2-line block ×3, first 2 shown]
	; wave barrier
	ds_load_b128 v[4:7], v27
	s_mov_b32 s41, s53
	v_dual_mov_b32 v2, 0 :: v_dual_mov_b32 v3, 0
	s_lshl_b64 s[74:75], s[40:41], 1
	s_delay_alu instid0(SALU_CYCLE_1)
	v_add_co_u32 v0, vcc_lo, v72, s74
	v_add_co_ci_u32_e32 v1, vcc_lo, s75, v73, vcc_lo
	s_and_saveexec_b32 s28, s12
	s_cbranch_execnz .LBB109_88
; %bb.71:                               ;   in Loop: Header=BB109_61 Depth=2
	s_or_b32 exec_lo, exec_lo, s28
	s_and_saveexec_b32 s28, s13
	s_cbranch_execnz .LBB109_89
.LBB109_72:                             ;   in Loop: Header=BB109_61 Depth=2
	s_or_b32 exec_lo, exec_lo, s28
	v_mov_b32_e32 v8, 0
	s_and_saveexec_b32 s28, s14
	s_cbranch_execnz .LBB109_90
.LBB109_73:                             ;   in Loop: Header=BB109_61 Depth=2
	s_or_b32 exec_lo, exec_lo, s28
	s_and_saveexec_b32 s28, s15
	s_cbranch_execnz .LBB109_91
.LBB109_74:                             ;   in Loop: Header=BB109_61 Depth=2
	s_or_b32 exec_lo, exec_lo, s28
	v_mov_b32_e32 v9, 0
	s_and_saveexec_b32 s28, s16
	s_cbranch_execnz .LBB109_92
.LBB109_75:                             ;   in Loop: Header=BB109_61 Depth=2
	s_or_b32 exec_lo, exec_lo, s28
	s_and_saveexec_b32 s28, s17
	s_cbranch_execnz .LBB109_93
.LBB109_76:                             ;   in Loop: Header=BB109_61 Depth=2
	s_or_b32 exec_lo, exec_lo, s28
	v_mov_b32_e32 v82, 0
	s_and_saveexec_b32 s28, s18
	s_cbranch_execnz .LBB109_94
.LBB109_77:                             ;   in Loop: Header=BB109_61 Depth=2
	s_or_b32 exec_lo, exec_lo, s28
	s_and_saveexec_b32 s28, s19
	s_cbranch_execz .LBB109_79
.LBB109_78:                             ;   in Loop: Header=BB109_61 Depth=2
	global_load_u16 v0, v[0:1], off offset:448
	s_waitcnt vmcnt(0)
	v_lshl_or_b32 v82, v0, 16, v82
.LBB109_79:                             ;   in Loop: Header=BB109_61 Depth=2
	s_or_b32 exec_lo, exec_lo, s28
	s_waitcnt vmcnt(0)
	ds_store_b16 v20, v3 offset:1056
	ds_store_b16 v28, v2 offset:64
	;; [unrolled: 1-line block ×3, first 2 shown]
	ds_store_b16_d16_hi v30, v8 offset:192
	ds_store_b16 v31, v9 offset:256
	ds_store_b16_d16_hi v32, v9 offset:320
	ds_store_b16 v33, v82 offset:384
	ds_store_b16_d16_hi v34, v82 offset:448
	; wave barrier
	ds_load_b128 v[0:3], v27 offset:1056
	s_and_not1_b32 vcc_lo, exec_lo, s31
	s_cbranch_vccnz .LBB109_95
; %bb.80:                               ;   in Loop: Header=BB109_61 Depth=2
	v_mov_b32_e32 v8, s73
	ds_load_b64 v[8:9], v8
	s_cbranch_execz .LBB109_96
	s_branch .LBB109_99
.LBB109_81:                             ;   in Loop: Header=BB109_61 Depth=2
	global_load_u16 v3, v[0:1], off
	s_or_b32 exec_lo, exec_lo, s28
	s_and_saveexec_b32 s28, s13
	s_cbranch_execz .LBB109_63
.LBB109_82:                             ;   in Loop: Header=BB109_61 Depth=2
	global_load_u16 v2, v[0:1], off offset:64
	s_or_b32 exec_lo, exec_lo, s28
	v_mov_b32_e32 v4, 0
	s_and_saveexec_b32 s28, s14
	s_cbranch_execz .LBB109_64
.LBB109_83:                             ;   in Loop: Header=BB109_61 Depth=2
	global_load_u16 v4, v[0:1], off offset:128
	s_or_b32 exec_lo, exec_lo, s28
	s_and_saveexec_b32 s28, s15
	s_cbranch_execz .LBB109_65
.LBB109_84:                             ;   in Loop: Header=BB109_61 Depth=2
	global_load_u16 v5, v[0:1], off offset:192
	s_waitcnt vmcnt(0)
	v_lshl_or_b32 v4, v5, 16, v4
	s_or_b32 exec_lo, exec_lo, s28
	v_mov_b32_e32 v5, 0
	s_and_saveexec_b32 s28, s16
	s_cbranch_execz .LBB109_66
.LBB109_85:                             ;   in Loop: Header=BB109_61 Depth=2
	global_load_u16 v5, v[0:1], off offset:256
	s_or_b32 exec_lo, exec_lo, s28
	s_and_saveexec_b32 s28, s17
	s_cbranch_execz .LBB109_67
.LBB109_86:                             ;   in Loop: Header=BB109_61 Depth=2
	global_load_u16 v6, v[0:1], off offset:320
	s_waitcnt vmcnt(0)
	v_lshl_or_b32 v5, v6, 16, v5
	s_or_b32 exec_lo, exec_lo, s28
	v_mov_b32_e32 v6, 0
	s_and_saveexec_b32 s28, s18
	s_cbranch_execz .LBB109_68
.LBB109_87:                             ;   in Loop: Header=BB109_61 Depth=2
	global_load_u16 v6, v[0:1], off offset:384
	s_or_b32 exec_lo, exec_lo, s28
	s_and_saveexec_b32 s28, s19
	s_cbranch_execnz .LBB109_69
	s_branch .LBB109_70
.LBB109_88:                             ;   in Loop: Header=BB109_61 Depth=2
	global_load_u16 v3, v[0:1], off
	s_or_b32 exec_lo, exec_lo, s28
	s_and_saveexec_b32 s28, s13
	s_cbranch_execz .LBB109_72
.LBB109_89:                             ;   in Loop: Header=BB109_61 Depth=2
	global_load_u16 v2, v[0:1], off offset:64
	s_or_b32 exec_lo, exec_lo, s28
	v_mov_b32_e32 v8, 0
	s_and_saveexec_b32 s28, s14
	s_cbranch_execz .LBB109_73
.LBB109_90:                             ;   in Loop: Header=BB109_61 Depth=2
	global_load_u16 v8, v[0:1], off offset:128
	s_or_b32 exec_lo, exec_lo, s28
	s_and_saveexec_b32 s28, s15
	s_cbranch_execz .LBB109_74
.LBB109_91:                             ;   in Loop: Header=BB109_61 Depth=2
	global_load_u16 v9, v[0:1], off offset:192
	s_waitcnt vmcnt(0)
	v_lshl_or_b32 v8, v9, 16, v8
	s_or_b32 exec_lo, exec_lo, s28
	v_mov_b32_e32 v9, 0
	s_and_saveexec_b32 s28, s16
	s_cbranch_execz .LBB109_75
.LBB109_92:                             ;   in Loop: Header=BB109_61 Depth=2
	global_load_u16 v9, v[0:1], off offset:256
	s_or_b32 exec_lo, exec_lo, s28
	s_and_saveexec_b32 s28, s17
	s_cbranch_execz .LBB109_76
.LBB109_93:                             ;   in Loop: Header=BB109_61 Depth=2
	global_load_u16 v82, v[0:1], off offset:320
	s_waitcnt vmcnt(0)
	v_lshl_or_b32 v9, v82, 16, v9
	s_or_b32 exec_lo, exec_lo, s28
	v_mov_b32_e32 v82, 0
	s_and_saveexec_b32 s28, s18
	s_cbranch_execz .LBB109_77
.LBB109_94:                             ;   in Loop: Header=BB109_61 Depth=2
	global_load_u16 v82, v[0:1], off offset:384
	s_or_b32 exec_lo, exec_lo, s28
	s_and_saveexec_b32 s28, s19
	s_cbranch_execnz .LBB109_78
	s_branch .LBB109_79
.LBB109_95:                             ;   in Loop: Header=BB109_61 Depth=2
                                        ; implicit-def: $vgpr8
.LBB109_96:                             ;   in Loop: Header=BB109_61 Depth=2
	s_waitcnt lgkmcnt(0)
	v_mov_b32_e32 v9, 0
	s_and_not1_b32 vcc_lo, exec_lo, s33
	s_cbranch_vccnz .LBB109_98
; %bb.97:                               ;   in Loop: Header=BB109_61 Depth=2
	s_mov_b32 s43, s53
	s_delay_alu instid0(SALU_CYCLE_1) | instskip(NEXT) | instid1(SALU_CYCLE_1)
	s_lshl_b64 s[74:75], s[42:43], 2
	s_add_u32 s74, s59, s74
	s_addc_u32 s75, s60, s75
	global_load_b32 v9, v13, s[74:75]
.LBB109_98:                             ;   in Loop: Header=BB109_61 Depth=2
	v_mov_b32_e32 v8, 1.0
.LBB109_99:                             ;   in Loop: Header=BB109_61 Depth=2
	s_waitcnt lgkmcnt(9)
	v_lshrrev_b32_e32 v82, 16, v5
	v_lshrrev_b32_e32 v85, 16, v7
	v_cvt_f32_f16_e32 v7, v7
	v_lshrrev_b32_e32 v83, 16, v6
	v_cvt_f32_f16_e32 v5, v5
	v_cvt_f32_f16_e32 v87, v82
	v_mul_f32_e32 v92, 0x3fb8aa3b, v81
	v_cvt_f32_f16_e32 v93, v85
	v_lshrrev_b32_e32 v81, 16, v4
	v_cvt_f32_f16_e32 v4, v4
	s_delay_alu instid0(VALU_DEP_4)
	v_dual_mul_f32 v87, v77, v87 :: v_dual_mul_f32 v84, v92, v53
	v_mul_f32_e32 v7, v74, v7
	v_cvt_f32_f16_e32 v89, v83
	v_cvt_f32_f16_e32 v81, v81
	v_mul_f32_e32 v83, v92, v55
	v_cmp_gt_f32_e32 vcc_lo, 0xc2fc0000, v84
	v_mul_f32_e32 v4, v80, v4
	v_cvt_f32_f16_e32 v6, v6
	v_mul_f32_e32 v95, v92, v68
	v_mul_f32_e32 v5, v78, v5
	v_cndmask_b32_e64 v84, 0, 0x42800000, vcc_lo
	v_cndmask_b32_e64 v85, 1.0, 0x1f800000, vcc_lo
	v_dual_mul_f32 v6, v76, v6 :: v_dual_mul_f32 v89, v75, v89
	v_mul_f32_e32 v93, v69, v93
	s_delay_alu instid0(VALU_DEP_4) | instskip(NEXT) | instid1(VALU_DEP_3)
	v_fmac_f32_e32 v84, v92, v53
	v_cndmask_b32_e64 v89, 0, v89, s25
	s_delay_alu instid0(VALU_DEP_3) | instskip(NEXT) | instid1(VALU_DEP_3)
	v_cndmask_b32_e64 v93, 0, v93, s27
	v_exp_f32_e32 v82, v84
	s_waitcnt_depctr 0xfff
	v_dual_mul_f32 v86, v92, v54 :: v_dual_mul_f32 v85, v82, v85
	s_delay_alu instid0(VALU_DEP_1) | instskip(SKIP_3) | instid1(VALU_DEP_4)
	v_cmp_gt_f32_e64 s28, 0xc2fc0000, v86
	v_cndmask_b32_e64 v82, 0, v4, s20
	v_mul_f32_e32 v4, v79, v81
	v_cmp_gt_f32_e32 vcc_lo, 0xc2fc0000, v83
	v_cndmask_b32_e64 v86, 0, 0x42800000, s28
	v_cndmask_b32_e64 v88, 1.0, 0x1f800000, s28
	s_delay_alu instid0(VALU_DEP_4) | instskip(SKIP_1) | instid1(VALU_DEP_4)
	v_cndmask_b32_e64 v81, 0, v4, s21
	v_cndmask_b32_e64 v83, 0, 0x42800000, vcc_lo
	v_fmac_f32_e32 v86, v92, v54
	s_delay_alu instid0(VALU_DEP_1) | instskip(SKIP_1) | instid1(VALU_DEP_1)
	v_exp_f32_e32 v84, v86
	v_mul_f32_e32 v86, v92, v56
	v_cmp_gt_f32_e64 s28, 0xc2fc0000, v86
	s_waitcnt_depctr 0xfff
	v_mul_f32_e32 v88, v84, v88
	v_cndmask_b32_e64 v84, 1.0, v85, s20
	v_cndmask_b32_e64 v85, 0, 0x42800000, s28
	s_delay_alu instid0(VALU_DEP_3) | instskip(SKIP_1) | instid1(VALU_DEP_3)
	v_cndmask_b32_e64 v86, 1.0, v88, s21
	v_cndmask_b32_e64 v88, 1.0, 0x1f800000, vcc_lo
	v_fmac_f32_e32 v85, v92, v56
	s_delay_alu instid0(VALU_DEP_1) | instskip(SKIP_1) | instid1(VALU_DEP_1)
	v_exp_f32_e32 v85, v85
	v_fmac_f32_e32 v83, v92, v55
	v_exp_f32_e32 v4, v83
	v_mul_f32_e32 v83, v92, v65
	s_delay_alu instid0(VALU_DEP_1)
	v_cmp_gt_f32_e32 vcc_lo, 0xc2fc0000, v83
	v_cndmask_b32_e64 v83, 0, v5, s22
	v_cndmask_b32_e64 v5, 1.0, 0x1f800000, s28
	s_waitcnt_depctr 0xfff
	v_mul_f32_e32 v4, v4, v88
	v_cndmask_b32_e64 v90, 0, 0x42800000, vcc_lo
	s_delay_alu instid0(VALU_DEP_2) | instskip(SKIP_1) | instid1(VALU_DEP_3)
	v_cndmask_b32_e64 v88, 1.0, v4, s22
	v_mul_f32_e32 v91, v92, v66
	v_fmac_f32_e32 v90, v92, v65
	v_mul_f32_e32 v4, v85, v5
	v_cndmask_b32_e64 v5, 1.0, 0x1f800000, vcc_lo
	v_cndmask_b32_e64 v85, 0, v87, s23
	v_cmp_gt_f32_e64 s28, 0xc2fc0000, v91
	v_exp_f32_e32 v94, v90
	v_cndmask_b32_e64 v90, 1.0, v4, s23
	v_cndmask_b32_e64 v87, 0, v6, s24
	s_delay_alu instid0(VALU_DEP_3) | instskip(SKIP_3) | instid1(VALU_DEP_4)
	v_cndmask_b32_e64 v91, 0, 0x42800000, s28
	v_cndmask_b32_e64 v6, 1.0, 0x1f800000, s28
	v_cmp_gt_f32_e64 s28, 0xc2fc0000, v95
	v_fma_f32 v95, v86, v82, v81
	v_fmac_f32_e32 v91, v92, v66
	s_delay_alu instid0(TRANS32_DEP_1) | instskip(NEXT) | instid1(VALU_DEP_2)
	v_mul_f32_e32 v5, v94, v5
	v_exp_f32_e32 v4, v91
	v_mul_f32_e32 v91, v92, v67
	s_delay_alu instid0(VALU_DEP_1) | instskip(NEXT) | instid1(VALU_DEP_3)
	v_cmp_gt_f32_e32 vcc_lo, 0xc2fc0000, v91
	v_cndmask_b32_e64 v91, 1.0, v5, s24
	v_cndmask_b32_e64 v5, 0, 0x42800000, s28
	s_waitcnt_depctr 0xfff
	v_mul_f32_e32 v4, v4, v6
	v_cndmask_b32_e64 v94, 0, 0x42800000, vcc_lo
	v_mul_f32_e32 v6, v86, v84
	v_fmac_f32_e32 v5, v92, v68
	s_delay_alu instid0(VALU_DEP_4) | instskip(NEXT) | instid1(VALU_DEP_4)
	v_cndmask_b32_e64 v96, 1.0, v4, s25
	v_fmac_f32_e32 v94, v92, v67
	s_delay_alu instid0(VALU_DEP_4)
	v_mul_f32_e32 v4, v6, v88
	v_fma_f32 v6, v95, v88, v83
	v_cndmask_b32_e64 v92, 1.0, 0x1f800000, vcc_lo
	v_exp_f32_e32 v5, v5
	v_exp_f32_e32 v94, v94
	v_mul_f32_e32 v4, v4, v90
	v_fma_f32 v6, v6, v90, v85
	s_delay_alu instid0(VALU_DEP_2) | instskip(NEXT) | instid1(VALU_DEP_2)
	v_mul_f32_e32 v4, v4, v91
	v_fma_f32 v6, v6, v91, v87
	s_waitcnt_depctr 0xfff
	v_mul_f32_e32 v94, v94, v92
	v_cndmask_b32_e64 v92, 0, v7, s26
	v_cndmask_b32_e64 v7, 1.0, 0x1f800000, s28
	v_mul_f32_e32 v4, v4, v96
	v_fma_f32 v6, v6, v96, v89
	v_cndmask_b32_e64 v94, 1.0, v94, s26
	s_delay_alu instid0(VALU_DEP_1) | instskip(NEXT) | instid1(VALU_DEP_1)
	v_dual_mul_f32 v5, v5, v7 :: v_dual_mul_f32 v4, v4, v94
	v_cndmask_b32_e64 v95, 1.0, v5, s27
	s_delay_alu instid0(VALU_DEP_4) | instskip(NEXT) | instid1(VALU_DEP_2)
	v_fma_f32 v5, v6, v94, v92
	v_mul_f32_e32 v4, v4, v95
	s_delay_alu instid0(VALU_DEP_2) | instskip(NEXT) | instid1(VALU_DEP_2)
	v_fma_f32 v5, v5, v95, v93
	v_mov_b32_dpp v7, v4 row_shr:1 row_mask:0xf bank_mask:0xf
	s_delay_alu instid0(VALU_DEP_2)
	v_mov_b32_dpp v6, v5 row_shr:1 row_mask:0xf bank_mask:0xf
	s_and_saveexec_b32 s28, s0
; %bb.100:                              ;   in Loop: Header=BB109_61 Depth=2
	s_delay_alu instid0(VALU_DEP_2) | instskip(NEXT) | instid1(VALU_DEP_1)
	v_mul_f32_e32 v7, v4, v7
	v_dual_fmac_f32 v5, v4, v6 :: v_dual_mov_b32 v4, v7
; %bb.101:                              ;   in Loop: Header=BB109_61 Depth=2
	s_or_b32 exec_lo, exec_lo, s28
	s_delay_alu instid0(VALU_DEP_1) | instskip(NEXT) | instid1(VALU_DEP_2)
	v_mov_b32_dpp v6, v4 row_shr:2 row_mask:0xf bank_mask:0xf
	v_mov_b32_dpp v7, v5 row_shr:2 row_mask:0xf bank_mask:0xf
	s_and_saveexec_b32 s28, s1
; %bb.102:                              ;   in Loop: Header=BB109_61 Depth=2
	s_delay_alu instid0(VALU_DEP_1) | instskip(NEXT) | instid1(VALU_DEP_3)
	v_fmac_f32_e32 v5, v4, v7
	v_mul_f32_e32 v4, v4, v6
; %bb.103:                              ;   in Loop: Header=BB109_61 Depth=2
	s_or_b32 exec_lo, exec_lo, s28
	s_delay_alu instid0(VALU_DEP_1) | instskip(NEXT) | instid1(VALU_DEP_3)
	v_mov_b32_dpp v6, v4 row_shr:4 row_mask:0xf bank_mask:0xf
	v_mov_b32_dpp v7, v5 row_shr:4 row_mask:0xf bank_mask:0xf
	s_and_saveexec_b32 s28, s2
; %bb.104:                              ;   in Loop: Header=BB109_61 Depth=2
	s_delay_alu instid0(VALU_DEP_1) | instskip(NEXT) | instid1(VALU_DEP_3)
	v_fmac_f32_e32 v5, v4, v7
	v_mul_f32_e32 v4, v4, v6
; %bb.105:                              ;   in Loop: Header=BB109_61 Depth=2
	s_or_b32 exec_lo, exec_lo, s28
	s_delay_alu instid0(VALU_DEP_1) | instskip(NEXT) | instid1(VALU_DEP_3)
	v_mov_b32_dpp v6, v4 row_shr:8 row_mask:0xf bank_mask:0xf
	v_mov_b32_dpp v7, v5 row_shr:8 row_mask:0xf bank_mask:0xf
	s_and_saveexec_b32 s28, s3
; %bb.106:                              ;   in Loop: Header=BB109_61 Depth=2
	s_delay_alu instid0(VALU_DEP_1) | instskip(NEXT) | instid1(VALU_DEP_3)
	v_fmac_f32_e32 v5, v4, v7
	v_mul_f32_e32 v4, v4, v6
; %bb.107:                              ;   in Loop: Header=BB109_61 Depth=2
	s_or_b32 exec_lo, exec_lo, s28
	ds_swizzle_b32 v7, v4 offset:swizzle(BROADCAST,32,15)
	ds_swizzle_b32 v6, v5 offset:swizzle(BROADCAST,32,15)
	s_and_saveexec_b32 s28, s4
	s_cbranch_execz .LBB109_109
; %bb.108:                              ;   in Loop: Header=BB109_61 Depth=2
	s_waitcnt lgkmcnt(1)
	v_mul_f32_e32 v7, v4, v7
	s_waitcnt lgkmcnt(0)
	s_delay_alu instid0(VALU_DEP_1)
	v_dual_fmac_f32 v5, v4, v6 :: v_dual_mov_b32 v4, v7
.LBB109_109:                            ;   in Loop: Header=BB109_61 Depth=2
	s_or_b32 exec_lo, exec_lo, s28
	s_and_saveexec_b32 s28, s5
	s_cbranch_execz .LBB109_111
; %bb.110:                              ;   in Loop: Header=BB109_61 Depth=2
	ds_store_b64 v35, v[4:5] offset:2112
.LBB109_111:                            ;   in Loop: Header=BB109_61 Depth=2
	s_or_b32 exec_lo, exec_lo, s28
	s_waitcnt vmcnt(0) lgkmcnt(0)
	s_waitcnt_vscnt null, 0x0
	s_barrier
	buffer_gl0_inv
	s_and_saveexec_b32 s28, s6
	s_cbranch_execz .LBB109_113
; %bb.112:                              ;   in Loop: Header=BB109_61 Depth=2
	ds_load_b64 v[6:7], v36 offset:2112
	s_waitcnt lgkmcnt(0)
	v_mov_b32_dpp v97, v6 row_shr:1 row_mask:0xf bank_mask:0xf
	v_mov_b32_dpp v98, v7 row_shr:1 row_mask:0xf bank_mask:0xf
	s_delay_alu instid0(VALU_DEP_2) | instskip(NEXT) | instid1(VALU_DEP_2)
	v_mul_f32_e32 v97, v6, v97
	v_fma_f32 v98, v6, v98, v7
	s_delay_alu instid0(VALU_DEP_2) | instskip(NEXT) | instid1(VALU_DEP_2)
	v_cndmask_b32_e64 v6, v97, v6, s7
	v_cndmask_b32_e64 v7, v98, v7, s7
	ds_store_b64 v36, v[6:7] offset:2112
.LBB109_113:                            ;   in Loop: Header=BB109_61 Depth=2
	s_or_b32 exec_lo, exec_lo, s28
	s_waitcnt lgkmcnt(0)
	s_barrier
	buffer_gl0_inv
                                        ; implicit-def: $vgpr7
	s_and_saveexec_b32 s28, s9
	s_cbranch_execz .LBB109_115
; %bb.114:                              ;   in Loop: Header=BB109_61 Depth=2
	ds_load_b64 v[6:7], v35 offset:2104
	s_waitcnt lgkmcnt(0)
	v_mul_f32_e32 v97, v4, v6
	s_delay_alu instid0(VALU_DEP_1)
	v_dual_fmac_f32 v5, v4, v7 :: v_dual_mov_b32 v4, v97
.LBB109_115:                            ;   in Loop: Header=BB109_61 Depth=2
	s_or_b32 exec_lo, exec_lo, s28
	ds_bpermute_b32 v97, v37, v4
	ds_bpermute_b32 v98, v37, v5
	s_and_saveexec_b32 s28, s8
	s_cbranch_execz .LBB109_119
; %bb.116:                              ;   in Loop: Header=BB109_61 Depth=2
	ds_load_b64 v[4:5], v13 offset:2120
	s_and_saveexec_b32 s39, s10
	s_cbranch_execz .LBB109_118
; %bb.117:                              ;   in Loop: Header=BB109_61 Depth=2
	ds_store_b64 v13, v[8:9] offset:2120
.LBB109_118:                            ;   in Loop: Header=BB109_61 Depth=2
	s_or_b32 exec_lo, exec_lo, s39
	s_waitcnt lgkmcnt(0)
	v_fmac_f32_e32 v5, v9, v4
	s_delay_alu instid0(VALU_DEP_1)
	v_dual_mul_f32 v8, v8, v4 :: v_dual_mov_b32 v9, v5
.LBB109_119:                            ;   in Loop: Header=BB109_61 Depth=2
	s_or_b32 exec_lo, exec_lo, s28
	s_waitcnt lgkmcnt(0)
	s_barrier
	buffer_gl0_inv
	ds_load_b32 v4, v13 offset:2124
	s_and_saveexec_b32 s28, s10
	s_cbranch_execz .LBB109_60
; %bb.120:                              ;   in Loop: Header=BB109_61 Depth=2
	v_mov_b32_e32 v5, s73
	s_and_not1_b32 vcc_lo, exec_lo, s71
	ds_store_b64 v5, v[8:9]
	s_cbranch_vccnz .LBB109_60
; %bb.121:                              ;   in Loop: Header=BB109_61 Depth=2
	s_mov_b32 s43, s53
	s_delay_alu instid0(SALU_CYCLE_1) | instskip(NEXT) | instid1(SALU_CYCLE_1)
	s_lshl_b64 s[74:75], s[42:43], 2
	s_add_u32 s74, s59, s74
	s_addc_u32 s75, s60, s75
	global_store_b32 v13, v9, s[74:75]
	s_branch .LBB109_60
.LBB109_122:                            ;   in Loop: Header=BB109_12 Depth=1
	v_cvt_f16_f32_e32 v0, v64
	v_cvt_f16_f32_e32 v1, v63
	;; [unrolled: 1-line block ×8, first 2 shown]
	s_waitcnt_vscnt null, 0x0
	v_pack_b32_f16 v3, v3, v4
	v_pack_b32_f16 v2, v2, v5
	;; [unrolled: 1-line block ×4, first 2 shown]
	s_barrier
	buffer_gl0_inv
	s_mov_b32 s31, s53
	ds_store_b128 v27, v[0:3]
	; wave barrier
	ds_load_u16 v8, v20 offset:64
	ds_load_u16 v7, v21 offset:128
	;; [unrolled: 1-line block ×7, first 2 shown]
	s_lshl_b64 s[24:25], s[30:31], 1
	s_delay_alu instid0(SALU_CYCLE_1)
	v_add_co_u32 v0, vcc_lo, v38, s24
	v_add_co_ci_u32_e32 v1, vcc_lo, s25, v39, vcc_lo
	s_and_saveexec_b32 s20, s12
	s_cbranch_execnz .LBB109_157
; %bb.123:                              ;   in Loop: Header=BB109_12 Depth=1
	s_or_b32 exec_lo, exec_lo, s20
	s_and_saveexec_b32 s20, s13
	s_cbranch_execnz .LBB109_158
.LBB109_124:                            ;   in Loop: Header=BB109_12 Depth=1
	s_or_b32 exec_lo, exec_lo, s20
	s_and_saveexec_b32 s20, s14
	s_cbranch_execnz .LBB109_159
.LBB109_125:                            ;   in Loop: Header=BB109_12 Depth=1
	s_or_b32 exec_lo, exec_lo, s20
	s_and_saveexec_b32 s20, s15
	s_cbranch_execnz .LBB109_160
.LBB109_126:                            ;   in Loop: Header=BB109_12 Depth=1
	s_or_b32 exec_lo, exec_lo, s20
	s_and_saveexec_b32 s20, s16
	s_cbranch_execnz .LBB109_161
.LBB109_127:                            ;   in Loop: Header=BB109_12 Depth=1
	s_or_b32 exec_lo, exec_lo, s20
	s_and_saveexec_b32 s20, s17
	s_cbranch_execnz .LBB109_162
.LBB109_128:                            ;   in Loop: Header=BB109_12 Depth=1
	s_or_b32 exec_lo, exec_lo, s20
	s_and_saveexec_b32 s20, s18
	s_cbranch_execnz .LBB109_163
.LBB109_129:                            ;   in Loop: Header=BB109_12 Depth=1
	s_or_b32 exec_lo, exec_lo, s20
	s_and_saveexec_b32 s20, s19
	s_cbranch_execz .LBB109_131
.LBB109_130:                            ;   in Loop: Header=BB109_12 Depth=1
	s_waitcnt lgkmcnt(0)
	global_store_b16 v[0:1], v2, off offset:448
.LBB109_131:                            ;   in Loop: Header=BB109_12 Depth=1
	s_or_b32 exec_lo, exec_lo, s20
	v_add_co_u32 v0, vcc_lo, v40, s24
	v_add_co_ci_u32_e32 v1, vcc_lo, s25, v41, vcc_lo
	s_waitcnt lgkmcnt(0)
	v_dual_mov_b32 v2, 0 :: v_dual_mov_b32 v3, 0
	s_waitcnt_vscnt null, 0x0
	s_barrier
	buffer_gl0_inv
	s_and_saveexec_b32 s20, s12
	s_cbranch_execz .LBB109_133
; %bb.132:                              ;   in Loop: Header=BB109_12 Depth=1
	global_load_u16 v3, v[0:1], off
.LBB109_133:                            ;   in Loop: Header=BB109_12 Depth=1
	s_or_b32 exec_lo, exec_lo, s20
	s_and_saveexec_b32 s20, s13
	s_cbranch_execz .LBB109_135
; %bb.134:                              ;   in Loop: Header=BB109_12 Depth=1
	global_load_u16 v2, v[0:1], off offset:64
.LBB109_135:                            ;   in Loop: Header=BB109_12 Depth=1
	s_or_b32 exec_lo, exec_lo, s20
	v_dual_mov_b32 v4, 0 :: v_dual_mov_b32 v5, 0
	s_and_saveexec_b32 s20, s14
	s_cbranch_execz .LBB109_137
; %bb.136:                              ;   in Loop: Header=BB109_12 Depth=1
	global_load_u16 v5, v[0:1], off offset:128
.LBB109_137:                            ;   in Loop: Header=BB109_12 Depth=1
	s_or_b32 exec_lo, exec_lo, s20
	s_and_saveexec_b32 s20, s15
	s_cbranch_execz .LBB109_139
; %bb.138:                              ;   in Loop: Header=BB109_12 Depth=1
	global_load_u16 v4, v[0:1], off offset:192
.LBB109_139:                            ;   in Loop: Header=BB109_12 Depth=1
	s_or_b32 exec_lo, exec_lo, s20
	v_dual_mov_b32 v6, 0 :: v_dual_mov_b32 v7, 0
	s_and_saveexec_b32 s20, s16
	s_cbranch_execz .LBB109_141
; %bb.140:                              ;   in Loop: Header=BB109_12 Depth=1
	global_load_u16 v7, v[0:1], off offset:256
.LBB109_141:                            ;   in Loop: Header=BB109_12 Depth=1
	;; [unrolled: 13-line block ×3, first 2 shown]
	s_or_b32 exec_lo, exec_lo, s20
	s_and_saveexec_b32 s20, s19
	s_cbranch_execz .LBB109_147
; %bb.146:                              ;   in Loop: Header=BB109_12 Depth=1
	global_load_u16 v8, v[0:1], off offset:448
.LBB109_147:                            ;   in Loop: Header=BB109_12 Depth=1
	s_or_b32 exec_lo, exec_lo, s20
	s_waitcnt vmcnt(0)
	ds_store_b16 v20, v3
	ds_store_b16 v20, v2 offset:64
	ds_store_b16 v21, v5 offset:128
	;; [unrolled: 1-line block ×7, first 2 shown]
	; wave barrier
	ds_load_b128 v[0:3], v27
	s_waitcnt lgkmcnt(0)
	s_barrier
	buffer_gl0_inv
	v_cvt_f32_f16_e32 v6, v1
	v_lshrrev_b32_e32 v4, 16, v0
	v_cvt_f32_f16_e32 v7, v0
	v_lshrrev_b32_e32 v5, 16, v1
	s_delay_alu instid0(VALU_DEP_4) | instskip(NEXT) | instid1(VALU_DEP_4)
	v_mul_f32_e32 v8, 0xbfb8aa3b, v6
	v_cvt_f32_f16_e32 v4, v4
	s_delay_alu instid0(VALU_DEP_4) | instskip(NEXT) | instid1(VALU_DEP_4)
	v_mul_f32_e32 v9, 0xbfb8aa3b, v7
	v_cvt_f32_f16_e32 v5, v5
	v_cmp_nlt_f32_e32 vcc_lo, 0x42ce8ed0, v6
	v_rndne_f32_e32 v55, v8
	v_fma_mix_f32 v56, v1, s68, -v8 op_sel_hi:[1,0,0]
	s_delay_alu instid0(VALU_DEP_4)
	v_dual_mul_f32 v53, 0xbfb8aa3b, v4 :: v_dual_mul_f32 v54, 0xbfb8aa3b, v5
	v_rndne_f32_e32 v65, v9
	v_fma_mix_f32 v66, v0, s68, -v9 op_sel_hi:[1,0,0]
	v_sub_f32_e32 v8, v8, v55
	v_fma_mix_f32 v56, v1, s69, v56 op_sel_hi:[1,0,0]
	v_rndne_f32_e32 v67, v53
	v_sub_f32_e32 v9, v9, v65
	v_fma_mix_f32 v68, v0, s68, -v53 op_sel:[1,0,0] op_sel_hi:[1,0,0]
	v_fma_mix_f32 v66, v0, s69, v66 op_sel_hi:[1,0,0]
	v_add_f32_e32 v8, v8, v56
	v_rndne_f32_e32 v69, v54
	v_fma_mix_f32 v70, v1, s68, -v54 op_sel:[1,0,0] op_sel_hi:[1,0,0]
	v_sub_f32_e32 v53, v53, v67
	v_fma_mix_f32 v0, v0, s69, v68 op_sel:[1,0,0] op_sel_hi:[1,0,0]
	s_delay_alu instid0(VALU_DEP_4) | instskip(SKIP_2) | instid1(VALU_DEP_3)
	v_dual_add_f32 v9, v9, v66 :: v_dual_sub_f32 v54, v54, v69
	v_exp_f32_e32 v8, v8
	v_fma_mix_f32 v1, v1, s69, v70 op_sel:[1,0,0] op_sel_hi:[1,0,0]
	v_add_f32_e32 v0, v53, v0
	s_delay_alu instid0(VALU_DEP_3)
	v_exp_f32_e32 v9, v9
	v_cvt_i32_f32_e32 v55, v55
	v_cvt_i32_f32_e32 v56, v65
	v_add_f32_e32 v1, v54, v1
	v_exp_f32_e32 v0, v0
	v_cvt_i32_f32_e32 v65, v67
	v_cvt_i32_f32_e32 v66, v69
	v_ldexp_f32 v8, v8, v55
	v_exp_f32_e32 v1, v1
	v_lshrrev_b32_e32 v54, 16, v2
	v_ldexp_f32 v9, v9, v56
	v_cvt_f32_f16_e32 v67, v3
	v_cndmask_b32_e32 v8, 0, v8, vcc_lo
	v_cmp_nlt_f32_e32 vcc_lo, 0x42ce8ed0, v7
	v_ldexp_f32 v0, v0, v65
	v_cvt_f32_f16_e32 v54, v54
	v_lshrrev_b32_e32 v53, 16, v3
	v_cndmask_b32_e32 v9, 0, v9, vcc_lo
	v_cmp_nlt_f32_e32 vcc_lo, 0x42ce8ed0, v4
	v_ldexp_f32 v1, v1, v66
	s_delay_alu instid0(VALU_DEP_4) | instskip(SKIP_2) | instid1(VALU_DEP_4)
	v_cvt_f32_f16_e32 v53, v53
	v_cndmask_b32_e32 v0, 0, v0, vcc_lo
	v_cmp_nlt_f32_e32 vcc_lo, 0x42ce8ed0, v5
	v_cndmask_b32_e32 v1, 0, v1, vcc_lo
	v_cmp_ngt_f32_e32 vcc_lo, 0xc2b17218, v6
	v_cndmask_b32_e32 v8, 0x7f800000, v8, vcc_lo
	v_cmp_ngt_f32_e32 vcc_lo, 0xc2b17218, v4
	;; [unrolled: 2-line block ×4, first 2 shown]
	s_delay_alu instid0(VALU_DEP_2) | instskip(SKIP_1) | instid1(VALU_DEP_2)
	v_dual_add_f32 v1, 1.0, v1 :: v_dual_add_f32 v8, 1.0, v8
	v_cndmask_b32_e32 v9, 0x7f800000, v9, vcc_lo
	v_div_scale_f32 v65, null, v1, v1, v5
	s_delay_alu instid0(VALU_DEP_3) | instskip(NEXT) | instid1(VALU_DEP_3)
	v_div_scale_f32 v55, null, v8, v8, v6
	v_dual_add_f32 v9, 1.0, v9 :: v_dual_add_f32 v0, 1.0, v0
	s_delay_alu instid0(VALU_DEP_3) | instskip(NEXT) | instid1(VALU_DEP_2)
	v_rcp_f32_e32 v69, v65
	v_rcp_f32_e32 v66, v55
	v_div_scale_f32 v70, s20, v6, v8, v6
	s_delay_alu instid0(VALU_DEP_2) | instskip(SKIP_2) | instid1(VALU_DEP_3)
	v_div_scale_f32 v56, null, v0, v0, v4
	v_div_scale_f32 v76, s21, v5, v1, v5
	v_div_scale_f32 v72, vcc_lo, v4, v0, v4
	v_rcp_f32_e32 v68, v56
	s_waitcnt_depctr 0xfff
	v_fma_f32 v73, -v55, v66, 1.0
	v_fma_f32 v75, -v65, v69, 1.0
	v_div_scale_f32 v71, null, v9, v9, v7
	s_delay_alu instid0(VALU_DEP_2) | instskip(SKIP_2) | instid1(VALU_DEP_3)
	v_dual_fmac_f32 v66, v73, v66 :: v_dual_fmac_f32 v69, v75, v69
	v_mul_f32_e32 v73, 0xbfb8aa3b, v54
	v_fma_f32 v74, -v56, v68, 1.0
	v_dual_mul_f32 v75, v70, v66 :: v_dual_mul_f32 v78, v76, v69
	s_delay_alu instid0(VALU_DEP_3) | instskip(SKIP_1) | instid1(VALU_DEP_4)
	v_rndne_f32_e32 v80, v73
	v_fma_mix_f32 v84, v2, s68, -v73 op_sel:[1,0,0] op_sel_hi:[1,0,0]
	v_fmac_f32_e32 v68, v74, v68
	s_delay_alu instid0(VALU_DEP_4) | instskip(SKIP_2) | instid1(VALU_DEP_3)
	v_fma_f32 v81, -v55, v75, v70
	v_fma_f32 v83, -v65, v78, v76
	v_rcp_f32_e32 v74, v71
	v_mul_f32_e32 v77, v72, v68
	s_delay_alu instid0(VALU_DEP_2) | instskip(NEXT) | instid1(VALU_DEP_2)
	v_dual_fmac_f32 v75, v81, v66 :: v_dual_fmac_f32 v78, v83, v69
	v_fma_f32 v82, -v56, v77, v72
	s_delay_alu instid0(VALU_DEP_2)
	v_fma_f32 v65, -v65, v78, v76
	v_mul_f32_e32 v76, 0xbfb8aa3b, v67
	s_waitcnt_depctr 0xfff
	v_fma_f32 v85, -v71, v74, 1.0
	v_fmac_f32_e32 v77, v82, v68
	v_mul_f32_e32 v79, 0xbfb8aa3b, v53
	v_fma_f32 v55, -v55, v75, v70
	v_fma_mix_f32 v70, v2, s69, v84 op_sel:[1,0,0] op_sel_hi:[1,0,0]
	v_fmac_f32_e32 v74, v85, v74
	v_fma_f32 v56, -v56, v77, v72
	v_rndne_f32_e32 v72, v79
	s_delay_alu instid0(VALU_DEP_2)
	v_div_fmas_f32 v56, v56, v68, v77
	s_mov_b32 vcc_lo, s21
	v_fma_mix_f32 v68, v3, s68, -v79 op_sel:[1,0,0] op_sel_hi:[1,0,0]
	v_div_fmas_f32 v65, v65, v69, v78
	s_mov_b32 vcc_lo, s20
	v_div_fixup_f32 v4, v56, v0, v4
	v_div_fmas_f32 v55, v55, v66, v75
	v_cvt_f32_f16_e32 v66, v2
	v_fma_mix_f32 v68, v3, s69, v68 op_sel:[1,0,0] op_sel_hi:[1,0,0]
	v_fma_mix_f32 v75, v3, s68, -v76 op_sel_hi:[1,0,0]
	v_cmp_nlt_f32_e32 vcc_lo, 0x42ce8ed0, v54
	v_div_fixup_f32 v5, v65, v1, v5
	v_mul_f32_e32 v77, 0xbfb8aa3b, v66
	v_div_fixup_f32 v0, v55, v8, v6
	v_fma_mix_f32 v3, v3, s69, v75 op_sel_hi:[1,0,0]
	s_delay_alu instid0(VALU_DEP_3) | instskip(NEXT) | instid1(VALU_DEP_1)
	v_fma_mix_f32 v78, v2, s68, -v77 op_sel_hi:[1,0,0]
	v_fma_mix_f32 v2, v2, s69, v78 op_sel_hi:[1,0,0]
	v_sub_f32_e32 v73, v73, v80
	s_delay_alu instid0(VALU_DEP_1) | instskip(SKIP_2) | instid1(VALU_DEP_3)
	v_dual_add_f32 v69, v73, v70 :: v_dual_sub_f32 v70, v79, v72
	v_rndne_f32_e32 v73, v76
	v_cvt_i32_f32_e32 v72, v72
	v_exp_f32_e32 v69, v69
	s_delay_alu instid0(VALU_DEP_3) | instskip(SKIP_3) | instid1(VALU_DEP_4)
	v_add_f32_e32 v68, v70, v68
	v_cvt_i32_f32_e32 v70, v80
	v_rndne_f32_e32 v75, v77
	v_sub_f32_e32 v76, v76, v73
	v_exp_f32_e32 v68, v68
	s_waitcnt_depctr 0xfff
	v_ldexp_f32 v69, v69, v70
	s_delay_alu instid0(VALU_DEP_1) | instskip(SKIP_2) | instid1(VALU_DEP_3)
	v_dual_sub_f32 v70, v77, v75 :: v_dual_cndmask_b32 v69, 0, v69
	v_cmp_ngt_f32_e32 vcc_lo, 0xc2b17218, v54
	v_ldexp_f32 v68, v68, v72
	v_add_f32_e32 v2, v70, v2
	v_cvt_i32_f32_e32 v70, v73
	v_cndmask_b32_e32 v69, 0x7f800000, v69, vcc_lo
	v_cmp_nlt_f32_e32 vcc_lo, 0x42ce8ed0, v53
	v_add_f32_e32 v3, v76, v3
	v_exp_f32_e32 v2, v2
	v_cndmask_b32_e32 v68, 0, v68, vcc_lo
	s_delay_alu instid0(VALU_DEP_2) | instskip(SKIP_4) | instid1(VALU_DEP_1)
	v_exp_f32_e32 v3, v3
	v_cmp_nlt_f32_e32 vcc_lo, 0x42ce8ed0, v67
	s_waitcnt_depctr 0xfff
	v_ldexp_f32 v3, v3, v70
	v_cvt_i32_f32_e32 v70, v75
	v_ldexp_f32 v2, v2, v70
	s_delay_alu instid0(VALU_DEP_3) | instskip(SKIP_3) | instid1(VALU_DEP_2)
	v_cndmask_b32_e32 v3, 0, v3, vcc_lo
	v_cmp_ngt_f32_e32 vcc_lo, 0xc2b17218, v53
	v_cndmask_b32_e32 v68, 0x7f800000, v68, vcc_lo
	v_cmp_ngt_f32_e32 vcc_lo, 0xc2b17218, v67
	v_dual_add_f32 v68, 1.0, v68 :: v_dual_add_f32 v69, 1.0, v69
	v_cndmask_b32_e32 v3, 0x7f800000, v3, vcc_lo
	v_cmp_nlt_f32_e32 vcc_lo, 0x42ce8ed0, v66
	s_delay_alu instid0(VALU_DEP_3) | instskip(NEXT) | instid1(VALU_DEP_4)
	v_div_scale_f32 v73, null, v68, v68, v53
	v_div_scale_f32 v70, null, v69, v69, v54
	v_cndmask_b32_e32 v2, 0, v2, vcc_lo
	s_delay_alu instid0(VALU_DEP_3) | instskip(SKIP_1) | instid1(VALU_DEP_3)
	v_rcp_f32_e32 v77, v73
	v_cmp_ngt_f32_e32 vcc_lo, 0xc2b17218, v66
	v_rcp_f32_e32 v72, v70
	s_waitcnt_depctr 0xfff
	v_fma_f32 v82, -v73, v77, 1.0
	v_cndmask_b32_e32 v2, 0x7f800000, v2, vcc_lo
	v_div_scale_f32 v76, vcc_lo, v7, v9, v7
	v_fma_f32 v78, -v70, v72, 1.0
	s_delay_alu instid0(VALU_DEP_3) | instskip(NEXT) | instid1(VALU_DEP_3)
	v_dual_fmac_f32 v77, v82, v77 :: v_dual_add_f32 v2, 1.0, v2
	v_dual_add_f32 v3, 1.0, v3 :: v_dual_mul_f32 v80, v76, v74
	v_div_scale_f32 v82, s21, v53, v68, v53
	s_delay_alu instid0(VALU_DEP_3) | instskip(NEXT) | instid1(VALU_DEP_3)
	v_div_scale_f32 v81, null, v2, v2, v66
	v_div_scale_f32 v75, null, v3, v3, v67
	s_delay_alu instid0(VALU_DEP_4) | instskip(NEXT) | instid1(VALU_DEP_3)
	v_fma_f32 v84, -v71, v80, v76
	v_rcp_f32_e32 v83, v81
	s_delay_alu instid0(VALU_DEP_2)
	v_rcp_f32_e32 v79, v75
	s_waitcnt_depctr 0xfff
	v_fma_f32 v87, -v81, v83, 1.0
	v_fmac_f32_e32 v80, v84, v74
	v_fma_f32 v85, -v75, v79, 1.0
	v_fmac_f32_e32 v72, v78, v72
	v_div_scale_f32 v78, s20, v54, v69, v54
	v_fmac_f32_e32 v83, v87, v83
	s_delay_alu instid0(VALU_DEP_4) | instskip(SKIP_1) | instid1(VALU_DEP_4)
	v_fmac_f32_e32 v79, v85, v79
	v_div_scale_f32 v85, s22, v67, v3, v67
	v_mul_f32_e32 v86, v78, v72
	v_div_scale_f32 v87, s23, v66, v2, v66
	s_delay_alu instid0(VALU_DEP_3) | instskip(SKIP_1) | instid1(VALU_DEP_4)
	v_mul_f32_e32 v89, v85, v79
	v_fma_f32 v71, -v71, v80, v76
	v_fma_f32 v84, -v70, v86, v78
	s_delay_alu instid0(VALU_DEP_4) | instskip(NEXT) | instid1(VALU_DEP_3)
	v_mul_f32_e32 v90, v87, v83
	v_div_fmas_f32 v71, v71, v74, v80
	s_delay_alu instid0(VALU_DEP_3)
	v_fmac_f32_e32 v86, v84, v72
	v_fma_f32 v84, -v75, v89, v85
	v_mul_f32_e32 v88, v82, v77
	v_fma_f32 v74, -v81, v90, v87
	s_mov_b32 vcc_lo, s20
	v_fma_f32 v70, -v70, v86, v78
	v_fmac_f32_e32 v89, v84, v79
	v_fma_f32 v76, -v73, v88, v82
	v_fmac_f32_e32 v90, v74, v83
	v_div_fixup_f32 v6, v71, v9, v7
	v_div_fmas_f32 v70, v70, v72, v86
	s_mov_b32 vcc_lo, s21
	v_fmac_f32_e32 v88, v76, v77
	v_fma_f32 v74, -v81, v90, v87
	s_delay_alu instid0(VALU_DEP_3) | instskip(NEXT) | instid1(VALU_DEP_3)
	v_div_fixup_f32 v7, v70, v69, v54
	v_fma_f32 v72, -v73, v88, v82
	v_fma_f32 v73, -v75, v89, v85
	s_delay_alu instid0(VALU_DEP_2) | instskip(SKIP_1) | instid1(VALU_DEP_2)
	v_div_fmas_f32 v72, v72, v77, v88
	s_mov_b32 vcc_lo, s22
	v_div_fmas_f32 v73, v73, v79, v89
	s_mov_b32 vcc_lo, s23
	s_delay_alu instid0(VALU_DEP_2) | instskip(SKIP_1) | instid1(VALU_DEP_3)
	v_div_fixup_f32 v8, v72, v68, v53
	v_div_fmas_f32 v74, v74, v83, v90
	v_div_fixup_f32 v1, v73, v3, v67
	s_delay_alu instid0(VALU_DEP_2) | instskip(NEXT) | instid1(VALU_DEP_2)
	v_div_fixup_f32 v2, v74, v2, v66
	v_fma_mixlo_f16 v3, v60, v1, 0
	v_fma_mixlo_f16 v1, v63, v0, 0
	;; [unrolled: 1-line block ×3, first 2 shown]
	s_delay_alu instid0(VALU_DEP_4) | instskip(NEXT) | instid1(VALU_DEP_4)
	v_fma_mixlo_f16 v2, v62, v2, 0
	v_fma_mixhi_f16 v3, v61, v8, 0
	s_delay_alu instid0(VALU_DEP_4) | instskip(NEXT) | instid1(VALU_DEP_4)
	v_fma_mixhi_f16 v1, v59, v5, 0
	v_fma_mixhi_f16 v0, v58, v4, 0
	s_delay_alu instid0(VALU_DEP_4)
	v_fma_mixhi_f16 v2, v57, v7, 0
	ds_store_b128 v27, v[0:3]
	; wave barrier
	ds_load_u16 v8, v20 offset:64
	ds_load_u16 v7, v21 offset:128
	;; [unrolled: 1-line block ×7, first 2 shown]
	v_add_co_u32 v0, vcc_lo, v42, s24
	v_add_co_ci_u32_e32 v1, vcc_lo, s25, v43, vcc_lo
	s_and_saveexec_b32 s20, s12
	s_cbranch_execnz .LBB109_164
; %bb.148:                              ;   in Loop: Header=BB109_12 Depth=1
	s_or_b32 exec_lo, exec_lo, s20
	s_and_saveexec_b32 s12, s13
	s_cbranch_execnz .LBB109_165
.LBB109_149:                            ;   in Loop: Header=BB109_12 Depth=1
	s_or_b32 exec_lo, exec_lo, s12
	s_and_saveexec_b32 s12, s14
	s_cbranch_execnz .LBB109_166
.LBB109_150:                            ;   in Loop: Header=BB109_12 Depth=1
	s_or_b32 exec_lo, exec_lo, s12
	s_and_saveexec_b32 s12, s15
	s_cbranch_execnz .LBB109_167
.LBB109_151:                            ;   in Loop: Header=BB109_12 Depth=1
	s_or_b32 exec_lo, exec_lo, s12
	s_and_saveexec_b32 s12, s16
	s_cbranch_execnz .LBB109_168
.LBB109_152:                            ;   in Loop: Header=BB109_12 Depth=1
	s_or_b32 exec_lo, exec_lo, s12
	s_and_saveexec_b32 s12, s17
	s_cbranch_execnz .LBB109_169
.LBB109_153:                            ;   in Loop: Header=BB109_12 Depth=1
	s_or_b32 exec_lo, exec_lo, s12
	s_and_saveexec_b32 s12, s18
	s_cbranch_execnz .LBB109_170
.LBB109_154:                            ;   in Loop: Header=BB109_12 Depth=1
	s_or_b32 exec_lo, exec_lo, s12
	s_and_saveexec_b32 s12, s19
	s_cbranch_execz .LBB109_11
	s_branch .LBB109_171
.LBB109_155:                            ;   in Loop: Header=BB109_12 Depth=1
	global_load_u16 v55, v[4:5], off offset:320
	s_or_b32 exec_lo, exec_lo, s20
	s_and_saveexec_b32 s20, s18
	s_cbranch_execz .LBB109_40
.LBB109_156:                            ;   in Loop: Header=BB109_12 Depth=1
	global_load_u16 v54, v[4:5], off offset:384
	s_or_b32 exec_lo, exec_lo, s20
	v_mov_b32_e32 v56, 0
	s_and_saveexec_b32 s20, s19
	s_cbranch_execnz .LBB109_41
	s_branch .LBB109_42
.LBB109_157:                            ;   in Loop: Header=BB109_12 Depth=1
	ds_load_u16 v9, v20
	s_waitcnt lgkmcnt(0)
	global_store_b16 v[0:1], v9, off
	s_or_b32 exec_lo, exec_lo, s20
	s_and_saveexec_b32 s20, s13
	s_cbranch_execz .LBB109_124
.LBB109_158:                            ;   in Loop: Header=BB109_12 Depth=1
	s_waitcnt lgkmcnt(6)
	global_store_b16 v[0:1], v8, off offset:64
	s_or_b32 exec_lo, exec_lo, s20
	s_and_saveexec_b32 s20, s14
	s_cbranch_execz .LBB109_125
.LBB109_159:                            ;   in Loop: Header=BB109_12 Depth=1
	s_waitcnt lgkmcnt(5)
	global_store_b16 v[0:1], v7, off offset:128
	s_or_b32 exec_lo, exec_lo, s20
	s_and_saveexec_b32 s20, s15
	s_cbranch_execz .LBB109_126
.LBB109_160:                            ;   in Loop: Header=BB109_12 Depth=1
	s_waitcnt lgkmcnt(4)
	global_store_b16 v[0:1], v6, off offset:192
	s_or_b32 exec_lo, exec_lo, s20
	s_and_saveexec_b32 s20, s16
	s_cbranch_execz .LBB109_127
.LBB109_161:                            ;   in Loop: Header=BB109_12 Depth=1
	s_waitcnt lgkmcnt(3)
	global_store_b16 v[0:1], v5, off offset:256
	s_or_b32 exec_lo, exec_lo, s20
	s_and_saveexec_b32 s20, s17
	s_cbranch_execz .LBB109_128
.LBB109_162:                            ;   in Loop: Header=BB109_12 Depth=1
	s_waitcnt lgkmcnt(2)
	global_store_b16 v[0:1], v4, off offset:320
	s_or_b32 exec_lo, exec_lo, s20
	s_and_saveexec_b32 s20, s18
	s_cbranch_execz .LBB109_129
.LBB109_163:                            ;   in Loop: Header=BB109_12 Depth=1
	s_waitcnt lgkmcnt(1)
	global_store_b16 v[0:1], v3, off offset:384
	s_or_b32 exec_lo, exec_lo, s20
	s_and_saveexec_b32 s20, s19
	s_cbranch_execnz .LBB109_130
	s_branch .LBB109_131
.LBB109_164:                            ;   in Loop: Header=BB109_12 Depth=1
	ds_load_u16 v9, v20
	s_waitcnt lgkmcnt(0)
	global_store_b16 v[0:1], v9, off
	s_or_b32 exec_lo, exec_lo, s20
	s_and_saveexec_b32 s12, s13
	s_cbranch_execz .LBB109_149
.LBB109_165:                            ;   in Loop: Header=BB109_12 Depth=1
	s_waitcnt lgkmcnt(6)
	global_store_b16 v[0:1], v8, off offset:64
	s_or_b32 exec_lo, exec_lo, s12
	s_and_saveexec_b32 s12, s14
	s_cbranch_execz .LBB109_150
.LBB109_166:                            ;   in Loop: Header=BB109_12 Depth=1
	s_waitcnt lgkmcnt(5)
	global_store_b16 v[0:1], v7, off offset:128
	s_or_b32 exec_lo, exec_lo, s12
	s_and_saveexec_b32 s12, s15
	s_cbranch_execz .LBB109_151
.LBB109_167:                            ;   in Loop: Header=BB109_12 Depth=1
	s_waitcnt lgkmcnt(4)
	global_store_b16 v[0:1], v6, off offset:192
	s_or_b32 exec_lo, exec_lo, s12
	s_and_saveexec_b32 s12, s16
	s_cbranch_execz .LBB109_152
.LBB109_168:                            ;   in Loop: Header=BB109_12 Depth=1
	s_waitcnt lgkmcnt(3)
	global_store_b16 v[0:1], v5, off offset:256
	s_or_b32 exec_lo, exec_lo, s12
	s_and_saveexec_b32 s12, s17
	s_cbranch_execz .LBB109_153
.LBB109_169:                            ;   in Loop: Header=BB109_12 Depth=1
	s_waitcnt lgkmcnt(2)
	global_store_b16 v[0:1], v4, off offset:320
	s_or_b32 exec_lo, exec_lo, s12
	s_and_saveexec_b32 s12, s18
	s_cbranch_execz .LBB109_154
.LBB109_170:                            ;   in Loop: Header=BB109_12 Depth=1
	s_waitcnt lgkmcnt(1)
	global_store_b16 v[0:1], v3, off offset:384
	s_or_b32 exec_lo, exec_lo, s12
	s_and_saveexec_b32 s12, s19
	s_cbranch_execz .LBB109_11
.LBB109_171:                            ;   in Loop: Header=BB109_12 Depth=1
	s_waitcnt lgkmcnt(0)
	global_store_b16 v[0:1], v2, off offset:448
	s_branch .LBB109_11
.LBB109_172:
	s_nop 0
	s_sendmsg sendmsg(MSG_DEALLOC_VGPRS)
	s_endpgm
	.section	.rodata,"a",@progbits
	.p2align	6, 0x0
	.amdhsa_kernel _Z25selective_scan_fwd_kernelI32Selective_Scan_fwd_kernel_traitsILi64ELi8ELi1ELb0ELb1ELb1ELb1ELb0EN3c104HalfEffEEv13SSMParamsBase
		.amdhsa_group_segment_fixed_size 0
		.amdhsa_private_segment_fixed_size 0
		.amdhsa_kernarg_size 248
		.amdhsa_user_sgpr_count 14
		.amdhsa_user_sgpr_dispatch_ptr 0
		.amdhsa_user_sgpr_queue_ptr 0
		.amdhsa_user_sgpr_kernarg_segment_ptr 1
		.amdhsa_user_sgpr_dispatch_id 0
		.amdhsa_user_sgpr_private_segment_size 0
		.amdhsa_wavefront_size32 1
		.amdhsa_uses_dynamic_stack 0
		.amdhsa_enable_private_segment 0
		.amdhsa_system_sgpr_workgroup_id_x 1
		.amdhsa_system_sgpr_workgroup_id_y 1
		.amdhsa_system_sgpr_workgroup_id_z 0
		.amdhsa_system_sgpr_workgroup_info 0
		.amdhsa_system_vgpr_workitem_id 0
		.amdhsa_next_free_vgpr 99
		.amdhsa_next_free_sgpr 76
		.amdhsa_reserve_vcc 1
		.amdhsa_float_round_mode_32 0
		.amdhsa_float_round_mode_16_64 0
		.amdhsa_float_denorm_mode_32 3
		.amdhsa_float_denorm_mode_16_64 3
		.amdhsa_dx10_clamp 1
		.amdhsa_ieee_mode 1
		.amdhsa_fp16_overflow 0
		.amdhsa_workgroup_processor_mode 1
		.amdhsa_memory_ordered 1
		.amdhsa_forward_progress 0
		.amdhsa_shared_vgpr_count 0
		.amdhsa_exception_fp_ieee_invalid_op 0
		.amdhsa_exception_fp_denorm_src 0
		.amdhsa_exception_fp_ieee_div_zero 0
		.amdhsa_exception_fp_ieee_overflow 0
		.amdhsa_exception_fp_ieee_underflow 0
		.amdhsa_exception_fp_ieee_inexact 0
		.amdhsa_exception_int_div_zero 0
	.end_amdhsa_kernel
	.section	.text._Z25selective_scan_fwd_kernelI32Selective_Scan_fwd_kernel_traitsILi64ELi8ELi1ELb0ELb1ELb1ELb1ELb0EN3c104HalfEffEEv13SSMParamsBase,"axG",@progbits,_Z25selective_scan_fwd_kernelI32Selective_Scan_fwd_kernel_traitsILi64ELi8ELi1ELb0ELb1ELb1ELb1ELb0EN3c104HalfEffEEv13SSMParamsBase,comdat
.Lfunc_end109:
	.size	_Z25selective_scan_fwd_kernelI32Selective_Scan_fwd_kernel_traitsILi64ELi8ELi1ELb0ELb1ELb1ELb1ELb0EN3c104HalfEffEEv13SSMParamsBase, .Lfunc_end109-_Z25selective_scan_fwd_kernelI32Selective_Scan_fwd_kernel_traitsILi64ELi8ELi1ELb0ELb1ELb1ELb1ELb0EN3c104HalfEffEEv13SSMParamsBase
                                        ; -- End function
	.section	.AMDGPU.csdata,"",@progbits
; Kernel info:
; codeLenInByte = 14144
; NumSgprs: 78
; NumVgprs: 99
; ScratchSize: 0
; MemoryBound: 0
; FloatMode: 240
; IeeeMode: 1
; LDSByteSize: 0 bytes/workgroup (compile time only)
; SGPRBlocks: 9
; VGPRBlocks: 12
; NumSGPRsForWavesPerEU: 78
; NumVGPRsForWavesPerEU: 99
; Occupancy: 12
; WaveLimiterHint : 0
; COMPUTE_PGM_RSRC2:SCRATCH_EN: 0
; COMPUTE_PGM_RSRC2:USER_SGPR: 14
; COMPUTE_PGM_RSRC2:TRAP_HANDLER: 0
; COMPUTE_PGM_RSRC2:TGID_X_EN: 1
; COMPUTE_PGM_RSRC2:TGID_Y_EN: 1
; COMPUTE_PGM_RSRC2:TGID_Z_EN: 0
; COMPUTE_PGM_RSRC2:TIDIG_COMP_CNT: 0
	.section	.text._Z25selective_scan_fwd_kernelI32Selective_Scan_fwd_kernel_traitsILi64ELi8ELi1ELb0ELb1ELb1ELb0ELb1EN3c104HalfEffEEv13SSMParamsBase,"axG",@progbits,_Z25selective_scan_fwd_kernelI32Selective_Scan_fwd_kernel_traitsILi64ELi8ELi1ELb0ELb1ELb1ELb0ELb1EN3c104HalfEffEEv13SSMParamsBase,comdat
	.protected	_Z25selective_scan_fwd_kernelI32Selective_Scan_fwd_kernel_traitsILi64ELi8ELi1ELb0ELb1ELb1ELb0ELb1EN3c104HalfEffEEv13SSMParamsBase ; -- Begin function _Z25selective_scan_fwd_kernelI32Selective_Scan_fwd_kernel_traitsILi64ELi8ELi1ELb0ELb1ELb1ELb0ELb1EN3c104HalfEffEEv13SSMParamsBase
	.globl	_Z25selective_scan_fwd_kernelI32Selective_Scan_fwd_kernel_traitsILi64ELi8ELi1ELb0ELb1ELb1ELb0ELb1EN3c104HalfEffEEv13SSMParamsBase
	.p2align	8
	.type	_Z25selective_scan_fwd_kernelI32Selective_Scan_fwd_kernel_traitsILi64ELi8ELi1ELb0ELb1ELb1ELb0ELb1EN3c104HalfEffEEv13SSMParamsBase,@function
_Z25selective_scan_fwd_kernelI32Selective_Scan_fwd_kernel_traitsILi64ELi8ELi1ELb0ELb1ELb1ELb0ELb1EN3c104HalfEffEEv13SSMParamsBase: ; @_Z25selective_scan_fwd_kernelI32Selective_Scan_fwd_kernel_traitsILi64ELi8ELi1ELb0ELb1ELb1ELb0ELb1EN3c104HalfEffEEv13SSMParamsBase
; %bb.0:
	s_clause 0x2
	s_load_b32 s35, s[0:1], 0x18
	s_load_b128 s[4:7], s[0:1], 0xe0
	s_load_b64 s[10:11], s[0:1], 0xf0
	s_mov_b32 s12, s15
	s_ashr_i32 s15, s14, 31
	s_mov_b32 s33, 0
	s_lshl_b64 s[8:9], s[14:15], 2
	s_waitcnt lgkmcnt(0)
	s_abs_i32 s34, s35
	s_add_u32 s2, s4, s8
	v_cvt_f32_u32_e32 v1, s34
	s_addc_u32 s3, s5, s9
	s_cmp_eq_u64 s[10:11], 0
	s_delay_alu instid0(VALU_DEP_1) | instskip(SKIP_2) | instid1(VALU_DEP_1)
	v_rcp_iflag_f32_e32 v1, v1
	s_waitcnt_depctr 0xfff
	v_mul_f32_e32 v1, 0x4f7ffffe, v1
	v_cvt_u32_f32_e32 v1, v1
	s_delay_alu instid0(VALU_DEP_1)
	v_readfirstlane_b32 s36, v1
	s_cbranch_scc1 .LBB110_2
; %bb.1:
	v_mov_b32_e32 v1, 0
	s_add_u32 s4, s10, s14
	s_addc_u32 s5, s11, s15
	global_load_u8 v1, v1, s[4:5]
	s_waitcnt vmcnt(0)
	v_and_b32_e32 v1, 1, v1
	s_delay_alu instid0(VALU_DEP_1)
	v_cmp_eq_u32_e64 s33, 1, v1
.LBB110_2:
	s_load_b64 s[4:5], s[0:1], 0x20
	s_cmp_eq_u64 s[6:7], 0
	s_cbranch_scc1 .LBB110_4
; %bb.3:
	s_add_u32 s6, s6, s8
	s_addc_u32 s7, s7, s9
	s_load_b32 s14, s[6:7], 0x0
	s_waitcnt lgkmcnt(0)
	s_ashr_i32 s15, s14, 31
.LBB110_4:
	s_waitcnt lgkmcnt(0)
	s_cmp_eq_u64 s[4:5], s[14:15]
	s_cbranch_scc1 .LBB110_140
; %bb.5:
	s_load_b512 s[16:31], s[0:1], 0x88
	s_load_b64 s[10:11], s[2:3], 0x0
	s_mov_b32 s52, 0
	s_mov_b32 s53, 0
	s_waitcnt lgkmcnt(0)
	s_cmp_eq_u64 s[22:23], 0
	s_cbranch_scc1 .LBB110_7
; %bb.6:
	s_ashr_i32 s13, s12, 31
	s_delay_alu instid0(SALU_CYCLE_1) | instskip(NEXT) | instid1(SALU_CYCLE_1)
	s_lshl_b64 s[2:3], s[12:13], 2
	s_add_u32 s2, s22, s2
	s_addc_u32 s3, s23, s3
	s_load_b32 s53, s[2:3], 0x0
.LBB110_7:
	s_cmp_eq_u64 s[28:29], 0
	s_cbranch_scc1 .LBB110_9
; %bb.8:
	s_ashr_i32 s13, s12, 31
	s_delay_alu instid0(SALU_CYCLE_1) | instskip(NEXT) | instid1(SALU_CYCLE_1)
	s_lshl_b64 s[2:3], s[12:13], 2
	s_add_u32 s2, s28, s2
	s_addc_u32 s3, s29, s3
	s_load_b32 s52, s[2:3], 0x0
.LBB110_9:
	s_sub_i32 s29, s11, s10
	s_delay_alu instid0(SALU_CYCLE_1)
	s_cmp_lt_i32 s29, 1
	s_cbranch_scc1 .LBB110_140
; %bb.10:
	s_sub_i32 s2, 0, s34
	s_abs_i32 s5, s12
	s_mul_i32 s4, s2, s36
	s_clause 0x1
	s_load_b64 s[2:3], s[0:1], 0x5c
	s_load_b128 s[44:47], s[0:1], 0x4c
	s_mul_hi_u32 s4, s36, s4
	s_ashr_i32 s7, s35, 31
	s_add_i32 s36, s36, s4
	s_ashr_i32 s4, s12, 31
	s_mul_hi_u32 s6, s5, s36
	s_xor_b32 s7, s4, s7
	s_mul_i32 s8, s6, s34
	s_load_b256 s[36:43], s[0:1], 0x2c
	s_sub_i32 s4, s5, s8
	s_add_i32 s5, s6, 1
	s_sub_i32 s8, s4, s34
	s_cmp_ge_u32 s4, s34
	s_mov_b32 s35, 0
	s_cselect_b32 s5, s5, s6
	s_cselect_b32 s4, s8, s4
	s_add_i32 s6, s5, 1
	s_cmp_ge_u32 s4, s34
	s_load_b128 s[48:51], s[0:1], 0x7c
	s_cselect_b32 s4, s6, s5
	s_waitcnt lgkmcnt(0)
	s_mul_i32 s34, s10, s46
	s_xor_b32 s6, s4, s7
	s_lshl_b64 s[4:5], s[34:35], 1
	s_sub_i32 s6, s6, s7
	s_mul_i32 s34, s47, s12
	s_add_u32 s7, s24, s4
	s_addc_u32 s8, s25, s5
	s_lshl_b64 s[4:5], s[34:35], 1
	s_mul_i32 s34, s10, s2
	s_add_u32 s54, s7, s4
	s_addc_u32 s55, s8, s5
	s_lshl_b64 s[4:5], s[34:35], 1
	;; [unrolled: 4-line block ×4, first 2 shown]
	s_mul_i32 s34, s10, s38
	s_add_u32 s57, s16, s2
	s_addc_u32 s58, s17, s3
	s_load_b64 s[16:17], s[0:1], 0x6c
	s_lshl_b64 s[2:3], s[34:35], 1
	s_mul_i32 s34, s6, s41
	s_add_u32 s7, s18, s2
	s_addc_u32 s8, s19, s3
	s_lshl_b64 s[2:3], s[34:35], 1
	v_dual_mov_b32 v13, 0 :: v_dual_lshlrev_b32 v10, 3, v0
	s_mul_i32 s34, s10, s42
	s_load_b64 s[4:5], s[0:1], 0xc8
	s_add_u32 s41, s7, s2
	s_addc_u32 s51, s8, s3
	s_lshl_b64 s[2:3], s[34:35], 1
	s_mul_i32 s34, s6, s45
	s_add_u32 s7, s20, s2
	v_mbcnt_lo_u32_b32 v1, -1, 0
	v_and_b32_e32 v2, 0x100, v10
	s_addc_u32 s6, s21, s3
	s_lshl_b64 s[2:3], s[34:35], 1
	s_mul_i32 s34, s14, s48
	s_add_u32 s45, s7, s2
	s_addc_u32 s48, s6, s3
	s_lshl_b64 s[2:3], s[34:35], 2
	s_mul_i32 s34, s49, s12
	s_clause 0x1
	s_load_b32 s49, s[0:1], 0xc
	s_load_b32 s0, s[0:1], 0x28
	v_or_b32_e32 v11, v1, v2
	v_and_b32_e32 v6, 32, v0
	v_lshrrev_b32_e32 v4, 5, v2
	v_cmp_gt_u32_e64 s6, 2, v0
	s_waitcnt lgkmcnt(0)
	s_add_u32 s4, s4, s2
	v_or_b32_e32 v12, 0x60, v11
	v_or_b32_e32 v17, 0xa0, v11
	;; [unrolled: 1-line block ×3, first 2 shown]
	s_addc_u32 s5, s5, s3
	s_lshl_b64 s[2:3], s[34:35], 2
	v_lshrrev_b32_e32 v3, 5, v12
	s_add_u32 s59, s4, s2
	v_or_b32_e32 v15, 64, v11
	v_or_b32_e32 v16, 0x80, v11
	;; [unrolled: 1-line block ×3, first 2 shown]
	v_and_b32_e32 v3, 10, v3
	v_lshrrev_b32_e32 v7, 5, v17
	v_lshrrev_b32_e32 v24, 5, v19
	s_addc_u32 s60, s5, s3
	s_add_i32 s1, s29, 0x7ff
	v_lshrrev_b32_e32 v5, 5, v15
	s_lshr_b32 s61, s1, 11
	s_bitcmp1_b32 s0, 0
	v_add_lshl_u32 v3, v3, v11, 1
	v_lshrrev_b32_e32 v8, 5, v16
	v_or_b32_e32 v9, v1, v6
	v_and_b32_e32 v7, 12, v7
	v_lshrrev_b32_e32 v23, 5, v18
	v_and_b32_e32 v26, 14, v24
	s_cselect_b32 s62, -1, 0
	s_cmp_gt_i32 s49, 0
	v_add_lshl_u32 v4, v4, v11, 1
	s_cselect_b32 s63, -1, 0
	s_add_i32 s0, 0, 0x420
	v_add_lshl_u32 v5, v5, v11, 1
	v_add_nc_u32_e32 v22, 0, v3
	v_add_lshl_u32 v8, v8, v11, 1
	v_lshrrev_b32_e32 v25, 2, v9
	v_add_lshl_u32 v7, v7, v11, 1
	v_add_lshl_u32 v33, v23, v11, 1
	;; [unrolled: 1-line block ×3, first 2 shown]
	v_add_nc_u32_e32 v30, s0, v3
	v_and_b32_e32 v3, 15, v1
	s_and_b32 s1, s29, 0x1ff
	v_and_b32_e32 v27, 14, v25
	v_add_nc_u32_e32 v25, 0, v33
	v_add_nc_u32_e32 v26, 0, v34
	;; [unrolled: 1-line block ×7, first 2 shown]
	s_cmp_eq_u32 s1, 0
	v_add_nc_u32_e32 v34, s0, v34
	v_cmp_ne_u32_e64 s0, 0, v3
	v_cmp_lt_u32_e64 s1, 1, v3
	v_cmp_lt_u32_e64 s2, 3, v3
	;; [unrolled: 1-line block ×3, first 2 shown]
	v_add_nc_u32_e32 v3, -1, v1
	v_add_nc_u32_e32 v20, 0, v4
	v_lshrrev_b32_e32 v4, 2, v0
	v_or_b32_e32 v6, 31, v6
	s_mul_i32 s34, s10, s16
	v_cmp_gt_i32_e32 vcc_lo, 0, v3
	s_cselect_b32 s64, -1, 0
	v_and_b32_e32 v4, 8, v4
	s_lshl_b64 s[14:15], s[34:35], 1
	s_add_i32 s65, s61, -1
	v_cndmask_b32_e32 v3, v3, v1, vcc_lo
	s_mul_i32 s34, s17, s12
	v_cmp_eq_u32_e64 s5, v6, v0
	v_cmp_gt_u32_e64 s8, 32, v0
	v_cmp_lt_u32_e64 s9, 31, v0
	v_cmp_eq_u32_e64 s10, 0, v0
	s_add_u32 s11, s30, s14
	v_lshlrev_b32_e32 v0, 1, v1
	s_addc_u32 s14, s31, s15
	s_lshl_b64 s[12:13], s[34:35], 1
	v_add_nc_u32_e32 v35, 0, v4
	v_and_b32_e32 v4, 1, v1
	s_add_u32 s11, s11, s12
	v_lshlrev_b32_e32 v37, 2, v3
	s_addc_u32 s12, s14, s13
	v_lshlrev_b32_e32 v3, 1, v2
	v_add_co_u32 v0, s11, s11, v0
	v_add_nc_u32_e32 v21, 0, v5
	v_lshl_add_u32 v9, v9, 3, v27
	v_and_b32_e32 v5, 16, v1
	v_cmp_eq_u32_e64 s7, 0, v4
	v_add_co_ci_u32_e64 v4, null, s12, 0, s11
	v_add_co_u32 v38, vcc_lo, v0, v3
	v_or_b32_e32 v14, 32, v11
	v_add_nc_u32_e32 v23, 0, v8
	v_add_nc_u32_e32 v24, 0, v7
	v_lshl_add_u32 v27, v9, 1, 0
	v_cmp_ne_u32_e64 s4, 0, v5
	v_add_nc_u32_e32 v36, 0, v10
	v_cmp_eq_u32_e64 s11, 0, v1
	v_add_co_ci_u32_e32 v39, vcc_lo, 0, v4, vcc_lo
	v_or_b32_e32 v40, 1, v10
	v_or_b32_e32 v41, 2, v10
	;; [unrolled: 1-line block ×7, first 2 shown]
	v_lshlrev_b32_e32 v47, 1, v1
	v_lshlrev_b32_e32 v48, 1, v2
	s_mov_b32 s66, 0x3e9b6dac
	s_add_i32 s67, 0, 0x850
	s_mov_b32 s68, 0
	s_branch .LBB110_12
.LBB110_11:                             ;   in Loop: Header=BB110_12 Depth=1
	s_or_b32 exec_lo, exec_lo, s12
	s_add_u32 s56, s56, 0x400
	s_addc_u32 s36, s36, 0
	s_add_u32 s54, s54, 0x400
	s_addc_u32 s55, s55, 0
	;; [unrolled: 2-line block ×4, first 2 shown]
	s_add_i32 s68, s68, 1
	s_delay_alu instid0(SALU_CYCLE_1)
	s_cmp_eq_u32 s68, s61
	s_cbranch_scc1 .LBB110_140
.LBB110_12:                             ; =>This Loop Header: Depth=1
                                        ;     Child Loop BB110_61 Depth 2
	v_add_co_u32 v0, s12, s54, v47
	s_delay_alu instid0(VALU_DEP_1) | instskip(SKIP_1) | instid1(VALU_DEP_2)
	v_add_co_ci_u32_e64 v1, null, s55, 0, s12
	s_lshl_b32 s30, s68, 9
	v_add_co_u32 v0, vcc_lo, v0, v48
	s_sub_i32 s23, s29, s30
	s_delay_alu instid0(VALU_DEP_2)
	v_add_co_ci_u32_e32 v1, vcc_lo, 0, v1, vcc_lo
	v_cmp_gt_u32_e64 s12, s23, v11
	s_waitcnt lgkmcnt(0)
	v_mov_b32_e32 v2, 0
	s_waitcnt_vscnt null, 0x0
	s_barrier
	buffer_gl0_inv
	s_and_saveexec_b32 s13, s12
	s_cbranch_execz .LBB110_14
; %bb.13:                               ;   in Loop: Header=BB110_12 Depth=1
	global_load_u16 v2, v[0:1], off
.LBB110_14:                             ;   in Loop: Header=BB110_12 Depth=1
	s_or_b32 exec_lo, exec_lo, s13
	v_cmp_gt_u32_e64 s13, s23, v14
	v_dual_mov_b32 v3, 0 :: v_dual_mov_b32 v4, 0
	s_delay_alu instid0(VALU_DEP_2)
	s_and_saveexec_b32 s14, s13
	s_cbranch_execz .LBB110_16
; %bb.15:                               ;   in Loop: Header=BB110_12 Depth=1
	global_load_u16 v4, v[0:1], off offset:64
.LBB110_16:                             ;   in Loop: Header=BB110_12 Depth=1
	s_or_b32 exec_lo, exec_lo, s14
	v_cmp_gt_u32_e64 s14, s23, v15
	s_delay_alu instid0(VALU_DEP_1)
	s_and_saveexec_b32 s15, s14
	s_cbranch_execz .LBB110_18
; %bb.17:                               ;   in Loop: Header=BB110_12 Depth=1
	global_load_u16 v3, v[0:1], off offset:128
.LBB110_18:                             ;   in Loop: Header=BB110_12 Depth=1
	s_or_b32 exec_lo, exec_lo, s15
	v_cmp_gt_u32_e64 s15, s23, v12
	v_mov_b32_e32 v5, 0
	v_mov_b32_e32 v7, 0
	s_delay_alu instid0(VALU_DEP_3)
	s_and_saveexec_b32 s16, s15
	s_cbranch_execz .LBB110_20
; %bb.19:                               ;   in Loop: Header=BB110_12 Depth=1
	global_load_u16 v7, v[0:1], off offset:192
.LBB110_20:                             ;   in Loop: Header=BB110_12 Depth=1
	s_or_b32 exec_lo, exec_lo, s16
	v_cmp_gt_u32_e64 s16, s23, v16
	s_delay_alu instid0(VALU_DEP_1)
	s_and_saveexec_b32 s17, s16
	s_cbranch_execz .LBB110_22
; %bb.21:                               ;   in Loop: Header=BB110_12 Depth=1
	global_load_u16 v5, v[0:1], off offset:256
.LBB110_22:                             ;   in Loop: Header=BB110_12 Depth=1
	s_or_b32 exec_lo, exec_lo, s17
	v_cmp_gt_u32_e64 s17, s23, v17
	v_dual_mov_b32 v8, 0 :: v_dual_mov_b32 v9, 0
	s_delay_alu instid0(VALU_DEP_2)
	s_and_saveexec_b32 s18, s17
	s_cbranch_execz .LBB110_24
; %bb.23:                               ;   in Loop: Header=BB110_12 Depth=1
	global_load_u16 v9, v[0:1], off offset:320
.LBB110_24:                             ;   in Loop: Header=BB110_12 Depth=1
	s_or_b32 exec_lo, exec_lo, s18
	v_cmp_gt_u32_e64 s18, s23, v18
	s_delay_alu instid0(VALU_DEP_1)
	s_and_saveexec_b32 s19, s18
	s_cbranch_execz .LBB110_26
; %bb.25:                               ;   in Loop: Header=BB110_12 Depth=1
	global_load_u16 v8, v[0:1], off offset:384
.LBB110_26:                             ;   in Loop: Header=BB110_12 Depth=1
	s_or_b32 exec_lo, exec_lo, s19
	v_cmp_gt_u32_e64 s19, s23, v19
	v_dual_mov_b32 v6, 0 :: v_dual_mov_b32 v49, 0
	s_delay_alu instid0(VALU_DEP_2)
	s_and_saveexec_b32 s20, s19
	s_cbranch_execz .LBB110_28
; %bb.27:                               ;   in Loop: Header=BB110_12 Depth=1
	global_load_u16 v49, v[0:1], off offset:448
.LBB110_28:                             ;   in Loop: Header=BB110_12 Depth=1
	s_or_b32 exec_lo, exec_lo, s20
	s_waitcnt vmcnt(0)
	ds_store_b16 v20, v2
	ds_store_b16 v20, v4 offset:64
	ds_store_b16 v21, v3 offset:128
	ds_store_b16 v22, v7 offset:192
	ds_store_b16 v23, v5 offset:256
	ds_store_b16 v24, v9 offset:320
	ds_store_b16 v25, v8 offset:384
	ds_store_b16 v26, v49 offset:448
	; wave barrier
	ds_load_b128 v[0:3], v27
	v_add_co_u32 v4, s20, s56, v47
	s_delay_alu instid0(VALU_DEP_1) | instskip(SKIP_1) | instid1(VALU_DEP_2)
	v_add_co_ci_u32_e64 v5, null, s36, 0, s20
	s_waitcnt lgkmcnt(0)
	v_add_co_u32 v4, vcc_lo, v4, v48
	s_delay_alu instid0(VALU_DEP_2)
	v_add_co_ci_u32_e32 v5, vcc_lo, 0, v5, vcc_lo
	s_barrier
	buffer_gl0_inv
	s_and_saveexec_b32 s20, s12
	s_cbranch_execz .LBB110_30
; %bb.29:                               ;   in Loop: Header=BB110_12 Depth=1
	global_load_u16 v6, v[4:5], off
.LBB110_30:                             ;   in Loop: Header=BB110_12 Depth=1
	s_or_b32 exec_lo, exec_lo, s20
	v_dual_mov_b32 v7, 0 :: v_dual_mov_b32 v8, 0
	s_and_saveexec_b32 s20, s13
	s_cbranch_execz .LBB110_32
; %bb.31:                               ;   in Loop: Header=BB110_12 Depth=1
	global_load_u16 v8, v[4:5], off offset:64
.LBB110_32:                             ;   in Loop: Header=BB110_12 Depth=1
	s_or_b32 exec_lo, exec_lo, s20
	s_and_saveexec_b32 s20, s14
	s_cbranch_execz .LBB110_34
; %bb.33:                               ;   in Loop: Header=BB110_12 Depth=1
	global_load_u16 v7, v[4:5], off offset:128
.LBB110_34:                             ;   in Loop: Header=BB110_12 Depth=1
	s_or_b32 exec_lo, exec_lo, s20
	v_mov_b32_e32 v9, 0
	v_mov_b32_e32 v49, 0
	s_and_saveexec_b32 s20, s15
	s_cbranch_execz .LBB110_36
; %bb.35:                               ;   in Loop: Header=BB110_12 Depth=1
	global_load_u16 v49, v[4:5], off offset:192
.LBB110_36:                             ;   in Loop: Header=BB110_12 Depth=1
	s_or_b32 exec_lo, exec_lo, s20
	s_and_saveexec_b32 s20, s16
	s_cbranch_execz .LBB110_38
; %bb.37:                               ;   in Loop: Header=BB110_12 Depth=1
	global_load_u16 v9, v[4:5], off offset:256
.LBB110_38:                             ;   in Loop: Header=BB110_12 Depth=1
	s_or_b32 exec_lo, exec_lo, s20
	v_dual_mov_b32 v50, 0 :: v_dual_mov_b32 v51, 0
	s_and_saveexec_b32 s20, s17
	s_cbranch_execnz .LBB110_130
; %bb.39:                               ;   in Loop: Header=BB110_12 Depth=1
	s_or_b32 exec_lo, exec_lo, s20
	s_and_saveexec_b32 s20, s18
	s_cbranch_execnz .LBB110_131
.LBB110_40:                             ;   in Loop: Header=BB110_12 Depth=1
	s_or_b32 exec_lo, exec_lo, s20
	v_mov_b32_e32 v52, 0
	s_and_saveexec_b32 s20, s19
	s_cbranch_execz .LBB110_42
.LBB110_41:                             ;   in Loop: Header=BB110_12 Depth=1
	global_load_u16 v52, v[4:5], off offset:448
.LBB110_42:                             ;   in Loop: Header=BB110_12 Depth=1
	s_or_b32 exec_lo, exec_lo, s20
	s_waitcnt vmcnt(0)
	ds_store_b16 v20, v6
	ds_store_b16 v20, v8 offset:64
	ds_store_b16 v21, v7 offset:128
	;; [unrolled: 1-line block ×7, first 2 shown]
	; wave barrier
	ds_load_b128 v[4:7], v27
	s_waitcnt lgkmcnt(0)
	v_cvt_f32_f16_e32 v8, v4
	s_delay_alu instid0(VALU_DEP_1) | instskip(NEXT) | instid1(VALU_DEP_1)
	v_add_f32_e32 v49, s52, v8
	v_cmp_ge_f32_e32 vcc_lo, 0x41a00000, v49
	s_and_b32 s20, s62, vcc_lo
	s_delay_alu instid0(SALU_CYCLE_1)
	s_and_saveexec_b32 s21, s20
	s_cbranch_execz .LBB110_44
; %bb.43:                               ;   in Loop: Header=BB110_12 Depth=1
	v_mul_f32_e32 v8, 0x3fb8aa3b, v49
	v_cmp_ngt_f32_e32 vcc_lo, 0xc2ce8ed0, v49
	s_delay_alu instid0(VALU_DEP_2) | instskip(SKIP_1) | instid1(VALU_DEP_2)
	v_rndne_f32_e32 v9, v8
	v_fma_f32 v50, 0x3fb8aa3b, v49, -v8
	v_sub_f32_e32 v8, v8, v9
	s_delay_alu instid0(VALU_DEP_2) | instskip(SKIP_1) | instid1(VALU_DEP_2)
	v_fmac_f32_e32 v50, 0x32a5705f, v49
	v_cvt_i32_f32_e32 v9, v9
	v_add_f32_e32 v8, v8, v50
	s_delay_alu instid0(VALU_DEP_1) | instskip(SKIP_2) | instid1(VALU_DEP_1)
	v_exp_f32_e32 v8, v8
	s_waitcnt_depctr 0xfff
	v_ldexp_f32 v8, v8, v9
	v_cndmask_b32_e32 v8, 0, v8, vcc_lo
	v_cmp_nlt_f32_e32 vcc_lo, 0x42b17218, v49
	s_delay_alu instid0(VALU_DEP_2) | instskip(NEXT) | instid1(VALU_DEP_1)
	v_cndmask_b32_e32 v49, 0x7f800000, v8, vcc_lo
	v_add_f32_e32 v50, 1.0, v49
	s_delay_alu instid0(VALU_DEP_1) | instskip(NEXT) | instid1(VALU_DEP_1)
	v_cvt_f64_f32_e32 v[8:9], v50
	v_frexp_exp_i32_f64_e32 v8, v[8:9]
	v_frexp_mant_f32_e32 v9, v50
	s_delay_alu instid0(VALU_DEP_1) | instskip(SKIP_1) | instid1(VALU_DEP_1)
	v_cmp_gt_f32_e32 vcc_lo, 0x3f2aaaab, v9
	v_add_f32_e32 v9, -1.0, v50
	v_sub_f32_e32 v52, v9, v50
	v_sub_f32_e32 v9, v49, v9
	v_cmp_gt_f32_e64 s20, 0x33800000, v49
	s_delay_alu instid0(VALU_DEP_3) | instskip(NEXT) | instid1(VALU_DEP_1)
	v_add_f32_e32 v52, 1.0, v52
	v_add_f32_e32 v9, v9, v52
	v_subrev_co_ci_u32_e32 v8, vcc_lo, 0, v8, vcc_lo
	v_cmp_eq_f32_e32 vcc_lo, 0x7f800000, v49
	s_delay_alu instid0(VALU_DEP_2) | instskip(SKIP_2) | instid1(VALU_DEP_2)
	v_sub_nc_u32_e32 v51, 0, v8
	v_cvt_f32_i32_e32 v8, v8
	s_or_b32 vcc_lo, s20, vcc_lo
	v_ldexp_f32 v50, v50, v51
	v_ldexp_f32 v9, v9, v51
	s_delay_alu instid0(VALU_DEP_2) | instskip(NEXT) | instid1(VALU_DEP_1)
	v_add_f32_e32 v53, 1.0, v50
	v_dual_add_f32 v51, -1.0, v50 :: v_dual_add_f32 v52, -1.0, v53
	s_delay_alu instid0(VALU_DEP_1) | instskip(NEXT) | instid1(VALU_DEP_2)
	v_add_f32_e32 v54, 1.0, v51
	v_sub_f32_e32 v52, v50, v52
	s_delay_alu instid0(VALU_DEP_2) | instskip(NEXT) | instid1(VALU_DEP_2)
	v_sub_f32_e32 v50, v50, v54
	v_add_f32_e32 v52, v9, v52
	s_delay_alu instid0(VALU_DEP_2) | instskip(NEXT) | instid1(VALU_DEP_1)
	v_add_f32_e32 v9, v9, v50
	v_dual_add_f32 v55, v51, v9 :: v_dual_add_f32 v54, v53, v52
	s_delay_alu instid0(VALU_DEP_1) | instskip(NEXT) | instid1(VALU_DEP_2)
	v_sub_f32_e32 v51, v51, v55
	v_rcp_f32_e32 v50, v54
	v_sub_f32_e32 v53, v53, v54
	s_delay_alu instid0(VALU_DEP_1) | instskip(SKIP_2) | instid1(VALU_DEP_1)
	v_dual_add_f32 v9, v9, v51 :: v_dual_add_f32 v52, v52, v53
	s_waitcnt_depctr 0xfff
	v_mul_f32_e32 v56, v55, v50
	v_mul_f32_e32 v57, v54, v56
	s_delay_alu instid0(VALU_DEP_1) | instskip(NEXT) | instid1(VALU_DEP_1)
	v_fma_f32 v53, v56, v54, -v57
	v_fmac_f32_e32 v53, v56, v52
	s_delay_alu instid0(VALU_DEP_1) | instskip(NEXT) | instid1(VALU_DEP_1)
	v_add_f32_e32 v58, v57, v53
	v_sub_f32_e32 v59, v55, v58
	s_delay_alu instid0(VALU_DEP_1) | instskip(NEXT) | instid1(VALU_DEP_1)
	v_sub_f32_e32 v55, v55, v59
	v_sub_f32_e32 v55, v55, v58
	;; [unrolled: 1-line block ×3, first 2 shown]
	s_delay_alu instid0(VALU_DEP_2) | instskip(NEXT) | instid1(VALU_DEP_2)
	v_add_f32_e32 v9, v9, v55
	v_sub_f32_e32 v51, v51, v53
	s_delay_alu instid0(VALU_DEP_1) | instskip(NEXT) | instid1(VALU_DEP_1)
	v_add_f32_e32 v9, v51, v9
	v_add_f32_e32 v51, v59, v9
	s_delay_alu instid0(VALU_DEP_1) | instskip(NEXT) | instid1(VALU_DEP_1)
	v_mul_f32_e32 v53, v50, v51
	v_dual_sub_f32 v58, v59, v51 :: v_dual_mul_f32 v55, v54, v53
	s_delay_alu instid0(VALU_DEP_1) | instskip(NEXT) | instid1(VALU_DEP_2)
	v_add_f32_e32 v9, v9, v58
	v_fma_f32 v54, v53, v54, -v55
	s_delay_alu instid0(VALU_DEP_1) | instskip(NEXT) | instid1(VALU_DEP_1)
	v_fmac_f32_e32 v54, v53, v52
	v_add_f32_e32 v52, v55, v54
	s_delay_alu instid0(VALU_DEP_1) | instskip(NEXT) | instid1(VALU_DEP_1)
	v_sub_f32_e32 v57, v51, v52
	v_sub_f32_e32 v51, v51, v57
	s_delay_alu instid0(VALU_DEP_1) | instskip(NEXT) | instid1(VALU_DEP_1)
	v_sub_f32_e32 v51, v51, v52
	v_add_f32_e32 v9, v9, v51
	v_add_f32_e32 v51, v56, v53
	v_sub_f32_e32 v55, v52, v55
	s_delay_alu instid0(VALU_DEP_1) | instskip(NEXT) | instid1(VALU_DEP_1)
	v_sub_f32_e32 v52, v55, v54
	v_dual_add_f32 v9, v52, v9 :: v_dual_sub_f32 v52, v51, v56
	s_delay_alu instid0(VALU_DEP_1) | instskip(NEXT) | instid1(VALU_DEP_1)
	v_add_f32_e32 v9, v57, v9
	v_dual_sub_f32 v52, v53, v52 :: v_dual_mul_f32 v9, v50, v9
	s_delay_alu instid0(VALU_DEP_1) | instskip(NEXT) | instid1(VALU_DEP_1)
	v_add_f32_e32 v9, v52, v9
	v_add_f32_e32 v50, v51, v9
	s_delay_alu instid0(VALU_DEP_1) | instskip(NEXT) | instid1(VALU_DEP_1)
	v_mul_f32_e32 v52, v50, v50
	v_fmaak_f32 v53, s66, v52, 0x3ecc95a3
	v_mul_f32_e32 v54, v50, v52
	s_delay_alu instid0(VALU_DEP_2) | instskip(SKIP_2) | instid1(VALU_DEP_3)
	v_fmaak_f32 v52, v52, v53, 0x3f2aaada
	v_ldexp_f32 v53, v50, 1
	v_sub_f32_e32 v50, v50, v51
	v_mul_f32_e32 v52, v54, v52
	v_mul_f32_e32 v54, 0x3f317218, v8
	s_delay_alu instid0(VALU_DEP_2) | instskip(NEXT) | instid1(VALU_DEP_1)
	v_add_f32_e32 v51, v53, v52
	v_dual_sub_f32 v9, v9, v50 :: v_dual_sub_f32 v50, v51, v53
	s_delay_alu instid0(VALU_DEP_3) | instskip(NEXT) | instid1(VALU_DEP_2)
	v_fma_f32 v53, 0x3f317218, v8, -v54
	v_ldexp_f32 v9, v9, 1
	s_delay_alu instid0(VALU_DEP_2) | instskip(NEXT) | instid1(VALU_DEP_1)
	v_dual_sub_f32 v50, v52, v50 :: v_dual_fmac_f32 v53, 0xb102e308, v8
	v_dual_add_f32 v8, v9, v50 :: v_dual_add_f32 v9, v54, v53
	s_delay_alu instid0(VALU_DEP_1) | instskip(NEXT) | instid1(VALU_DEP_1)
	v_add_f32_e32 v50, v51, v8
	v_add_f32_e32 v52, v9, v50
	s_delay_alu instid0(VALU_DEP_1) | instskip(NEXT) | instid1(VALU_DEP_1)
	v_sub_f32_e32 v55, v52, v9
	v_sub_f32_e32 v56, v52, v55
	;; [unrolled: 1-line block ×4, first 2 shown]
	s_delay_alu instid0(VALU_DEP_2) | instskip(SKIP_1) | instid1(VALU_DEP_1)
	v_sub_f32_e32 v8, v8, v51
	v_sub_f32_e32 v54, v9, v54
	;; [unrolled: 1-line block ×3, first 2 shown]
	s_delay_alu instid0(VALU_DEP_1) | instskip(SKIP_1) | instid1(VALU_DEP_1)
	v_add_f32_e32 v51, v53, v8
	v_sub_f32_e32 v9, v9, v56
	v_add_f32_e32 v9, v50, v9
	s_delay_alu instid0(VALU_DEP_3) | instskip(NEXT) | instid1(VALU_DEP_1)
	v_sub_f32_e32 v50, v51, v53
	v_dual_sub_f32 v8, v8, v50 :: v_dual_add_f32 v9, v51, v9
	s_delay_alu instid0(VALU_DEP_1) | instskip(NEXT) | instid1(VALU_DEP_1)
	v_dual_sub_f32 v51, v51, v50 :: v_dual_add_f32 v54, v52, v9
	v_dual_sub_f32 v51, v53, v51 :: v_dual_sub_f32 v50, v54, v52
	s_delay_alu instid0(VALU_DEP_1) | instskip(NEXT) | instid1(VALU_DEP_1)
	v_dual_add_f32 v8, v8, v51 :: v_dual_sub_f32 v9, v9, v50
	v_add_f32_e32 v8, v8, v9
	s_delay_alu instid0(VALU_DEP_1) | instskip(NEXT) | instid1(VALU_DEP_1)
	v_add_f32_e32 v8, v54, v8
	v_cndmask_b32_e32 v49, v8, v49, vcc_lo
.LBB110_44:                             ;   in Loop: Header=BB110_12 Depth=1
	s_or_b32 exec_lo, exec_lo, s21
	v_lshrrev_b32_e32 v4, 16, v4
	s_delay_alu instid0(VALU_DEP_1) | instskip(NEXT) | instid1(VALU_DEP_1)
	v_cvt_f32_f16_e32 v4, v4
	v_add_f32_e32 v50, s52, v4
	s_delay_alu instid0(VALU_DEP_1) | instskip(SKIP_1) | instid1(SALU_CYCLE_1)
	v_cmp_ge_f32_e32 vcc_lo, 0x41a00000, v50
	s_and_b32 s20, s62, vcc_lo
	s_and_saveexec_b32 s21, s20
	s_cbranch_execz .LBB110_46
; %bb.45:                               ;   in Loop: Header=BB110_12 Depth=1
	v_mul_f32_e32 v4, 0x3fb8aa3b, v50
	v_cmp_ngt_f32_e32 vcc_lo, 0xc2ce8ed0, v50
	s_delay_alu instid0(VALU_DEP_2) | instskip(SKIP_1) | instid1(VALU_DEP_1)
	v_rndne_f32_e32 v8, v4
	v_fma_f32 v9, 0x3fb8aa3b, v50, -v4
	v_dual_sub_f32 v4, v4, v8 :: v_dual_fmac_f32 v9, 0x32a5705f, v50
	v_cvt_i32_f32_e32 v8, v8
	s_delay_alu instid0(VALU_DEP_2) | instskip(NEXT) | instid1(VALU_DEP_1)
	v_add_f32_e32 v4, v4, v9
	v_exp_f32_e32 v4, v4
	s_waitcnt_depctr 0xfff
	v_ldexp_f32 v4, v4, v8
	s_delay_alu instid0(VALU_DEP_1) | instskip(SKIP_1) | instid1(VALU_DEP_2)
	v_cndmask_b32_e32 v4, 0, v4, vcc_lo
	v_cmp_nlt_f32_e32 vcc_lo, 0x42b17218, v50
	v_cndmask_b32_e32 v4, 0x7f800000, v4, vcc_lo
	s_delay_alu instid0(VALU_DEP_1) | instskip(NEXT) | instid1(VALU_DEP_1)
	v_add_f32_e32 v50, 1.0, v4
	v_cvt_f64_f32_e32 v[8:9], v50
	s_delay_alu instid0(VALU_DEP_1) | instskip(SKIP_1) | instid1(VALU_DEP_1)
	v_frexp_exp_i32_f64_e32 v8, v[8:9]
	v_frexp_mant_f32_e32 v9, v50
	v_cmp_gt_f32_e32 vcc_lo, 0x3f2aaaab, v9
	v_add_f32_e32 v9, -1.0, v50
	s_delay_alu instid0(VALU_DEP_1) | instskip(NEXT) | instid1(VALU_DEP_1)
	v_dual_sub_f32 v52, v9, v50 :: v_dual_sub_f32 v9, v4, v9
	v_add_f32_e32 v52, 1.0, v52
	s_delay_alu instid0(VALU_DEP_1) | instskip(SKIP_1) | instid1(VALU_DEP_1)
	v_add_f32_e32 v9, v9, v52
	v_subrev_co_ci_u32_e32 v8, vcc_lo, 0, v8, vcc_lo
	v_sub_nc_u32_e32 v51, 0, v8
	v_cvt_f32_i32_e32 v8, v8
	s_delay_alu instid0(VALU_DEP_2) | instskip(SKIP_1) | instid1(VALU_DEP_2)
	v_ldexp_f32 v50, v50, v51
	v_ldexp_f32 v9, v9, v51
	v_add_f32_e32 v53, 1.0, v50
	v_add_f32_e32 v51, -1.0, v50
	v_cmp_eq_f32_e32 vcc_lo, 0x7f800000, v4
	v_cmp_gt_f32_e64 s20, 0x33800000, v4
	s_delay_alu instid0(VALU_DEP_4) | instskip(NEXT) | instid1(VALU_DEP_4)
	v_add_f32_e32 v52, -1.0, v53
	v_add_f32_e32 v54, 1.0, v51
	s_delay_alu instid0(VALU_DEP_3) | instskip(NEXT) | instid1(VALU_DEP_2)
	s_or_b32 vcc_lo, s20, vcc_lo
	v_sub_f32_e32 v52, v50, v52
	s_delay_alu instid0(VALU_DEP_2) | instskip(NEXT) | instid1(VALU_DEP_2)
	v_sub_f32_e32 v50, v50, v54
	v_add_f32_e32 v52, v9, v52
	s_delay_alu instid0(VALU_DEP_2) | instskip(NEXT) | instid1(VALU_DEP_1)
	v_add_f32_e32 v9, v9, v50
	v_add_f32_e32 v55, v51, v9
	s_delay_alu instid0(VALU_DEP_1) | instskip(NEXT) | instid1(VALU_DEP_1)
	v_dual_sub_f32 v51, v51, v55 :: v_dual_add_f32 v54, v53, v52
	v_add_f32_e32 v9, v9, v51
	s_delay_alu instid0(VALU_DEP_2) | instskip(SKIP_1) | instid1(VALU_DEP_1)
	v_rcp_f32_e32 v50, v54
	v_sub_f32_e32 v53, v53, v54
	v_add_f32_e32 v52, v52, v53
	s_waitcnt_depctr 0xfff
	v_mul_f32_e32 v56, v55, v50
	s_delay_alu instid0(VALU_DEP_1) | instskip(NEXT) | instid1(VALU_DEP_1)
	v_mul_f32_e32 v57, v54, v56
	v_fma_f32 v53, v56, v54, -v57
	s_delay_alu instid0(VALU_DEP_1) | instskip(NEXT) | instid1(VALU_DEP_1)
	v_fmac_f32_e32 v53, v56, v52
	v_add_f32_e32 v58, v57, v53
	s_delay_alu instid0(VALU_DEP_1) | instskip(SKIP_1) | instid1(VALU_DEP_2)
	v_sub_f32_e32 v59, v55, v58
	v_sub_f32_e32 v51, v58, v57
	;; [unrolled: 1-line block ×3, first 2 shown]
	s_delay_alu instid0(VALU_DEP_2) | instskip(NEXT) | instid1(VALU_DEP_2)
	v_sub_f32_e32 v51, v51, v53
	v_sub_f32_e32 v55, v55, v58
	s_delay_alu instid0(VALU_DEP_1) | instskip(NEXT) | instid1(VALU_DEP_1)
	v_add_f32_e32 v9, v9, v55
	v_add_f32_e32 v9, v51, v9
	s_delay_alu instid0(VALU_DEP_1) | instskip(NEXT) | instid1(VALU_DEP_1)
	v_add_f32_e32 v51, v59, v9
	v_mul_f32_e32 v53, v50, v51
	s_delay_alu instid0(VALU_DEP_1) | instskip(NEXT) | instid1(VALU_DEP_1)
	v_dual_sub_f32 v58, v59, v51 :: v_dual_mul_f32 v55, v54, v53
	v_add_f32_e32 v9, v9, v58
	s_delay_alu instid0(VALU_DEP_2) | instskip(NEXT) | instid1(VALU_DEP_1)
	v_fma_f32 v54, v53, v54, -v55
	v_fmac_f32_e32 v54, v53, v52
	s_delay_alu instid0(VALU_DEP_1) | instskip(NEXT) | instid1(VALU_DEP_1)
	v_add_f32_e32 v52, v55, v54
	v_sub_f32_e32 v57, v51, v52
	s_delay_alu instid0(VALU_DEP_1) | instskip(NEXT) | instid1(VALU_DEP_1)
	v_sub_f32_e32 v51, v51, v57
	v_sub_f32_e32 v51, v51, v52
	s_delay_alu instid0(VALU_DEP_1) | instskip(SKIP_2) | instid1(VALU_DEP_1)
	v_add_f32_e32 v9, v9, v51
	v_add_f32_e32 v51, v56, v53
	v_sub_f32_e32 v55, v52, v55
	v_sub_f32_e32 v52, v55, v54
	s_delay_alu instid0(VALU_DEP_1) | instskip(NEXT) | instid1(VALU_DEP_1)
	v_dual_add_f32 v9, v52, v9 :: v_dual_sub_f32 v52, v51, v56
	v_add_f32_e32 v9, v57, v9
	s_delay_alu instid0(VALU_DEP_1) | instskip(NEXT) | instid1(VALU_DEP_1)
	v_dual_sub_f32 v52, v53, v52 :: v_dual_mul_f32 v9, v50, v9
	v_add_f32_e32 v9, v52, v9
	s_delay_alu instid0(VALU_DEP_1) | instskip(NEXT) | instid1(VALU_DEP_1)
	v_add_f32_e32 v50, v51, v9
	v_mul_f32_e32 v52, v50, v50
	s_delay_alu instid0(VALU_DEP_1) | instskip(SKIP_1) | instid1(VALU_DEP_2)
	v_fmaak_f32 v53, s66, v52, 0x3ecc95a3
	v_mul_f32_e32 v54, v50, v52
	v_fmaak_f32 v52, v52, v53, 0x3f2aaada
	v_ldexp_f32 v53, v50, 1
	v_sub_f32_e32 v50, v50, v51
	s_delay_alu instid0(VALU_DEP_3) | instskip(SKIP_1) | instid1(VALU_DEP_2)
	v_mul_f32_e32 v52, v54, v52
	v_mul_f32_e32 v54, 0x3f317218, v8
	v_add_f32_e32 v51, v53, v52
	s_delay_alu instid0(VALU_DEP_1) | instskip(NEXT) | instid1(VALU_DEP_3)
	v_dual_sub_f32 v9, v9, v50 :: v_dual_sub_f32 v50, v51, v53
	v_fma_f32 v53, 0x3f317218, v8, -v54
	s_delay_alu instid0(VALU_DEP_2) | instskip(NEXT) | instid1(VALU_DEP_2)
	v_ldexp_f32 v9, v9, 1
	v_dual_sub_f32 v50, v52, v50 :: v_dual_fmac_f32 v53, 0xb102e308, v8
	s_delay_alu instid0(VALU_DEP_1) | instskip(NEXT) | instid1(VALU_DEP_1)
	v_dual_add_f32 v8, v9, v50 :: v_dual_add_f32 v9, v54, v53
	v_add_f32_e32 v50, v51, v8
	s_delay_alu instid0(VALU_DEP_1) | instskip(NEXT) | instid1(VALU_DEP_1)
	v_add_f32_e32 v52, v9, v50
	v_sub_f32_e32 v55, v52, v9
	s_delay_alu instid0(VALU_DEP_1) | instskip(SKIP_2) | instid1(VALU_DEP_2)
	v_sub_f32_e32 v56, v52, v55
	v_sub_f32_e32 v51, v50, v51
	;; [unrolled: 1-line block ×5, first 2 shown]
	s_delay_alu instid0(VALU_DEP_1) | instskip(NEXT) | instid1(VALU_DEP_1)
	v_sub_f32_e32 v53, v53, v54
	v_add_f32_e32 v51, v53, v8
	v_sub_f32_e32 v9, v9, v56
	s_delay_alu instid0(VALU_DEP_1) | instskip(NEXT) | instid1(VALU_DEP_3)
	v_add_f32_e32 v9, v50, v9
	v_sub_f32_e32 v50, v51, v53
	s_delay_alu instid0(VALU_DEP_1) | instskip(NEXT) | instid1(VALU_DEP_1)
	v_dual_sub_f32 v8, v8, v50 :: v_dual_add_f32 v9, v51, v9
	v_dual_sub_f32 v51, v51, v50 :: v_dual_add_f32 v54, v52, v9
	s_delay_alu instid0(VALU_DEP_1) | instskip(NEXT) | instid1(VALU_DEP_1)
	v_dual_sub_f32 v51, v53, v51 :: v_dual_sub_f32 v50, v54, v52
	v_dual_add_f32 v8, v8, v51 :: v_dual_sub_f32 v9, v9, v50
	s_delay_alu instid0(VALU_DEP_1) | instskip(NEXT) | instid1(VALU_DEP_1)
	v_add_f32_e32 v8, v8, v9
	v_add_f32_e32 v8, v54, v8
	s_delay_alu instid0(VALU_DEP_1)
	v_cndmask_b32_e32 v50, v8, v4, vcc_lo
.LBB110_46:                             ;   in Loop: Header=BB110_12 Depth=1
	s_or_b32 exec_lo, exec_lo, s21
	v_cvt_f32_f16_e32 v4, v5
	s_delay_alu instid0(VALU_DEP_1) | instskip(NEXT) | instid1(VALU_DEP_1)
	v_add_f32_e32 v51, s52, v4
	v_cmp_ge_f32_e32 vcc_lo, 0x41a00000, v51
	s_and_b32 s20, s62, vcc_lo
	s_delay_alu instid0(SALU_CYCLE_1)
	s_and_saveexec_b32 s21, s20
	s_cbranch_execz .LBB110_48
; %bb.47:                               ;   in Loop: Header=BB110_12 Depth=1
	v_mul_f32_e32 v4, 0x3fb8aa3b, v51
	v_cmp_ngt_f32_e32 vcc_lo, 0xc2ce8ed0, v51
	s_delay_alu instid0(VALU_DEP_2) | instskip(SKIP_1) | instid1(VALU_DEP_1)
	v_rndne_f32_e32 v8, v4
	v_fma_f32 v9, 0x3fb8aa3b, v51, -v4
	v_dual_sub_f32 v4, v4, v8 :: v_dual_fmac_f32 v9, 0x32a5705f, v51
	v_cvt_i32_f32_e32 v8, v8
	s_delay_alu instid0(VALU_DEP_2) | instskip(NEXT) | instid1(VALU_DEP_1)
	v_add_f32_e32 v4, v4, v9
	v_exp_f32_e32 v4, v4
	s_waitcnt_depctr 0xfff
	v_ldexp_f32 v4, v4, v8
	s_delay_alu instid0(VALU_DEP_1) | instskip(SKIP_1) | instid1(VALU_DEP_2)
	v_cndmask_b32_e32 v4, 0, v4, vcc_lo
	v_cmp_nlt_f32_e32 vcc_lo, 0x42b17218, v51
	v_cndmask_b32_e32 v4, 0x7f800000, v4, vcc_lo
	s_delay_alu instid0(VALU_DEP_1) | instskip(NEXT) | instid1(VALU_DEP_1)
	v_add_f32_e32 v51, 1.0, v4
	v_cvt_f64_f32_e32 v[8:9], v51
	s_delay_alu instid0(VALU_DEP_1) | instskip(SKIP_1) | instid1(VALU_DEP_1)
	v_frexp_exp_i32_f64_e32 v8, v[8:9]
	v_frexp_mant_f32_e32 v9, v51
	v_cmp_gt_f32_e32 vcc_lo, 0x3f2aaaab, v9
	v_add_f32_e32 v9, -1.0, v51
	s_delay_alu instid0(VALU_DEP_1) | instskip(NEXT) | instid1(VALU_DEP_1)
	v_sub_f32_e32 v53, v9, v51
	v_add_f32_e32 v53, 1.0, v53
	v_subrev_co_ci_u32_e32 v8, vcc_lo, 0, v8, vcc_lo
	s_delay_alu instid0(VALU_DEP_1) | instskip(SKIP_1) | instid1(VALU_DEP_2)
	v_sub_nc_u32_e32 v52, 0, v8
	v_cvt_f32_i32_e32 v8, v8
	v_ldexp_f32 v51, v51, v52
	s_delay_alu instid0(VALU_DEP_1) | instskip(NEXT) | instid1(VALU_DEP_1)
	v_dual_sub_f32 v9, v4, v9 :: v_dual_add_f32 v54, 1.0, v51
	v_add_f32_e32 v9, v9, v53
	v_cmp_eq_f32_e32 vcc_lo, 0x7f800000, v4
	v_cmp_gt_f32_e64 s20, 0x33800000, v4
	s_delay_alu instid0(VALU_DEP_4) | instskip(NEXT) | instid1(VALU_DEP_4)
	v_add_f32_e32 v53, -1.0, v54
	v_ldexp_f32 v9, v9, v52
	v_add_f32_e32 v52, -1.0, v51
	s_delay_alu instid0(VALU_DEP_4) | instskip(NEXT) | instid1(VALU_DEP_3)
	s_or_b32 vcc_lo, s20, vcc_lo
	v_sub_f32_e32 v53, v51, v53
	s_delay_alu instid0(VALU_DEP_2) | instskip(NEXT) | instid1(VALU_DEP_2)
	v_add_f32_e32 v55, 1.0, v52
	v_add_f32_e32 v53, v9, v53
	s_delay_alu instid0(VALU_DEP_2) | instskip(NEXT) | instid1(VALU_DEP_1)
	v_sub_f32_e32 v51, v51, v55
	v_add_f32_e32 v9, v9, v51
	s_delay_alu instid0(VALU_DEP_1) | instskip(NEXT) | instid1(VALU_DEP_1)
	v_add_f32_e32 v56, v52, v9
	v_dual_add_f32 v55, v54, v53 :: v_dual_sub_f32 v52, v52, v56
	s_delay_alu instid0(VALU_DEP_1) | instskip(SKIP_1) | instid1(VALU_DEP_1)
	v_rcp_f32_e32 v51, v55
	v_sub_f32_e32 v54, v54, v55
	v_add_f32_e32 v53, v53, v54
	s_waitcnt_depctr 0xfff
	v_mul_f32_e32 v57, v56, v51
	s_delay_alu instid0(VALU_DEP_1) | instskip(NEXT) | instid1(VALU_DEP_1)
	v_mul_f32_e32 v58, v55, v57
	v_fma_f32 v54, v57, v55, -v58
	s_delay_alu instid0(VALU_DEP_1) | instskip(SKIP_1) | instid1(VALU_DEP_2)
	v_fmac_f32_e32 v54, v57, v53
	v_add_f32_e32 v9, v9, v52
	v_add_f32_e32 v59, v58, v54
	s_delay_alu instid0(VALU_DEP_1) | instskip(SKIP_1) | instid1(VALU_DEP_2)
	v_sub_f32_e32 v60, v56, v59
	v_sub_f32_e32 v52, v59, v58
	;; [unrolled: 1-line block ×3, first 2 shown]
	s_delay_alu instid0(VALU_DEP_2) | instskip(NEXT) | instid1(VALU_DEP_2)
	v_sub_f32_e32 v52, v52, v54
	v_sub_f32_e32 v56, v56, v59
	s_delay_alu instid0(VALU_DEP_1) | instskip(NEXT) | instid1(VALU_DEP_1)
	v_add_f32_e32 v9, v9, v56
	v_add_f32_e32 v9, v52, v9
	s_delay_alu instid0(VALU_DEP_1) | instskip(NEXT) | instid1(VALU_DEP_1)
	v_add_f32_e32 v52, v60, v9
	v_mul_f32_e32 v54, v51, v52
	s_delay_alu instid0(VALU_DEP_1) | instskip(NEXT) | instid1(VALU_DEP_1)
	v_dual_sub_f32 v59, v60, v52 :: v_dual_mul_f32 v56, v55, v54
	v_add_f32_e32 v9, v9, v59
	s_delay_alu instid0(VALU_DEP_2) | instskip(NEXT) | instid1(VALU_DEP_1)
	v_fma_f32 v55, v54, v55, -v56
	v_fmac_f32_e32 v55, v54, v53
	s_delay_alu instid0(VALU_DEP_1) | instskip(NEXT) | instid1(VALU_DEP_1)
	v_add_f32_e32 v53, v56, v55
	v_sub_f32_e32 v58, v52, v53
	s_delay_alu instid0(VALU_DEP_1) | instskip(NEXT) | instid1(VALU_DEP_1)
	v_sub_f32_e32 v52, v52, v58
	v_sub_f32_e32 v52, v52, v53
	s_delay_alu instid0(VALU_DEP_1) | instskip(SKIP_2) | instid1(VALU_DEP_1)
	v_add_f32_e32 v9, v9, v52
	v_add_f32_e32 v52, v57, v54
	v_sub_f32_e32 v56, v53, v56
	v_sub_f32_e32 v53, v56, v55
	s_delay_alu instid0(VALU_DEP_1) | instskip(NEXT) | instid1(VALU_DEP_4)
	v_add_f32_e32 v9, v53, v9
	v_sub_f32_e32 v53, v52, v57
	s_delay_alu instid0(VALU_DEP_2) | instskip(NEXT) | instid1(VALU_DEP_2)
	v_add_f32_e32 v9, v58, v9
	v_sub_f32_e32 v53, v54, v53
	s_delay_alu instid0(VALU_DEP_2) | instskip(NEXT) | instid1(VALU_DEP_1)
	v_mul_f32_e32 v9, v51, v9
	v_add_f32_e32 v9, v53, v9
	s_delay_alu instid0(VALU_DEP_1) | instskip(NEXT) | instid1(VALU_DEP_1)
	v_add_f32_e32 v51, v52, v9
	v_mul_f32_e32 v53, v51, v51
	s_delay_alu instid0(VALU_DEP_1) | instskip(SKIP_1) | instid1(VALU_DEP_2)
	v_fmaak_f32 v54, s66, v53, 0x3ecc95a3
	v_mul_f32_e32 v55, v51, v53
	v_fmaak_f32 v53, v53, v54, 0x3f2aaada
	v_ldexp_f32 v54, v51, 1
	v_sub_f32_e32 v51, v51, v52
	s_delay_alu instid0(VALU_DEP_3) | instskip(SKIP_1) | instid1(VALU_DEP_2)
	v_mul_f32_e32 v53, v55, v53
	v_mul_f32_e32 v55, 0x3f317218, v8
	v_dual_sub_f32 v9, v9, v51 :: v_dual_add_f32 v52, v54, v53
	s_delay_alu instid0(VALU_DEP_1) | instskip(NEXT) | instid1(VALU_DEP_2)
	v_ldexp_f32 v9, v9, 1
	v_sub_f32_e32 v51, v52, v54
	s_delay_alu instid0(VALU_DEP_4) | instskip(NEXT) | instid1(VALU_DEP_1)
	v_fma_f32 v54, 0x3f317218, v8, -v55
	v_dual_sub_f32 v51, v53, v51 :: v_dual_fmac_f32 v54, 0xb102e308, v8
	s_delay_alu instid0(VALU_DEP_1) | instskip(NEXT) | instid1(VALU_DEP_1)
	v_dual_add_f32 v8, v9, v51 :: v_dual_add_f32 v9, v55, v54
	v_add_f32_e32 v51, v52, v8
	s_delay_alu instid0(VALU_DEP_2) | instskip(NEXT) | instid1(VALU_DEP_2)
	v_sub_f32_e32 v55, v9, v55
	v_dual_add_f32 v53, v9, v51 :: v_dual_sub_f32 v52, v51, v52
	s_delay_alu instid0(VALU_DEP_2) | instskip(NEXT) | instid1(VALU_DEP_2)
	v_sub_f32_e32 v54, v54, v55
	v_sub_f32_e32 v56, v53, v9
	s_delay_alu instid0(VALU_DEP_3) | instskip(NEXT) | instid1(VALU_DEP_2)
	v_sub_f32_e32 v8, v8, v52
	v_sub_f32_e32 v57, v53, v56
	;; [unrolled: 1-line block ×3, first 2 shown]
	s_delay_alu instid0(VALU_DEP_2) | instskip(NEXT) | instid1(VALU_DEP_1)
	v_dual_add_f32 v52, v54, v8 :: v_dual_sub_f32 v9, v9, v57
	v_add_f32_e32 v9, v51, v9
	s_delay_alu instid0(VALU_DEP_2) | instskip(NEXT) | instid1(VALU_DEP_2)
	v_sub_f32_e32 v51, v52, v54
	v_add_f32_e32 v9, v52, v9
	s_delay_alu instid0(VALU_DEP_2) | instskip(NEXT) | instid1(VALU_DEP_2)
	v_sub_f32_e32 v52, v52, v51
	v_dual_sub_f32 v8, v8, v51 :: v_dual_add_f32 v55, v53, v9
	s_delay_alu instid0(VALU_DEP_1) | instskip(NEXT) | instid1(VALU_DEP_1)
	v_dual_sub_f32 v52, v54, v52 :: v_dual_sub_f32 v51, v55, v53
	v_dual_add_f32 v8, v8, v52 :: v_dual_sub_f32 v9, v9, v51
	s_delay_alu instid0(VALU_DEP_1) | instskip(NEXT) | instid1(VALU_DEP_1)
	v_add_f32_e32 v8, v8, v9
	v_add_f32_e32 v8, v55, v8
	s_delay_alu instid0(VALU_DEP_1)
	v_cndmask_b32_e32 v51, v8, v4, vcc_lo
.LBB110_48:                             ;   in Loop: Header=BB110_12 Depth=1
	s_or_b32 exec_lo, exec_lo, s21
	v_lshrrev_b32_e32 v4, 16, v5
	s_delay_alu instid0(VALU_DEP_1) | instskip(NEXT) | instid1(VALU_DEP_1)
	v_cvt_f32_f16_e32 v4, v4
	v_add_f32_e32 v52, s52, v4
	s_delay_alu instid0(VALU_DEP_1) | instskip(SKIP_1) | instid1(SALU_CYCLE_1)
	v_cmp_ge_f32_e32 vcc_lo, 0x41a00000, v52
	s_and_b32 s20, s62, vcc_lo
	s_and_saveexec_b32 s21, s20
	s_cbranch_execz .LBB110_50
; %bb.49:                               ;   in Loop: Header=BB110_12 Depth=1
	v_mul_f32_e32 v4, 0x3fb8aa3b, v52
	v_cmp_ngt_f32_e32 vcc_lo, 0xc2ce8ed0, v52
	s_delay_alu instid0(VALU_DEP_2) | instskip(SKIP_1) | instid1(VALU_DEP_2)
	v_rndne_f32_e32 v5, v4
	v_fma_f32 v8, 0x3fb8aa3b, v52, -v4
	v_sub_f32_e32 v4, v4, v5
	s_delay_alu instid0(VALU_DEP_2) | instskip(SKIP_1) | instid1(VALU_DEP_2)
	v_fmac_f32_e32 v8, 0x32a5705f, v52
	v_cvt_i32_f32_e32 v5, v5
	v_add_f32_e32 v4, v4, v8
	s_delay_alu instid0(VALU_DEP_1) | instskip(SKIP_2) | instid1(VALU_DEP_1)
	v_exp_f32_e32 v4, v4
	s_waitcnt_depctr 0xfff
	v_ldexp_f32 v4, v4, v5
	v_cndmask_b32_e32 v4, 0, v4, vcc_lo
	v_cmp_nlt_f32_e32 vcc_lo, 0x42b17218, v52
	s_delay_alu instid0(VALU_DEP_2) | instskip(NEXT) | instid1(VALU_DEP_1)
	v_cndmask_b32_e32 v8, 0x7f800000, v4, vcc_lo
	v_add_f32_e32 v9, 1.0, v8
	s_delay_alu instid0(VALU_DEP_1) | instskip(NEXT) | instid1(VALU_DEP_1)
	v_cvt_f64_f32_e32 v[4:5], v9
	v_frexp_exp_i32_f64_e32 v4, v[4:5]
	v_frexp_mant_f32_e32 v5, v9
	s_delay_alu instid0(VALU_DEP_1) | instskip(SKIP_1) | instid1(VALU_DEP_1)
	v_cmp_gt_f32_e32 vcc_lo, 0x3f2aaaab, v5
	v_add_f32_e32 v5, -1.0, v9
	v_sub_f32_e32 v53, v5, v9
	v_sub_f32_e32 v5, v8, v5
	s_delay_alu instid0(VALU_DEP_2) | instskip(NEXT) | instid1(VALU_DEP_1)
	v_add_f32_e32 v53, 1.0, v53
	v_add_f32_e32 v5, v5, v53
	v_cmp_gt_f32_e64 s20, 0x33800000, v8
	v_subrev_co_ci_u32_e32 v4, vcc_lo, 0, v4, vcc_lo
	v_cmp_eq_f32_e32 vcc_lo, 0x7f800000, v8
	s_delay_alu instid0(VALU_DEP_2) | instskip(SKIP_2) | instid1(VALU_DEP_2)
	v_sub_nc_u32_e32 v52, 0, v4
	v_cvt_f32_i32_e32 v4, v4
	s_or_b32 vcc_lo, s20, vcc_lo
	v_ldexp_f32 v9, v9, v52
	v_ldexp_f32 v5, v5, v52
	s_delay_alu instid0(VALU_DEP_2) | instskip(NEXT) | instid1(VALU_DEP_1)
	v_add_f32_e32 v52, -1.0, v9
	v_dual_add_f32 v54, 1.0, v9 :: v_dual_add_f32 v55, 1.0, v52
	s_delay_alu instid0(VALU_DEP_1) | instskip(NEXT) | instid1(VALU_DEP_1)
	v_add_f32_e32 v53, -1.0, v54
	v_sub_f32_e32 v53, v9, v53
	s_delay_alu instid0(VALU_DEP_3) | instskip(NEXT) | instid1(VALU_DEP_2)
	v_sub_f32_e32 v9, v9, v55
	v_add_f32_e32 v53, v5, v53
	s_delay_alu instid0(VALU_DEP_2) | instskip(NEXT) | instid1(VALU_DEP_1)
	v_add_f32_e32 v5, v5, v9
	v_add_f32_e32 v56, v52, v5
	s_delay_alu instid0(VALU_DEP_1) | instskip(NEXT) | instid1(VALU_DEP_1)
	v_dual_add_f32 v55, v54, v53 :: v_dual_sub_f32 v52, v52, v56
	v_rcp_f32_e32 v9, v55
	v_sub_f32_e32 v54, v54, v55
	s_delay_alu instid0(VALU_DEP_1) | instskip(SKIP_2) | instid1(VALU_DEP_1)
	v_add_f32_e32 v53, v53, v54
	s_waitcnt_depctr 0xfff
	v_mul_f32_e32 v57, v56, v9
	v_mul_f32_e32 v58, v55, v57
	s_delay_alu instid0(VALU_DEP_1) | instskip(NEXT) | instid1(VALU_DEP_1)
	v_fma_f32 v54, v57, v55, -v58
	v_fmac_f32_e32 v54, v57, v53
	s_delay_alu instid0(VALU_DEP_1) | instskip(NEXT) | instid1(VALU_DEP_1)
	v_add_f32_e32 v59, v58, v54
	v_sub_f32_e32 v60, v56, v59
	s_delay_alu instid0(VALU_DEP_1) | instskip(SKIP_1) | instid1(VALU_DEP_2)
	v_sub_f32_e32 v56, v56, v60
	v_dual_add_f32 v5, v5, v52 :: v_dual_sub_f32 v52, v59, v58
	v_sub_f32_e32 v56, v56, v59
	s_delay_alu instid0(VALU_DEP_1) | instskip(NEXT) | instid1(VALU_DEP_1)
	v_dual_sub_f32 v52, v52, v54 :: v_dual_add_f32 v5, v5, v56
	v_add_f32_e32 v5, v52, v5
	s_delay_alu instid0(VALU_DEP_1) | instskip(NEXT) | instid1(VALU_DEP_1)
	v_add_f32_e32 v52, v60, v5
	v_mul_f32_e32 v54, v9, v52
	s_delay_alu instid0(VALU_DEP_1) | instskip(NEXT) | instid1(VALU_DEP_1)
	v_dual_sub_f32 v59, v60, v52 :: v_dual_mul_f32 v56, v55, v54
	v_add_f32_e32 v5, v5, v59
	s_delay_alu instid0(VALU_DEP_2) | instskip(NEXT) | instid1(VALU_DEP_1)
	v_fma_f32 v55, v54, v55, -v56
	v_fmac_f32_e32 v55, v54, v53
	s_delay_alu instid0(VALU_DEP_1) | instskip(NEXT) | instid1(VALU_DEP_1)
	v_add_f32_e32 v53, v56, v55
	v_sub_f32_e32 v58, v52, v53
	s_delay_alu instid0(VALU_DEP_1) | instskip(NEXT) | instid1(VALU_DEP_1)
	v_sub_f32_e32 v52, v52, v58
	v_sub_f32_e32 v52, v52, v53
	s_delay_alu instid0(VALU_DEP_1) | instskip(SKIP_2) | instid1(VALU_DEP_1)
	v_add_f32_e32 v5, v5, v52
	v_add_f32_e32 v52, v57, v54
	v_sub_f32_e32 v56, v53, v56
	v_sub_f32_e32 v53, v56, v55
	s_delay_alu instid0(VALU_DEP_1) | instskip(NEXT) | instid1(VALU_DEP_4)
	v_add_f32_e32 v5, v53, v5
	v_sub_f32_e32 v53, v52, v57
	s_delay_alu instid0(VALU_DEP_2) | instskip(NEXT) | instid1(VALU_DEP_2)
	v_add_f32_e32 v5, v58, v5
	v_sub_f32_e32 v53, v54, v53
	s_delay_alu instid0(VALU_DEP_2) | instskip(NEXT) | instid1(VALU_DEP_1)
	v_mul_f32_e32 v5, v9, v5
	v_add_f32_e32 v5, v53, v5
	s_delay_alu instid0(VALU_DEP_1) | instskip(NEXT) | instid1(VALU_DEP_1)
	v_add_f32_e32 v9, v52, v5
	v_mul_f32_e32 v53, v9, v9
	s_delay_alu instid0(VALU_DEP_1) | instskip(SKIP_1) | instid1(VALU_DEP_2)
	v_fmaak_f32 v54, s66, v53, 0x3ecc95a3
	v_mul_f32_e32 v55, v9, v53
	v_fmaak_f32 v53, v53, v54, 0x3f2aaada
	v_ldexp_f32 v54, v9, 1
	s_delay_alu instid0(VALU_DEP_2) | instskip(NEXT) | instid1(VALU_DEP_1)
	v_mul_f32_e32 v53, v55, v53
	v_dual_sub_f32 v9, v9, v52 :: v_dual_add_f32 v52, v54, v53
	s_delay_alu instid0(VALU_DEP_1) | instskip(NEXT) | instid1(VALU_DEP_2)
	v_sub_f32_e32 v5, v5, v9
	v_sub_f32_e32 v9, v52, v54
	s_delay_alu instid0(VALU_DEP_2) | instskip(NEXT) | instid1(VALU_DEP_2)
	v_ldexp_f32 v5, v5, 1
	v_sub_f32_e32 v9, v53, v9
	v_mul_f32_e32 v55, 0x3f317218, v4
	s_delay_alu instid0(VALU_DEP_1) | instskip(NEXT) | instid1(VALU_DEP_1)
	v_fma_f32 v54, 0x3f317218, v4, -v55
	v_fmac_f32_e32 v54, 0xb102e308, v4
	s_delay_alu instid0(VALU_DEP_1) | instskip(NEXT) | instid1(VALU_DEP_1)
	v_dual_add_f32 v4, v5, v9 :: v_dual_add_f32 v5, v55, v54
	v_add_f32_e32 v9, v52, v4
	s_delay_alu instid0(VALU_DEP_1) | instskip(SKIP_1) | instid1(VALU_DEP_2)
	v_add_f32_e32 v53, v5, v9
	v_sub_f32_e32 v52, v9, v52
	v_sub_f32_e32 v56, v53, v5
	s_delay_alu instid0(VALU_DEP_2) | instskip(NEXT) | instid1(VALU_DEP_2)
	v_dual_sub_f32 v4, v4, v52 :: v_dual_sub_f32 v55, v5, v55
	v_sub_f32_e32 v57, v53, v56
	s_delay_alu instid0(VALU_DEP_2) | instskip(NEXT) | instid1(VALU_DEP_1)
	v_dual_sub_f32 v9, v9, v56 :: v_dual_sub_f32 v54, v54, v55
	v_dual_sub_f32 v5, v5, v57 :: v_dual_add_f32 v52, v54, v4
	s_delay_alu instid0(VALU_DEP_1) | instskip(NEXT) | instid1(VALU_DEP_2)
	v_add_f32_e32 v5, v9, v5
	v_sub_f32_e32 v9, v52, v54
	s_delay_alu instid0(VALU_DEP_2) | instskip(NEXT) | instid1(VALU_DEP_2)
	v_add_f32_e32 v5, v52, v5
	v_sub_f32_e32 v52, v52, v9
	v_sub_f32_e32 v4, v4, v9
	s_delay_alu instid0(VALU_DEP_2) | instskip(NEXT) | instid1(VALU_DEP_1)
	v_dual_add_f32 v55, v53, v5 :: v_dual_sub_f32 v52, v54, v52
	v_dual_sub_f32 v9, v55, v53 :: v_dual_add_f32 v4, v4, v52
	s_delay_alu instid0(VALU_DEP_1) | instskip(NEXT) | instid1(VALU_DEP_1)
	v_sub_f32_e32 v5, v5, v9
	v_add_f32_e32 v4, v4, v5
	s_delay_alu instid0(VALU_DEP_1) | instskip(NEXT) | instid1(VALU_DEP_1)
	v_add_f32_e32 v4, v55, v4
	v_cndmask_b32_e32 v52, v4, v8, vcc_lo
.LBB110_50:                             ;   in Loop: Header=BB110_12 Depth=1
	s_or_b32 exec_lo, exec_lo, s21
	v_cvt_f32_f16_e32 v4, v6
	s_delay_alu instid0(VALU_DEP_1) | instskip(NEXT) | instid1(VALU_DEP_1)
	v_add_f32_e32 v53, s52, v4
	v_cmp_ge_f32_e32 vcc_lo, 0x41a00000, v53
	s_and_b32 s20, s62, vcc_lo
	s_delay_alu instid0(SALU_CYCLE_1)
	s_and_saveexec_b32 s21, s20
	s_cbranch_execz .LBB110_52
; %bb.51:                               ;   in Loop: Header=BB110_12 Depth=1
	v_mul_f32_e32 v4, 0x3fb8aa3b, v53
	v_cmp_ngt_f32_e32 vcc_lo, 0xc2ce8ed0, v53
	s_delay_alu instid0(VALU_DEP_2) | instskip(SKIP_1) | instid1(VALU_DEP_2)
	v_rndne_f32_e32 v5, v4
	v_fma_f32 v8, 0x3fb8aa3b, v53, -v4
	v_sub_f32_e32 v4, v4, v5
	s_delay_alu instid0(VALU_DEP_2) | instskip(SKIP_1) | instid1(VALU_DEP_2)
	v_fmac_f32_e32 v8, 0x32a5705f, v53
	v_cvt_i32_f32_e32 v5, v5
	v_add_f32_e32 v4, v4, v8
	s_delay_alu instid0(VALU_DEP_1) | instskip(SKIP_2) | instid1(VALU_DEP_1)
	v_exp_f32_e32 v4, v4
	s_waitcnt_depctr 0xfff
	v_ldexp_f32 v4, v4, v5
	v_cndmask_b32_e32 v4, 0, v4, vcc_lo
	v_cmp_nlt_f32_e32 vcc_lo, 0x42b17218, v53
	s_delay_alu instid0(VALU_DEP_2) | instskip(NEXT) | instid1(VALU_DEP_1)
	v_cndmask_b32_e32 v8, 0x7f800000, v4, vcc_lo
	v_add_f32_e32 v9, 1.0, v8
	s_delay_alu instid0(VALU_DEP_1) | instskip(NEXT) | instid1(VALU_DEP_1)
	v_cvt_f64_f32_e32 v[4:5], v9
	v_frexp_exp_i32_f64_e32 v4, v[4:5]
	v_frexp_mant_f32_e32 v5, v9
	s_delay_alu instid0(VALU_DEP_1) | instskip(SKIP_1) | instid1(VALU_DEP_1)
	v_cmp_gt_f32_e32 vcc_lo, 0x3f2aaaab, v5
	v_add_f32_e32 v5, -1.0, v9
	v_sub_f32_e32 v54, v5, v9
	v_subrev_co_ci_u32_e32 v4, vcc_lo, 0, v4, vcc_lo
	s_delay_alu instid0(VALU_DEP_1) | instskip(SKIP_1) | instid1(VALU_DEP_2)
	v_sub_nc_u32_e32 v53, 0, v4
	v_cvt_f32_i32_e32 v4, v4
	v_ldexp_f32 v9, v9, v53
	s_delay_alu instid0(VALU_DEP_1) | instskip(SKIP_3) | instid1(VALU_DEP_3)
	v_dual_add_f32 v54, 1.0, v54 :: v_dual_add_f32 v55, 1.0, v9
	v_sub_f32_e32 v5, v8, v5
	v_cmp_eq_f32_e32 vcc_lo, 0x7f800000, v8
	v_cmp_gt_f32_e64 s20, 0x33800000, v8
	v_add_f32_e32 v5, v5, v54
	s_delay_alu instid0(VALU_DEP_2) | instskip(NEXT) | instid1(VALU_DEP_1)
	s_or_b32 vcc_lo, s20, vcc_lo
	v_ldexp_f32 v5, v5, v53
	v_dual_add_f32 v53, -1.0, v9 :: v_dual_add_f32 v54, -1.0, v55
	s_delay_alu instid0(VALU_DEP_1) | instskip(NEXT) | instid1(VALU_DEP_2)
	v_add_f32_e32 v56, 1.0, v53
	v_sub_f32_e32 v54, v9, v54
	s_delay_alu instid0(VALU_DEP_2) | instskip(NEXT) | instid1(VALU_DEP_2)
	v_sub_f32_e32 v9, v9, v56
	v_add_f32_e32 v54, v5, v54
	s_delay_alu instid0(VALU_DEP_1) | instskip(NEXT) | instid1(VALU_DEP_1)
	v_dual_add_f32 v5, v5, v9 :: v_dual_add_f32 v56, v55, v54
	v_add_f32_e32 v57, v53, v5
	s_delay_alu instid0(VALU_DEP_2) | instskip(SKIP_1) | instid1(VALU_DEP_1)
	v_rcp_f32_e32 v9, v56
	v_sub_f32_e32 v55, v55, v56
	v_dual_sub_f32 v53, v53, v57 :: v_dual_add_f32 v54, v54, v55
	s_delay_alu instid0(VALU_DEP_1) | instskip(SKIP_2) | instid1(VALU_DEP_1)
	v_add_f32_e32 v5, v5, v53
	s_waitcnt_depctr 0xfff
	v_mul_f32_e32 v58, v57, v9
	v_mul_f32_e32 v59, v56, v58
	s_delay_alu instid0(VALU_DEP_1) | instskip(NEXT) | instid1(VALU_DEP_1)
	v_fma_f32 v55, v58, v56, -v59
	v_fmac_f32_e32 v55, v58, v54
	s_delay_alu instid0(VALU_DEP_1) | instskip(NEXT) | instid1(VALU_DEP_1)
	v_add_f32_e32 v60, v59, v55
	v_sub_f32_e32 v61, v57, v60
	v_sub_f32_e32 v53, v60, v59
	s_delay_alu instid0(VALU_DEP_2) | instskip(NEXT) | instid1(VALU_DEP_2)
	v_sub_f32_e32 v57, v57, v61
	v_sub_f32_e32 v53, v53, v55
	s_delay_alu instid0(VALU_DEP_2) | instskip(NEXT) | instid1(VALU_DEP_1)
	v_sub_f32_e32 v57, v57, v60
	v_add_f32_e32 v5, v5, v57
	s_delay_alu instid0(VALU_DEP_1) | instskip(NEXT) | instid1(VALU_DEP_1)
	v_add_f32_e32 v5, v53, v5
	v_add_f32_e32 v53, v61, v5
	s_delay_alu instid0(VALU_DEP_1) | instskip(NEXT) | instid1(VALU_DEP_1)
	v_mul_f32_e32 v55, v9, v53
	v_mul_f32_e32 v57, v56, v55
	s_delay_alu instid0(VALU_DEP_1) | instskip(NEXT) | instid1(VALU_DEP_1)
	v_fma_f32 v56, v55, v56, -v57
	v_fmac_f32_e32 v56, v55, v54
	v_sub_f32_e32 v60, v61, v53
	s_delay_alu instid0(VALU_DEP_2) | instskip(NEXT) | instid1(VALU_DEP_2)
	v_add_f32_e32 v54, v57, v56
	v_add_f32_e32 v5, v5, v60
	s_delay_alu instid0(VALU_DEP_2) | instskip(NEXT) | instid1(VALU_DEP_1)
	v_sub_f32_e32 v59, v53, v54
	v_sub_f32_e32 v53, v53, v59
	s_delay_alu instid0(VALU_DEP_1) | instskip(NEXT) | instid1(VALU_DEP_1)
	v_sub_f32_e32 v53, v53, v54
	v_add_f32_e32 v5, v5, v53
	v_add_f32_e32 v53, v58, v55
	v_sub_f32_e32 v57, v54, v57
	s_delay_alu instid0(VALU_DEP_1) | instskip(NEXT) | instid1(VALU_DEP_1)
	v_sub_f32_e32 v54, v57, v56
	v_dual_add_f32 v5, v54, v5 :: v_dual_sub_f32 v54, v53, v58
	s_delay_alu instid0(VALU_DEP_1) | instskip(NEXT) | instid1(VALU_DEP_1)
	v_add_f32_e32 v5, v59, v5
	v_dual_sub_f32 v54, v55, v54 :: v_dual_mul_f32 v5, v9, v5
	s_delay_alu instid0(VALU_DEP_1) | instskip(NEXT) | instid1(VALU_DEP_1)
	v_add_f32_e32 v5, v54, v5
	v_add_f32_e32 v9, v53, v5
	s_delay_alu instid0(VALU_DEP_1) | instskip(NEXT) | instid1(VALU_DEP_1)
	v_mul_f32_e32 v54, v9, v9
	v_fmaak_f32 v55, s66, v54, 0x3ecc95a3
	v_mul_f32_e32 v56, v9, v54
	s_delay_alu instid0(VALU_DEP_2) | instskip(SKIP_1) | instid1(VALU_DEP_2)
	v_fmaak_f32 v54, v54, v55, 0x3f2aaada
	v_ldexp_f32 v55, v9, 1
	v_dual_sub_f32 v9, v9, v53 :: v_dual_mul_f32 v54, v56, v54
	s_delay_alu instid0(VALU_DEP_1) | instskip(NEXT) | instid1(VALU_DEP_2)
	v_dual_mul_f32 v56, 0x3f317218, v4 :: v_dual_sub_f32 v5, v5, v9
	v_add_f32_e32 v53, v55, v54
	s_delay_alu instid0(VALU_DEP_2) | instskip(NEXT) | instid1(VALU_DEP_2)
	v_ldexp_f32 v5, v5, 1
	v_sub_f32_e32 v9, v53, v55
	s_delay_alu instid0(VALU_DEP_4) | instskip(NEXT) | instid1(VALU_DEP_2)
	v_fma_f32 v55, 0x3f317218, v4, -v56
	v_sub_f32_e32 v9, v54, v9
	s_delay_alu instid0(VALU_DEP_1) | instskip(NEXT) | instid1(VALU_DEP_1)
	v_dual_fmac_f32 v55, 0xb102e308, v4 :: v_dual_add_f32 v4, v5, v9
	v_add_f32_e32 v5, v56, v55
	s_delay_alu instid0(VALU_DEP_2) | instskip(NEXT) | instid1(VALU_DEP_2)
	v_add_f32_e32 v9, v53, v4
	v_sub_f32_e32 v56, v5, v56
	s_delay_alu instid0(VALU_DEP_1) | instskip(SKIP_1) | instid1(VALU_DEP_2)
	v_dual_add_f32 v54, v5, v9 :: v_dual_sub_f32 v55, v55, v56
	v_sub_f32_e32 v53, v9, v53
	v_sub_f32_e32 v57, v54, v5
	s_delay_alu instid0(VALU_DEP_2) | instskip(NEXT) | instid1(VALU_DEP_2)
	v_sub_f32_e32 v4, v4, v53
	v_sub_f32_e32 v58, v54, v57
	;; [unrolled: 1-line block ×3, first 2 shown]
	s_delay_alu instid0(VALU_DEP_3) | instskip(NEXT) | instid1(VALU_DEP_3)
	v_add_f32_e32 v53, v55, v4
	v_sub_f32_e32 v5, v5, v58
	s_delay_alu instid0(VALU_DEP_1) | instskip(NEXT) | instid1(VALU_DEP_3)
	v_add_f32_e32 v5, v9, v5
	v_sub_f32_e32 v9, v53, v55
	s_delay_alu instid0(VALU_DEP_2) | instskip(NEXT) | instid1(VALU_DEP_2)
	v_add_f32_e32 v5, v53, v5
	v_sub_f32_e32 v53, v53, v9
	v_sub_f32_e32 v4, v4, v9
	s_delay_alu instid0(VALU_DEP_3) | instskip(NEXT) | instid1(VALU_DEP_3)
	v_add_f32_e32 v56, v54, v5
	v_sub_f32_e32 v53, v55, v53
	s_delay_alu instid0(VALU_DEP_2) | instskip(NEXT) | instid1(VALU_DEP_2)
	v_sub_f32_e32 v9, v56, v54
	v_add_f32_e32 v4, v4, v53
	s_delay_alu instid0(VALU_DEP_2) | instskip(NEXT) | instid1(VALU_DEP_1)
	v_sub_f32_e32 v5, v5, v9
	v_add_f32_e32 v4, v4, v5
	s_delay_alu instid0(VALU_DEP_1) | instskip(NEXT) | instid1(VALU_DEP_1)
	v_add_f32_e32 v4, v56, v4
	v_cndmask_b32_e32 v53, v4, v8, vcc_lo
.LBB110_52:                             ;   in Loop: Header=BB110_12 Depth=1
	s_or_b32 exec_lo, exec_lo, s21
	v_lshrrev_b32_e32 v4, 16, v6
	s_delay_alu instid0(VALU_DEP_1) | instskip(NEXT) | instid1(VALU_DEP_1)
	v_cvt_f32_f16_e32 v4, v4
	v_add_f32_e32 v54, s52, v4
	s_delay_alu instid0(VALU_DEP_1) | instskip(SKIP_1) | instid1(SALU_CYCLE_1)
	v_cmp_ge_f32_e32 vcc_lo, 0x41a00000, v54
	s_and_b32 s20, s62, vcc_lo
	s_and_saveexec_b32 s21, s20
	s_cbranch_execz .LBB110_54
; %bb.53:                               ;   in Loop: Header=BB110_12 Depth=1
	v_mul_f32_e32 v4, 0x3fb8aa3b, v54
	v_cmp_ngt_f32_e32 vcc_lo, 0xc2ce8ed0, v54
	s_delay_alu instid0(VALU_DEP_2) | instskip(SKIP_1) | instid1(VALU_DEP_2)
	v_rndne_f32_e32 v5, v4
	v_fma_f32 v6, 0x3fb8aa3b, v54, -v4
	v_sub_f32_e32 v4, v4, v5
	s_delay_alu instid0(VALU_DEP_2) | instskip(SKIP_1) | instid1(VALU_DEP_2)
	v_fmac_f32_e32 v6, 0x32a5705f, v54
	v_cvt_i32_f32_e32 v5, v5
	v_add_f32_e32 v4, v4, v6
	s_delay_alu instid0(VALU_DEP_1) | instskip(SKIP_2) | instid1(VALU_DEP_1)
	v_exp_f32_e32 v4, v4
	s_waitcnt_depctr 0xfff
	v_ldexp_f32 v4, v4, v5
	v_cndmask_b32_e32 v4, 0, v4, vcc_lo
	v_cmp_nlt_f32_e32 vcc_lo, 0x42b17218, v54
	s_delay_alu instid0(VALU_DEP_2) | instskip(NEXT) | instid1(VALU_DEP_1)
	v_cndmask_b32_e32 v6, 0x7f800000, v4, vcc_lo
	v_add_f32_e32 v8, 1.0, v6
	s_delay_alu instid0(VALU_DEP_1) | instskip(NEXT) | instid1(VALU_DEP_1)
	v_cvt_f64_f32_e32 v[4:5], v8
	v_frexp_exp_i32_f64_e32 v4, v[4:5]
	v_frexp_mant_f32_e32 v5, v8
	s_delay_alu instid0(VALU_DEP_1) | instskip(SKIP_1) | instid1(VALU_DEP_1)
	v_cmp_gt_f32_e32 vcc_lo, 0x3f2aaaab, v5
	v_add_f32_e32 v5, -1.0, v8
	v_dual_sub_f32 v54, v5, v8 :: v_dual_sub_f32 v5, v6, v5
	s_delay_alu instid0(VALU_DEP_1) | instskip(NEXT) | instid1(VALU_DEP_1)
	v_add_f32_e32 v54, 1.0, v54
	v_add_f32_e32 v5, v5, v54
	v_subrev_co_ci_u32_e32 v4, vcc_lo, 0, v4, vcc_lo
	s_delay_alu instid0(VALU_DEP_1) | instskip(SKIP_1) | instid1(VALU_DEP_2)
	v_sub_nc_u32_e32 v9, 0, v4
	v_cvt_f32_i32_e32 v4, v4
	v_ldexp_f32 v8, v8, v9
	v_ldexp_f32 v5, v5, v9
	s_delay_alu instid0(VALU_DEP_2) | instskip(NEXT) | instid1(VALU_DEP_1)
	v_add_f32_e32 v55, 1.0, v8
	v_dual_add_f32 v9, -1.0, v8 :: v_dual_add_f32 v54, -1.0, v55
	s_delay_alu instid0(VALU_DEP_1) | instskip(NEXT) | instid1(VALU_DEP_2)
	v_add_f32_e32 v56, 1.0, v9
	v_sub_f32_e32 v54, v8, v54
	s_delay_alu instid0(VALU_DEP_2) | instskip(NEXT) | instid1(VALU_DEP_2)
	v_sub_f32_e32 v8, v8, v56
	v_add_f32_e32 v54, v5, v54
	s_delay_alu instid0(VALU_DEP_2) | instskip(NEXT) | instid1(VALU_DEP_1)
	v_add_f32_e32 v5, v5, v8
	v_add_f32_e32 v57, v9, v5
	v_cmp_eq_f32_e32 vcc_lo, 0x7f800000, v6
	v_cmp_gt_f32_e64 s20, 0x33800000, v6
	s_delay_alu instid0(VALU_DEP_3) | instskip(NEXT) | instid1(VALU_DEP_2)
	v_dual_sub_f32 v9, v9, v57 :: v_dual_add_f32 v56, v55, v54
	s_or_b32 vcc_lo, s20, vcc_lo
	s_delay_alu instid0(VALU_DEP_1) | instskip(NEXT) | instid1(VALU_DEP_2)
	v_add_f32_e32 v5, v5, v9
	v_rcp_f32_e32 v8, v56
	v_sub_f32_e32 v55, v55, v56
	s_delay_alu instid0(VALU_DEP_1) | instskip(SKIP_2) | instid1(VALU_DEP_1)
	v_add_f32_e32 v54, v54, v55
	s_waitcnt_depctr 0xfff
	v_mul_f32_e32 v58, v57, v8
	v_mul_f32_e32 v59, v56, v58
	s_delay_alu instid0(VALU_DEP_1) | instskip(NEXT) | instid1(VALU_DEP_1)
	v_fma_f32 v55, v58, v56, -v59
	v_fmac_f32_e32 v55, v58, v54
	s_delay_alu instid0(VALU_DEP_1) | instskip(NEXT) | instid1(VALU_DEP_1)
	v_add_f32_e32 v60, v59, v55
	v_sub_f32_e32 v61, v57, v60
	s_delay_alu instid0(VALU_DEP_1) | instskip(NEXT) | instid1(VALU_DEP_1)
	v_sub_f32_e32 v57, v57, v61
	v_sub_f32_e32 v57, v57, v60
	s_delay_alu instid0(VALU_DEP_1) | instskip(SKIP_1) | instid1(VALU_DEP_1)
	v_add_f32_e32 v5, v5, v57
	v_sub_f32_e32 v9, v60, v59
	v_sub_f32_e32 v9, v9, v55
	s_delay_alu instid0(VALU_DEP_1) | instskip(NEXT) | instid1(VALU_DEP_1)
	v_add_f32_e32 v5, v9, v5
	v_add_f32_e32 v9, v61, v5
	s_delay_alu instid0(VALU_DEP_1) | instskip(NEXT) | instid1(VALU_DEP_1)
	v_mul_f32_e32 v55, v8, v9
	v_dual_sub_f32 v60, v61, v9 :: v_dual_mul_f32 v57, v56, v55
	s_delay_alu instid0(VALU_DEP_1) | instskip(NEXT) | instid1(VALU_DEP_2)
	v_add_f32_e32 v5, v5, v60
	v_fma_f32 v56, v55, v56, -v57
	s_delay_alu instid0(VALU_DEP_1) | instskip(NEXT) | instid1(VALU_DEP_1)
	v_fmac_f32_e32 v56, v55, v54
	v_add_f32_e32 v54, v57, v56
	s_delay_alu instid0(VALU_DEP_1) | instskip(NEXT) | instid1(VALU_DEP_1)
	v_sub_f32_e32 v59, v9, v54
	v_sub_f32_e32 v9, v9, v59
	s_delay_alu instid0(VALU_DEP_1) | instskip(NEXT) | instid1(VALU_DEP_1)
	v_sub_f32_e32 v9, v9, v54
	v_add_f32_e32 v5, v5, v9
	v_add_f32_e32 v9, v58, v55
	v_sub_f32_e32 v57, v54, v57
	s_delay_alu instid0(VALU_DEP_1) | instskip(NEXT) | instid1(VALU_DEP_1)
	v_sub_f32_e32 v54, v57, v56
	v_dual_add_f32 v5, v54, v5 :: v_dual_sub_f32 v54, v9, v58
	s_delay_alu instid0(VALU_DEP_1) | instskip(NEXT) | instid1(VALU_DEP_1)
	v_add_f32_e32 v5, v59, v5
	v_dual_sub_f32 v54, v55, v54 :: v_dual_mul_f32 v5, v8, v5
	s_delay_alu instid0(VALU_DEP_1) | instskip(NEXT) | instid1(VALU_DEP_1)
	v_add_f32_e32 v5, v54, v5
	v_add_f32_e32 v8, v9, v5
	s_delay_alu instid0(VALU_DEP_1) | instskip(NEXT) | instid1(VALU_DEP_1)
	v_mul_f32_e32 v54, v8, v8
	v_fmaak_f32 v55, s66, v54, 0x3ecc95a3
	v_mul_f32_e32 v56, v8, v54
	s_delay_alu instid0(VALU_DEP_2) | instskip(SKIP_1) | instid1(VALU_DEP_2)
	v_fmaak_f32 v54, v54, v55, 0x3f2aaada
	v_ldexp_f32 v55, v8, 1
	v_mul_f32_e32 v54, v56, v54
	v_sub_f32_e32 v8, v8, v9
	s_delay_alu instid0(VALU_DEP_2) | instskip(NEXT) | instid1(VALU_DEP_2)
	v_dual_mul_f32 v56, 0x3f317218, v4 :: v_dual_add_f32 v9, v55, v54
	v_sub_f32_e32 v5, v5, v8
	s_delay_alu instid0(VALU_DEP_2) | instskip(NEXT) | instid1(VALU_DEP_3)
	v_sub_f32_e32 v8, v9, v55
	v_fma_f32 v55, 0x3f317218, v4, -v56
	s_delay_alu instid0(VALU_DEP_3) | instskip(NEXT) | instid1(VALU_DEP_3)
	v_ldexp_f32 v5, v5, 1
	v_sub_f32_e32 v8, v54, v8
	s_delay_alu instid0(VALU_DEP_3) | instskip(NEXT) | instid1(VALU_DEP_2)
	v_fmac_f32_e32 v55, 0xb102e308, v4
	v_add_f32_e32 v4, v5, v8
	s_delay_alu instid0(VALU_DEP_1) | instskip(NEXT) | instid1(VALU_DEP_1)
	v_add_f32_e32 v8, v9, v4
	v_sub_f32_e32 v9, v8, v9
	s_delay_alu instid0(VALU_DEP_1) | instskip(SKIP_1) | instid1(VALU_DEP_1)
	v_sub_f32_e32 v4, v4, v9
	v_add_f32_e32 v5, v56, v55
	v_add_f32_e32 v54, v5, v8
	s_delay_alu instid0(VALU_DEP_1) | instskip(NEXT) | instid1(VALU_DEP_1)
	v_dual_sub_f32 v56, v5, v56 :: v_dual_sub_f32 v57, v54, v5
	v_dual_sub_f32 v55, v55, v56 :: v_dual_sub_f32 v8, v8, v57
	v_sub_f32_e32 v58, v54, v57
	s_delay_alu instid0(VALU_DEP_1) | instskip(NEXT) | instid1(VALU_DEP_1)
	v_sub_f32_e32 v5, v5, v58
	v_add_f32_e32 v5, v8, v5
	s_delay_alu instid0(VALU_DEP_4) | instskip(NEXT) | instid1(VALU_DEP_1)
	v_add_f32_e32 v9, v55, v4
	v_add_f32_e32 v5, v9, v5
	s_delay_alu instid0(VALU_DEP_1) | instskip(SKIP_1) | instid1(VALU_DEP_1)
	v_add_f32_e32 v56, v54, v5
	v_sub_f32_e32 v8, v9, v55
	v_sub_f32_e32 v9, v9, v8
	;; [unrolled: 1-line block ×3, first 2 shown]
	s_delay_alu instid0(VALU_DEP_2) | instskip(NEXT) | instid1(VALU_DEP_1)
	v_dual_sub_f32 v8, v56, v54 :: v_dual_sub_f32 v9, v55, v9
	v_dual_sub_f32 v5, v5, v8 :: v_dual_add_f32 v4, v4, v9
	s_delay_alu instid0(VALU_DEP_1) | instskip(NEXT) | instid1(VALU_DEP_1)
	v_add_f32_e32 v4, v4, v5
	v_add_f32_e32 v4, v56, v4
	s_delay_alu instid0(VALU_DEP_1)
	v_cndmask_b32_e32 v54, v4, v6, vcc_lo
.LBB110_54:                             ;   in Loop: Header=BB110_12 Depth=1
	s_or_b32 exec_lo, exec_lo, s21
	v_cvt_f32_f16_e32 v4, v7
	s_delay_alu instid0(VALU_DEP_1) | instskip(NEXT) | instid1(VALU_DEP_1)
	v_add_f32_e32 v55, s52, v4
	v_cmp_ge_f32_e32 vcc_lo, 0x41a00000, v55
	s_and_b32 s20, s62, vcc_lo
	s_delay_alu instid0(SALU_CYCLE_1)
	s_and_saveexec_b32 s21, s20
	s_cbranch_execz .LBB110_56
; %bb.55:                               ;   in Loop: Header=BB110_12 Depth=1
	v_mul_f32_e32 v4, 0x3fb8aa3b, v55
	v_cmp_ngt_f32_e32 vcc_lo, 0xc2ce8ed0, v55
	s_delay_alu instid0(VALU_DEP_2) | instskip(SKIP_1) | instid1(VALU_DEP_2)
	v_rndne_f32_e32 v5, v4
	v_fma_f32 v6, 0x3fb8aa3b, v55, -v4
	v_sub_f32_e32 v4, v4, v5
	s_delay_alu instid0(VALU_DEP_2) | instskip(SKIP_1) | instid1(VALU_DEP_2)
	v_fmac_f32_e32 v6, 0x32a5705f, v55
	v_cvt_i32_f32_e32 v5, v5
	v_add_f32_e32 v4, v4, v6
	s_delay_alu instid0(VALU_DEP_1) | instskip(SKIP_2) | instid1(VALU_DEP_1)
	v_exp_f32_e32 v4, v4
	s_waitcnt_depctr 0xfff
	v_ldexp_f32 v4, v4, v5
	v_cndmask_b32_e32 v4, 0, v4, vcc_lo
	v_cmp_nlt_f32_e32 vcc_lo, 0x42b17218, v55
	s_delay_alu instid0(VALU_DEP_2) | instskip(NEXT) | instid1(VALU_DEP_1)
	v_cndmask_b32_e32 v6, 0x7f800000, v4, vcc_lo
	v_add_f32_e32 v8, 1.0, v6
	s_delay_alu instid0(VALU_DEP_1) | instskip(NEXT) | instid1(VALU_DEP_1)
	v_cvt_f64_f32_e32 v[4:5], v8
	v_frexp_exp_i32_f64_e32 v4, v[4:5]
	v_frexp_mant_f32_e32 v5, v8
	s_delay_alu instid0(VALU_DEP_1) | instskip(SKIP_1) | instid1(VALU_DEP_1)
	v_cmp_gt_f32_e32 vcc_lo, 0x3f2aaaab, v5
	v_add_f32_e32 v5, -1.0, v8
	v_sub_f32_e32 v55, v5, v8
	v_sub_f32_e32 v5, v6, v5
	s_delay_alu instid0(VALU_DEP_2) | instskip(NEXT) | instid1(VALU_DEP_1)
	v_add_f32_e32 v55, 1.0, v55
	v_add_f32_e32 v5, v5, v55
	v_cmp_gt_f32_e64 s20, 0x33800000, v6
	v_subrev_co_ci_u32_e32 v4, vcc_lo, 0, v4, vcc_lo
	v_cmp_eq_f32_e32 vcc_lo, 0x7f800000, v6
	s_delay_alu instid0(VALU_DEP_2) | instskip(SKIP_2) | instid1(VALU_DEP_2)
	v_sub_nc_u32_e32 v9, 0, v4
	v_cvt_f32_i32_e32 v4, v4
	s_or_b32 vcc_lo, s20, vcc_lo
	v_ldexp_f32 v8, v8, v9
	v_ldexp_f32 v5, v5, v9
	s_delay_alu instid0(VALU_DEP_2) | instskip(SKIP_1) | instid1(VALU_DEP_2)
	v_add_f32_e32 v56, 1.0, v8
	v_add_f32_e32 v9, -1.0, v8
	v_add_f32_e32 v55, -1.0, v56
	s_delay_alu instid0(VALU_DEP_2) | instskip(NEXT) | instid1(VALU_DEP_2)
	v_add_f32_e32 v57, 1.0, v9
	v_sub_f32_e32 v55, v8, v55
	s_delay_alu instid0(VALU_DEP_1) | instskip(NEXT) | instid1(VALU_DEP_1)
	v_dual_sub_f32 v8, v8, v57 :: v_dual_add_f32 v55, v5, v55
	v_add_f32_e32 v5, v5, v8
	s_delay_alu instid0(VALU_DEP_1) | instskip(NEXT) | instid1(VALU_DEP_1)
	v_dual_add_f32 v57, v56, v55 :: v_dual_add_f32 v58, v9, v5
	v_rcp_f32_e32 v8, v57
	s_delay_alu instid0(VALU_DEP_1) | instskip(NEXT) | instid1(VALU_DEP_1)
	v_dual_sub_f32 v56, v56, v57 :: v_dual_sub_f32 v9, v9, v58
	v_add_f32_e32 v55, v55, v56
	s_waitcnt_depctr 0xfff
	v_mul_f32_e32 v59, v58, v8
	s_delay_alu instid0(VALU_DEP_1) | instskip(NEXT) | instid1(VALU_DEP_1)
	v_mul_f32_e32 v60, v57, v59
	v_fma_f32 v56, v59, v57, -v60
	s_delay_alu instid0(VALU_DEP_1) | instskip(NEXT) | instid1(VALU_DEP_1)
	v_dual_fmac_f32 v56, v59, v55 :: v_dual_add_f32 v5, v5, v9
	v_add_f32_e32 v61, v60, v56
	s_delay_alu instid0(VALU_DEP_1) | instskip(NEXT) | instid1(VALU_DEP_1)
	v_sub_f32_e32 v62, v58, v61
	v_dual_sub_f32 v58, v58, v62 :: v_dual_sub_f32 v9, v61, v60
	s_delay_alu instid0(VALU_DEP_1) | instskip(NEXT) | instid1(VALU_DEP_1)
	v_dual_sub_f32 v58, v58, v61 :: v_dual_sub_f32 v9, v9, v56
	v_add_f32_e32 v5, v5, v58
	s_delay_alu instid0(VALU_DEP_1) | instskip(NEXT) | instid1(VALU_DEP_1)
	v_add_f32_e32 v5, v9, v5
	v_add_f32_e32 v9, v62, v5
	s_delay_alu instid0(VALU_DEP_1) | instskip(NEXT) | instid1(VALU_DEP_1)
	v_mul_f32_e32 v56, v8, v9
	v_dual_mul_f32 v58, v57, v56 :: v_dual_sub_f32 v61, v62, v9
	s_delay_alu instid0(VALU_DEP_1) | instskip(NEXT) | instid1(VALU_DEP_2)
	v_fma_f32 v57, v56, v57, -v58
	v_add_f32_e32 v5, v5, v61
	s_delay_alu instid0(VALU_DEP_2) | instskip(NEXT) | instid1(VALU_DEP_1)
	v_fmac_f32_e32 v57, v56, v55
	v_add_f32_e32 v55, v58, v57
	s_delay_alu instid0(VALU_DEP_1) | instskip(NEXT) | instid1(VALU_DEP_1)
	v_sub_f32_e32 v60, v9, v55
	v_dual_sub_f32 v58, v55, v58 :: v_dual_sub_f32 v9, v9, v60
	s_delay_alu instid0(VALU_DEP_1) | instskip(NEXT) | instid1(VALU_DEP_2)
	v_sub_f32_e32 v9, v9, v55
	v_sub_f32_e32 v55, v58, v57
	s_delay_alu instid0(VALU_DEP_2) | instskip(SKIP_1) | instid1(VALU_DEP_2)
	v_add_f32_e32 v5, v5, v9
	v_add_f32_e32 v9, v59, v56
	;; [unrolled: 1-line block ×3, first 2 shown]
	s_delay_alu instid0(VALU_DEP_2) | instskip(NEXT) | instid1(VALU_DEP_2)
	v_sub_f32_e32 v55, v9, v59
	v_add_f32_e32 v5, v60, v5
	s_delay_alu instid0(VALU_DEP_2) | instskip(NEXT) | instid1(VALU_DEP_2)
	v_sub_f32_e32 v55, v56, v55
	v_mul_f32_e32 v5, v8, v5
	s_delay_alu instid0(VALU_DEP_1) | instskip(NEXT) | instid1(VALU_DEP_1)
	v_add_f32_e32 v5, v55, v5
	v_add_f32_e32 v8, v9, v5
	s_delay_alu instid0(VALU_DEP_1) | instskip(NEXT) | instid1(VALU_DEP_1)
	v_mul_f32_e32 v55, v8, v8
	v_fmaak_f32 v56, s66, v55, 0x3ecc95a3
	v_mul_f32_e32 v57, v8, v55
	s_delay_alu instid0(VALU_DEP_2) | instskip(SKIP_1) | instid1(VALU_DEP_2)
	v_fmaak_f32 v55, v55, v56, 0x3f2aaada
	v_ldexp_f32 v56, v8, 1
	v_dual_sub_f32 v8, v8, v9 :: v_dual_mul_f32 v55, v57, v55
	v_mul_f32_e32 v57, 0x3f317218, v4
	s_delay_alu instid0(VALU_DEP_2) | instskip(NEXT) | instid1(VALU_DEP_3)
	v_sub_f32_e32 v5, v5, v8
	v_add_f32_e32 v9, v56, v55
	s_delay_alu instid0(VALU_DEP_2) | instskip(NEXT) | instid1(VALU_DEP_2)
	v_ldexp_f32 v5, v5, 1
	v_sub_f32_e32 v8, v9, v56
	v_fma_f32 v56, 0x3f317218, v4, -v57
	s_delay_alu instid0(VALU_DEP_2) | instskip(NEXT) | instid1(VALU_DEP_2)
	v_sub_f32_e32 v8, v55, v8
	v_fmac_f32_e32 v56, 0xb102e308, v4
	s_delay_alu instid0(VALU_DEP_2) | instskip(NEXT) | instid1(VALU_DEP_2)
	v_add_f32_e32 v4, v5, v8
	v_add_f32_e32 v5, v57, v56
	s_delay_alu instid0(VALU_DEP_2) | instskip(NEXT) | instid1(VALU_DEP_2)
	v_add_f32_e32 v8, v9, v4
	v_sub_f32_e32 v57, v5, v57
	s_delay_alu instid0(VALU_DEP_2) | instskip(SKIP_1) | instid1(VALU_DEP_3)
	v_add_f32_e32 v55, v5, v8
	v_sub_f32_e32 v9, v8, v9
	v_sub_f32_e32 v56, v56, v57
	s_delay_alu instid0(VALU_DEP_3) | instskip(NEXT) | instid1(VALU_DEP_1)
	v_sub_f32_e32 v58, v55, v5
	v_dual_sub_f32 v4, v4, v9 :: v_dual_sub_f32 v59, v55, v58
	v_sub_f32_e32 v8, v8, v58
	s_delay_alu instid0(VALU_DEP_2) | instskip(NEXT) | instid1(VALU_DEP_3)
	v_add_f32_e32 v9, v56, v4
	v_sub_f32_e32 v5, v5, v59
	s_delay_alu instid0(VALU_DEP_1) | instskip(NEXT) | instid1(VALU_DEP_1)
	v_dual_add_f32 v5, v8, v5 :: v_dual_sub_f32 v8, v9, v56
	v_add_f32_e32 v5, v9, v5
	s_delay_alu instid0(VALU_DEP_2) | instskip(NEXT) | instid1(VALU_DEP_2)
	v_sub_f32_e32 v9, v9, v8
	v_dual_sub_f32 v4, v4, v8 :: v_dual_add_f32 v57, v55, v5
	s_delay_alu instid0(VALU_DEP_1) | instskip(NEXT) | instid1(VALU_DEP_1)
	v_dual_sub_f32 v9, v56, v9 :: v_dual_sub_f32 v8, v57, v55
	v_dual_add_f32 v4, v4, v9 :: v_dual_sub_f32 v5, v5, v8
	s_delay_alu instid0(VALU_DEP_1) | instskip(NEXT) | instid1(VALU_DEP_1)
	v_add_f32_e32 v4, v4, v5
	v_add_f32_e32 v4, v57, v4
	s_delay_alu instid0(VALU_DEP_1)
	v_cndmask_b32_e32 v55, v4, v6, vcc_lo
.LBB110_56:                             ;   in Loop: Header=BB110_12 Depth=1
	s_or_b32 exec_lo, exec_lo, s21
	v_lshrrev_b32_e32 v4, 16, v7
	s_delay_alu instid0(VALU_DEP_1) | instskip(NEXT) | instid1(VALU_DEP_1)
	v_cvt_f32_f16_e32 v4, v4
	v_add_f32_e32 v56, s52, v4
	s_delay_alu instid0(VALU_DEP_1) | instskip(SKIP_1) | instid1(SALU_CYCLE_1)
	v_cmp_ge_f32_e32 vcc_lo, 0x41a00000, v56
	s_and_b32 s20, s62, vcc_lo
	s_and_saveexec_b32 s21, s20
	s_cbranch_execz .LBB110_58
; %bb.57:                               ;   in Loop: Header=BB110_12 Depth=1
	v_mul_f32_e32 v4, 0x3fb8aa3b, v56
	v_cmp_ngt_f32_e32 vcc_lo, 0xc2ce8ed0, v56
	s_delay_alu instid0(VALU_DEP_2) | instskip(SKIP_1) | instid1(VALU_DEP_2)
	v_rndne_f32_e32 v5, v4
	v_fma_f32 v6, 0x3fb8aa3b, v56, -v4
	v_sub_f32_e32 v4, v4, v5
	s_delay_alu instid0(VALU_DEP_2) | instskip(SKIP_1) | instid1(VALU_DEP_2)
	v_fmac_f32_e32 v6, 0x32a5705f, v56
	v_cvt_i32_f32_e32 v5, v5
	v_add_f32_e32 v4, v4, v6
	s_delay_alu instid0(VALU_DEP_1) | instskip(SKIP_2) | instid1(VALU_DEP_1)
	v_exp_f32_e32 v4, v4
	s_waitcnt_depctr 0xfff
	v_ldexp_f32 v4, v4, v5
	v_cndmask_b32_e32 v4, 0, v4, vcc_lo
	v_cmp_nlt_f32_e32 vcc_lo, 0x42b17218, v56
	s_delay_alu instid0(VALU_DEP_2) | instskip(NEXT) | instid1(VALU_DEP_1)
	v_cndmask_b32_e32 v6, 0x7f800000, v4, vcc_lo
	v_add_f32_e32 v7, 1.0, v6
	s_delay_alu instid0(VALU_DEP_1) | instskip(NEXT) | instid1(VALU_DEP_1)
	v_cvt_f64_f32_e32 v[4:5], v7
	v_frexp_exp_i32_f64_e32 v4, v[4:5]
	v_frexp_mant_f32_e32 v5, v7
	s_delay_alu instid0(VALU_DEP_1) | instskip(SKIP_1) | instid1(VALU_DEP_1)
	v_cmp_gt_f32_e32 vcc_lo, 0x3f2aaaab, v5
	v_add_f32_e32 v5, -1.0, v7
	v_sub_f32_e32 v9, v5, v7
	v_sub_f32_e32 v5, v6, v5
	s_delay_alu instid0(VALU_DEP_2) | instskip(NEXT) | instid1(VALU_DEP_1)
	v_add_f32_e32 v9, 1.0, v9
	v_add_f32_e32 v5, v5, v9
	v_cmp_gt_f32_e64 s20, 0x33800000, v6
	v_subrev_co_ci_u32_e32 v4, vcc_lo, 0, v4, vcc_lo
	v_cmp_eq_f32_e32 vcc_lo, 0x7f800000, v6
	s_delay_alu instid0(VALU_DEP_2) | instskip(SKIP_2) | instid1(VALU_DEP_2)
	v_sub_nc_u32_e32 v8, 0, v4
	v_cvt_f32_i32_e32 v4, v4
	s_or_b32 vcc_lo, s20, vcc_lo
	v_ldexp_f32 v7, v7, v8
	v_ldexp_f32 v5, v5, v8
	s_delay_alu instid0(VALU_DEP_2) | instskip(NEXT) | instid1(VALU_DEP_1)
	v_add_f32_e32 v56, 1.0, v7
	v_dual_add_f32 v8, -1.0, v7 :: v_dual_add_f32 v9, -1.0, v56
	s_delay_alu instid0(VALU_DEP_1) | instskip(NEXT) | instid1(VALU_DEP_2)
	v_add_f32_e32 v57, 1.0, v8
	v_sub_f32_e32 v9, v7, v9
	s_delay_alu instid0(VALU_DEP_2) | instskip(NEXT) | instid1(VALU_DEP_2)
	v_sub_f32_e32 v7, v7, v57
	v_add_f32_e32 v9, v5, v9
	s_delay_alu instid0(VALU_DEP_2) | instskip(NEXT) | instid1(VALU_DEP_1)
	v_add_f32_e32 v5, v5, v7
	v_add_f32_e32 v58, v8, v5
	s_delay_alu instid0(VALU_DEP_1) | instskip(NEXT) | instid1(VALU_DEP_4)
	v_sub_f32_e32 v8, v8, v58
	v_add_f32_e32 v57, v56, v9
	s_delay_alu instid0(VALU_DEP_1) | instskip(NEXT) | instid1(VALU_DEP_2)
	v_rcp_f32_e32 v7, v57
	v_dual_sub_f32 v56, v56, v57 :: v_dual_add_f32 v5, v5, v8
	s_delay_alu instid0(VALU_DEP_1) | instskip(SKIP_2) | instid1(VALU_DEP_1)
	v_add_f32_e32 v9, v9, v56
	s_waitcnt_depctr 0xfff
	v_mul_f32_e32 v59, v58, v7
	v_mul_f32_e32 v60, v57, v59
	s_delay_alu instid0(VALU_DEP_1) | instskip(NEXT) | instid1(VALU_DEP_1)
	v_fma_f32 v56, v59, v57, -v60
	v_fmac_f32_e32 v56, v59, v9
	s_delay_alu instid0(VALU_DEP_1) | instskip(NEXT) | instid1(VALU_DEP_1)
	v_add_f32_e32 v61, v60, v56
	v_sub_f32_e32 v62, v58, v61
	v_sub_f32_e32 v8, v61, v60
	s_delay_alu instid0(VALU_DEP_2) | instskip(NEXT) | instid1(VALU_DEP_1)
	v_sub_f32_e32 v58, v58, v62
	v_sub_f32_e32 v58, v58, v61
	s_delay_alu instid0(VALU_DEP_1) | instskip(NEXT) | instid1(VALU_DEP_1)
	v_dual_sub_f32 v8, v8, v56 :: v_dual_add_f32 v5, v5, v58
	v_add_f32_e32 v5, v8, v5
	s_delay_alu instid0(VALU_DEP_1) | instskip(NEXT) | instid1(VALU_DEP_1)
	v_add_f32_e32 v8, v62, v5
	v_mul_f32_e32 v56, v7, v8
	v_sub_f32_e32 v61, v62, v8
	s_delay_alu instid0(VALU_DEP_2) | instskip(NEXT) | instid1(VALU_DEP_2)
	v_mul_f32_e32 v58, v57, v56
	v_add_f32_e32 v5, v5, v61
	s_delay_alu instid0(VALU_DEP_2) | instskip(NEXT) | instid1(VALU_DEP_1)
	v_fma_f32 v57, v56, v57, -v58
	v_fmac_f32_e32 v57, v56, v9
	s_delay_alu instid0(VALU_DEP_1) | instskip(NEXT) | instid1(VALU_DEP_1)
	v_add_f32_e32 v9, v58, v57
	v_sub_f32_e32 v60, v8, v9
	s_delay_alu instid0(VALU_DEP_1) | instskip(NEXT) | instid1(VALU_DEP_1)
	v_sub_f32_e32 v8, v8, v60
	v_sub_f32_e32 v8, v8, v9
	s_delay_alu instid0(VALU_DEP_1) | instskip(SKIP_2) | instid1(VALU_DEP_1)
	v_add_f32_e32 v5, v5, v8
	v_add_f32_e32 v8, v59, v56
	v_sub_f32_e32 v58, v9, v58
	v_sub_f32_e32 v9, v58, v57
	s_delay_alu instid0(VALU_DEP_1) | instskip(NEXT) | instid1(VALU_DEP_4)
	v_add_f32_e32 v5, v9, v5
	v_sub_f32_e32 v9, v8, v59
	s_delay_alu instid0(VALU_DEP_2) | instskip(NEXT) | instid1(VALU_DEP_2)
	v_add_f32_e32 v5, v60, v5
	v_sub_f32_e32 v9, v56, v9
	s_delay_alu instid0(VALU_DEP_2) | instskip(NEXT) | instid1(VALU_DEP_1)
	v_mul_f32_e32 v5, v7, v5
	v_add_f32_e32 v5, v9, v5
	s_delay_alu instid0(VALU_DEP_1) | instskip(NEXT) | instid1(VALU_DEP_1)
	v_add_f32_e32 v7, v8, v5
	v_mul_f32_e32 v9, v7, v7
	s_delay_alu instid0(VALU_DEP_1) | instskip(SKIP_1) | instid1(VALU_DEP_2)
	v_fmaak_f32 v56, s66, v9, 0x3ecc95a3
	v_mul_f32_e32 v57, v7, v9
	v_fmaak_f32 v9, v9, v56, 0x3f2aaada
	v_ldexp_f32 v56, v7, 1
	v_sub_f32_e32 v7, v7, v8
	s_delay_alu instid0(VALU_DEP_3) | instskip(SKIP_1) | instid1(VALU_DEP_2)
	v_mul_f32_e32 v9, v57, v9
	v_mul_f32_e32 v57, 0x3f317218, v4
	v_dual_sub_f32 v5, v5, v7 :: v_dual_add_f32 v8, v56, v9
	s_delay_alu instid0(VALU_DEP_1) | instskip(NEXT) | instid1(VALU_DEP_2)
	v_ldexp_f32 v5, v5, 1
	v_sub_f32_e32 v7, v8, v56
	s_delay_alu instid0(VALU_DEP_4) | instskip(NEXT) | instid1(VALU_DEP_1)
	v_fma_f32 v56, 0x3f317218, v4, -v57
	v_dual_sub_f32 v7, v9, v7 :: v_dual_fmac_f32 v56, 0xb102e308, v4
	s_delay_alu instid0(VALU_DEP_1) | instskip(NEXT) | instid1(VALU_DEP_1)
	v_add_f32_e32 v4, v5, v7
	v_add_f32_e32 v7, v8, v4
	s_delay_alu instid0(VALU_DEP_1) | instskip(NEXT) | instid1(VALU_DEP_1)
	v_sub_f32_e32 v8, v7, v8
	v_sub_f32_e32 v4, v4, v8
	v_add_f32_e32 v5, v57, v56
	s_delay_alu instid0(VALU_DEP_1) | instskip(SKIP_1) | instid1(VALU_DEP_2)
	v_add_f32_e32 v9, v5, v7
	v_sub_f32_e32 v57, v5, v57
	v_sub_f32_e32 v58, v9, v5
	s_delay_alu instid0(VALU_DEP_1) | instskip(NEXT) | instid1(VALU_DEP_1)
	v_dual_sub_f32 v56, v56, v57 :: v_dual_sub_f32 v59, v9, v58
	v_dual_sub_f32 v7, v7, v58 :: v_dual_add_f32 v8, v56, v4
	s_delay_alu instid0(VALU_DEP_2) | instskip(NEXT) | instid1(VALU_DEP_1)
	v_sub_f32_e32 v5, v5, v59
	v_add_f32_e32 v5, v7, v5
	s_delay_alu instid0(VALU_DEP_3) | instskip(NEXT) | instid1(VALU_DEP_2)
	v_sub_f32_e32 v7, v8, v56
	v_add_f32_e32 v5, v8, v5
	s_delay_alu instid0(VALU_DEP_2) | instskip(NEXT) | instid1(VALU_DEP_2)
	v_sub_f32_e32 v8, v8, v7
	v_dual_sub_f32 v4, v4, v7 :: v_dual_add_f32 v57, v9, v5
	s_delay_alu instid0(VALU_DEP_1) | instskip(NEXT) | instid1(VALU_DEP_1)
	v_dual_sub_f32 v8, v56, v8 :: v_dual_sub_f32 v7, v57, v9
	v_dual_add_f32 v4, v4, v8 :: v_dual_sub_f32 v5, v5, v7
	s_delay_alu instid0(VALU_DEP_1) | instskip(NEXT) | instid1(VALU_DEP_1)
	v_add_f32_e32 v4, v4, v5
	v_add_f32_e32 v4, v57, v4
	s_delay_alu instid0(VALU_DEP_1)
	v_cndmask_b32_e32 v56, v4, v6, vcc_lo
.LBB110_58:                             ;   in Loop: Header=BB110_12 Depth=1
	s_or_b32 exec_lo, exec_lo, s21
	v_lshrrev_b32_e32 v5, 16, v2
	v_lshrrev_b32_e32 v6, 16, v3
	;; [unrolled: 1-line block ×4, first 2 shown]
	v_cvt_f32_f16_e32 v4, v3
	v_cvt_f32_f16_e32 v2, v2
	;; [unrolled: 1-line block ×8, first 2 shown]
	v_dual_mul_f32 v57, s53, v4 :: v_dual_mul_f32 v58, s53, v3
	v_mul_f32_e32 v61, s53, v2
	s_delay_alu instid0(VALU_DEP_4)
	v_dual_mul_f32 v59, s53, v5 :: v_dual_mul_f32 v60, s53, v6
	v_dual_mul_f32 v63, s53, v1 :: v_dual_mul_f32 v62, s53, v7
	v_mul_f32_e32 v64, s53, v0
	s_and_b32 vcc_lo, exec_lo, s63
	s_barrier
	buffer_gl0_inv
	s_cbranch_vccz .LBB110_122
; %bb.59:                               ;   in Loop: Header=BB110_12 Depth=1
	v_dual_mul_f32 v65, v56, v7 :: v_dual_mul_f32 v70, v55, v4
	v_add_co_u32 v7, s20, s41, v47
	s_delay_alu instid0(VALU_DEP_1) | instskip(SKIP_1) | instid1(VALU_DEP_1)
	v_add_co_ci_u32_e64 v8, null, s51, 0, s20
	v_add_co_u32 v9, s20, s45, v47
	v_add_co_ci_u32_e64 v69, null, s48, 0, s20
	s_delay_alu instid0(VALU_DEP_4) | instskip(NEXT) | instid1(VALU_DEP_4)
	v_add_co_u32 v66, vcc_lo, v7, v48
	v_add_co_ci_u32_e32 v67, vcc_lo, 0, v8, vcc_lo
	s_delay_alu instid0(VALU_DEP_4) | instskip(NEXT) | instid1(VALU_DEP_4)
	v_add_co_u32 v68, vcc_lo, v9, v48
	v_add_co_ci_u32_e32 v69, vcc_lo, 0, v69, vcc_lo
	v_cmp_gt_u32_e32 vcc_lo, s23, v10
	s_cmp_lg_u32 s68, 0
	v_cmp_gt_u32_e64 s21, s23, v40
	s_cselect_b32 s31, -1, 0
	s_cmp_eq_u32 s68, s65
	v_cmp_gt_u32_e64 s22, s23, v41
	s_cselect_b32 s69, -1, 0
	s_or_b32 s20, s64, vcc_lo
	v_cmp_gt_u32_e32 vcc_lo, s23, v42
	v_cmp_gt_u32_e64 s24, s23, v43
	v_cmp_gt_u32_e64 s25, s23, v44
	v_cmp_gt_u32_e64 s26, s23, v45
	v_cmp_gt_u32_e64 s27, s23, v46
	v_dual_mul_f32 v71, v54, v3 :: v_dual_mul_f32 v72, v53, v2
	v_dual_mul_f32 v73, v52, v5 :: v_dual_mul_f32 v76, v49, v0
	;; [unrolled: 1-line block ×3, first 2 shown]
	s_mov_b32 s34, 0
	s_or_b32 s21, s64, s21
	s_or_b32 s22, s64, s22
	s_or_b32 s23, s64, vcc_lo
	s_or_b32 s24, s64, s24
	s_or_b32 s25, s64, s25
	;; [unrolled: 1-line block ×4, first 2 shown]
	s_mov_b32 s38, s34
	s_mov_b32 s42, s34
	;; [unrolled: 1-line block ×5, first 2 shown]
	s_branch .LBB110_61
.LBB110_60:                             ;   in Loop: Header=BB110_61 Depth=2
	s_or_b32 exec_lo, exec_lo, s28
	v_cndmask_b32_e64 v5, v94, v7, s11
	v_cndmask_b32_e64 v6, v93, v6, s11
	s_add_i32 s70, s70, -1
	s_add_i32 s71, s71, 8
	s_add_i32 s46, s46, s50
	v_fma_f32 v5, v5, v80, v78
	v_mul_f32_e32 v6, v6, v80
	s_add_i32 s42, s42, s44
	s_add_i32 s38, s38, s40
	s_add_i32 s34, s34, s37
	v_cndmask_b32_e64 v5, v5, v78, s10
	v_cndmask_b32_e64 v6, v6, v80, s10
	s_cmp_eq_u32 s70, 0
	s_waitcnt lgkmcnt(0)
	s_delay_alu instid0(VALU_DEP_1) | instskip(NEXT) | instid1(VALU_DEP_1)
	v_fmac_f32_e32 v5, v4, v6
	v_fmac_f32_e32 v77, v5, v82
	v_fma_mix_f32 v64, v5, v0, v64 op_sel_hi:[0,1,0]
	s_delay_alu instid0(VALU_DEP_2) | instskip(SKIP_1) | instid1(VALU_DEP_2)
	v_fmac_f32_e32 v79, v77, v84
	v_fma_mix_f32 v60, v77, v0, v60 op_sel:[0,1,0] op_sel_hi:[0,1,0]
	v_fmac_f32_e32 v81, v79, v86
	v_fma_mix_f32 v63, v79, v1, v63 op_sel_hi:[0,1,0]
	s_delay_alu instid0(VALU_DEP_2) | instskip(SKIP_1) | instid1(VALU_DEP_2)
	v_fmac_f32_e32 v83, v81, v87
	v_fma_mix_f32 v59, v81, v1, v59 op_sel:[0,1,0] op_sel_hi:[0,1,0]
	;; [unrolled: 5-line block ×3, first 2 shown]
	v_fmac_f32_e32 v89, v88, v91
	v_fma_mix_f32 v57, v88, v3, v57 op_sel_hi:[0,1,0]
	s_delay_alu instid0(VALU_DEP_2)
	v_fma_mix_f32 v62, v89, v3, v62 op_sel:[0,1,0] op_sel_hi:[0,1,0]
	s_cbranch_scc1 .LBB110_122
.LBB110_61:                             ;   Parent Loop BB110_12 Depth=1
                                        ; =>  This Inner Loop Header: Depth=2
	s_lshl_b64 s[72:73], s[34:35], 2
	s_mov_b32 s39, s35
	s_add_u32 s72, s57, s72
	s_addc_u32 s73, s58, s73
	v_dual_mov_b32 v2, 0 :: v_dual_mov_b32 v3, 0
	global_load_b32 v77, v13, s[72:73]
	s_lshl_b64 s[72:73], s[38:39], 1
	s_delay_alu instid0(SALU_CYCLE_1)
	v_add_co_u32 v0, vcc_lo, v66, s72
	v_add_co_ci_u32_e32 v1, vcc_lo, s73, v67, vcc_lo
	s_and_saveexec_b32 s28, s12
	s_cbranch_execnz .LBB110_81
; %bb.62:                               ;   in Loop: Header=BB110_61 Depth=2
	s_or_b32 exec_lo, exec_lo, s28
	s_and_saveexec_b32 s28, s13
	s_cbranch_execnz .LBB110_82
.LBB110_63:                             ;   in Loop: Header=BB110_61 Depth=2
	s_or_b32 exec_lo, exec_lo, s28
	v_mov_b32_e32 v4, 0
	s_and_saveexec_b32 s28, s14
	s_cbranch_execnz .LBB110_83
.LBB110_64:                             ;   in Loop: Header=BB110_61 Depth=2
	s_or_b32 exec_lo, exec_lo, s28
	s_and_saveexec_b32 s28, s15
	s_cbranch_execnz .LBB110_84
.LBB110_65:                             ;   in Loop: Header=BB110_61 Depth=2
	s_or_b32 exec_lo, exec_lo, s28
	v_mov_b32_e32 v5, 0
	s_and_saveexec_b32 s28, s16
	s_cbranch_execnz .LBB110_85
.LBB110_66:                             ;   in Loop: Header=BB110_61 Depth=2
	s_or_b32 exec_lo, exec_lo, s28
	s_and_saveexec_b32 s28, s17
	s_cbranch_execnz .LBB110_86
.LBB110_67:                             ;   in Loop: Header=BB110_61 Depth=2
	s_or_b32 exec_lo, exec_lo, s28
	v_mov_b32_e32 v6, 0
	s_and_saveexec_b32 s28, s18
	s_cbranch_execnz .LBB110_87
.LBB110_68:                             ;   in Loop: Header=BB110_61 Depth=2
	s_or_b32 exec_lo, exec_lo, s28
	s_and_saveexec_b32 s28, s19
	s_cbranch_execz .LBB110_70
.LBB110_69:                             ;   in Loop: Header=BB110_61 Depth=2
	global_load_u16 v0, v[0:1], off offset:448
	s_waitcnt vmcnt(0)
	v_lshl_or_b32 v6, v0, 16, v6
.LBB110_70:                             ;   in Loop: Header=BB110_61 Depth=2
	s_or_b32 exec_lo, exec_lo, s28
	s_waitcnt vmcnt(0)
	ds_store_b16 v20, v3
	ds_store_b16 v20, v2 offset:64
	ds_store_b16 v21, v4 offset:128
	ds_store_b16_d16_hi v22, v4 offset:192
	ds_store_b16 v23, v5 offset:256
	ds_store_b16_d16_hi v24, v5 offset:320
	;; [unrolled: 2-line block ×3, first 2 shown]
	; wave barrier
	ds_load_b128 v[4:7], v27
	s_mov_b32 s43, s35
	v_dual_mov_b32 v2, 0 :: v_dual_mov_b32 v3, 0
	s_lshl_b64 s[72:73], s[42:43], 1
	s_delay_alu instid0(SALU_CYCLE_1)
	v_add_co_u32 v0, vcc_lo, v68, s72
	v_add_co_ci_u32_e32 v1, vcc_lo, s73, v69, vcc_lo
	s_and_saveexec_b32 s28, s12
	s_cbranch_execnz .LBB110_88
; %bb.71:                               ;   in Loop: Header=BB110_61 Depth=2
	s_or_b32 exec_lo, exec_lo, s28
	s_and_saveexec_b32 s28, s13
	s_cbranch_execnz .LBB110_89
.LBB110_72:                             ;   in Loop: Header=BB110_61 Depth=2
	s_or_b32 exec_lo, exec_lo, s28
	v_mov_b32_e32 v8, 0
	s_and_saveexec_b32 s28, s14
	s_cbranch_execnz .LBB110_90
.LBB110_73:                             ;   in Loop: Header=BB110_61 Depth=2
	s_or_b32 exec_lo, exec_lo, s28
	s_and_saveexec_b32 s28, s15
	s_cbranch_execnz .LBB110_91
.LBB110_74:                             ;   in Loop: Header=BB110_61 Depth=2
	s_or_b32 exec_lo, exec_lo, s28
	v_mov_b32_e32 v9, 0
	s_and_saveexec_b32 s28, s16
	s_cbranch_execnz .LBB110_92
.LBB110_75:                             ;   in Loop: Header=BB110_61 Depth=2
	s_or_b32 exec_lo, exec_lo, s28
	s_and_saveexec_b32 s28, s17
	s_cbranch_execnz .LBB110_93
.LBB110_76:                             ;   in Loop: Header=BB110_61 Depth=2
	s_or_b32 exec_lo, exec_lo, s28
	v_mov_b32_e32 v78, 0
	s_and_saveexec_b32 s28, s18
	s_cbranch_execnz .LBB110_94
.LBB110_77:                             ;   in Loop: Header=BB110_61 Depth=2
	s_or_b32 exec_lo, exec_lo, s28
	s_and_saveexec_b32 s28, s19
	s_cbranch_execz .LBB110_79
.LBB110_78:                             ;   in Loop: Header=BB110_61 Depth=2
	global_load_u16 v0, v[0:1], off offset:448
	s_waitcnt vmcnt(0)
	v_lshl_or_b32 v78, v0, 16, v78
.LBB110_79:                             ;   in Loop: Header=BB110_61 Depth=2
	s_or_b32 exec_lo, exec_lo, s28
	s_waitcnt vmcnt(0)
	ds_store_b16 v20, v3 offset:1056
	ds_store_b16 v28, v2 offset:64
	;; [unrolled: 1-line block ×3, first 2 shown]
	ds_store_b16_d16_hi v30, v8 offset:192
	ds_store_b16 v31, v9 offset:256
	ds_store_b16_d16_hi v32, v9 offset:320
	ds_store_b16 v33, v78 offset:384
	ds_store_b16_d16_hi v34, v78 offset:448
	; wave barrier
	ds_load_b128 v[0:3], v27 offset:1056
	s_and_not1_b32 vcc_lo, exec_lo, s31
	s_cbranch_vccnz .LBB110_95
; %bb.80:                               ;   in Loop: Header=BB110_61 Depth=2
	v_mov_b32_e32 v8, s71
	ds_load_b64 v[8:9], v8
	s_cbranch_execz .LBB110_96
	s_branch .LBB110_99
.LBB110_81:                             ;   in Loop: Header=BB110_61 Depth=2
	global_load_u16 v3, v[0:1], off
	s_or_b32 exec_lo, exec_lo, s28
	s_and_saveexec_b32 s28, s13
	s_cbranch_execz .LBB110_63
.LBB110_82:                             ;   in Loop: Header=BB110_61 Depth=2
	global_load_u16 v2, v[0:1], off offset:64
	s_or_b32 exec_lo, exec_lo, s28
	v_mov_b32_e32 v4, 0
	s_and_saveexec_b32 s28, s14
	s_cbranch_execz .LBB110_64
.LBB110_83:                             ;   in Loop: Header=BB110_61 Depth=2
	global_load_u16 v4, v[0:1], off offset:128
	s_or_b32 exec_lo, exec_lo, s28
	s_and_saveexec_b32 s28, s15
	s_cbranch_execz .LBB110_65
.LBB110_84:                             ;   in Loop: Header=BB110_61 Depth=2
	global_load_u16 v5, v[0:1], off offset:192
	s_waitcnt vmcnt(0)
	v_lshl_or_b32 v4, v5, 16, v4
	s_or_b32 exec_lo, exec_lo, s28
	v_mov_b32_e32 v5, 0
	s_and_saveexec_b32 s28, s16
	s_cbranch_execz .LBB110_66
.LBB110_85:                             ;   in Loop: Header=BB110_61 Depth=2
	global_load_u16 v5, v[0:1], off offset:256
	s_or_b32 exec_lo, exec_lo, s28
	s_and_saveexec_b32 s28, s17
	s_cbranch_execz .LBB110_67
.LBB110_86:                             ;   in Loop: Header=BB110_61 Depth=2
	global_load_u16 v6, v[0:1], off offset:320
	s_waitcnt vmcnt(0)
	v_lshl_or_b32 v5, v6, 16, v5
	s_or_b32 exec_lo, exec_lo, s28
	v_mov_b32_e32 v6, 0
	s_and_saveexec_b32 s28, s18
	s_cbranch_execz .LBB110_68
.LBB110_87:                             ;   in Loop: Header=BB110_61 Depth=2
	global_load_u16 v6, v[0:1], off offset:384
	s_or_b32 exec_lo, exec_lo, s28
	s_and_saveexec_b32 s28, s19
	s_cbranch_execnz .LBB110_69
	s_branch .LBB110_70
.LBB110_88:                             ;   in Loop: Header=BB110_61 Depth=2
	global_load_u16 v3, v[0:1], off
	s_or_b32 exec_lo, exec_lo, s28
	s_and_saveexec_b32 s28, s13
	s_cbranch_execz .LBB110_72
.LBB110_89:                             ;   in Loop: Header=BB110_61 Depth=2
	global_load_u16 v2, v[0:1], off offset:64
	s_or_b32 exec_lo, exec_lo, s28
	v_mov_b32_e32 v8, 0
	s_and_saveexec_b32 s28, s14
	s_cbranch_execz .LBB110_73
.LBB110_90:                             ;   in Loop: Header=BB110_61 Depth=2
	global_load_u16 v8, v[0:1], off offset:128
	s_or_b32 exec_lo, exec_lo, s28
	s_and_saveexec_b32 s28, s15
	s_cbranch_execz .LBB110_74
.LBB110_91:                             ;   in Loop: Header=BB110_61 Depth=2
	global_load_u16 v9, v[0:1], off offset:192
	s_waitcnt vmcnt(0)
	v_lshl_or_b32 v8, v9, 16, v8
	s_or_b32 exec_lo, exec_lo, s28
	v_mov_b32_e32 v9, 0
	s_and_saveexec_b32 s28, s16
	s_cbranch_execz .LBB110_75
.LBB110_92:                             ;   in Loop: Header=BB110_61 Depth=2
	global_load_u16 v9, v[0:1], off offset:256
	s_or_b32 exec_lo, exec_lo, s28
	s_and_saveexec_b32 s28, s17
	s_cbranch_execz .LBB110_76
.LBB110_93:                             ;   in Loop: Header=BB110_61 Depth=2
	global_load_u16 v78, v[0:1], off offset:320
	s_waitcnt vmcnt(0)
	v_lshl_or_b32 v9, v78, 16, v9
	s_or_b32 exec_lo, exec_lo, s28
	v_mov_b32_e32 v78, 0
	s_and_saveexec_b32 s28, s18
	s_cbranch_execz .LBB110_77
.LBB110_94:                             ;   in Loop: Header=BB110_61 Depth=2
	global_load_u16 v78, v[0:1], off offset:384
	s_or_b32 exec_lo, exec_lo, s28
	s_and_saveexec_b32 s28, s19
	s_cbranch_execnz .LBB110_78
	s_branch .LBB110_79
.LBB110_95:                             ;   in Loop: Header=BB110_61 Depth=2
                                        ; implicit-def: $vgpr8
.LBB110_96:                             ;   in Loop: Header=BB110_61 Depth=2
	s_waitcnt lgkmcnt(0)
	v_mov_b32_e32 v9, 0
	s_and_not1_b32 vcc_lo, exec_lo, s33
	s_cbranch_vccnz .LBB110_98
; %bb.97:                               ;   in Loop: Header=BB110_61 Depth=2
	s_mov_b32 s47, s35
	s_delay_alu instid0(SALU_CYCLE_1) | instskip(NEXT) | instid1(SALU_CYCLE_1)
	s_lshl_b64 s[72:73], s[46:47], 2
	s_add_u32 s72, s59, s72
	s_addc_u32 s73, s60, s73
	global_load_b32 v9, v13, s[72:73]
.LBB110_98:                             ;   in Loop: Header=BB110_61 Depth=2
	v_mov_b32_e32 v8, 1.0
.LBB110_99:                             ;   in Loop: Header=BB110_61 Depth=2
	s_waitcnt lgkmcnt(9)
	v_lshrrev_b32_e32 v78, 16, v5
	v_lshrrev_b32_e32 v81, 16, v7
	v_cvt_f32_f16_e32 v7, v7
	v_lshrrev_b32_e32 v79, 16, v6
	v_cvt_f32_f16_e32 v5, v5
	v_cvt_f32_f16_e32 v83, v78
	v_mul_f32_e32 v88, 0x3fb8aa3b, v77
	v_cvt_f32_f16_e32 v89, v81
	v_lshrrev_b32_e32 v77, 16, v4
	v_cvt_f32_f16_e32 v4, v4
	s_delay_alu instid0(VALU_DEP_4)
	v_dual_mul_f32 v83, v73, v83 :: v_dual_mul_f32 v80, v88, v49
	v_mul_f32_e32 v7, v70, v7
	v_cvt_f32_f16_e32 v85, v79
	v_cvt_f32_f16_e32 v77, v77
	v_mul_f32_e32 v79, v88, v51
	v_cmp_gt_f32_e32 vcc_lo, 0xc2fc0000, v80
	v_mul_f32_e32 v4, v76, v4
	v_cvt_f32_f16_e32 v6, v6
	v_mul_f32_e32 v91, v88, v56
	v_mul_f32_e32 v5, v74, v5
	v_cndmask_b32_e64 v80, 0, 0x42800000, vcc_lo
	v_cndmask_b32_e64 v81, 1.0, 0x1f800000, vcc_lo
	v_dual_mul_f32 v6, v72, v6 :: v_dual_mul_f32 v85, v71, v85
	v_mul_f32_e32 v89, v65, v89
	s_delay_alu instid0(VALU_DEP_4) | instskip(NEXT) | instid1(VALU_DEP_3)
	v_fmac_f32_e32 v80, v88, v49
	v_cndmask_b32_e64 v85, 0, v85, s25
	s_delay_alu instid0(VALU_DEP_3) | instskip(NEXT) | instid1(VALU_DEP_3)
	v_cndmask_b32_e64 v89, 0, v89, s27
	v_exp_f32_e32 v78, v80
	s_waitcnt_depctr 0xfff
	v_dual_mul_f32 v82, v88, v50 :: v_dual_mul_f32 v81, v78, v81
	s_delay_alu instid0(VALU_DEP_1) | instskip(SKIP_3) | instid1(VALU_DEP_4)
	v_cmp_gt_f32_e64 s28, 0xc2fc0000, v82
	v_cndmask_b32_e64 v78, 0, v4, s20
	v_mul_f32_e32 v4, v75, v77
	v_cmp_gt_f32_e32 vcc_lo, 0xc2fc0000, v79
	v_cndmask_b32_e64 v82, 0, 0x42800000, s28
	v_cndmask_b32_e64 v84, 1.0, 0x1f800000, s28
	s_delay_alu instid0(VALU_DEP_4) | instskip(SKIP_1) | instid1(VALU_DEP_4)
	v_cndmask_b32_e64 v77, 0, v4, s21
	v_cndmask_b32_e64 v79, 0, 0x42800000, vcc_lo
	v_fmac_f32_e32 v82, v88, v50
	s_delay_alu instid0(VALU_DEP_1) | instskip(SKIP_1) | instid1(VALU_DEP_1)
	v_exp_f32_e32 v80, v82
	v_mul_f32_e32 v82, v88, v52
	v_cmp_gt_f32_e64 s28, 0xc2fc0000, v82
	s_waitcnt_depctr 0xfff
	v_mul_f32_e32 v84, v80, v84
	v_cndmask_b32_e64 v80, 1.0, v81, s20
	v_cndmask_b32_e64 v81, 0, 0x42800000, s28
	s_delay_alu instid0(VALU_DEP_3) | instskip(SKIP_1) | instid1(VALU_DEP_3)
	v_cndmask_b32_e64 v82, 1.0, v84, s21
	v_cndmask_b32_e64 v84, 1.0, 0x1f800000, vcc_lo
	v_fmac_f32_e32 v81, v88, v52
	s_delay_alu instid0(VALU_DEP_1) | instskip(SKIP_1) | instid1(VALU_DEP_1)
	v_exp_f32_e32 v81, v81
	v_fmac_f32_e32 v79, v88, v51
	v_exp_f32_e32 v4, v79
	v_mul_f32_e32 v79, v88, v53
	s_delay_alu instid0(VALU_DEP_1)
	v_cmp_gt_f32_e32 vcc_lo, 0xc2fc0000, v79
	v_cndmask_b32_e64 v79, 0, v5, s22
	v_cndmask_b32_e64 v5, 1.0, 0x1f800000, s28
	s_waitcnt_depctr 0xfff
	v_mul_f32_e32 v4, v4, v84
	v_cndmask_b32_e64 v86, 0, 0x42800000, vcc_lo
	s_delay_alu instid0(VALU_DEP_2) | instskip(SKIP_1) | instid1(VALU_DEP_3)
	v_cndmask_b32_e64 v84, 1.0, v4, s22
	v_mul_f32_e32 v87, v88, v54
	v_fmac_f32_e32 v86, v88, v53
	v_mul_f32_e32 v4, v81, v5
	v_cndmask_b32_e64 v5, 1.0, 0x1f800000, vcc_lo
	v_cndmask_b32_e64 v81, 0, v83, s23
	v_cmp_gt_f32_e64 s28, 0xc2fc0000, v87
	v_exp_f32_e32 v90, v86
	v_cndmask_b32_e64 v86, 1.0, v4, s23
	v_cndmask_b32_e64 v83, 0, v6, s24
	s_delay_alu instid0(VALU_DEP_3) | instskip(SKIP_3) | instid1(VALU_DEP_4)
	v_cndmask_b32_e64 v87, 0, 0x42800000, s28
	v_cndmask_b32_e64 v6, 1.0, 0x1f800000, s28
	v_cmp_gt_f32_e64 s28, 0xc2fc0000, v91
	v_fma_f32 v91, v82, v78, v77
	v_fmac_f32_e32 v87, v88, v54
	s_delay_alu instid0(TRANS32_DEP_1) | instskip(NEXT) | instid1(VALU_DEP_2)
	v_mul_f32_e32 v5, v90, v5
	v_exp_f32_e32 v4, v87
	v_mul_f32_e32 v87, v88, v55
	s_delay_alu instid0(VALU_DEP_1) | instskip(NEXT) | instid1(VALU_DEP_3)
	v_cmp_gt_f32_e32 vcc_lo, 0xc2fc0000, v87
	v_cndmask_b32_e64 v87, 1.0, v5, s24
	v_cndmask_b32_e64 v5, 0, 0x42800000, s28
	s_waitcnt_depctr 0xfff
	v_mul_f32_e32 v4, v4, v6
	v_cndmask_b32_e64 v90, 0, 0x42800000, vcc_lo
	v_mul_f32_e32 v6, v82, v80
	v_fmac_f32_e32 v5, v88, v56
	s_delay_alu instid0(VALU_DEP_4) | instskip(NEXT) | instid1(VALU_DEP_4)
	v_cndmask_b32_e64 v92, 1.0, v4, s25
	v_fmac_f32_e32 v90, v88, v55
	s_delay_alu instid0(VALU_DEP_4)
	v_mul_f32_e32 v4, v6, v84
	v_fma_f32 v6, v91, v84, v79
	v_cndmask_b32_e64 v88, 1.0, 0x1f800000, vcc_lo
	v_exp_f32_e32 v5, v5
	v_exp_f32_e32 v90, v90
	v_mul_f32_e32 v4, v4, v86
	v_fma_f32 v6, v6, v86, v81
	s_delay_alu instid0(VALU_DEP_2) | instskip(NEXT) | instid1(VALU_DEP_2)
	v_mul_f32_e32 v4, v4, v87
	v_fma_f32 v6, v6, v87, v83
	s_waitcnt_depctr 0xfff
	v_mul_f32_e32 v90, v90, v88
	v_cndmask_b32_e64 v88, 0, v7, s26
	v_cndmask_b32_e64 v7, 1.0, 0x1f800000, s28
	v_mul_f32_e32 v4, v4, v92
	v_fma_f32 v6, v6, v92, v85
	v_cndmask_b32_e64 v90, 1.0, v90, s26
	s_delay_alu instid0(VALU_DEP_1) | instskip(NEXT) | instid1(VALU_DEP_1)
	v_dual_mul_f32 v5, v5, v7 :: v_dual_mul_f32 v4, v4, v90
	v_cndmask_b32_e64 v91, 1.0, v5, s27
	s_delay_alu instid0(VALU_DEP_4) | instskip(NEXT) | instid1(VALU_DEP_2)
	v_fma_f32 v5, v6, v90, v88
	v_mul_f32_e32 v4, v4, v91
	s_delay_alu instid0(VALU_DEP_2) | instskip(NEXT) | instid1(VALU_DEP_2)
	v_fma_f32 v5, v5, v91, v89
	v_mov_b32_dpp v7, v4 row_shr:1 row_mask:0xf bank_mask:0xf
	s_delay_alu instid0(VALU_DEP_2)
	v_mov_b32_dpp v6, v5 row_shr:1 row_mask:0xf bank_mask:0xf
	s_and_saveexec_b32 s28, s0
; %bb.100:                              ;   in Loop: Header=BB110_61 Depth=2
	s_delay_alu instid0(VALU_DEP_2) | instskip(NEXT) | instid1(VALU_DEP_1)
	v_mul_f32_e32 v7, v4, v7
	v_dual_fmac_f32 v5, v4, v6 :: v_dual_mov_b32 v4, v7
; %bb.101:                              ;   in Loop: Header=BB110_61 Depth=2
	s_or_b32 exec_lo, exec_lo, s28
	s_delay_alu instid0(VALU_DEP_1) | instskip(NEXT) | instid1(VALU_DEP_2)
	v_mov_b32_dpp v6, v4 row_shr:2 row_mask:0xf bank_mask:0xf
	v_mov_b32_dpp v7, v5 row_shr:2 row_mask:0xf bank_mask:0xf
	s_and_saveexec_b32 s28, s1
; %bb.102:                              ;   in Loop: Header=BB110_61 Depth=2
	s_delay_alu instid0(VALU_DEP_1) | instskip(NEXT) | instid1(VALU_DEP_3)
	v_fmac_f32_e32 v5, v4, v7
	v_mul_f32_e32 v4, v4, v6
; %bb.103:                              ;   in Loop: Header=BB110_61 Depth=2
	s_or_b32 exec_lo, exec_lo, s28
	s_delay_alu instid0(VALU_DEP_1) | instskip(NEXT) | instid1(VALU_DEP_3)
	v_mov_b32_dpp v6, v4 row_shr:4 row_mask:0xf bank_mask:0xf
	v_mov_b32_dpp v7, v5 row_shr:4 row_mask:0xf bank_mask:0xf
	s_and_saveexec_b32 s28, s2
; %bb.104:                              ;   in Loop: Header=BB110_61 Depth=2
	s_delay_alu instid0(VALU_DEP_1) | instskip(NEXT) | instid1(VALU_DEP_3)
	v_fmac_f32_e32 v5, v4, v7
	v_mul_f32_e32 v4, v4, v6
; %bb.105:                              ;   in Loop: Header=BB110_61 Depth=2
	s_or_b32 exec_lo, exec_lo, s28
	s_delay_alu instid0(VALU_DEP_1) | instskip(NEXT) | instid1(VALU_DEP_3)
	v_mov_b32_dpp v6, v4 row_shr:8 row_mask:0xf bank_mask:0xf
	v_mov_b32_dpp v7, v5 row_shr:8 row_mask:0xf bank_mask:0xf
	s_and_saveexec_b32 s28, s3
; %bb.106:                              ;   in Loop: Header=BB110_61 Depth=2
	s_delay_alu instid0(VALU_DEP_1) | instskip(NEXT) | instid1(VALU_DEP_3)
	v_fmac_f32_e32 v5, v4, v7
	v_mul_f32_e32 v4, v4, v6
; %bb.107:                              ;   in Loop: Header=BB110_61 Depth=2
	s_or_b32 exec_lo, exec_lo, s28
	ds_swizzle_b32 v7, v4 offset:swizzle(BROADCAST,32,15)
	ds_swizzle_b32 v6, v5 offset:swizzle(BROADCAST,32,15)
	s_and_saveexec_b32 s28, s4
	s_cbranch_execz .LBB110_109
; %bb.108:                              ;   in Loop: Header=BB110_61 Depth=2
	s_waitcnt lgkmcnt(1)
	v_mul_f32_e32 v7, v4, v7
	s_waitcnt lgkmcnt(0)
	s_delay_alu instid0(VALU_DEP_1)
	v_dual_fmac_f32 v5, v4, v6 :: v_dual_mov_b32 v4, v7
.LBB110_109:                            ;   in Loop: Header=BB110_61 Depth=2
	s_or_b32 exec_lo, exec_lo, s28
	s_and_saveexec_b32 s28, s5
	s_cbranch_execz .LBB110_111
; %bb.110:                              ;   in Loop: Header=BB110_61 Depth=2
	ds_store_b64 v35, v[4:5] offset:2112
.LBB110_111:                            ;   in Loop: Header=BB110_61 Depth=2
	s_or_b32 exec_lo, exec_lo, s28
	s_waitcnt vmcnt(0) lgkmcnt(0)
	s_waitcnt_vscnt null, 0x0
	s_barrier
	buffer_gl0_inv
	s_and_saveexec_b32 s28, s6
	s_cbranch_execz .LBB110_113
; %bb.112:                              ;   in Loop: Header=BB110_61 Depth=2
	ds_load_b64 v[6:7], v36 offset:2112
	s_waitcnt lgkmcnt(0)
	v_mov_b32_dpp v93, v6 row_shr:1 row_mask:0xf bank_mask:0xf
	v_mov_b32_dpp v94, v7 row_shr:1 row_mask:0xf bank_mask:0xf
	s_delay_alu instid0(VALU_DEP_2) | instskip(NEXT) | instid1(VALU_DEP_2)
	v_mul_f32_e32 v93, v6, v93
	v_fma_f32 v94, v6, v94, v7
	s_delay_alu instid0(VALU_DEP_2) | instskip(NEXT) | instid1(VALU_DEP_2)
	v_cndmask_b32_e64 v6, v93, v6, s7
	v_cndmask_b32_e64 v7, v94, v7, s7
	ds_store_b64 v36, v[6:7] offset:2112
.LBB110_113:                            ;   in Loop: Header=BB110_61 Depth=2
	s_or_b32 exec_lo, exec_lo, s28
	s_waitcnt lgkmcnt(0)
	s_barrier
	buffer_gl0_inv
                                        ; implicit-def: $vgpr7
	s_and_saveexec_b32 s28, s9
	s_cbranch_execz .LBB110_115
; %bb.114:                              ;   in Loop: Header=BB110_61 Depth=2
	ds_load_b64 v[6:7], v35 offset:2104
	s_waitcnt lgkmcnt(0)
	v_mul_f32_e32 v93, v4, v6
	s_delay_alu instid0(VALU_DEP_1)
	v_dual_fmac_f32 v5, v4, v7 :: v_dual_mov_b32 v4, v93
.LBB110_115:                            ;   in Loop: Header=BB110_61 Depth=2
	s_or_b32 exec_lo, exec_lo, s28
	ds_bpermute_b32 v93, v37, v4
	ds_bpermute_b32 v94, v37, v5
	s_and_saveexec_b32 s28, s8
	s_cbranch_execz .LBB110_119
; %bb.116:                              ;   in Loop: Header=BB110_61 Depth=2
	ds_load_b64 v[4:5], v13 offset:2120
	s_and_saveexec_b32 s39, s10
	s_cbranch_execz .LBB110_118
; %bb.117:                              ;   in Loop: Header=BB110_61 Depth=2
	ds_store_b64 v13, v[8:9] offset:2120
.LBB110_118:                            ;   in Loop: Header=BB110_61 Depth=2
	s_or_b32 exec_lo, exec_lo, s39
	s_waitcnt lgkmcnt(0)
	v_fmac_f32_e32 v5, v9, v4
	s_delay_alu instid0(VALU_DEP_1)
	v_dual_mul_f32 v8, v8, v4 :: v_dual_mov_b32 v9, v5
.LBB110_119:                            ;   in Loop: Header=BB110_61 Depth=2
	s_or_b32 exec_lo, exec_lo, s28
	s_waitcnt lgkmcnt(0)
	s_barrier
	buffer_gl0_inv
	ds_load_b32 v4, v13 offset:2124
	s_and_saveexec_b32 s28, s10
	s_cbranch_execz .LBB110_60
; %bb.120:                              ;   in Loop: Header=BB110_61 Depth=2
	v_mov_b32_e32 v5, s71
	s_and_not1_b32 vcc_lo, exec_lo, s69
	ds_store_b64 v5, v[8:9]
	s_cbranch_vccnz .LBB110_60
; %bb.121:                              ;   in Loop: Header=BB110_61 Depth=2
	s_mov_b32 s47, s35
	s_delay_alu instid0(SALU_CYCLE_1) | instskip(NEXT) | instid1(SALU_CYCLE_1)
	s_lshl_b64 s[72:73], s[46:47], 2
	s_add_u32 s72, s59, s72
	s_addc_u32 s73, s60, s73
	global_store_b32 v13, v9, s[72:73]
	s_branch .LBB110_60
.LBB110_122:                            ;   in Loop: Header=BB110_12 Depth=1
	v_cvt_f16_f32_e32 v0, v64
	v_cvt_f16_f32_e32 v1, v63
	;; [unrolled: 1-line block ×8, first 2 shown]
	s_waitcnt_vscnt null, 0x0
	v_pack_b32_f16 v3, v3, v4
	v_pack_b32_f16 v2, v2, v5
	;; [unrolled: 1-line block ×4, first 2 shown]
	s_barrier
	buffer_gl0_inv
	s_mov_b32 s31, s35
	ds_store_b128 v27, v[0:3]
	; wave barrier
	ds_load_u16 v8, v20 offset:64
	ds_load_u16 v7, v21 offset:128
	ds_load_u16 v6, v22 offset:192
	ds_load_u16 v5, v23 offset:256
	ds_load_u16 v4, v24 offset:320
	ds_load_u16 v3, v25 offset:384
	ds_load_u16 v2, v26 offset:448
	s_lshl_b64 s[20:21], s[30:31], 1
	s_delay_alu instid0(SALU_CYCLE_1)
	v_add_co_u32 v0, vcc_lo, v38, s20
	v_add_co_ci_u32_e32 v1, vcc_lo, s21, v39, vcc_lo
	s_and_saveexec_b32 s20, s12
	s_cbranch_execnz .LBB110_132
; %bb.123:                              ;   in Loop: Header=BB110_12 Depth=1
	s_or_b32 exec_lo, exec_lo, s20
	s_and_saveexec_b32 s12, s13
	s_cbranch_execnz .LBB110_133
.LBB110_124:                            ;   in Loop: Header=BB110_12 Depth=1
	s_or_b32 exec_lo, exec_lo, s12
	s_and_saveexec_b32 s12, s14
	s_cbranch_execnz .LBB110_134
.LBB110_125:                            ;   in Loop: Header=BB110_12 Depth=1
	s_or_b32 exec_lo, exec_lo, s12
	s_and_saveexec_b32 s12, s15
	s_cbranch_execnz .LBB110_135
.LBB110_126:                            ;   in Loop: Header=BB110_12 Depth=1
	s_or_b32 exec_lo, exec_lo, s12
	s_and_saveexec_b32 s12, s16
	s_cbranch_execnz .LBB110_136
.LBB110_127:                            ;   in Loop: Header=BB110_12 Depth=1
	s_or_b32 exec_lo, exec_lo, s12
	s_and_saveexec_b32 s12, s17
	s_cbranch_execnz .LBB110_137
.LBB110_128:                            ;   in Loop: Header=BB110_12 Depth=1
	s_or_b32 exec_lo, exec_lo, s12
	s_and_saveexec_b32 s12, s18
	s_cbranch_execnz .LBB110_138
.LBB110_129:                            ;   in Loop: Header=BB110_12 Depth=1
	s_or_b32 exec_lo, exec_lo, s12
	s_and_saveexec_b32 s12, s19
	s_cbranch_execz .LBB110_11
	s_branch .LBB110_139
.LBB110_130:                            ;   in Loop: Header=BB110_12 Depth=1
	global_load_u16 v51, v[4:5], off offset:320
	s_or_b32 exec_lo, exec_lo, s20
	s_and_saveexec_b32 s20, s18
	s_cbranch_execz .LBB110_40
.LBB110_131:                            ;   in Loop: Header=BB110_12 Depth=1
	global_load_u16 v50, v[4:5], off offset:384
	s_or_b32 exec_lo, exec_lo, s20
	v_mov_b32_e32 v52, 0
	s_and_saveexec_b32 s20, s19
	s_cbranch_execnz .LBB110_41
	s_branch .LBB110_42
.LBB110_132:                            ;   in Loop: Header=BB110_12 Depth=1
	ds_load_u16 v9, v20
	s_waitcnt lgkmcnt(0)
	global_store_b16 v[0:1], v9, off
	s_or_b32 exec_lo, exec_lo, s20
	s_and_saveexec_b32 s12, s13
	s_cbranch_execz .LBB110_124
.LBB110_133:                            ;   in Loop: Header=BB110_12 Depth=1
	s_waitcnt lgkmcnt(6)
	global_store_b16 v[0:1], v8, off offset:64
	s_or_b32 exec_lo, exec_lo, s12
	s_and_saveexec_b32 s12, s14
	s_cbranch_execz .LBB110_125
.LBB110_134:                            ;   in Loop: Header=BB110_12 Depth=1
	s_waitcnt lgkmcnt(5)
	global_store_b16 v[0:1], v7, off offset:128
	s_or_b32 exec_lo, exec_lo, s12
	s_and_saveexec_b32 s12, s15
	s_cbranch_execz .LBB110_126
.LBB110_135:                            ;   in Loop: Header=BB110_12 Depth=1
	s_waitcnt lgkmcnt(4)
	global_store_b16 v[0:1], v6, off offset:192
	s_or_b32 exec_lo, exec_lo, s12
	s_and_saveexec_b32 s12, s16
	s_cbranch_execz .LBB110_127
.LBB110_136:                            ;   in Loop: Header=BB110_12 Depth=1
	s_waitcnt lgkmcnt(3)
	global_store_b16 v[0:1], v5, off offset:256
	s_or_b32 exec_lo, exec_lo, s12
	s_and_saveexec_b32 s12, s17
	s_cbranch_execz .LBB110_128
.LBB110_137:                            ;   in Loop: Header=BB110_12 Depth=1
	s_waitcnt lgkmcnt(2)
	global_store_b16 v[0:1], v4, off offset:320
	s_or_b32 exec_lo, exec_lo, s12
	s_and_saveexec_b32 s12, s18
	s_cbranch_execz .LBB110_129
.LBB110_138:                            ;   in Loop: Header=BB110_12 Depth=1
	s_waitcnt lgkmcnt(1)
	global_store_b16 v[0:1], v3, off offset:384
	s_or_b32 exec_lo, exec_lo, s12
	s_and_saveexec_b32 s12, s19
	s_cbranch_execz .LBB110_11
.LBB110_139:                            ;   in Loop: Header=BB110_12 Depth=1
	s_waitcnt lgkmcnt(0)
	global_store_b16 v[0:1], v2, off offset:448
	s_branch .LBB110_11
.LBB110_140:
	s_nop 0
	s_sendmsg sendmsg(MSG_DEALLOC_VGPRS)
	s_endpgm
	.section	.rodata,"a",@progbits
	.p2align	6, 0x0
	.amdhsa_kernel _Z25selective_scan_fwd_kernelI32Selective_Scan_fwd_kernel_traitsILi64ELi8ELi1ELb0ELb1ELb1ELb0ELb1EN3c104HalfEffEEv13SSMParamsBase
		.amdhsa_group_segment_fixed_size 0
		.amdhsa_private_segment_fixed_size 0
		.amdhsa_kernarg_size 248
		.amdhsa_user_sgpr_count 14
		.amdhsa_user_sgpr_dispatch_ptr 0
		.amdhsa_user_sgpr_queue_ptr 0
		.amdhsa_user_sgpr_kernarg_segment_ptr 1
		.amdhsa_user_sgpr_dispatch_id 0
		.amdhsa_user_sgpr_private_segment_size 0
		.amdhsa_wavefront_size32 1
		.amdhsa_uses_dynamic_stack 0
		.amdhsa_enable_private_segment 0
		.amdhsa_system_sgpr_workgroup_id_x 1
		.amdhsa_system_sgpr_workgroup_id_y 1
		.amdhsa_system_sgpr_workgroup_id_z 0
		.amdhsa_system_sgpr_workgroup_info 0
		.amdhsa_system_vgpr_workitem_id 0
		.amdhsa_next_free_vgpr 95
		.amdhsa_next_free_sgpr 74
		.amdhsa_reserve_vcc 1
		.amdhsa_float_round_mode_32 0
		.amdhsa_float_round_mode_16_64 0
		.amdhsa_float_denorm_mode_32 3
		.amdhsa_float_denorm_mode_16_64 3
		.amdhsa_dx10_clamp 1
		.amdhsa_ieee_mode 1
		.amdhsa_fp16_overflow 0
		.amdhsa_workgroup_processor_mode 1
		.amdhsa_memory_ordered 1
		.amdhsa_forward_progress 0
		.amdhsa_shared_vgpr_count 0
		.amdhsa_exception_fp_ieee_invalid_op 0
		.amdhsa_exception_fp_denorm_src 0
		.amdhsa_exception_fp_ieee_div_zero 0
		.amdhsa_exception_fp_ieee_overflow 0
		.amdhsa_exception_fp_ieee_underflow 0
		.amdhsa_exception_fp_ieee_inexact 0
		.amdhsa_exception_int_div_zero 0
	.end_amdhsa_kernel
	.section	.text._Z25selective_scan_fwd_kernelI32Selective_Scan_fwd_kernel_traitsILi64ELi8ELi1ELb0ELb1ELb1ELb0ELb1EN3c104HalfEffEEv13SSMParamsBase,"axG",@progbits,_Z25selective_scan_fwd_kernelI32Selective_Scan_fwd_kernel_traitsILi64ELi8ELi1ELb0ELb1ELb1ELb0ELb1EN3c104HalfEffEEv13SSMParamsBase,comdat
.Lfunc_end110:
	.size	_Z25selective_scan_fwd_kernelI32Selective_Scan_fwd_kernel_traitsILi64ELi8ELi1ELb0ELb1ELb1ELb0ELb1EN3c104HalfEffEEv13SSMParamsBase, .Lfunc_end110-_Z25selective_scan_fwd_kernelI32Selective_Scan_fwd_kernel_traitsILi64ELi8ELi1ELb0ELb1ELb1ELb0ELb1EN3c104HalfEffEEv13SSMParamsBase
                                        ; -- End function
	.section	.AMDGPU.csdata,"",@progbits
; Kernel info:
; codeLenInByte = 11768
; NumSgprs: 76
; NumVgprs: 95
; ScratchSize: 0
; MemoryBound: 0
; FloatMode: 240
; IeeeMode: 1
; LDSByteSize: 0 bytes/workgroup (compile time only)
; SGPRBlocks: 9
; VGPRBlocks: 11
; NumSGPRsForWavesPerEU: 76
; NumVGPRsForWavesPerEU: 95
; Occupancy: 16
; WaveLimiterHint : 1
; COMPUTE_PGM_RSRC2:SCRATCH_EN: 0
; COMPUTE_PGM_RSRC2:USER_SGPR: 14
; COMPUTE_PGM_RSRC2:TRAP_HANDLER: 0
; COMPUTE_PGM_RSRC2:TGID_X_EN: 1
; COMPUTE_PGM_RSRC2:TGID_Y_EN: 1
; COMPUTE_PGM_RSRC2:TGID_Z_EN: 0
; COMPUTE_PGM_RSRC2:TIDIG_COMP_CNT: 0
	.section	.text._Z25selective_scan_fwd_kernelI32Selective_Scan_fwd_kernel_traitsILi64ELi8ELi1ELb0ELb1ELb1ELb0ELb0EN3c104HalfEffEEv13SSMParamsBase,"axG",@progbits,_Z25selective_scan_fwd_kernelI32Selective_Scan_fwd_kernel_traitsILi64ELi8ELi1ELb0ELb1ELb1ELb0ELb0EN3c104HalfEffEEv13SSMParamsBase,comdat
	.protected	_Z25selective_scan_fwd_kernelI32Selective_Scan_fwd_kernel_traitsILi64ELi8ELi1ELb0ELb1ELb1ELb0ELb0EN3c104HalfEffEEv13SSMParamsBase ; -- Begin function _Z25selective_scan_fwd_kernelI32Selective_Scan_fwd_kernel_traitsILi64ELi8ELi1ELb0ELb1ELb1ELb0ELb0EN3c104HalfEffEEv13SSMParamsBase
	.globl	_Z25selective_scan_fwd_kernelI32Selective_Scan_fwd_kernel_traitsILi64ELi8ELi1ELb0ELb1ELb1ELb0ELb0EN3c104HalfEffEEv13SSMParamsBase
	.p2align	8
	.type	_Z25selective_scan_fwd_kernelI32Selective_Scan_fwd_kernel_traitsILi64ELi8ELi1ELb0ELb1ELb1ELb0ELb0EN3c104HalfEffEEv13SSMParamsBase,@function
_Z25selective_scan_fwd_kernelI32Selective_Scan_fwd_kernel_traitsILi64ELi8ELi1ELb0ELb1ELb1ELb0ELb0EN3c104HalfEffEEv13SSMParamsBase: ; @_Z25selective_scan_fwd_kernelI32Selective_Scan_fwd_kernel_traitsILi64ELi8ELi1ELb0ELb1ELb1ELb0ELb0EN3c104HalfEffEEv13SSMParamsBase
; %bb.0:
	s_clause 0x1
	s_load_b32 s9, s[0:1], 0x18
	s_load_b128 s[4:7], s[0:1], 0xe8
	s_mov_b32 s12, s15
	s_mov_b32 s33, 0
	s_waitcnt lgkmcnt(0)
	s_abs_i32 s8, s9
	s_cmp_eq_u64 s[6:7], 0
	v_cvt_f32_u32_e32 v1, s8
	s_delay_alu instid0(VALU_DEP_1) | instskip(SKIP_2) | instid1(VALU_DEP_1)
	v_rcp_iflag_f32_e32 v1, v1
	s_waitcnt_depctr 0xfff
	v_mul_f32_e32 v1, 0x4f7ffffe, v1
	v_cvt_u32_f32_e32 v1, v1
	s_delay_alu instid0(VALU_DEP_1)
	v_readfirstlane_b32 s10, v1
	s_cbranch_scc1 .LBB111_2
; %bb.1:
	v_mov_b32_e32 v1, 0
	s_ashr_i32 s3, s14, 31
	s_add_u32 s2, s6, s14
	s_addc_u32 s3, s7, s3
	global_load_u8 v1, v1, s[2:3]
	s_waitcnt vmcnt(0)
	v_and_b32_e32 v1, 1, v1
	s_delay_alu instid0(VALU_DEP_1)
	v_cmp_eq_u32_e64 s33, 1, v1
.LBB111_2:
	s_load_b64 s[6:7], s[0:1], 0x20
	s_cmp_eq_u64 s[4:5], 0
	s_cbranch_scc1 .LBB111_4
; %bb.3:
	s_ashr_i32 s15, s14, 31
	s_delay_alu instid0(SALU_CYCLE_1) | instskip(NEXT) | instid1(SALU_CYCLE_1)
	s_lshl_b64 s[2:3], s[14:15], 2
	s_add_u32 s2, s4, s2
	s_addc_u32 s3, s5, s3
	s_load_b32 s2, s[2:3], 0x0
	s_waitcnt lgkmcnt(0)
	s_ashr_i32 s3, s2, 31
	s_delay_alu instid0(SALU_CYCLE_1)
	s_cmp_eq_u64 s[6:7], s[2:3]
	s_cbranch_scc0 .LBB111_5
	s_branch .LBB111_140
.LBB111_4:
	s_mov_b32 s2, s14
	s_delay_alu instid0(SALU_CYCLE_1)
	s_ashr_i32 s3, s2, 31
	s_waitcnt lgkmcnt(0)
	s_cmp_eq_u64 s[6:7], s[2:3]
	s_cbranch_scc1 .LBB111_140
.LBB111_5:
	s_clause 0x1
	s_load_b512 s[16:31], s[0:1], 0x88
	s_load_b64 s[34:35], s[0:1], 0x8
	s_mov_b32 s54, 0
	s_mov_b32 s55, 0
	s_waitcnt lgkmcnt(0)
	s_cmp_eq_u64 s[22:23], 0
	s_cbranch_scc1 .LBB111_7
; %bb.6:
	s_ashr_i32 s13, s12, 31
	s_delay_alu instid0(SALU_CYCLE_1) | instskip(NEXT) | instid1(SALU_CYCLE_1)
	s_lshl_b64 s[4:5], s[12:13], 2
	s_add_u32 s4, s22, s4
	s_addc_u32 s5, s23, s5
	s_load_b32 s55, s[4:5], 0x0
.LBB111_7:
	s_cmp_eq_u64 s[28:29], 0
	s_cbranch_scc1 .LBB111_9
; %bb.8:
	s_ashr_i32 s13, s12, 31
	s_delay_alu instid0(SALU_CYCLE_1) | instskip(NEXT) | instid1(SALU_CYCLE_1)
	s_lshl_b64 s[4:5], s[12:13], 2
	s_add_u32 s4, s28, s4
	s_addc_u32 s5, s29, s5
	s_load_b32 s54, s[4:5], 0x0
.LBB111_9:
	s_cmp_lt_i32 s34, 1
	s_cbranch_scc1 .LBB111_140
; %bb.10:
	s_sub_i32 s3, 0, s8
	s_clause 0x1
	s_load_b64 s[4:5], s[0:1], 0x5c
	s_load_b128 s[44:47], s[0:1], 0x4c
	s_mul_i32 s3, s3, s10
	s_abs_i32 s6, s12
	s_mul_hi_u32 s3, s10, s3
	s_ashr_i32 s9, s9, 31
	s_add_i32 s10, s10, s3
	s_ashr_i32 s3, s12, 31
	s_mul_hi_u32 s7, s6, s10
	s_xor_b32 s3, s3, s9
	s_mul_i32 s10, s7, s8
	s_add_i32 s9, s7, 1
	s_sub_i32 s6, s6, s10
	s_load_b256 s[36:43], s[0:1], 0x2c
	s_sub_i32 s10, s6, s8
	s_cmp_ge_u32 s6, s8
	s_mov_b32 s53, 0
	s_cselect_b32 s7, s9, s7
	s_cselect_b32 s6, s10, s6
	s_add_i32 s9, s7, 1
	s_cmp_ge_u32 s6, s8
	s_waitcnt lgkmcnt(0)
	s_mul_i32 s52, s46, s14
	s_cselect_b32 s6, s9, s7
	s_clause 0x1
	s_load_b128 s[48:51], s[0:1], 0x7c
	s_load_b64 s[10:11], s[0:1], 0x6c
	s_xor_b32 s8, s6, s3
	s_lshl_b64 s[6:7], s[52:53], 1
	s_sub_i32 s3, s8, s3
	s_mul_i32 s52, s47, s12
	s_add_u32 s8, s24, s6
	s_addc_u32 s9, s25, s7
	s_lshl_b64 s[6:7], s[52:53], 1
	s_mul_i32 s52, s4, s14
	s_add_u32 s29, s8, s6
	s_addc_u32 s56, s9, s7
	s_lshl_b64 s[6:7], s[52:53], 1
	;; [unrolled: 4-line block ×3, first 2 shown]
	v_dual_mov_b32 v13, 0 :: v_dual_lshlrev_b32 v10, 3, v0
	s_add_u32 s57, s6, s4
	s_mul_i32 s52, s36, s12
	s_addc_u32 s36, s7, s5
	s_load_b64 s[6:7], s[0:1], 0xc8
	s_lshl_b64 s[4:5], s[52:53], 2
	v_mbcnt_lo_u32_b32 v1, -1, 0
	v_and_b32_e32 v2, 0x100, v10
	s_mul_i32 s52, s38, s14
	s_add_u32 s58, s16, s4
	s_addc_u32 s59, s17, s5
	s_lshl_b64 s[4:5], s[52:53], 1
	s_mul_i32 s52, s3, s41
	s_load_b32 s0, s[0:1], 0x28
	s_add_u32 s8, s18, s4
	v_or_b32_e32 v11, v1, v2
	s_addc_u32 s9, s19, s5
	s_lshl_b64 s[4:5], s[52:53], 1
	s_mul_i32 s52, s42, s14
	s_add_u32 s41, s8, s4
	s_waitcnt lgkmcnt(0)
	s_addc_u32 s51, s9, s5
	s_lshl_b64 s[4:5], s[52:53], 1
	s_mul_i32 s52, s3, s45
	v_or_b32_e32 v12, 0x60, v11
	s_add_u32 s8, s20, s4
	s_addc_u32 s3, s21, s5
	s_lshl_b64 s[4:5], s[52:53], 1
	s_mul_i32 s52, s2, s48
	s_add_u32 s45, s8, s4
	s_addc_u32 s48, s3, s5
	s_lshl_b64 s[2:3], s[52:53], 2
	v_lshrrev_b32_e32 v3, 5, v12
	v_or_b32_e32 v17, 0xa0, v11
	v_or_b32_e32 v19, 0xe0, v11
	s_mul_i32 s52, s49, s12
	s_add_u32 s4, s6, s2
	s_addc_u32 s5, s7, s3
	s_lshl_b64 s[2:3], s[52:53], 2
	v_or_b32_e32 v15, 64, v11
	s_add_u32 s49, s4, s2
	v_or_b32_e32 v16, 0x80, v11
	v_and_b32_e32 v3, 10, v3
	v_or_b32_e32 v18, 0xc0, v11
	v_and_b32_e32 v6, 32, v0
	v_lshrrev_b32_e32 v7, 5, v17
	v_lshrrev_b32_e32 v24, 5, v19
	s_addc_u32 s60, s5, s3
	s_add_i32 s1, s34, 0x7ff
	v_lshrrev_b32_e32 v4, 5, v2
	s_lshr_b32 s61, s1, 11
	s_bitcmp1_b32 s0, 0
	v_lshrrev_b32_e32 v5, 5, v15
	v_add_lshl_u32 v3, v3, v11, 1
	v_lshrrev_b32_e32 v8, 5, v16
	v_or_b32_e32 v9, v1, v6
	v_and_b32_e32 v7, 12, v7
	v_lshrrev_b32_e32 v23, 5, v18
	v_and_b32_e32 v26, 14, v24
	s_cselect_b32 s62, -1, 0
	s_cmp_gt_i32 s35, 0
	v_add_lshl_u32 v4, v4, v11, 1
	s_cselect_b32 s63, -1, 0
	s_add_i32 s0, 0, 0x420
	v_add_lshl_u32 v5, v5, v11, 1
	v_add_nc_u32_e32 v22, 0, v3
	v_add_lshl_u32 v8, v8, v11, 1
	v_lshrrev_b32_e32 v25, 2, v9
	v_add_lshl_u32 v7, v7, v11, 1
	v_add_lshl_u32 v33, v23, v11, 1
	;; [unrolled: 1-line block ×3, first 2 shown]
	v_add_nc_u32_e32 v30, s0, v3
	v_and_b32_e32 v3, 15, v1
	s_and_b32 s1, s34, 0x1ff
	v_and_b32_e32 v27, 14, v25
	v_add_nc_u32_e32 v25, 0, v33
	v_add_nc_u32_e32 v26, 0, v34
	v_add_nc_u32_e32 v28, s0, v4
	v_add_nc_u32_e32 v29, s0, v5
	v_add_nc_u32_e32 v31, s0, v8
	v_add_nc_u32_e32 v32, s0, v7
	v_add_nc_u32_e32 v33, s0, v33
	s_cmp_eq_u32 s1, 0
	v_add_nc_u32_e32 v34, s0, v34
	v_cmp_ne_u32_e64 s0, 0, v3
	v_cmp_lt_u32_e64 s1, 1, v3
	v_cmp_lt_u32_e64 s2, 3, v3
	v_cmp_lt_u32_e64 s3, 7, v3
	v_add_nc_u32_e32 v3, -1, v1
	v_add_nc_u32_e32 v20, 0, v4
	v_lshrrev_b32_e32 v4, 2, v0
	v_or_b32_e32 v6, 31, v6
	s_mul_i32 s52, s10, s14
	v_cmp_gt_i32_e32 vcc_lo, 0, v3
	s_cselect_b32 s64, -1, 0
	v_and_b32_e32 v4, 8, v4
	s_lshl_b64 s[14:15], s[52:53], 1
	s_add_i32 s65, s61, -1
	v_cndmask_b32_e32 v3, v3, v1, vcc_lo
	s_mul_i32 s52, s11, s12
	v_cmp_eq_u32_e64 s5, v6, v0
	v_cmp_gt_u32_e64 s6, 2, v0
	v_cmp_gt_u32_e64 s8, 32, v0
	v_cmp_lt_u32_e64 s9, 31, v0
	v_cmp_eq_u32_e64 s10, 0, v0
	s_add_u32 s14, s30, s14
	v_lshlrev_b32_e32 v0, 1, v1
	s_addc_u32 s11, s31, s15
	s_lshl_b64 s[12:13], s[52:53], 1
	v_add_nc_u32_e32 v35, 0, v4
	v_and_b32_e32 v4, 1, v1
	s_add_u32 s12, s14, s12
	v_lshlrev_b32_e32 v37, 2, v3
	s_addc_u32 s11, s11, s13
	v_lshlrev_b32_e32 v3, 1, v2
	v_add_co_u32 v0, s12, s12, v0
	v_add_nc_u32_e32 v21, 0, v5
	v_lshl_add_u32 v9, v9, 3, v27
	v_and_b32_e32 v5, 16, v1
	v_cmp_eq_u32_e64 s7, 0, v4
	v_add_co_ci_u32_e64 v4, null, s11, 0, s12
	v_add_co_u32 v38, vcc_lo, v0, v3
	v_or_b32_e32 v14, 32, v11
	v_add_nc_u32_e32 v23, 0, v8
	v_add_nc_u32_e32 v24, 0, v7
	v_lshl_add_u32 v27, v9, 1, 0
	v_cmp_ne_u32_e64 s4, 0, v5
	v_add_nc_u32_e32 v36, 0, v10
	v_cmp_eq_u32_e64 s11, 0, v1
	v_add_co_ci_u32_e32 v39, vcc_lo, 0, v4, vcc_lo
	v_or_b32_e32 v40, 1, v10
	v_or_b32_e32 v41, 2, v10
	v_or_b32_e32 v42, 3, v10
	v_or_b32_e32 v43, 4, v10
	v_or_b32_e32 v44, 5, v10
	v_or_b32_e32 v45, 6, v10
	v_or_b32_e32 v46, 7, v10
	v_lshlrev_b32_e32 v47, 1, v1
	v_lshlrev_b32_e32 v48, 1, v2
	s_mov_b32 s66, 0x3e9b6dac
	s_add_i32 s67, 0, 0x850
	s_mov_b32 s68, 0
	s_branch .LBB111_12
.LBB111_11:                             ;   in Loop: Header=BB111_12 Depth=1
	s_or_b32 exec_lo, exec_lo, s12
	s_add_u32 s57, s57, 0x400
	s_addc_u32 s36, s36, 0
	s_add_u32 s29, s29, 0x400
	s_addc_u32 s56, s56, 0
	;; [unrolled: 2-line block ×4, first 2 shown]
	s_add_i32 s68, s68, 1
	s_delay_alu instid0(SALU_CYCLE_1)
	s_cmp_eq_u32 s68, s61
	s_cbranch_scc1 .LBB111_140
.LBB111_12:                             ; =>This Loop Header: Depth=1
                                        ;     Child Loop BB111_61 Depth 2
	v_add_co_u32 v0, s12, s29, v47
	s_delay_alu instid0(VALU_DEP_1) | instskip(SKIP_1) | instid1(VALU_DEP_2)
	v_add_co_ci_u32_e64 v1, null, s56, 0, s12
	s_lshl_b32 s30, s68, 9
	v_add_co_u32 v0, vcc_lo, v0, v48
	s_sub_i32 s23, s34, s30
	s_delay_alu instid0(VALU_DEP_2)
	v_add_co_ci_u32_e32 v1, vcc_lo, 0, v1, vcc_lo
	v_cmp_gt_u32_e64 s12, s23, v11
	s_waitcnt lgkmcnt(0)
	v_mov_b32_e32 v2, 0
	s_waitcnt_vscnt null, 0x0
	s_barrier
	buffer_gl0_inv
	s_and_saveexec_b32 s13, s12
	s_cbranch_execz .LBB111_14
; %bb.13:                               ;   in Loop: Header=BB111_12 Depth=1
	global_load_u16 v2, v[0:1], off
.LBB111_14:                             ;   in Loop: Header=BB111_12 Depth=1
	s_or_b32 exec_lo, exec_lo, s13
	v_cmp_gt_u32_e64 s13, s23, v14
	v_dual_mov_b32 v3, 0 :: v_dual_mov_b32 v4, 0
	s_delay_alu instid0(VALU_DEP_2)
	s_and_saveexec_b32 s14, s13
	s_cbranch_execz .LBB111_16
; %bb.15:                               ;   in Loop: Header=BB111_12 Depth=1
	global_load_u16 v4, v[0:1], off offset:64
.LBB111_16:                             ;   in Loop: Header=BB111_12 Depth=1
	s_or_b32 exec_lo, exec_lo, s14
	v_cmp_gt_u32_e64 s14, s23, v15
	s_delay_alu instid0(VALU_DEP_1)
	s_and_saveexec_b32 s15, s14
	s_cbranch_execz .LBB111_18
; %bb.17:                               ;   in Loop: Header=BB111_12 Depth=1
	global_load_u16 v3, v[0:1], off offset:128
.LBB111_18:                             ;   in Loop: Header=BB111_12 Depth=1
	s_or_b32 exec_lo, exec_lo, s15
	v_cmp_gt_u32_e64 s15, s23, v12
	v_mov_b32_e32 v5, 0
	v_mov_b32_e32 v7, 0
	s_delay_alu instid0(VALU_DEP_3)
	s_and_saveexec_b32 s16, s15
	s_cbranch_execz .LBB111_20
; %bb.19:                               ;   in Loop: Header=BB111_12 Depth=1
	global_load_u16 v7, v[0:1], off offset:192
.LBB111_20:                             ;   in Loop: Header=BB111_12 Depth=1
	s_or_b32 exec_lo, exec_lo, s16
	v_cmp_gt_u32_e64 s16, s23, v16
	s_delay_alu instid0(VALU_DEP_1)
	s_and_saveexec_b32 s17, s16
	s_cbranch_execz .LBB111_22
; %bb.21:                               ;   in Loop: Header=BB111_12 Depth=1
	global_load_u16 v5, v[0:1], off offset:256
.LBB111_22:                             ;   in Loop: Header=BB111_12 Depth=1
	s_or_b32 exec_lo, exec_lo, s17
	v_cmp_gt_u32_e64 s17, s23, v17
	v_dual_mov_b32 v8, 0 :: v_dual_mov_b32 v9, 0
	s_delay_alu instid0(VALU_DEP_2)
	s_and_saveexec_b32 s18, s17
	s_cbranch_execz .LBB111_24
; %bb.23:                               ;   in Loop: Header=BB111_12 Depth=1
	global_load_u16 v9, v[0:1], off offset:320
.LBB111_24:                             ;   in Loop: Header=BB111_12 Depth=1
	s_or_b32 exec_lo, exec_lo, s18
	v_cmp_gt_u32_e64 s18, s23, v18
	s_delay_alu instid0(VALU_DEP_1)
	s_and_saveexec_b32 s19, s18
	s_cbranch_execz .LBB111_26
; %bb.25:                               ;   in Loop: Header=BB111_12 Depth=1
	global_load_u16 v8, v[0:1], off offset:384
.LBB111_26:                             ;   in Loop: Header=BB111_12 Depth=1
	s_or_b32 exec_lo, exec_lo, s19
	v_cmp_gt_u32_e64 s19, s23, v19
	v_dual_mov_b32 v6, 0 :: v_dual_mov_b32 v49, 0
	s_delay_alu instid0(VALU_DEP_2)
	s_and_saveexec_b32 s20, s19
	s_cbranch_execz .LBB111_28
; %bb.27:                               ;   in Loop: Header=BB111_12 Depth=1
	global_load_u16 v49, v[0:1], off offset:448
.LBB111_28:                             ;   in Loop: Header=BB111_12 Depth=1
	s_or_b32 exec_lo, exec_lo, s20
	s_waitcnt vmcnt(0)
	ds_store_b16 v20, v2
	ds_store_b16 v20, v4 offset:64
	ds_store_b16 v21, v3 offset:128
	;; [unrolled: 1-line block ×7, first 2 shown]
	; wave barrier
	ds_load_b128 v[0:3], v27
	v_add_co_u32 v4, s20, s57, v47
	s_delay_alu instid0(VALU_DEP_1) | instskip(SKIP_1) | instid1(VALU_DEP_2)
	v_add_co_ci_u32_e64 v5, null, s36, 0, s20
	s_waitcnt lgkmcnt(0)
	v_add_co_u32 v4, vcc_lo, v4, v48
	s_delay_alu instid0(VALU_DEP_2)
	v_add_co_ci_u32_e32 v5, vcc_lo, 0, v5, vcc_lo
	s_barrier
	buffer_gl0_inv
	s_and_saveexec_b32 s20, s12
	s_cbranch_execz .LBB111_30
; %bb.29:                               ;   in Loop: Header=BB111_12 Depth=1
	global_load_u16 v6, v[4:5], off
.LBB111_30:                             ;   in Loop: Header=BB111_12 Depth=1
	s_or_b32 exec_lo, exec_lo, s20
	v_dual_mov_b32 v7, 0 :: v_dual_mov_b32 v8, 0
	s_and_saveexec_b32 s20, s13
	s_cbranch_execz .LBB111_32
; %bb.31:                               ;   in Loop: Header=BB111_12 Depth=1
	global_load_u16 v8, v[4:5], off offset:64
.LBB111_32:                             ;   in Loop: Header=BB111_12 Depth=1
	s_or_b32 exec_lo, exec_lo, s20
	s_and_saveexec_b32 s20, s14
	s_cbranch_execz .LBB111_34
; %bb.33:                               ;   in Loop: Header=BB111_12 Depth=1
	global_load_u16 v7, v[4:5], off offset:128
.LBB111_34:                             ;   in Loop: Header=BB111_12 Depth=1
	s_or_b32 exec_lo, exec_lo, s20
	v_mov_b32_e32 v9, 0
	v_mov_b32_e32 v49, 0
	s_and_saveexec_b32 s20, s15
	s_cbranch_execz .LBB111_36
; %bb.35:                               ;   in Loop: Header=BB111_12 Depth=1
	global_load_u16 v49, v[4:5], off offset:192
.LBB111_36:                             ;   in Loop: Header=BB111_12 Depth=1
	s_or_b32 exec_lo, exec_lo, s20
	s_and_saveexec_b32 s20, s16
	s_cbranch_execz .LBB111_38
; %bb.37:                               ;   in Loop: Header=BB111_12 Depth=1
	global_load_u16 v9, v[4:5], off offset:256
.LBB111_38:                             ;   in Loop: Header=BB111_12 Depth=1
	s_or_b32 exec_lo, exec_lo, s20
	v_dual_mov_b32 v50, 0 :: v_dual_mov_b32 v51, 0
	s_and_saveexec_b32 s20, s17
	s_cbranch_execnz .LBB111_130
; %bb.39:                               ;   in Loop: Header=BB111_12 Depth=1
	s_or_b32 exec_lo, exec_lo, s20
	s_and_saveexec_b32 s20, s18
	s_cbranch_execnz .LBB111_131
.LBB111_40:                             ;   in Loop: Header=BB111_12 Depth=1
	s_or_b32 exec_lo, exec_lo, s20
	v_mov_b32_e32 v52, 0
	s_and_saveexec_b32 s20, s19
	s_cbranch_execz .LBB111_42
.LBB111_41:                             ;   in Loop: Header=BB111_12 Depth=1
	global_load_u16 v52, v[4:5], off offset:448
.LBB111_42:                             ;   in Loop: Header=BB111_12 Depth=1
	s_or_b32 exec_lo, exec_lo, s20
	s_waitcnt vmcnt(0)
	ds_store_b16 v20, v6
	ds_store_b16 v20, v8 offset:64
	ds_store_b16 v21, v7 offset:128
	;; [unrolled: 1-line block ×7, first 2 shown]
	; wave barrier
	ds_load_b128 v[4:7], v27
	s_waitcnt lgkmcnt(0)
	v_cvt_f32_f16_e32 v8, v4
	s_delay_alu instid0(VALU_DEP_1) | instskip(NEXT) | instid1(VALU_DEP_1)
	v_add_f32_e32 v49, s54, v8
	v_cmp_ge_f32_e32 vcc_lo, 0x41a00000, v49
	s_and_b32 s20, s62, vcc_lo
	s_delay_alu instid0(SALU_CYCLE_1)
	s_and_saveexec_b32 s21, s20
	s_cbranch_execz .LBB111_44
; %bb.43:                               ;   in Loop: Header=BB111_12 Depth=1
	v_mul_f32_e32 v8, 0x3fb8aa3b, v49
	v_cmp_ngt_f32_e32 vcc_lo, 0xc2ce8ed0, v49
	s_delay_alu instid0(VALU_DEP_2) | instskip(SKIP_1) | instid1(VALU_DEP_2)
	v_rndne_f32_e32 v9, v8
	v_fma_f32 v50, 0x3fb8aa3b, v49, -v8
	v_sub_f32_e32 v8, v8, v9
	s_delay_alu instid0(VALU_DEP_2) | instskip(SKIP_1) | instid1(VALU_DEP_2)
	v_fmac_f32_e32 v50, 0x32a5705f, v49
	v_cvt_i32_f32_e32 v9, v9
	v_add_f32_e32 v8, v8, v50
	s_delay_alu instid0(VALU_DEP_1) | instskip(SKIP_2) | instid1(VALU_DEP_1)
	v_exp_f32_e32 v8, v8
	s_waitcnt_depctr 0xfff
	v_ldexp_f32 v8, v8, v9
	v_cndmask_b32_e32 v8, 0, v8, vcc_lo
	v_cmp_nlt_f32_e32 vcc_lo, 0x42b17218, v49
	s_delay_alu instid0(VALU_DEP_2) | instskip(NEXT) | instid1(VALU_DEP_1)
	v_cndmask_b32_e32 v49, 0x7f800000, v8, vcc_lo
	v_add_f32_e32 v50, 1.0, v49
	s_delay_alu instid0(VALU_DEP_1) | instskip(NEXT) | instid1(VALU_DEP_1)
	v_cvt_f64_f32_e32 v[8:9], v50
	v_frexp_exp_i32_f64_e32 v8, v[8:9]
	v_frexp_mant_f32_e32 v9, v50
	s_delay_alu instid0(VALU_DEP_1) | instskip(SKIP_1) | instid1(VALU_DEP_1)
	v_cmp_gt_f32_e32 vcc_lo, 0x3f2aaaab, v9
	v_add_f32_e32 v9, -1.0, v50
	v_sub_f32_e32 v52, v9, v50
	v_sub_f32_e32 v9, v49, v9
	v_cmp_gt_f32_e64 s20, 0x33800000, v49
	s_delay_alu instid0(VALU_DEP_3) | instskip(NEXT) | instid1(VALU_DEP_1)
	v_add_f32_e32 v52, 1.0, v52
	v_add_f32_e32 v9, v9, v52
	v_subrev_co_ci_u32_e32 v8, vcc_lo, 0, v8, vcc_lo
	v_cmp_eq_f32_e32 vcc_lo, 0x7f800000, v49
	s_delay_alu instid0(VALU_DEP_2) | instskip(SKIP_2) | instid1(VALU_DEP_2)
	v_sub_nc_u32_e32 v51, 0, v8
	v_cvt_f32_i32_e32 v8, v8
	s_or_b32 vcc_lo, s20, vcc_lo
	v_ldexp_f32 v50, v50, v51
	v_ldexp_f32 v9, v9, v51
	s_delay_alu instid0(VALU_DEP_2) | instskip(NEXT) | instid1(VALU_DEP_1)
	v_add_f32_e32 v53, 1.0, v50
	v_dual_add_f32 v51, -1.0, v50 :: v_dual_add_f32 v52, -1.0, v53
	s_delay_alu instid0(VALU_DEP_1) | instskip(NEXT) | instid1(VALU_DEP_2)
	v_add_f32_e32 v54, 1.0, v51
	v_sub_f32_e32 v52, v50, v52
	s_delay_alu instid0(VALU_DEP_2) | instskip(NEXT) | instid1(VALU_DEP_2)
	v_sub_f32_e32 v50, v50, v54
	v_add_f32_e32 v52, v9, v52
	s_delay_alu instid0(VALU_DEP_2) | instskip(NEXT) | instid1(VALU_DEP_1)
	v_add_f32_e32 v9, v9, v50
	v_dual_add_f32 v55, v51, v9 :: v_dual_add_f32 v54, v53, v52
	s_delay_alu instid0(VALU_DEP_1) | instskip(NEXT) | instid1(VALU_DEP_2)
	v_sub_f32_e32 v51, v51, v55
	v_rcp_f32_e32 v50, v54
	v_sub_f32_e32 v53, v53, v54
	s_delay_alu instid0(VALU_DEP_1) | instskip(SKIP_2) | instid1(VALU_DEP_1)
	v_dual_add_f32 v9, v9, v51 :: v_dual_add_f32 v52, v52, v53
	s_waitcnt_depctr 0xfff
	v_mul_f32_e32 v56, v55, v50
	v_mul_f32_e32 v57, v54, v56
	s_delay_alu instid0(VALU_DEP_1) | instskip(NEXT) | instid1(VALU_DEP_1)
	v_fma_f32 v53, v56, v54, -v57
	v_fmac_f32_e32 v53, v56, v52
	s_delay_alu instid0(VALU_DEP_1) | instskip(NEXT) | instid1(VALU_DEP_1)
	v_add_f32_e32 v58, v57, v53
	v_sub_f32_e32 v59, v55, v58
	s_delay_alu instid0(VALU_DEP_1) | instskip(NEXT) | instid1(VALU_DEP_1)
	v_sub_f32_e32 v55, v55, v59
	v_sub_f32_e32 v55, v55, v58
	;; [unrolled: 1-line block ×3, first 2 shown]
	s_delay_alu instid0(VALU_DEP_2) | instskip(NEXT) | instid1(VALU_DEP_2)
	v_add_f32_e32 v9, v9, v55
	v_sub_f32_e32 v51, v51, v53
	s_delay_alu instid0(VALU_DEP_1) | instskip(NEXT) | instid1(VALU_DEP_1)
	v_add_f32_e32 v9, v51, v9
	v_add_f32_e32 v51, v59, v9
	s_delay_alu instid0(VALU_DEP_1) | instskip(NEXT) | instid1(VALU_DEP_1)
	v_mul_f32_e32 v53, v50, v51
	v_dual_sub_f32 v58, v59, v51 :: v_dual_mul_f32 v55, v54, v53
	s_delay_alu instid0(VALU_DEP_1) | instskip(NEXT) | instid1(VALU_DEP_2)
	v_add_f32_e32 v9, v9, v58
	v_fma_f32 v54, v53, v54, -v55
	s_delay_alu instid0(VALU_DEP_1) | instskip(NEXT) | instid1(VALU_DEP_1)
	v_fmac_f32_e32 v54, v53, v52
	v_add_f32_e32 v52, v55, v54
	s_delay_alu instid0(VALU_DEP_1) | instskip(NEXT) | instid1(VALU_DEP_1)
	v_sub_f32_e32 v57, v51, v52
	v_sub_f32_e32 v51, v51, v57
	s_delay_alu instid0(VALU_DEP_1) | instskip(NEXT) | instid1(VALU_DEP_1)
	v_sub_f32_e32 v51, v51, v52
	v_add_f32_e32 v9, v9, v51
	v_add_f32_e32 v51, v56, v53
	v_sub_f32_e32 v55, v52, v55
	s_delay_alu instid0(VALU_DEP_1) | instskip(NEXT) | instid1(VALU_DEP_1)
	v_sub_f32_e32 v52, v55, v54
	v_dual_add_f32 v9, v52, v9 :: v_dual_sub_f32 v52, v51, v56
	s_delay_alu instid0(VALU_DEP_1) | instskip(NEXT) | instid1(VALU_DEP_1)
	v_add_f32_e32 v9, v57, v9
	v_dual_sub_f32 v52, v53, v52 :: v_dual_mul_f32 v9, v50, v9
	s_delay_alu instid0(VALU_DEP_1) | instskip(NEXT) | instid1(VALU_DEP_1)
	v_add_f32_e32 v9, v52, v9
	v_add_f32_e32 v50, v51, v9
	s_delay_alu instid0(VALU_DEP_1) | instskip(NEXT) | instid1(VALU_DEP_1)
	v_mul_f32_e32 v52, v50, v50
	v_fmaak_f32 v53, s66, v52, 0x3ecc95a3
	v_mul_f32_e32 v54, v50, v52
	s_delay_alu instid0(VALU_DEP_2) | instskip(SKIP_2) | instid1(VALU_DEP_3)
	v_fmaak_f32 v52, v52, v53, 0x3f2aaada
	v_ldexp_f32 v53, v50, 1
	v_sub_f32_e32 v50, v50, v51
	v_mul_f32_e32 v52, v54, v52
	v_mul_f32_e32 v54, 0x3f317218, v8
	s_delay_alu instid0(VALU_DEP_2) | instskip(NEXT) | instid1(VALU_DEP_1)
	v_add_f32_e32 v51, v53, v52
	v_dual_sub_f32 v9, v9, v50 :: v_dual_sub_f32 v50, v51, v53
	s_delay_alu instid0(VALU_DEP_3) | instskip(NEXT) | instid1(VALU_DEP_2)
	v_fma_f32 v53, 0x3f317218, v8, -v54
	v_ldexp_f32 v9, v9, 1
	s_delay_alu instid0(VALU_DEP_2) | instskip(NEXT) | instid1(VALU_DEP_1)
	v_dual_sub_f32 v50, v52, v50 :: v_dual_fmac_f32 v53, 0xb102e308, v8
	v_dual_add_f32 v8, v9, v50 :: v_dual_add_f32 v9, v54, v53
	s_delay_alu instid0(VALU_DEP_1) | instskip(NEXT) | instid1(VALU_DEP_1)
	v_add_f32_e32 v50, v51, v8
	v_add_f32_e32 v52, v9, v50
	s_delay_alu instid0(VALU_DEP_1) | instskip(NEXT) | instid1(VALU_DEP_1)
	v_sub_f32_e32 v55, v52, v9
	v_sub_f32_e32 v56, v52, v55
	;; [unrolled: 1-line block ×4, first 2 shown]
	s_delay_alu instid0(VALU_DEP_2) | instskip(SKIP_1) | instid1(VALU_DEP_1)
	v_sub_f32_e32 v8, v8, v51
	v_sub_f32_e32 v54, v9, v54
	;; [unrolled: 1-line block ×3, first 2 shown]
	s_delay_alu instid0(VALU_DEP_1) | instskip(SKIP_1) | instid1(VALU_DEP_1)
	v_add_f32_e32 v51, v53, v8
	v_sub_f32_e32 v9, v9, v56
	v_add_f32_e32 v9, v50, v9
	s_delay_alu instid0(VALU_DEP_3) | instskip(NEXT) | instid1(VALU_DEP_1)
	v_sub_f32_e32 v50, v51, v53
	v_dual_sub_f32 v8, v8, v50 :: v_dual_add_f32 v9, v51, v9
	s_delay_alu instid0(VALU_DEP_1) | instskip(NEXT) | instid1(VALU_DEP_1)
	v_dual_sub_f32 v51, v51, v50 :: v_dual_add_f32 v54, v52, v9
	v_dual_sub_f32 v51, v53, v51 :: v_dual_sub_f32 v50, v54, v52
	s_delay_alu instid0(VALU_DEP_1) | instskip(NEXT) | instid1(VALU_DEP_1)
	v_dual_add_f32 v8, v8, v51 :: v_dual_sub_f32 v9, v9, v50
	v_add_f32_e32 v8, v8, v9
	s_delay_alu instid0(VALU_DEP_1) | instskip(NEXT) | instid1(VALU_DEP_1)
	v_add_f32_e32 v8, v54, v8
	v_cndmask_b32_e32 v49, v8, v49, vcc_lo
.LBB111_44:                             ;   in Loop: Header=BB111_12 Depth=1
	s_or_b32 exec_lo, exec_lo, s21
	v_lshrrev_b32_e32 v4, 16, v4
	s_delay_alu instid0(VALU_DEP_1) | instskip(NEXT) | instid1(VALU_DEP_1)
	v_cvt_f32_f16_e32 v4, v4
	v_add_f32_e32 v50, s54, v4
	s_delay_alu instid0(VALU_DEP_1) | instskip(SKIP_1) | instid1(SALU_CYCLE_1)
	v_cmp_ge_f32_e32 vcc_lo, 0x41a00000, v50
	s_and_b32 s20, s62, vcc_lo
	s_and_saveexec_b32 s21, s20
	s_cbranch_execz .LBB111_46
; %bb.45:                               ;   in Loop: Header=BB111_12 Depth=1
	v_mul_f32_e32 v4, 0x3fb8aa3b, v50
	v_cmp_ngt_f32_e32 vcc_lo, 0xc2ce8ed0, v50
	s_delay_alu instid0(VALU_DEP_2) | instskip(SKIP_1) | instid1(VALU_DEP_1)
	v_rndne_f32_e32 v8, v4
	v_fma_f32 v9, 0x3fb8aa3b, v50, -v4
	v_dual_sub_f32 v4, v4, v8 :: v_dual_fmac_f32 v9, 0x32a5705f, v50
	v_cvt_i32_f32_e32 v8, v8
	s_delay_alu instid0(VALU_DEP_2) | instskip(NEXT) | instid1(VALU_DEP_1)
	v_add_f32_e32 v4, v4, v9
	v_exp_f32_e32 v4, v4
	s_waitcnt_depctr 0xfff
	v_ldexp_f32 v4, v4, v8
	s_delay_alu instid0(VALU_DEP_1) | instskip(SKIP_1) | instid1(VALU_DEP_2)
	v_cndmask_b32_e32 v4, 0, v4, vcc_lo
	v_cmp_nlt_f32_e32 vcc_lo, 0x42b17218, v50
	v_cndmask_b32_e32 v4, 0x7f800000, v4, vcc_lo
	s_delay_alu instid0(VALU_DEP_1) | instskip(NEXT) | instid1(VALU_DEP_1)
	v_add_f32_e32 v50, 1.0, v4
	v_cvt_f64_f32_e32 v[8:9], v50
	s_delay_alu instid0(VALU_DEP_1) | instskip(SKIP_1) | instid1(VALU_DEP_1)
	v_frexp_exp_i32_f64_e32 v8, v[8:9]
	v_frexp_mant_f32_e32 v9, v50
	v_cmp_gt_f32_e32 vcc_lo, 0x3f2aaaab, v9
	v_add_f32_e32 v9, -1.0, v50
	s_delay_alu instid0(VALU_DEP_1) | instskip(NEXT) | instid1(VALU_DEP_1)
	v_dual_sub_f32 v52, v9, v50 :: v_dual_sub_f32 v9, v4, v9
	v_add_f32_e32 v52, 1.0, v52
	s_delay_alu instid0(VALU_DEP_1) | instskip(SKIP_1) | instid1(VALU_DEP_1)
	v_add_f32_e32 v9, v9, v52
	v_subrev_co_ci_u32_e32 v8, vcc_lo, 0, v8, vcc_lo
	v_sub_nc_u32_e32 v51, 0, v8
	v_cvt_f32_i32_e32 v8, v8
	s_delay_alu instid0(VALU_DEP_2) | instskip(SKIP_1) | instid1(VALU_DEP_2)
	v_ldexp_f32 v50, v50, v51
	v_ldexp_f32 v9, v9, v51
	v_add_f32_e32 v53, 1.0, v50
	v_add_f32_e32 v51, -1.0, v50
	v_cmp_eq_f32_e32 vcc_lo, 0x7f800000, v4
	v_cmp_gt_f32_e64 s20, 0x33800000, v4
	s_delay_alu instid0(VALU_DEP_4) | instskip(NEXT) | instid1(VALU_DEP_4)
	v_add_f32_e32 v52, -1.0, v53
	v_add_f32_e32 v54, 1.0, v51
	s_delay_alu instid0(VALU_DEP_3) | instskip(NEXT) | instid1(VALU_DEP_2)
	s_or_b32 vcc_lo, s20, vcc_lo
	v_sub_f32_e32 v52, v50, v52
	s_delay_alu instid0(VALU_DEP_2) | instskip(NEXT) | instid1(VALU_DEP_2)
	v_sub_f32_e32 v50, v50, v54
	v_add_f32_e32 v52, v9, v52
	s_delay_alu instid0(VALU_DEP_2) | instskip(NEXT) | instid1(VALU_DEP_1)
	v_add_f32_e32 v9, v9, v50
	v_add_f32_e32 v55, v51, v9
	s_delay_alu instid0(VALU_DEP_1) | instskip(NEXT) | instid1(VALU_DEP_1)
	v_dual_sub_f32 v51, v51, v55 :: v_dual_add_f32 v54, v53, v52
	v_add_f32_e32 v9, v9, v51
	s_delay_alu instid0(VALU_DEP_2) | instskip(SKIP_1) | instid1(VALU_DEP_1)
	v_rcp_f32_e32 v50, v54
	v_sub_f32_e32 v53, v53, v54
	v_add_f32_e32 v52, v52, v53
	s_waitcnt_depctr 0xfff
	v_mul_f32_e32 v56, v55, v50
	s_delay_alu instid0(VALU_DEP_1) | instskip(NEXT) | instid1(VALU_DEP_1)
	v_mul_f32_e32 v57, v54, v56
	v_fma_f32 v53, v56, v54, -v57
	s_delay_alu instid0(VALU_DEP_1) | instskip(NEXT) | instid1(VALU_DEP_1)
	v_fmac_f32_e32 v53, v56, v52
	v_add_f32_e32 v58, v57, v53
	s_delay_alu instid0(VALU_DEP_1) | instskip(SKIP_1) | instid1(VALU_DEP_2)
	v_sub_f32_e32 v59, v55, v58
	v_sub_f32_e32 v51, v58, v57
	;; [unrolled: 1-line block ×3, first 2 shown]
	s_delay_alu instid0(VALU_DEP_2) | instskip(NEXT) | instid1(VALU_DEP_2)
	v_sub_f32_e32 v51, v51, v53
	v_sub_f32_e32 v55, v55, v58
	s_delay_alu instid0(VALU_DEP_1) | instskip(NEXT) | instid1(VALU_DEP_1)
	v_add_f32_e32 v9, v9, v55
	v_add_f32_e32 v9, v51, v9
	s_delay_alu instid0(VALU_DEP_1) | instskip(NEXT) | instid1(VALU_DEP_1)
	v_add_f32_e32 v51, v59, v9
	v_mul_f32_e32 v53, v50, v51
	s_delay_alu instid0(VALU_DEP_1) | instskip(NEXT) | instid1(VALU_DEP_1)
	v_dual_sub_f32 v58, v59, v51 :: v_dual_mul_f32 v55, v54, v53
	v_add_f32_e32 v9, v9, v58
	s_delay_alu instid0(VALU_DEP_2) | instskip(NEXT) | instid1(VALU_DEP_1)
	v_fma_f32 v54, v53, v54, -v55
	v_fmac_f32_e32 v54, v53, v52
	s_delay_alu instid0(VALU_DEP_1) | instskip(NEXT) | instid1(VALU_DEP_1)
	v_add_f32_e32 v52, v55, v54
	v_sub_f32_e32 v57, v51, v52
	s_delay_alu instid0(VALU_DEP_1) | instskip(NEXT) | instid1(VALU_DEP_1)
	v_sub_f32_e32 v51, v51, v57
	v_sub_f32_e32 v51, v51, v52
	s_delay_alu instid0(VALU_DEP_1) | instskip(SKIP_2) | instid1(VALU_DEP_1)
	v_add_f32_e32 v9, v9, v51
	v_add_f32_e32 v51, v56, v53
	v_sub_f32_e32 v55, v52, v55
	v_sub_f32_e32 v52, v55, v54
	s_delay_alu instid0(VALU_DEP_1) | instskip(NEXT) | instid1(VALU_DEP_1)
	v_dual_add_f32 v9, v52, v9 :: v_dual_sub_f32 v52, v51, v56
	v_add_f32_e32 v9, v57, v9
	s_delay_alu instid0(VALU_DEP_1) | instskip(NEXT) | instid1(VALU_DEP_1)
	v_dual_sub_f32 v52, v53, v52 :: v_dual_mul_f32 v9, v50, v9
	v_add_f32_e32 v9, v52, v9
	s_delay_alu instid0(VALU_DEP_1) | instskip(NEXT) | instid1(VALU_DEP_1)
	v_add_f32_e32 v50, v51, v9
	v_mul_f32_e32 v52, v50, v50
	s_delay_alu instid0(VALU_DEP_1) | instskip(SKIP_1) | instid1(VALU_DEP_2)
	v_fmaak_f32 v53, s66, v52, 0x3ecc95a3
	v_mul_f32_e32 v54, v50, v52
	v_fmaak_f32 v52, v52, v53, 0x3f2aaada
	v_ldexp_f32 v53, v50, 1
	v_sub_f32_e32 v50, v50, v51
	s_delay_alu instid0(VALU_DEP_3) | instskip(SKIP_1) | instid1(VALU_DEP_2)
	v_mul_f32_e32 v52, v54, v52
	v_mul_f32_e32 v54, 0x3f317218, v8
	v_add_f32_e32 v51, v53, v52
	s_delay_alu instid0(VALU_DEP_1) | instskip(NEXT) | instid1(VALU_DEP_3)
	v_dual_sub_f32 v9, v9, v50 :: v_dual_sub_f32 v50, v51, v53
	v_fma_f32 v53, 0x3f317218, v8, -v54
	s_delay_alu instid0(VALU_DEP_2) | instskip(NEXT) | instid1(VALU_DEP_2)
	v_ldexp_f32 v9, v9, 1
	v_dual_sub_f32 v50, v52, v50 :: v_dual_fmac_f32 v53, 0xb102e308, v8
	s_delay_alu instid0(VALU_DEP_1) | instskip(NEXT) | instid1(VALU_DEP_1)
	v_dual_add_f32 v8, v9, v50 :: v_dual_add_f32 v9, v54, v53
	v_add_f32_e32 v50, v51, v8
	s_delay_alu instid0(VALU_DEP_1) | instskip(NEXT) | instid1(VALU_DEP_1)
	v_add_f32_e32 v52, v9, v50
	v_sub_f32_e32 v55, v52, v9
	s_delay_alu instid0(VALU_DEP_1) | instskip(SKIP_2) | instid1(VALU_DEP_2)
	v_sub_f32_e32 v56, v52, v55
	v_sub_f32_e32 v51, v50, v51
	;; [unrolled: 1-line block ×5, first 2 shown]
	s_delay_alu instid0(VALU_DEP_1) | instskip(NEXT) | instid1(VALU_DEP_1)
	v_sub_f32_e32 v53, v53, v54
	v_add_f32_e32 v51, v53, v8
	v_sub_f32_e32 v9, v9, v56
	s_delay_alu instid0(VALU_DEP_1) | instskip(NEXT) | instid1(VALU_DEP_3)
	v_add_f32_e32 v9, v50, v9
	v_sub_f32_e32 v50, v51, v53
	s_delay_alu instid0(VALU_DEP_1) | instskip(NEXT) | instid1(VALU_DEP_1)
	v_dual_sub_f32 v8, v8, v50 :: v_dual_add_f32 v9, v51, v9
	v_dual_sub_f32 v51, v51, v50 :: v_dual_add_f32 v54, v52, v9
	s_delay_alu instid0(VALU_DEP_1) | instskip(NEXT) | instid1(VALU_DEP_1)
	v_dual_sub_f32 v51, v53, v51 :: v_dual_sub_f32 v50, v54, v52
	v_dual_add_f32 v8, v8, v51 :: v_dual_sub_f32 v9, v9, v50
	s_delay_alu instid0(VALU_DEP_1) | instskip(NEXT) | instid1(VALU_DEP_1)
	v_add_f32_e32 v8, v8, v9
	v_add_f32_e32 v8, v54, v8
	s_delay_alu instid0(VALU_DEP_1)
	v_cndmask_b32_e32 v50, v8, v4, vcc_lo
.LBB111_46:                             ;   in Loop: Header=BB111_12 Depth=1
	s_or_b32 exec_lo, exec_lo, s21
	v_cvt_f32_f16_e32 v4, v5
	s_delay_alu instid0(VALU_DEP_1) | instskip(NEXT) | instid1(VALU_DEP_1)
	v_add_f32_e32 v51, s54, v4
	v_cmp_ge_f32_e32 vcc_lo, 0x41a00000, v51
	s_and_b32 s20, s62, vcc_lo
	s_delay_alu instid0(SALU_CYCLE_1)
	s_and_saveexec_b32 s21, s20
	s_cbranch_execz .LBB111_48
; %bb.47:                               ;   in Loop: Header=BB111_12 Depth=1
	v_mul_f32_e32 v4, 0x3fb8aa3b, v51
	v_cmp_ngt_f32_e32 vcc_lo, 0xc2ce8ed0, v51
	s_delay_alu instid0(VALU_DEP_2) | instskip(SKIP_1) | instid1(VALU_DEP_1)
	v_rndne_f32_e32 v8, v4
	v_fma_f32 v9, 0x3fb8aa3b, v51, -v4
	v_dual_sub_f32 v4, v4, v8 :: v_dual_fmac_f32 v9, 0x32a5705f, v51
	v_cvt_i32_f32_e32 v8, v8
	s_delay_alu instid0(VALU_DEP_2) | instskip(NEXT) | instid1(VALU_DEP_1)
	v_add_f32_e32 v4, v4, v9
	v_exp_f32_e32 v4, v4
	s_waitcnt_depctr 0xfff
	v_ldexp_f32 v4, v4, v8
	s_delay_alu instid0(VALU_DEP_1) | instskip(SKIP_1) | instid1(VALU_DEP_2)
	v_cndmask_b32_e32 v4, 0, v4, vcc_lo
	v_cmp_nlt_f32_e32 vcc_lo, 0x42b17218, v51
	v_cndmask_b32_e32 v4, 0x7f800000, v4, vcc_lo
	s_delay_alu instid0(VALU_DEP_1) | instskip(NEXT) | instid1(VALU_DEP_1)
	v_add_f32_e32 v51, 1.0, v4
	v_cvt_f64_f32_e32 v[8:9], v51
	s_delay_alu instid0(VALU_DEP_1) | instskip(SKIP_1) | instid1(VALU_DEP_1)
	v_frexp_exp_i32_f64_e32 v8, v[8:9]
	v_frexp_mant_f32_e32 v9, v51
	v_cmp_gt_f32_e32 vcc_lo, 0x3f2aaaab, v9
	v_add_f32_e32 v9, -1.0, v51
	s_delay_alu instid0(VALU_DEP_1) | instskip(NEXT) | instid1(VALU_DEP_1)
	v_sub_f32_e32 v53, v9, v51
	v_add_f32_e32 v53, 1.0, v53
	v_subrev_co_ci_u32_e32 v8, vcc_lo, 0, v8, vcc_lo
	s_delay_alu instid0(VALU_DEP_1) | instskip(SKIP_1) | instid1(VALU_DEP_2)
	v_sub_nc_u32_e32 v52, 0, v8
	v_cvt_f32_i32_e32 v8, v8
	v_ldexp_f32 v51, v51, v52
	s_delay_alu instid0(VALU_DEP_1) | instskip(NEXT) | instid1(VALU_DEP_1)
	v_dual_sub_f32 v9, v4, v9 :: v_dual_add_f32 v54, 1.0, v51
	v_add_f32_e32 v9, v9, v53
	v_cmp_eq_f32_e32 vcc_lo, 0x7f800000, v4
	v_cmp_gt_f32_e64 s20, 0x33800000, v4
	s_delay_alu instid0(VALU_DEP_4) | instskip(NEXT) | instid1(VALU_DEP_4)
	v_add_f32_e32 v53, -1.0, v54
	v_ldexp_f32 v9, v9, v52
	v_add_f32_e32 v52, -1.0, v51
	s_delay_alu instid0(VALU_DEP_4) | instskip(NEXT) | instid1(VALU_DEP_3)
	s_or_b32 vcc_lo, s20, vcc_lo
	v_sub_f32_e32 v53, v51, v53
	s_delay_alu instid0(VALU_DEP_2) | instskip(NEXT) | instid1(VALU_DEP_2)
	v_add_f32_e32 v55, 1.0, v52
	v_add_f32_e32 v53, v9, v53
	s_delay_alu instid0(VALU_DEP_2) | instskip(NEXT) | instid1(VALU_DEP_1)
	v_sub_f32_e32 v51, v51, v55
	v_add_f32_e32 v9, v9, v51
	s_delay_alu instid0(VALU_DEP_1) | instskip(NEXT) | instid1(VALU_DEP_1)
	v_add_f32_e32 v56, v52, v9
	v_dual_add_f32 v55, v54, v53 :: v_dual_sub_f32 v52, v52, v56
	s_delay_alu instid0(VALU_DEP_1) | instskip(SKIP_1) | instid1(VALU_DEP_1)
	v_rcp_f32_e32 v51, v55
	v_sub_f32_e32 v54, v54, v55
	v_add_f32_e32 v53, v53, v54
	s_waitcnt_depctr 0xfff
	v_mul_f32_e32 v57, v56, v51
	s_delay_alu instid0(VALU_DEP_1) | instskip(NEXT) | instid1(VALU_DEP_1)
	v_mul_f32_e32 v58, v55, v57
	v_fma_f32 v54, v57, v55, -v58
	s_delay_alu instid0(VALU_DEP_1) | instskip(SKIP_1) | instid1(VALU_DEP_2)
	v_fmac_f32_e32 v54, v57, v53
	v_add_f32_e32 v9, v9, v52
	v_add_f32_e32 v59, v58, v54
	s_delay_alu instid0(VALU_DEP_1) | instskip(SKIP_1) | instid1(VALU_DEP_2)
	v_sub_f32_e32 v60, v56, v59
	v_sub_f32_e32 v52, v59, v58
	;; [unrolled: 1-line block ×3, first 2 shown]
	s_delay_alu instid0(VALU_DEP_2) | instskip(NEXT) | instid1(VALU_DEP_2)
	v_sub_f32_e32 v52, v52, v54
	v_sub_f32_e32 v56, v56, v59
	s_delay_alu instid0(VALU_DEP_1) | instskip(NEXT) | instid1(VALU_DEP_1)
	v_add_f32_e32 v9, v9, v56
	v_add_f32_e32 v9, v52, v9
	s_delay_alu instid0(VALU_DEP_1) | instskip(NEXT) | instid1(VALU_DEP_1)
	v_add_f32_e32 v52, v60, v9
	v_mul_f32_e32 v54, v51, v52
	s_delay_alu instid0(VALU_DEP_1) | instskip(NEXT) | instid1(VALU_DEP_1)
	v_dual_sub_f32 v59, v60, v52 :: v_dual_mul_f32 v56, v55, v54
	v_add_f32_e32 v9, v9, v59
	s_delay_alu instid0(VALU_DEP_2) | instskip(NEXT) | instid1(VALU_DEP_1)
	v_fma_f32 v55, v54, v55, -v56
	v_fmac_f32_e32 v55, v54, v53
	s_delay_alu instid0(VALU_DEP_1) | instskip(NEXT) | instid1(VALU_DEP_1)
	v_add_f32_e32 v53, v56, v55
	v_sub_f32_e32 v58, v52, v53
	s_delay_alu instid0(VALU_DEP_1) | instskip(NEXT) | instid1(VALU_DEP_1)
	v_sub_f32_e32 v52, v52, v58
	v_sub_f32_e32 v52, v52, v53
	s_delay_alu instid0(VALU_DEP_1) | instskip(SKIP_2) | instid1(VALU_DEP_1)
	v_add_f32_e32 v9, v9, v52
	v_add_f32_e32 v52, v57, v54
	v_sub_f32_e32 v56, v53, v56
	v_sub_f32_e32 v53, v56, v55
	s_delay_alu instid0(VALU_DEP_1) | instskip(NEXT) | instid1(VALU_DEP_4)
	v_add_f32_e32 v9, v53, v9
	v_sub_f32_e32 v53, v52, v57
	s_delay_alu instid0(VALU_DEP_2) | instskip(NEXT) | instid1(VALU_DEP_2)
	v_add_f32_e32 v9, v58, v9
	v_sub_f32_e32 v53, v54, v53
	s_delay_alu instid0(VALU_DEP_2) | instskip(NEXT) | instid1(VALU_DEP_1)
	v_mul_f32_e32 v9, v51, v9
	v_add_f32_e32 v9, v53, v9
	s_delay_alu instid0(VALU_DEP_1) | instskip(NEXT) | instid1(VALU_DEP_1)
	v_add_f32_e32 v51, v52, v9
	v_mul_f32_e32 v53, v51, v51
	s_delay_alu instid0(VALU_DEP_1) | instskip(SKIP_1) | instid1(VALU_DEP_2)
	v_fmaak_f32 v54, s66, v53, 0x3ecc95a3
	v_mul_f32_e32 v55, v51, v53
	v_fmaak_f32 v53, v53, v54, 0x3f2aaada
	v_ldexp_f32 v54, v51, 1
	v_sub_f32_e32 v51, v51, v52
	s_delay_alu instid0(VALU_DEP_3) | instskip(SKIP_1) | instid1(VALU_DEP_2)
	v_mul_f32_e32 v53, v55, v53
	v_mul_f32_e32 v55, 0x3f317218, v8
	v_dual_sub_f32 v9, v9, v51 :: v_dual_add_f32 v52, v54, v53
	s_delay_alu instid0(VALU_DEP_1) | instskip(NEXT) | instid1(VALU_DEP_2)
	v_ldexp_f32 v9, v9, 1
	v_sub_f32_e32 v51, v52, v54
	s_delay_alu instid0(VALU_DEP_4) | instskip(NEXT) | instid1(VALU_DEP_1)
	v_fma_f32 v54, 0x3f317218, v8, -v55
	v_dual_sub_f32 v51, v53, v51 :: v_dual_fmac_f32 v54, 0xb102e308, v8
	s_delay_alu instid0(VALU_DEP_1) | instskip(NEXT) | instid1(VALU_DEP_1)
	v_dual_add_f32 v8, v9, v51 :: v_dual_add_f32 v9, v55, v54
	v_add_f32_e32 v51, v52, v8
	s_delay_alu instid0(VALU_DEP_2) | instskip(NEXT) | instid1(VALU_DEP_2)
	v_sub_f32_e32 v55, v9, v55
	v_dual_add_f32 v53, v9, v51 :: v_dual_sub_f32 v52, v51, v52
	s_delay_alu instid0(VALU_DEP_2) | instskip(NEXT) | instid1(VALU_DEP_2)
	v_sub_f32_e32 v54, v54, v55
	v_sub_f32_e32 v56, v53, v9
	s_delay_alu instid0(VALU_DEP_3) | instskip(NEXT) | instid1(VALU_DEP_2)
	v_sub_f32_e32 v8, v8, v52
	v_sub_f32_e32 v57, v53, v56
	;; [unrolled: 1-line block ×3, first 2 shown]
	s_delay_alu instid0(VALU_DEP_2) | instskip(NEXT) | instid1(VALU_DEP_1)
	v_dual_add_f32 v52, v54, v8 :: v_dual_sub_f32 v9, v9, v57
	v_add_f32_e32 v9, v51, v9
	s_delay_alu instid0(VALU_DEP_2) | instskip(NEXT) | instid1(VALU_DEP_2)
	v_sub_f32_e32 v51, v52, v54
	v_add_f32_e32 v9, v52, v9
	s_delay_alu instid0(VALU_DEP_2) | instskip(NEXT) | instid1(VALU_DEP_2)
	v_sub_f32_e32 v52, v52, v51
	v_dual_sub_f32 v8, v8, v51 :: v_dual_add_f32 v55, v53, v9
	s_delay_alu instid0(VALU_DEP_1) | instskip(NEXT) | instid1(VALU_DEP_1)
	v_dual_sub_f32 v52, v54, v52 :: v_dual_sub_f32 v51, v55, v53
	v_dual_add_f32 v8, v8, v52 :: v_dual_sub_f32 v9, v9, v51
	s_delay_alu instid0(VALU_DEP_1) | instskip(NEXT) | instid1(VALU_DEP_1)
	v_add_f32_e32 v8, v8, v9
	v_add_f32_e32 v8, v55, v8
	s_delay_alu instid0(VALU_DEP_1)
	v_cndmask_b32_e32 v51, v8, v4, vcc_lo
.LBB111_48:                             ;   in Loop: Header=BB111_12 Depth=1
	s_or_b32 exec_lo, exec_lo, s21
	v_lshrrev_b32_e32 v4, 16, v5
	s_delay_alu instid0(VALU_DEP_1) | instskip(NEXT) | instid1(VALU_DEP_1)
	v_cvt_f32_f16_e32 v4, v4
	v_add_f32_e32 v52, s54, v4
	s_delay_alu instid0(VALU_DEP_1) | instskip(SKIP_1) | instid1(SALU_CYCLE_1)
	v_cmp_ge_f32_e32 vcc_lo, 0x41a00000, v52
	s_and_b32 s20, s62, vcc_lo
	s_and_saveexec_b32 s21, s20
	s_cbranch_execz .LBB111_50
; %bb.49:                               ;   in Loop: Header=BB111_12 Depth=1
	v_mul_f32_e32 v4, 0x3fb8aa3b, v52
	v_cmp_ngt_f32_e32 vcc_lo, 0xc2ce8ed0, v52
	s_delay_alu instid0(VALU_DEP_2) | instskip(SKIP_1) | instid1(VALU_DEP_2)
	v_rndne_f32_e32 v5, v4
	v_fma_f32 v8, 0x3fb8aa3b, v52, -v4
	v_sub_f32_e32 v4, v4, v5
	s_delay_alu instid0(VALU_DEP_2) | instskip(SKIP_1) | instid1(VALU_DEP_2)
	v_fmac_f32_e32 v8, 0x32a5705f, v52
	v_cvt_i32_f32_e32 v5, v5
	v_add_f32_e32 v4, v4, v8
	s_delay_alu instid0(VALU_DEP_1) | instskip(SKIP_2) | instid1(VALU_DEP_1)
	v_exp_f32_e32 v4, v4
	s_waitcnt_depctr 0xfff
	v_ldexp_f32 v4, v4, v5
	v_cndmask_b32_e32 v4, 0, v4, vcc_lo
	v_cmp_nlt_f32_e32 vcc_lo, 0x42b17218, v52
	s_delay_alu instid0(VALU_DEP_2) | instskip(NEXT) | instid1(VALU_DEP_1)
	v_cndmask_b32_e32 v8, 0x7f800000, v4, vcc_lo
	v_add_f32_e32 v9, 1.0, v8
	s_delay_alu instid0(VALU_DEP_1) | instskip(NEXT) | instid1(VALU_DEP_1)
	v_cvt_f64_f32_e32 v[4:5], v9
	v_frexp_exp_i32_f64_e32 v4, v[4:5]
	v_frexp_mant_f32_e32 v5, v9
	s_delay_alu instid0(VALU_DEP_1) | instskip(SKIP_1) | instid1(VALU_DEP_1)
	v_cmp_gt_f32_e32 vcc_lo, 0x3f2aaaab, v5
	v_add_f32_e32 v5, -1.0, v9
	v_sub_f32_e32 v53, v5, v9
	v_sub_f32_e32 v5, v8, v5
	s_delay_alu instid0(VALU_DEP_2) | instskip(NEXT) | instid1(VALU_DEP_1)
	v_add_f32_e32 v53, 1.0, v53
	v_add_f32_e32 v5, v5, v53
	v_cmp_gt_f32_e64 s20, 0x33800000, v8
	v_subrev_co_ci_u32_e32 v4, vcc_lo, 0, v4, vcc_lo
	v_cmp_eq_f32_e32 vcc_lo, 0x7f800000, v8
	s_delay_alu instid0(VALU_DEP_2) | instskip(SKIP_2) | instid1(VALU_DEP_2)
	v_sub_nc_u32_e32 v52, 0, v4
	v_cvt_f32_i32_e32 v4, v4
	s_or_b32 vcc_lo, s20, vcc_lo
	v_ldexp_f32 v9, v9, v52
	v_ldexp_f32 v5, v5, v52
	s_delay_alu instid0(VALU_DEP_2) | instskip(NEXT) | instid1(VALU_DEP_1)
	v_add_f32_e32 v52, -1.0, v9
	v_dual_add_f32 v54, 1.0, v9 :: v_dual_add_f32 v55, 1.0, v52
	s_delay_alu instid0(VALU_DEP_1) | instskip(NEXT) | instid1(VALU_DEP_1)
	v_add_f32_e32 v53, -1.0, v54
	v_sub_f32_e32 v53, v9, v53
	s_delay_alu instid0(VALU_DEP_3) | instskip(NEXT) | instid1(VALU_DEP_2)
	v_sub_f32_e32 v9, v9, v55
	v_add_f32_e32 v53, v5, v53
	s_delay_alu instid0(VALU_DEP_2) | instskip(NEXT) | instid1(VALU_DEP_1)
	v_add_f32_e32 v5, v5, v9
	v_add_f32_e32 v56, v52, v5
	s_delay_alu instid0(VALU_DEP_1) | instskip(NEXT) | instid1(VALU_DEP_1)
	v_dual_add_f32 v55, v54, v53 :: v_dual_sub_f32 v52, v52, v56
	v_rcp_f32_e32 v9, v55
	v_sub_f32_e32 v54, v54, v55
	s_delay_alu instid0(VALU_DEP_1) | instskip(SKIP_2) | instid1(VALU_DEP_1)
	v_add_f32_e32 v53, v53, v54
	s_waitcnt_depctr 0xfff
	v_mul_f32_e32 v57, v56, v9
	v_mul_f32_e32 v58, v55, v57
	s_delay_alu instid0(VALU_DEP_1) | instskip(NEXT) | instid1(VALU_DEP_1)
	v_fma_f32 v54, v57, v55, -v58
	v_fmac_f32_e32 v54, v57, v53
	s_delay_alu instid0(VALU_DEP_1) | instskip(NEXT) | instid1(VALU_DEP_1)
	v_add_f32_e32 v59, v58, v54
	v_sub_f32_e32 v60, v56, v59
	s_delay_alu instid0(VALU_DEP_1) | instskip(SKIP_1) | instid1(VALU_DEP_2)
	v_sub_f32_e32 v56, v56, v60
	v_dual_add_f32 v5, v5, v52 :: v_dual_sub_f32 v52, v59, v58
	v_sub_f32_e32 v56, v56, v59
	s_delay_alu instid0(VALU_DEP_1) | instskip(NEXT) | instid1(VALU_DEP_1)
	v_dual_sub_f32 v52, v52, v54 :: v_dual_add_f32 v5, v5, v56
	v_add_f32_e32 v5, v52, v5
	s_delay_alu instid0(VALU_DEP_1) | instskip(NEXT) | instid1(VALU_DEP_1)
	v_add_f32_e32 v52, v60, v5
	v_mul_f32_e32 v54, v9, v52
	s_delay_alu instid0(VALU_DEP_1) | instskip(NEXT) | instid1(VALU_DEP_1)
	v_dual_sub_f32 v59, v60, v52 :: v_dual_mul_f32 v56, v55, v54
	v_add_f32_e32 v5, v5, v59
	s_delay_alu instid0(VALU_DEP_2) | instskip(NEXT) | instid1(VALU_DEP_1)
	v_fma_f32 v55, v54, v55, -v56
	v_fmac_f32_e32 v55, v54, v53
	s_delay_alu instid0(VALU_DEP_1) | instskip(NEXT) | instid1(VALU_DEP_1)
	v_add_f32_e32 v53, v56, v55
	v_sub_f32_e32 v58, v52, v53
	s_delay_alu instid0(VALU_DEP_1) | instskip(NEXT) | instid1(VALU_DEP_1)
	v_sub_f32_e32 v52, v52, v58
	v_sub_f32_e32 v52, v52, v53
	s_delay_alu instid0(VALU_DEP_1) | instskip(SKIP_2) | instid1(VALU_DEP_1)
	v_add_f32_e32 v5, v5, v52
	v_add_f32_e32 v52, v57, v54
	v_sub_f32_e32 v56, v53, v56
	v_sub_f32_e32 v53, v56, v55
	s_delay_alu instid0(VALU_DEP_1) | instskip(NEXT) | instid1(VALU_DEP_4)
	v_add_f32_e32 v5, v53, v5
	v_sub_f32_e32 v53, v52, v57
	s_delay_alu instid0(VALU_DEP_2) | instskip(NEXT) | instid1(VALU_DEP_2)
	v_add_f32_e32 v5, v58, v5
	v_sub_f32_e32 v53, v54, v53
	s_delay_alu instid0(VALU_DEP_2) | instskip(NEXT) | instid1(VALU_DEP_1)
	v_mul_f32_e32 v5, v9, v5
	v_add_f32_e32 v5, v53, v5
	s_delay_alu instid0(VALU_DEP_1) | instskip(NEXT) | instid1(VALU_DEP_1)
	v_add_f32_e32 v9, v52, v5
	v_mul_f32_e32 v53, v9, v9
	s_delay_alu instid0(VALU_DEP_1) | instskip(SKIP_1) | instid1(VALU_DEP_2)
	v_fmaak_f32 v54, s66, v53, 0x3ecc95a3
	v_mul_f32_e32 v55, v9, v53
	v_fmaak_f32 v53, v53, v54, 0x3f2aaada
	v_ldexp_f32 v54, v9, 1
	s_delay_alu instid0(VALU_DEP_2) | instskip(NEXT) | instid1(VALU_DEP_1)
	v_mul_f32_e32 v53, v55, v53
	v_dual_sub_f32 v9, v9, v52 :: v_dual_add_f32 v52, v54, v53
	s_delay_alu instid0(VALU_DEP_1) | instskip(NEXT) | instid1(VALU_DEP_2)
	v_sub_f32_e32 v5, v5, v9
	v_sub_f32_e32 v9, v52, v54
	s_delay_alu instid0(VALU_DEP_2) | instskip(NEXT) | instid1(VALU_DEP_2)
	v_ldexp_f32 v5, v5, 1
	v_sub_f32_e32 v9, v53, v9
	v_mul_f32_e32 v55, 0x3f317218, v4
	s_delay_alu instid0(VALU_DEP_1) | instskip(NEXT) | instid1(VALU_DEP_1)
	v_fma_f32 v54, 0x3f317218, v4, -v55
	v_fmac_f32_e32 v54, 0xb102e308, v4
	s_delay_alu instid0(VALU_DEP_1) | instskip(NEXT) | instid1(VALU_DEP_1)
	v_dual_add_f32 v4, v5, v9 :: v_dual_add_f32 v5, v55, v54
	v_add_f32_e32 v9, v52, v4
	s_delay_alu instid0(VALU_DEP_1) | instskip(SKIP_1) | instid1(VALU_DEP_2)
	v_add_f32_e32 v53, v5, v9
	v_sub_f32_e32 v52, v9, v52
	v_sub_f32_e32 v56, v53, v5
	s_delay_alu instid0(VALU_DEP_2) | instskip(NEXT) | instid1(VALU_DEP_2)
	v_dual_sub_f32 v4, v4, v52 :: v_dual_sub_f32 v55, v5, v55
	v_sub_f32_e32 v57, v53, v56
	s_delay_alu instid0(VALU_DEP_2) | instskip(NEXT) | instid1(VALU_DEP_1)
	v_dual_sub_f32 v9, v9, v56 :: v_dual_sub_f32 v54, v54, v55
	v_dual_sub_f32 v5, v5, v57 :: v_dual_add_f32 v52, v54, v4
	s_delay_alu instid0(VALU_DEP_1) | instskip(NEXT) | instid1(VALU_DEP_2)
	v_add_f32_e32 v5, v9, v5
	v_sub_f32_e32 v9, v52, v54
	s_delay_alu instid0(VALU_DEP_2) | instskip(NEXT) | instid1(VALU_DEP_2)
	v_add_f32_e32 v5, v52, v5
	v_sub_f32_e32 v52, v52, v9
	v_sub_f32_e32 v4, v4, v9
	s_delay_alu instid0(VALU_DEP_2) | instskip(NEXT) | instid1(VALU_DEP_1)
	v_dual_add_f32 v55, v53, v5 :: v_dual_sub_f32 v52, v54, v52
	v_dual_sub_f32 v9, v55, v53 :: v_dual_add_f32 v4, v4, v52
	s_delay_alu instid0(VALU_DEP_1) | instskip(NEXT) | instid1(VALU_DEP_1)
	v_sub_f32_e32 v5, v5, v9
	v_add_f32_e32 v4, v4, v5
	s_delay_alu instid0(VALU_DEP_1) | instskip(NEXT) | instid1(VALU_DEP_1)
	v_add_f32_e32 v4, v55, v4
	v_cndmask_b32_e32 v52, v4, v8, vcc_lo
.LBB111_50:                             ;   in Loop: Header=BB111_12 Depth=1
	s_or_b32 exec_lo, exec_lo, s21
	v_cvt_f32_f16_e32 v4, v6
	s_delay_alu instid0(VALU_DEP_1) | instskip(NEXT) | instid1(VALU_DEP_1)
	v_add_f32_e32 v53, s54, v4
	v_cmp_ge_f32_e32 vcc_lo, 0x41a00000, v53
	s_and_b32 s20, s62, vcc_lo
	s_delay_alu instid0(SALU_CYCLE_1)
	s_and_saveexec_b32 s21, s20
	s_cbranch_execz .LBB111_52
; %bb.51:                               ;   in Loop: Header=BB111_12 Depth=1
	v_mul_f32_e32 v4, 0x3fb8aa3b, v53
	v_cmp_ngt_f32_e32 vcc_lo, 0xc2ce8ed0, v53
	s_delay_alu instid0(VALU_DEP_2) | instskip(SKIP_1) | instid1(VALU_DEP_2)
	v_rndne_f32_e32 v5, v4
	v_fma_f32 v8, 0x3fb8aa3b, v53, -v4
	v_sub_f32_e32 v4, v4, v5
	s_delay_alu instid0(VALU_DEP_2) | instskip(SKIP_1) | instid1(VALU_DEP_2)
	v_fmac_f32_e32 v8, 0x32a5705f, v53
	v_cvt_i32_f32_e32 v5, v5
	v_add_f32_e32 v4, v4, v8
	s_delay_alu instid0(VALU_DEP_1) | instskip(SKIP_2) | instid1(VALU_DEP_1)
	v_exp_f32_e32 v4, v4
	s_waitcnt_depctr 0xfff
	v_ldexp_f32 v4, v4, v5
	v_cndmask_b32_e32 v4, 0, v4, vcc_lo
	v_cmp_nlt_f32_e32 vcc_lo, 0x42b17218, v53
	s_delay_alu instid0(VALU_DEP_2) | instskip(NEXT) | instid1(VALU_DEP_1)
	v_cndmask_b32_e32 v8, 0x7f800000, v4, vcc_lo
	v_add_f32_e32 v9, 1.0, v8
	s_delay_alu instid0(VALU_DEP_1) | instskip(NEXT) | instid1(VALU_DEP_1)
	v_cvt_f64_f32_e32 v[4:5], v9
	v_frexp_exp_i32_f64_e32 v4, v[4:5]
	v_frexp_mant_f32_e32 v5, v9
	s_delay_alu instid0(VALU_DEP_1) | instskip(SKIP_1) | instid1(VALU_DEP_1)
	v_cmp_gt_f32_e32 vcc_lo, 0x3f2aaaab, v5
	v_add_f32_e32 v5, -1.0, v9
	v_sub_f32_e32 v54, v5, v9
	v_subrev_co_ci_u32_e32 v4, vcc_lo, 0, v4, vcc_lo
	s_delay_alu instid0(VALU_DEP_1) | instskip(SKIP_1) | instid1(VALU_DEP_2)
	v_sub_nc_u32_e32 v53, 0, v4
	v_cvt_f32_i32_e32 v4, v4
	v_ldexp_f32 v9, v9, v53
	s_delay_alu instid0(VALU_DEP_1) | instskip(SKIP_3) | instid1(VALU_DEP_3)
	v_dual_add_f32 v54, 1.0, v54 :: v_dual_add_f32 v55, 1.0, v9
	v_sub_f32_e32 v5, v8, v5
	v_cmp_eq_f32_e32 vcc_lo, 0x7f800000, v8
	v_cmp_gt_f32_e64 s20, 0x33800000, v8
	v_add_f32_e32 v5, v5, v54
	s_delay_alu instid0(VALU_DEP_2) | instskip(NEXT) | instid1(VALU_DEP_1)
	s_or_b32 vcc_lo, s20, vcc_lo
	v_ldexp_f32 v5, v5, v53
	v_dual_add_f32 v53, -1.0, v9 :: v_dual_add_f32 v54, -1.0, v55
	s_delay_alu instid0(VALU_DEP_1) | instskip(NEXT) | instid1(VALU_DEP_2)
	v_add_f32_e32 v56, 1.0, v53
	v_sub_f32_e32 v54, v9, v54
	s_delay_alu instid0(VALU_DEP_2) | instskip(NEXT) | instid1(VALU_DEP_2)
	v_sub_f32_e32 v9, v9, v56
	v_add_f32_e32 v54, v5, v54
	s_delay_alu instid0(VALU_DEP_1) | instskip(NEXT) | instid1(VALU_DEP_1)
	v_dual_add_f32 v5, v5, v9 :: v_dual_add_f32 v56, v55, v54
	v_add_f32_e32 v57, v53, v5
	s_delay_alu instid0(VALU_DEP_2) | instskip(SKIP_1) | instid1(VALU_DEP_1)
	v_rcp_f32_e32 v9, v56
	v_sub_f32_e32 v55, v55, v56
	v_dual_sub_f32 v53, v53, v57 :: v_dual_add_f32 v54, v54, v55
	s_delay_alu instid0(VALU_DEP_1) | instskip(SKIP_2) | instid1(VALU_DEP_1)
	v_add_f32_e32 v5, v5, v53
	s_waitcnt_depctr 0xfff
	v_mul_f32_e32 v58, v57, v9
	v_mul_f32_e32 v59, v56, v58
	s_delay_alu instid0(VALU_DEP_1) | instskip(NEXT) | instid1(VALU_DEP_1)
	v_fma_f32 v55, v58, v56, -v59
	v_fmac_f32_e32 v55, v58, v54
	s_delay_alu instid0(VALU_DEP_1) | instskip(NEXT) | instid1(VALU_DEP_1)
	v_add_f32_e32 v60, v59, v55
	v_sub_f32_e32 v61, v57, v60
	v_sub_f32_e32 v53, v60, v59
	s_delay_alu instid0(VALU_DEP_2) | instskip(NEXT) | instid1(VALU_DEP_2)
	v_sub_f32_e32 v57, v57, v61
	v_sub_f32_e32 v53, v53, v55
	s_delay_alu instid0(VALU_DEP_2) | instskip(NEXT) | instid1(VALU_DEP_1)
	v_sub_f32_e32 v57, v57, v60
	v_add_f32_e32 v5, v5, v57
	s_delay_alu instid0(VALU_DEP_1) | instskip(NEXT) | instid1(VALU_DEP_1)
	v_add_f32_e32 v5, v53, v5
	v_add_f32_e32 v53, v61, v5
	s_delay_alu instid0(VALU_DEP_1) | instskip(NEXT) | instid1(VALU_DEP_1)
	v_mul_f32_e32 v55, v9, v53
	v_mul_f32_e32 v57, v56, v55
	s_delay_alu instid0(VALU_DEP_1) | instskip(NEXT) | instid1(VALU_DEP_1)
	v_fma_f32 v56, v55, v56, -v57
	v_fmac_f32_e32 v56, v55, v54
	v_sub_f32_e32 v60, v61, v53
	s_delay_alu instid0(VALU_DEP_2) | instskip(NEXT) | instid1(VALU_DEP_2)
	v_add_f32_e32 v54, v57, v56
	v_add_f32_e32 v5, v5, v60
	s_delay_alu instid0(VALU_DEP_2) | instskip(NEXT) | instid1(VALU_DEP_1)
	v_sub_f32_e32 v59, v53, v54
	v_sub_f32_e32 v53, v53, v59
	s_delay_alu instid0(VALU_DEP_1) | instskip(NEXT) | instid1(VALU_DEP_1)
	v_sub_f32_e32 v53, v53, v54
	v_add_f32_e32 v5, v5, v53
	v_add_f32_e32 v53, v58, v55
	v_sub_f32_e32 v57, v54, v57
	s_delay_alu instid0(VALU_DEP_1) | instskip(NEXT) | instid1(VALU_DEP_1)
	v_sub_f32_e32 v54, v57, v56
	v_dual_add_f32 v5, v54, v5 :: v_dual_sub_f32 v54, v53, v58
	s_delay_alu instid0(VALU_DEP_1) | instskip(NEXT) | instid1(VALU_DEP_1)
	v_add_f32_e32 v5, v59, v5
	v_dual_sub_f32 v54, v55, v54 :: v_dual_mul_f32 v5, v9, v5
	s_delay_alu instid0(VALU_DEP_1) | instskip(NEXT) | instid1(VALU_DEP_1)
	v_add_f32_e32 v5, v54, v5
	v_add_f32_e32 v9, v53, v5
	s_delay_alu instid0(VALU_DEP_1) | instskip(NEXT) | instid1(VALU_DEP_1)
	v_mul_f32_e32 v54, v9, v9
	v_fmaak_f32 v55, s66, v54, 0x3ecc95a3
	v_mul_f32_e32 v56, v9, v54
	s_delay_alu instid0(VALU_DEP_2) | instskip(SKIP_1) | instid1(VALU_DEP_2)
	v_fmaak_f32 v54, v54, v55, 0x3f2aaada
	v_ldexp_f32 v55, v9, 1
	v_dual_sub_f32 v9, v9, v53 :: v_dual_mul_f32 v54, v56, v54
	s_delay_alu instid0(VALU_DEP_1) | instskip(NEXT) | instid1(VALU_DEP_2)
	v_dual_mul_f32 v56, 0x3f317218, v4 :: v_dual_sub_f32 v5, v5, v9
	v_add_f32_e32 v53, v55, v54
	s_delay_alu instid0(VALU_DEP_2) | instskip(NEXT) | instid1(VALU_DEP_2)
	v_ldexp_f32 v5, v5, 1
	v_sub_f32_e32 v9, v53, v55
	s_delay_alu instid0(VALU_DEP_4) | instskip(NEXT) | instid1(VALU_DEP_2)
	v_fma_f32 v55, 0x3f317218, v4, -v56
	v_sub_f32_e32 v9, v54, v9
	s_delay_alu instid0(VALU_DEP_1) | instskip(NEXT) | instid1(VALU_DEP_1)
	v_dual_fmac_f32 v55, 0xb102e308, v4 :: v_dual_add_f32 v4, v5, v9
	v_add_f32_e32 v5, v56, v55
	s_delay_alu instid0(VALU_DEP_2) | instskip(NEXT) | instid1(VALU_DEP_2)
	v_add_f32_e32 v9, v53, v4
	v_sub_f32_e32 v56, v5, v56
	s_delay_alu instid0(VALU_DEP_1) | instskip(SKIP_1) | instid1(VALU_DEP_2)
	v_dual_add_f32 v54, v5, v9 :: v_dual_sub_f32 v55, v55, v56
	v_sub_f32_e32 v53, v9, v53
	v_sub_f32_e32 v57, v54, v5
	s_delay_alu instid0(VALU_DEP_2) | instskip(NEXT) | instid1(VALU_DEP_2)
	v_sub_f32_e32 v4, v4, v53
	v_sub_f32_e32 v58, v54, v57
	v_sub_f32_e32 v9, v9, v57
	s_delay_alu instid0(VALU_DEP_3) | instskip(NEXT) | instid1(VALU_DEP_3)
	v_add_f32_e32 v53, v55, v4
	v_sub_f32_e32 v5, v5, v58
	s_delay_alu instid0(VALU_DEP_1) | instskip(NEXT) | instid1(VALU_DEP_3)
	v_add_f32_e32 v5, v9, v5
	v_sub_f32_e32 v9, v53, v55
	s_delay_alu instid0(VALU_DEP_2) | instskip(NEXT) | instid1(VALU_DEP_2)
	v_add_f32_e32 v5, v53, v5
	v_sub_f32_e32 v53, v53, v9
	v_sub_f32_e32 v4, v4, v9
	s_delay_alu instid0(VALU_DEP_3) | instskip(NEXT) | instid1(VALU_DEP_3)
	v_add_f32_e32 v56, v54, v5
	v_sub_f32_e32 v53, v55, v53
	s_delay_alu instid0(VALU_DEP_2) | instskip(NEXT) | instid1(VALU_DEP_2)
	v_sub_f32_e32 v9, v56, v54
	v_add_f32_e32 v4, v4, v53
	s_delay_alu instid0(VALU_DEP_2) | instskip(NEXT) | instid1(VALU_DEP_1)
	v_sub_f32_e32 v5, v5, v9
	v_add_f32_e32 v4, v4, v5
	s_delay_alu instid0(VALU_DEP_1) | instskip(NEXT) | instid1(VALU_DEP_1)
	v_add_f32_e32 v4, v56, v4
	v_cndmask_b32_e32 v53, v4, v8, vcc_lo
.LBB111_52:                             ;   in Loop: Header=BB111_12 Depth=1
	s_or_b32 exec_lo, exec_lo, s21
	v_lshrrev_b32_e32 v4, 16, v6
	s_delay_alu instid0(VALU_DEP_1) | instskip(NEXT) | instid1(VALU_DEP_1)
	v_cvt_f32_f16_e32 v4, v4
	v_add_f32_e32 v54, s54, v4
	s_delay_alu instid0(VALU_DEP_1) | instskip(SKIP_1) | instid1(SALU_CYCLE_1)
	v_cmp_ge_f32_e32 vcc_lo, 0x41a00000, v54
	s_and_b32 s20, s62, vcc_lo
	s_and_saveexec_b32 s21, s20
	s_cbranch_execz .LBB111_54
; %bb.53:                               ;   in Loop: Header=BB111_12 Depth=1
	v_mul_f32_e32 v4, 0x3fb8aa3b, v54
	v_cmp_ngt_f32_e32 vcc_lo, 0xc2ce8ed0, v54
	s_delay_alu instid0(VALU_DEP_2) | instskip(SKIP_1) | instid1(VALU_DEP_2)
	v_rndne_f32_e32 v5, v4
	v_fma_f32 v6, 0x3fb8aa3b, v54, -v4
	v_sub_f32_e32 v4, v4, v5
	s_delay_alu instid0(VALU_DEP_2) | instskip(SKIP_1) | instid1(VALU_DEP_2)
	v_fmac_f32_e32 v6, 0x32a5705f, v54
	v_cvt_i32_f32_e32 v5, v5
	v_add_f32_e32 v4, v4, v6
	s_delay_alu instid0(VALU_DEP_1) | instskip(SKIP_2) | instid1(VALU_DEP_1)
	v_exp_f32_e32 v4, v4
	s_waitcnt_depctr 0xfff
	v_ldexp_f32 v4, v4, v5
	v_cndmask_b32_e32 v4, 0, v4, vcc_lo
	v_cmp_nlt_f32_e32 vcc_lo, 0x42b17218, v54
	s_delay_alu instid0(VALU_DEP_2) | instskip(NEXT) | instid1(VALU_DEP_1)
	v_cndmask_b32_e32 v6, 0x7f800000, v4, vcc_lo
	v_add_f32_e32 v8, 1.0, v6
	s_delay_alu instid0(VALU_DEP_1) | instskip(NEXT) | instid1(VALU_DEP_1)
	v_cvt_f64_f32_e32 v[4:5], v8
	v_frexp_exp_i32_f64_e32 v4, v[4:5]
	v_frexp_mant_f32_e32 v5, v8
	s_delay_alu instid0(VALU_DEP_1) | instskip(SKIP_1) | instid1(VALU_DEP_1)
	v_cmp_gt_f32_e32 vcc_lo, 0x3f2aaaab, v5
	v_add_f32_e32 v5, -1.0, v8
	v_dual_sub_f32 v54, v5, v8 :: v_dual_sub_f32 v5, v6, v5
	s_delay_alu instid0(VALU_DEP_1) | instskip(NEXT) | instid1(VALU_DEP_1)
	v_add_f32_e32 v54, 1.0, v54
	v_add_f32_e32 v5, v5, v54
	v_subrev_co_ci_u32_e32 v4, vcc_lo, 0, v4, vcc_lo
	s_delay_alu instid0(VALU_DEP_1) | instskip(SKIP_1) | instid1(VALU_DEP_2)
	v_sub_nc_u32_e32 v9, 0, v4
	v_cvt_f32_i32_e32 v4, v4
	v_ldexp_f32 v8, v8, v9
	v_ldexp_f32 v5, v5, v9
	s_delay_alu instid0(VALU_DEP_2) | instskip(NEXT) | instid1(VALU_DEP_1)
	v_add_f32_e32 v55, 1.0, v8
	v_dual_add_f32 v9, -1.0, v8 :: v_dual_add_f32 v54, -1.0, v55
	s_delay_alu instid0(VALU_DEP_1) | instskip(NEXT) | instid1(VALU_DEP_2)
	v_add_f32_e32 v56, 1.0, v9
	v_sub_f32_e32 v54, v8, v54
	s_delay_alu instid0(VALU_DEP_2) | instskip(NEXT) | instid1(VALU_DEP_2)
	v_sub_f32_e32 v8, v8, v56
	v_add_f32_e32 v54, v5, v54
	s_delay_alu instid0(VALU_DEP_2) | instskip(NEXT) | instid1(VALU_DEP_1)
	v_add_f32_e32 v5, v5, v8
	v_add_f32_e32 v57, v9, v5
	v_cmp_eq_f32_e32 vcc_lo, 0x7f800000, v6
	v_cmp_gt_f32_e64 s20, 0x33800000, v6
	s_delay_alu instid0(VALU_DEP_3) | instskip(NEXT) | instid1(VALU_DEP_2)
	v_dual_sub_f32 v9, v9, v57 :: v_dual_add_f32 v56, v55, v54
	s_or_b32 vcc_lo, s20, vcc_lo
	s_delay_alu instid0(VALU_DEP_1) | instskip(NEXT) | instid1(VALU_DEP_2)
	v_add_f32_e32 v5, v5, v9
	v_rcp_f32_e32 v8, v56
	v_sub_f32_e32 v55, v55, v56
	s_delay_alu instid0(VALU_DEP_1) | instskip(SKIP_2) | instid1(VALU_DEP_1)
	v_add_f32_e32 v54, v54, v55
	s_waitcnt_depctr 0xfff
	v_mul_f32_e32 v58, v57, v8
	v_mul_f32_e32 v59, v56, v58
	s_delay_alu instid0(VALU_DEP_1) | instskip(NEXT) | instid1(VALU_DEP_1)
	v_fma_f32 v55, v58, v56, -v59
	v_fmac_f32_e32 v55, v58, v54
	s_delay_alu instid0(VALU_DEP_1) | instskip(NEXT) | instid1(VALU_DEP_1)
	v_add_f32_e32 v60, v59, v55
	v_sub_f32_e32 v61, v57, v60
	s_delay_alu instid0(VALU_DEP_1) | instskip(NEXT) | instid1(VALU_DEP_1)
	v_sub_f32_e32 v57, v57, v61
	v_sub_f32_e32 v57, v57, v60
	s_delay_alu instid0(VALU_DEP_1) | instskip(SKIP_1) | instid1(VALU_DEP_1)
	v_add_f32_e32 v5, v5, v57
	v_sub_f32_e32 v9, v60, v59
	v_sub_f32_e32 v9, v9, v55
	s_delay_alu instid0(VALU_DEP_1) | instskip(NEXT) | instid1(VALU_DEP_1)
	v_add_f32_e32 v5, v9, v5
	v_add_f32_e32 v9, v61, v5
	s_delay_alu instid0(VALU_DEP_1) | instskip(NEXT) | instid1(VALU_DEP_1)
	v_mul_f32_e32 v55, v8, v9
	v_dual_sub_f32 v60, v61, v9 :: v_dual_mul_f32 v57, v56, v55
	s_delay_alu instid0(VALU_DEP_1) | instskip(NEXT) | instid1(VALU_DEP_2)
	v_add_f32_e32 v5, v5, v60
	v_fma_f32 v56, v55, v56, -v57
	s_delay_alu instid0(VALU_DEP_1) | instskip(NEXT) | instid1(VALU_DEP_1)
	v_fmac_f32_e32 v56, v55, v54
	v_add_f32_e32 v54, v57, v56
	s_delay_alu instid0(VALU_DEP_1) | instskip(NEXT) | instid1(VALU_DEP_1)
	v_sub_f32_e32 v59, v9, v54
	v_sub_f32_e32 v9, v9, v59
	s_delay_alu instid0(VALU_DEP_1) | instskip(NEXT) | instid1(VALU_DEP_1)
	v_sub_f32_e32 v9, v9, v54
	v_add_f32_e32 v5, v5, v9
	v_add_f32_e32 v9, v58, v55
	v_sub_f32_e32 v57, v54, v57
	s_delay_alu instid0(VALU_DEP_1) | instskip(NEXT) | instid1(VALU_DEP_1)
	v_sub_f32_e32 v54, v57, v56
	v_dual_add_f32 v5, v54, v5 :: v_dual_sub_f32 v54, v9, v58
	s_delay_alu instid0(VALU_DEP_1) | instskip(NEXT) | instid1(VALU_DEP_1)
	v_add_f32_e32 v5, v59, v5
	v_dual_sub_f32 v54, v55, v54 :: v_dual_mul_f32 v5, v8, v5
	s_delay_alu instid0(VALU_DEP_1) | instskip(NEXT) | instid1(VALU_DEP_1)
	v_add_f32_e32 v5, v54, v5
	v_add_f32_e32 v8, v9, v5
	s_delay_alu instid0(VALU_DEP_1) | instskip(NEXT) | instid1(VALU_DEP_1)
	v_mul_f32_e32 v54, v8, v8
	v_fmaak_f32 v55, s66, v54, 0x3ecc95a3
	v_mul_f32_e32 v56, v8, v54
	s_delay_alu instid0(VALU_DEP_2) | instskip(SKIP_1) | instid1(VALU_DEP_2)
	v_fmaak_f32 v54, v54, v55, 0x3f2aaada
	v_ldexp_f32 v55, v8, 1
	v_mul_f32_e32 v54, v56, v54
	v_sub_f32_e32 v8, v8, v9
	s_delay_alu instid0(VALU_DEP_2) | instskip(NEXT) | instid1(VALU_DEP_2)
	v_dual_mul_f32 v56, 0x3f317218, v4 :: v_dual_add_f32 v9, v55, v54
	v_sub_f32_e32 v5, v5, v8
	s_delay_alu instid0(VALU_DEP_2) | instskip(NEXT) | instid1(VALU_DEP_3)
	v_sub_f32_e32 v8, v9, v55
	v_fma_f32 v55, 0x3f317218, v4, -v56
	s_delay_alu instid0(VALU_DEP_3) | instskip(NEXT) | instid1(VALU_DEP_3)
	v_ldexp_f32 v5, v5, 1
	v_sub_f32_e32 v8, v54, v8
	s_delay_alu instid0(VALU_DEP_3) | instskip(NEXT) | instid1(VALU_DEP_2)
	v_fmac_f32_e32 v55, 0xb102e308, v4
	v_add_f32_e32 v4, v5, v8
	s_delay_alu instid0(VALU_DEP_1) | instskip(NEXT) | instid1(VALU_DEP_1)
	v_add_f32_e32 v8, v9, v4
	v_sub_f32_e32 v9, v8, v9
	s_delay_alu instid0(VALU_DEP_1) | instskip(SKIP_1) | instid1(VALU_DEP_1)
	v_sub_f32_e32 v4, v4, v9
	v_add_f32_e32 v5, v56, v55
	v_add_f32_e32 v54, v5, v8
	s_delay_alu instid0(VALU_DEP_1) | instskip(NEXT) | instid1(VALU_DEP_1)
	v_dual_sub_f32 v56, v5, v56 :: v_dual_sub_f32 v57, v54, v5
	v_dual_sub_f32 v55, v55, v56 :: v_dual_sub_f32 v8, v8, v57
	v_sub_f32_e32 v58, v54, v57
	s_delay_alu instid0(VALU_DEP_1) | instskip(NEXT) | instid1(VALU_DEP_1)
	v_sub_f32_e32 v5, v5, v58
	v_add_f32_e32 v5, v8, v5
	s_delay_alu instid0(VALU_DEP_4) | instskip(NEXT) | instid1(VALU_DEP_1)
	v_add_f32_e32 v9, v55, v4
	v_add_f32_e32 v5, v9, v5
	s_delay_alu instid0(VALU_DEP_1) | instskip(SKIP_1) | instid1(VALU_DEP_1)
	v_add_f32_e32 v56, v54, v5
	v_sub_f32_e32 v8, v9, v55
	v_sub_f32_e32 v9, v9, v8
	;; [unrolled: 1-line block ×3, first 2 shown]
	s_delay_alu instid0(VALU_DEP_2) | instskip(NEXT) | instid1(VALU_DEP_1)
	v_dual_sub_f32 v8, v56, v54 :: v_dual_sub_f32 v9, v55, v9
	v_dual_sub_f32 v5, v5, v8 :: v_dual_add_f32 v4, v4, v9
	s_delay_alu instid0(VALU_DEP_1) | instskip(NEXT) | instid1(VALU_DEP_1)
	v_add_f32_e32 v4, v4, v5
	v_add_f32_e32 v4, v56, v4
	s_delay_alu instid0(VALU_DEP_1)
	v_cndmask_b32_e32 v54, v4, v6, vcc_lo
.LBB111_54:                             ;   in Loop: Header=BB111_12 Depth=1
	s_or_b32 exec_lo, exec_lo, s21
	v_cvt_f32_f16_e32 v4, v7
	s_delay_alu instid0(VALU_DEP_1) | instskip(NEXT) | instid1(VALU_DEP_1)
	v_add_f32_e32 v55, s54, v4
	v_cmp_ge_f32_e32 vcc_lo, 0x41a00000, v55
	s_and_b32 s20, s62, vcc_lo
	s_delay_alu instid0(SALU_CYCLE_1)
	s_and_saveexec_b32 s21, s20
	s_cbranch_execz .LBB111_56
; %bb.55:                               ;   in Loop: Header=BB111_12 Depth=1
	v_mul_f32_e32 v4, 0x3fb8aa3b, v55
	v_cmp_ngt_f32_e32 vcc_lo, 0xc2ce8ed0, v55
	s_delay_alu instid0(VALU_DEP_2) | instskip(SKIP_1) | instid1(VALU_DEP_2)
	v_rndne_f32_e32 v5, v4
	v_fma_f32 v6, 0x3fb8aa3b, v55, -v4
	v_sub_f32_e32 v4, v4, v5
	s_delay_alu instid0(VALU_DEP_2) | instskip(SKIP_1) | instid1(VALU_DEP_2)
	v_fmac_f32_e32 v6, 0x32a5705f, v55
	v_cvt_i32_f32_e32 v5, v5
	v_add_f32_e32 v4, v4, v6
	s_delay_alu instid0(VALU_DEP_1) | instskip(SKIP_2) | instid1(VALU_DEP_1)
	v_exp_f32_e32 v4, v4
	s_waitcnt_depctr 0xfff
	v_ldexp_f32 v4, v4, v5
	v_cndmask_b32_e32 v4, 0, v4, vcc_lo
	v_cmp_nlt_f32_e32 vcc_lo, 0x42b17218, v55
	s_delay_alu instid0(VALU_DEP_2) | instskip(NEXT) | instid1(VALU_DEP_1)
	v_cndmask_b32_e32 v6, 0x7f800000, v4, vcc_lo
	v_add_f32_e32 v8, 1.0, v6
	s_delay_alu instid0(VALU_DEP_1) | instskip(NEXT) | instid1(VALU_DEP_1)
	v_cvt_f64_f32_e32 v[4:5], v8
	v_frexp_exp_i32_f64_e32 v4, v[4:5]
	v_frexp_mant_f32_e32 v5, v8
	s_delay_alu instid0(VALU_DEP_1) | instskip(SKIP_1) | instid1(VALU_DEP_1)
	v_cmp_gt_f32_e32 vcc_lo, 0x3f2aaaab, v5
	v_add_f32_e32 v5, -1.0, v8
	v_sub_f32_e32 v55, v5, v8
	v_sub_f32_e32 v5, v6, v5
	s_delay_alu instid0(VALU_DEP_2) | instskip(NEXT) | instid1(VALU_DEP_1)
	v_add_f32_e32 v55, 1.0, v55
	v_add_f32_e32 v5, v5, v55
	v_cmp_gt_f32_e64 s20, 0x33800000, v6
	v_subrev_co_ci_u32_e32 v4, vcc_lo, 0, v4, vcc_lo
	v_cmp_eq_f32_e32 vcc_lo, 0x7f800000, v6
	s_delay_alu instid0(VALU_DEP_2) | instskip(SKIP_2) | instid1(VALU_DEP_2)
	v_sub_nc_u32_e32 v9, 0, v4
	v_cvt_f32_i32_e32 v4, v4
	s_or_b32 vcc_lo, s20, vcc_lo
	v_ldexp_f32 v8, v8, v9
	v_ldexp_f32 v5, v5, v9
	s_delay_alu instid0(VALU_DEP_2) | instskip(SKIP_1) | instid1(VALU_DEP_2)
	v_add_f32_e32 v56, 1.0, v8
	v_add_f32_e32 v9, -1.0, v8
	v_add_f32_e32 v55, -1.0, v56
	s_delay_alu instid0(VALU_DEP_2) | instskip(NEXT) | instid1(VALU_DEP_2)
	v_add_f32_e32 v57, 1.0, v9
	v_sub_f32_e32 v55, v8, v55
	s_delay_alu instid0(VALU_DEP_1) | instskip(NEXT) | instid1(VALU_DEP_1)
	v_dual_sub_f32 v8, v8, v57 :: v_dual_add_f32 v55, v5, v55
	v_add_f32_e32 v5, v5, v8
	s_delay_alu instid0(VALU_DEP_1) | instskip(NEXT) | instid1(VALU_DEP_1)
	v_dual_add_f32 v57, v56, v55 :: v_dual_add_f32 v58, v9, v5
	v_rcp_f32_e32 v8, v57
	s_delay_alu instid0(VALU_DEP_1) | instskip(NEXT) | instid1(VALU_DEP_1)
	v_dual_sub_f32 v56, v56, v57 :: v_dual_sub_f32 v9, v9, v58
	v_add_f32_e32 v55, v55, v56
	s_waitcnt_depctr 0xfff
	v_mul_f32_e32 v59, v58, v8
	s_delay_alu instid0(VALU_DEP_1) | instskip(NEXT) | instid1(VALU_DEP_1)
	v_mul_f32_e32 v60, v57, v59
	v_fma_f32 v56, v59, v57, -v60
	s_delay_alu instid0(VALU_DEP_1) | instskip(NEXT) | instid1(VALU_DEP_1)
	v_dual_fmac_f32 v56, v59, v55 :: v_dual_add_f32 v5, v5, v9
	v_add_f32_e32 v61, v60, v56
	s_delay_alu instid0(VALU_DEP_1) | instskip(NEXT) | instid1(VALU_DEP_1)
	v_sub_f32_e32 v62, v58, v61
	v_dual_sub_f32 v58, v58, v62 :: v_dual_sub_f32 v9, v61, v60
	s_delay_alu instid0(VALU_DEP_1) | instskip(NEXT) | instid1(VALU_DEP_1)
	v_dual_sub_f32 v58, v58, v61 :: v_dual_sub_f32 v9, v9, v56
	v_add_f32_e32 v5, v5, v58
	s_delay_alu instid0(VALU_DEP_1) | instskip(NEXT) | instid1(VALU_DEP_1)
	v_add_f32_e32 v5, v9, v5
	v_add_f32_e32 v9, v62, v5
	s_delay_alu instid0(VALU_DEP_1) | instskip(NEXT) | instid1(VALU_DEP_1)
	v_mul_f32_e32 v56, v8, v9
	v_dual_mul_f32 v58, v57, v56 :: v_dual_sub_f32 v61, v62, v9
	s_delay_alu instid0(VALU_DEP_1) | instskip(NEXT) | instid1(VALU_DEP_2)
	v_fma_f32 v57, v56, v57, -v58
	v_add_f32_e32 v5, v5, v61
	s_delay_alu instid0(VALU_DEP_2) | instskip(NEXT) | instid1(VALU_DEP_1)
	v_fmac_f32_e32 v57, v56, v55
	v_add_f32_e32 v55, v58, v57
	s_delay_alu instid0(VALU_DEP_1) | instskip(NEXT) | instid1(VALU_DEP_1)
	v_sub_f32_e32 v60, v9, v55
	v_dual_sub_f32 v58, v55, v58 :: v_dual_sub_f32 v9, v9, v60
	s_delay_alu instid0(VALU_DEP_1) | instskip(NEXT) | instid1(VALU_DEP_2)
	v_sub_f32_e32 v9, v9, v55
	v_sub_f32_e32 v55, v58, v57
	s_delay_alu instid0(VALU_DEP_2) | instskip(SKIP_1) | instid1(VALU_DEP_2)
	v_add_f32_e32 v5, v5, v9
	v_add_f32_e32 v9, v59, v56
	;; [unrolled: 1-line block ×3, first 2 shown]
	s_delay_alu instid0(VALU_DEP_2) | instskip(NEXT) | instid1(VALU_DEP_2)
	v_sub_f32_e32 v55, v9, v59
	v_add_f32_e32 v5, v60, v5
	s_delay_alu instid0(VALU_DEP_2) | instskip(NEXT) | instid1(VALU_DEP_2)
	v_sub_f32_e32 v55, v56, v55
	v_mul_f32_e32 v5, v8, v5
	s_delay_alu instid0(VALU_DEP_1) | instskip(NEXT) | instid1(VALU_DEP_1)
	v_add_f32_e32 v5, v55, v5
	v_add_f32_e32 v8, v9, v5
	s_delay_alu instid0(VALU_DEP_1) | instskip(NEXT) | instid1(VALU_DEP_1)
	v_mul_f32_e32 v55, v8, v8
	v_fmaak_f32 v56, s66, v55, 0x3ecc95a3
	v_mul_f32_e32 v57, v8, v55
	s_delay_alu instid0(VALU_DEP_2) | instskip(SKIP_1) | instid1(VALU_DEP_2)
	v_fmaak_f32 v55, v55, v56, 0x3f2aaada
	v_ldexp_f32 v56, v8, 1
	v_dual_sub_f32 v8, v8, v9 :: v_dual_mul_f32 v55, v57, v55
	v_mul_f32_e32 v57, 0x3f317218, v4
	s_delay_alu instid0(VALU_DEP_2) | instskip(NEXT) | instid1(VALU_DEP_3)
	v_sub_f32_e32 v5, v5, v8
	v_add_f32_e32 v9, v56, v55
	s_delay_alu instid0(VALU_DEP_2) | instskip(NEXT) | instid1(VALU_DEP_2)
	v_ldexp_f32 v5, v5, 1
	v_sub_f32_e32 v8, v9, v56
	v_fma_f32 v56, 0x3f317218, v4, -v57
	s_delay_alu instid0(VALU_DEP_2) | instskip(NEXT) | instid1(VALU_DEP_2)
	v_sub_f32_e32 v8, v55, v8
	v_fmac_f32_e32 v56, 0xb102e308, v4
	s_delay_alu instid0(VALU_DEP_2) | instskip(NEXT) | instid1(VALU_DEP_2)
	v_add_f32_e32 v4, v5, v8
	v_add_f32_e32 v5, v57, v56
	s_delay_alu instid0(VALU_DEP_2) | instskip(NEXT) | instid1(VALU_DEP_2)
	v_add_f32_e32 v8, v9, v4
	v_sub_f32_e32 v57, v5, v57
	s_delay_alu instid0(VALU_DEP_2) | instskip(SKIP_1) | instid1(VALU_DEP_3)
	v_add_f32_e32 v55, v5, v8
	v_sub_f32_e32 v9, v8, v9
	v_sub_f32_e32 v56, v56, v57
	s_delay_alu instid0(VALU_DEP_3) | instskip(NEXT) | instid1(VALU_DEP_1)
	v_sub_f32_e32 v58, v55, v5
	v_dual_sub_f32 v4, v4, v9 :: v_dual_sub_f32 v59, v55, v58
	v_sub_f32_e32 v8, v8, v58
	s_delay_alu instid0(VALU_DEP_2) | instskip(NEXT) | instid1(VALU_DEP_3)
	v_add_f32_e32 v9, v56, v4
	v_sub_f32_e32 v5, v5, v59
	s_delay_alu instid0(VALU_DEP_1) | instskip(NEXT) | instid1(VALU_DEP_1)
	v_dual_add_f32 v5, v8, v5 :: v_dual_sub_f32 v8, v9, v56
	v_add_f32_e32 v5, v9, v5
	s_delay_alu instid0(VALU_DEP_2) | instskip(NEXT) | instid1(VALU_DEP_2)
	v_sub_f32_e32 v9, v9, v8
	v_dual_sub_f32 v4, v4, v8 :: v_dual_add_f32 v57, v55, v5
	s_delay_alu instid0(VALU_DEP_1) | instskip(NEXT) | instid1(VALU_DEP_1)
	v_dual_sub_f32 v9, v56, v9 :: v_dual_sub_f32 v8, v57, v55
	v_dual_add_f32 v4, v4, v9 :: v_dual_sub_f32 v5, v5, v8
	s_delay_alu instid0(VALU_DEP_1) | instskip(NEXT) | instid1(VALU_DEP_1)
	v_add_f32_e32 v4, v4, v5
	v_add_f32_e32 v4, v57, v4
	s_delay_alu instid0(VALU_DEP_1)
	v_cndmask_b32_e32 v55, v4, v6, vcc_lo
.LBB111_56:                             ;   in Loop: Header=BB111_12 Depth=1
	s_or_b32 exec_lo, exec_lo, s21
	v_lshrrev_b32_e32 v4, 16, v7
	s_delay_alu instid0(VALU_DEP_1) | instskip(NEXT) | instid1(VALU_DEP_1)
	v_cvt_f32_f16_e32 v4, v4
	v_add_f32_e32 v56, s54, v4
	s_delay_alu instid0(VALU_DEP_1) | instskip(SKIP_1) | instid1(SALU_CYCLE_1)
	v_cmp_ge_f32_e32 vcc_lo, 0x41a00000, v56
	s_and_b32 s20, s62, vcc_lo
	s_and_saveexec_b32 s21, s20
	s_cbranch_execz .LBB111_58
; %bb.57:                               ;   in Loop: Header=BB111_12 Depth=1
	v_mul_f32_e32 v4, 0x3fb8aa3b, v56
	v_cmp_ngt_f32_e32 vcc_lo, 0xc2ce8ed0, v56
	s_delay_alu instid0(VALU_DEP_2) | instskip(SKIP_1) | instid1(VALU_DEP_2)
	v_rndne_f32_e32 v5, v4
	v_fma_f32 v6, 0x3fb8aa3b, v56, -v4
	v_sub_f32_e32 v4, v4, v5
	s_delay_alu instid0(VALU_DEP_2) | instskip(SKIP_1) | instid1(VALU_DEP_2)
	v_fmac_f32_e32 v6, 0x32a5705f, v56
	v_cvt_i32_f32_e32 v5, v5
	v_add_f32_e32 v4, v4, v6
	s_delay_alu instid0(VALU_DEP_1) | instskip(SKIP_2) | instid1(VALU_DEP_1)
	v_exp_f32_e32 v4, v4
	s_waitcnt_depctr 0xfff
	v_ldexp_f32 v4, v4, v5
	v_cndmask_b32_e32 v4, 0, v4, vcc_lo
	v_cmp_nlt_f32_e32 vcc_lo, 0x42b17218, v56
	s_delay_alu instid0(VALU_DEP_2) | instskip(NEXT) | instid1(VALU_DEP_1)
	v_cndmask_b32_e32 v6, 0x7f800000, v4, vcc_lo
	v_add_f32_e32 v7, 1.0, v6
	s_delay_alu instid0(VALU_DEP_1) | instskip(NEXT) | instid1(VALU_DEP_1)
	v_cvt_f64_f32_e32 v[4:5], v7
	v_frexp_exp_i32_f64_e32 v4, v[4:5]
	v_frexp_mant_f32_e32 v5, v7
	s_delay_alu instid0(VALU_DEP_1) | instskip(SKIP_1) | instid1(VALU_DEP_1)
	v_cmp_gt_f32_e32 vcc_lo, 0x3f2aaaab, v5
	v_add_f32_e32 v5, -1.0, v7
	v_sub_f32_e32 v9, v5, v7
	v_sub_f32_e32 v5, v6, v5
	s_delay_alu instid0(VALU_DEP_2) | instskip(NEXT) | instid1(VALU_DEP_1)
	v_add_f32_e32 v9, 1.0, v9
	v_add_f32_e32 v5, v5, v9
	v_cmp_gt_f32_e64 s20, 0x33800000, v6
	v_subrev_co_ci_u32_e32 v4, vcc_lo, 0, v4, vcc_lo
	v_cmp_eq_f32_e32 vcc_lo, 0x7f800000, v6
	s_delay_alu instid0(VALU_DEP_2) | instskip(SKIP_2) | instid1(VALU_DEP_2)
	v_sub_nc_u32_e32 v8, 0, v4
	v_cvt_f32_i32_e32 v4, v4
	s_or_b32 vcc_lo, s20, vcc_lo
	v_ldexp_f32 v7, v7, v8
	v_ldexp_f32 v5, v5, v8
	s_delay_alu instid0(VALU_DEP_2) | instskip(NEXT) | instid1(VALU_DEP_1)
	v_add_f32_e32 v56, 1.0, v7
	v_dual_add_f32 v8, -1.0, v7 :: v_dual_add_f32 v9, -1.0, v56
	s_delay_alu instid0(VALU_DEP_1) | instskip(NEXT) | instid1(VALU_DEP_2)
	v_add_f32_e32 v57, 1.0, v8
	v_sub_f32_e32 v9, v7, v9
	s_delay_alu instid0(VALU_DEP_2) | instskip(NEXT) | instid1(VALU_DEP_2)
	v_sub_f32_e32 v7, v7, v57
	v_add_f32_e32 v9, v5, v9
	s_delay_alu instid0(VALU_DEP_2) | instskip(NEXT) | instid1(VALU_DEP_1)
	v_add_f32_e32 v5, v5, v7
	v_add_f32_e32 v58, v8, v5
	s_delay_alu instid0(VALU_DEP_1) | instskip(NEXT) | instid1(VALU_DEP_4)
	v_sub_f32_e32 v8, v8, v58
	v_add_f32_e32 v57, v56, v9
	s_delay_alu instid0(VALU_DEP_1) | instskip(NEXT) | instid1(VALU_DEP_2)
	v_rcp_f32_e32 v7, v57
	v_dual_sub_f32 v56, v56, v57 :: v_dual_add_f32 v5, v5, v8
	s_delay_alu instid0(VALU_DEP_1) | instskip(SKIP_2) | instid1(VALU_DEP_1)
	v_add_f32_e32 v9, v9, v56
	s_waitcnt_depctr 0xfff
	v_mul_f32_e32 v59, v58, v7
	v_mul_f32_e32 v60, v57, v59
	s_delay_alu instid0(VALU_DEP_1) | instskip(NEXT) | instid1(VALU_DEP_1)
	v_fma_f32 v56, v59, v57, -v60
	v_fmac_f32_e32 v56, v59, v9
	s_delay_alu instid0(VALU_DEP_1) | instskip(NEXT) | instid1(VALU_DEP_1)
	v_add_f32_e32 v61, v60, v56
	v_sub_f32_e32 v62, v58, v61
	v_sub_f32_e32 v8, v61, v60
	s_delay_alu instid0(VALU_DEP_2) | instskip(NEXT) | instid1(VALU_DEP_1)
	v_sub_f32_e32 v58, v58, v62
	v_sub_f32_e32 v58, v58, v61
	s_delay_alu instid0(VALU_DEP_1) | instskip(NEXT) | instid1(VALU_DEP_1)
	v_dual_sub_f32 v8, v8, v56 :: v_dual_add_f32 v5, v5, v58
	v_add_f32_e32 v5, v8, v5
	s_delay_alu instid0(VALU_DEP_1) | instskip(NEXT) | instid1(VALU_DEP_1)
	v_add_f32_e32 v8, v62, v5
	v_mul_f32_e32 v56, v7, v8
	v_sub_f32_e32 v61, v62, v8
	s_delay_alu instid0(VALU_DEP_2) | instskip(NEXT) | instid1(VALU_DEP_2)
	v_mul_f32_e32 v58, v57, v56
	v_add_f32_e32 v5, v5, v61
	s_delay_alu instid0(VALU_DEP_2) | instskip(NEXT) | instid1(VALU_DEP_1)
	v_fma_f32 v57, v56, v57, -v58
	v_fmac_f32_e32 v57, v56, v9
	s_delay_alu instid0(VALU_DEP_1) | instskip(NEXT) | instid1(VALU_DEP_1)
	v_add_f32_e32 v9, v58, v57
	v_sub_f32_e32 v60, v8, v9
	s_delay_alu instid0(VALU_DEP_1) | instskip(NEXT) | instid1(VALU_DEP_1)
	v_sub_f32_e32 v8, v8, v60
	v_sub_f32_e32 v8, v8, v9
	s_delay_alu instid0(VALU_DEP_1) | instskip(SKIP_2) | instid1(VALU_DEP_1)
	v_add_f32_e32 v5, v5, v8
	v_add_f32_e32 v8, v59, v56
	v_sub_f32_e32 v58, v9, v58
	v_sub_f32_e32 v9, v58, v57
	s_delay_alu instid0(VALU_DEP_1) | instskip(NEXT) | instid1(VALU_DEP_4)
	v_add_f32_e32 v5, v9, v5
	v_sub_f32_e32 v9, v8, v59
	s_delay_alu instid0(VALU_DEP_2) | instskip(NEXT) | instid1(VALU_DEP_2)
	v_add_f32_e32 v5, v60, v5
	v_sub_f32_e32 v9, v56, v9
	s_delay_alu instid0(VALU_DEP_2) | instskip(NEXT) | instid1(VALU_DEP_1)
	v_mul_f32_e32 v5, v7, v5
	v_add_f32_e32 v5, v9, v5
	s_delay_alu instid0(VALU_DEP_1) | instskip(NEXT) | instid1(VALU_DEP_1)
	v_add_f32_e32 v7, v8, v5
	v_mul_f32_e32 v9, v7, v7
	s_delay_alu instid0(VALU_DEP_1) | instskip(SKIP_1) | instid1(VALU_DEP_2)
	v_fmaak_f32 v56, s66, v9, 0x3ecc95a3
	v_mul_f32_e32 v57, v7, v9
	v_fmaak_f32 v9, v9, v56, 0x3f2aaada
	v_ldexp_f32 v56, v7, 1
	v_sub_f32_e32 v7, v7, v8
	s_delay_alu instid0(VALU_DEP_3) | instskip(SKIP_1) | instid1(VALU_DEP_2)
	v_mul_f32_e32 v9, v57, v9
	v_mul_f32_e32 v57, 0x3f317218, v4
	v_dual_sub_f32 v5, v5, v7 :: v_dual_add_f32 v8, v56, v9
	s_delay_alu instid0(VALU_DEP_1) | instskip(NEXT) | instid1(VALU_DEP_2)
	v_ldexp_f32 v5, v5, 1
	v_sub_f32_e32 v7, v8, v56
	s_delay_alu instid0(VALU_DEP_4) | instskip(NEXT) | instid1(VALU_DEP_1)
	v_fma_f32 v56, 0x3f317218, v4, -v57
	v_dual_sub_f32 v7, v9, v7 :: v_dual_fmac_f32 v56, 0xb102e308, v4
	s_delay_alu instid0(VALU_DEP_1) | instskip(NEXT) | instid1(VALU_DEP_1)
	v_add_f32_e32 v4, v5, v7
	v_add_f32_e32 v7, v8, v4
	s_delay_alu instid0(VALU_DEP_1) | instskip(NEXT) | instid1(VALU_DEP_1)
	v_sub_f32_e32 v8, v7, v8
	v_sub_f32_e32 v4, v4, v8
	v_add_f32_e32 v5, v57, v56
	s_delay_alu instid0(VALU_DEP_1) | instskip(SKIP_1) | instid1(VALU_DEP_2)
	v_add_f32_e32 v9, v5, v7
	v_sub_f32_e32 v57, v5, v57
	v_sub_f32_e32 v58, v9, v5
	s_delay_alu instid0(VALU_DEP_1) | instskip(NEXT) | instid1(VALU_DEP_1)
	v_dual_sub_f32 v56, v56, v57 :: v_dual_sub_f32 v59, v9, v58
	v_dual_sub_f32 v7, v7, v58 :: v_dual_add_f32 v8, v56, v4
	s_delay_alu instid0(VALU_DEP_2) | instskip(NEXT) | instid1(VALU_DEP_1)
	v_sub_f32_e32 v5, v5, v59
	v_add_f32_e32 v5, v7, v5
	s_delay_alu instid0(VALU_DEP_3) | instskip(NEXT) | instid1(VALU_DEP_2)
	v_sub_f32_e32 v7, v8, v56
	v_add_f32_e32 v5, v8, v5
	s_delay_alu instid0(VALU_DEP_2) | instskip(NEXT) | instid1(VALU_DEP_2)
	v_sub_f32_e32 v8, v8, v7
	v_dual_sub_f32 v4, v4, v7 :: v_dual_add_f32 v57, v9, v5
	s_delay_alu instid0(VALU_DEP_1) | instskip(NEXT) | instid1(VALU_DEP_1)
	v_dual_sub_f32 v8, v56, v8 :: v_dual_sub_f32 v7, v57, v9
	v_dual_add_f32 v4, v4, v8 :: v_dual_sub_f32 v5, v5, v7
	s_delay_alu instid0(VALU_DEP_1) | instskip(NEXT) | instid1(VALU_DEP_1)
	v_add_f32_e32 v4, v4, v5
	v_add_f32_e32 v4, v57, v4
	s_delay_alu instid0(VALU_DEP_1)
	v_cndmask_b32_e32 v56, v4, v6, vcc_lo
.LBB111_58:                             ;   in Loop: Header=BB111_12 Depth=1
	s_or_b32 exec_lo, exec_lo, s21
	v_lshrrev_b32_e32 v5, 16, v2
	v_lshrrev_b32_e32 v6, 16, v3
	;; [unrolled: 1-line block ×4, first 2 shown]
	v_cvt_f32_f16_e32 v4, v3
	v_cvt_f32_f16_e32 v2, v2
	;; [unrolled: 1-line block ×8, first 2 shown]
	v_dual_mul_f32 v57, s55, v4 :: v_dual_mul_f32 v58, s55, v3
	v_mul_f32_e32 v61, s55, v2
	s_delay_alu instid0(VALU_DEP_4)
	v_dual_mul_f32 v59, s55, v5 :: v_dual_mul_f32 v60, s55, v6
	v_dual_mul_f32 v63, s55, v1 :: v_dual_mul_f32 v62, s55, v7
	v_mul_f32_e32 v64, s55, v0
	s_and_b32 vcc_lo, exec_lo, s63
	s_barrier
	buffer_gl0_inv
	s_cbranch_vccz .LBB111_122
; %bb.59:                               ;   in Loop: Header=BB111_12 Depth=1
	v_dual_mul_f32 v65, v56, v7 :: v_dual_mul_f32 v70, v55, v4
	v_add_co_u32 v7, s20, s41, v47
	s_delay_alu instid0(VALU_DEP_1) | instskip(SKIP_1) | instid1(VALU_DEP_1)
	v_add_co_ci_u32_e64 v8, null, s51, 0, s20
	v_add_co_u32 v9, s20, s45, v47
	v_add_co_ci_u32_e64 v69, null, s48, 0, s20
	s_delay_alu instid0(VALU_DEP_4) | instskip(NEXT) | instid1(VALU_DEP_4)
	v_add_co_u32 v66, vcc_lo, v7, v48
	v_add_co_ci_u32_e32 v67, vcc_lo, 0, v8, vcc_lo
	s_delay_alu instid0(VALU_DEP_4) | instskip(NEXT) | instid1(VALU_DEP_4)
	v_add_co_u32 v68, vcc_lo, v9, v48
	v_add_co_ci_u32_e32 v69, vcc_lo, 0, v69, vcc_lo
	v_cmp_gt_u32_e32 vcc_lo, s23, v10
	s_cmp_lg_u32 s68, 0
	v_cmp_gt_u32_e64 s21, s23, v40
	s_cselect_b32 s31, -1, 0
	s_cmp_eq_u32 s68, s65
	v_cmp_gt_u32_e64 s22, s23, v41
	s_cselect_b32 s69, -1, 0
	s_or_b32 s20, s64, vcc_lo
	v_cmp_gt_u32_e32 vcc_lo, s23, v42
	v_cmp_gt_u32_e64 s24, s23, v43
	v_cmp_gt_u32_e64 s25, s23, v44
	;; [unrolled: 1-line block ×4, first 2 shown]
	v_dual_mul_f32 v71, v54, v3 :: v_dual_mul_f32 v72, v53, v2
	v_dual_mul_f32 v73, v52, v5 :: v_dual_mul_f32 v76, v49, v0
	;; [unrolled: 1-line block ×3, first 2 shown]
	s_mov_b32 s52, 0
	s_or_b32 s21, s64, s21
	s_or_b32 s22, s64, s22
	s_or_b32 s23, s64, vcc_lo
	s_or_b32 s24, s64, s24
	s_or_b32 s25, s64, s25
	;; [unrolled: 1-line block ×4, first 2 shown]
	s_mov_b32 s38, s52
	s_mov_b32 s42, s52
	;; [unrolled: 1-line block ×5, first 2 shown]
	s_branch .LBB111_61
.LBB111_60:                             ;   in Loop: Header=BB111_61 Depth=2
	s_or_b32 exec_lo, exec_lo, s28
	v_cndmask_b32_e64 v5, v94, v7, s11
	v_cndmask_b32_e64 v6, v93, v6, s11
	s_add_i32 s70, s70, -1
	s_add_i32 s71, s71, 8
	s_add_i32 s46, s46, s50
	v_fma_f32 v5, v5, v80, v78
	v_mul_f32_e32 v6, v6, v80
	s_add_i32 s42, s42, s44
	s_add_i32 s38, s38, s40
	;; [unrolled: 1-line block ×3, first 2 shown]
	v_cndmask_b32_e64 v5, v5, v78, s10
	v_cndmask_b32_e64 v6, v6, v80, s10
	s_cmp_eq_u32 s70, 0
	s_waitcnt lgkmcnt(0)
	s_delay_alu instid0(VALU_DEP_1) | instskip(NEXT) | instid1(VALU_DEP_1)
	v_fmac_f32_e32 v5, v4, v6
	v_fmac_f32_e32 v77, v5, v82
	v_fma_mix_f32 v64, v5, v0, v64 op_sel_hi:[0,1,0]
	s_delay_alu instid0(VALU_DEP_2) | instskip(SKIP_1) | instid1(VALU_DEP_2)
	v_fmac_f32_e32 v79, v77, v84
	v_fma_mix_f32 v60, v77, v0, v60 op_sel:[0,1,0] op_sel_hi:[0,1,0]
	v_fmac_f32_e32 v81, v79, v86
	v_fma_mix_f32 v63, v79, v1, v63 op_sel_hi:[0,1,0]
	s_delay_alu instid0(VALU_DEP_2) | instskip(SKIP_1) | instid1(VALU_DEP_2)
	v_fmac_f32_e32 v83, v81, v87
	v_fma_mix_f32 v59, v81, v1, v59 op_sel:[0,1,0] op_sel_hi:[0,1,0]
	;; [unrolled: 5-line block ×3, first 2 shown]
	v_fmac_f32_e32 v89, v88, v91
	v_fma_mix_f32 v57, v88, v3, v57 op_sel_hi:[0,1,0]
	s_delay_alu instid0(VALU_DEP_2)
	v_fma_mix_f32 v62, v89, v3, v62 op_sel:[0,1,0] op_sel_hi:[0,1,0]
	s_cbranch_scc1 .LBB111_122
.LBB111_61:                             ;   Parent Loop BB111_12 Depth=1
                                        ; =>  This Inner Loop Header: Depth=2
	s_lshl_b64 s[72:73], s[52:53], 2
	s_mov_b32 s39, s53
	s_add_u32 s72, s58, s72
	s_addc_u32 s73, s59, s73
	v_dual_mov_b32 v2, 0 :: v_dual_mov_b32 v3, 0
	global_load_b32 v77, v13, s[72:73]
	s_lshl_b64 s[72:73], s[38:39], 1
	s_delay_alu instid0(SALU_CYCLE_1)
	v_add_co_u32 v0, vcc_lo, v66, s72
	v_add_co_ci_u32_e32 v1, vcc_lo, s73, v67, vcc_lo
	s_and_saveexec_b32 s28, s12
	s_cbranch_execnz .LBB111_81
; %bb.62:                               ;   in Loop: Header=BB111_61 Depth=2
	s_or_b32 exec_lo, exec_lo, s28
	s_and_saveexec_b32 s28, s13
	s_cbranch_execnz .LBB111_82
.LBB111_63:                             ;   in Loop: Header=BB111_61 Depth=2
	s_or_b32 exec_lo, exec_lo, s28
	v_mov_b32_e32 v4, 0
	s_and_saveexec_b32 s28, s14
	s_cbranch_execnz .LBB111_83
.LBB111_64:                             ;   in Loop: Header=BB111_61 Depth=2
	s_or_b32 exec_lo, exec_lo, s28
	s_and_saveexec_b32 s28, s15
	s_cbranch_execnz .LBB111_84
.LBB111_65:                             ;   in Loop: Header=BB111_61 Depth=2
	s_or_b32 exec_lo, exec_lo, s28
	v_mov_b32_e32 v5, 0
	s_and_saveexec_b32 s28, s16
	s_cbranch_execnz .LBB111_85
.LBB111_66:                             ;   in Loop: Header=BB111_61 Depth=2
	s_or_b32 exec_lo, exec_lo, s28
	s_and_saveexec_b32 s28, s17
	s_cbranch_execnz .LBB111_86
.LBB111_67:                             ;   in Loop: Header=BB111_61 Depth=2
	s_or_b32 exec_lo, exec_lo, s28
	v_mov_b32_e32 v6, 0
	s_and_saveexec_b32 s28, s18
	s_cbranch_execnz .LBB111_87
.LBB111_68:                             ;   in Loop: Header=BB111_61 Depth=2
	s_or_b32 exec_lo, exec_lo, s28
	s_and_saveexec_b32 s28, s19
	s_cbranch_execz .LBB111_70
.LBB111_69:                             ;   in Loop: Header=BB111_61 Depth=2
	global_load_u16 v0, v[0:1], off offset:448
	s_waitcnt vmcnt(0)
	v_lshl_or_b32 v6, v0, 16, v6
.LBB111_70:                             ;   in Loop: Header=BB111_61 Depth=2
	s_or_b32 exec_lo, exec_lo, s28
	s_waitcnt vmcnt(0)
	ds_store_b16 v20, v3
	ds_store_b16 v20, v2 offset:64
	ds_store_b16 v21, v4 offset:128
	ds_store_b16_d16_hi v22, v4 offset:192
	ds_store_b16 v23, v5 offset:256
	ds_store_b16_d16_hi v24, v5 offset:320
	;; [unrolled: 2-line block ×3, first 2 shown]
	; wave barrier
	ds_load_b128 v[4:7], v27
	s_mov_b32 s43, s53
	v_dual_mov_b32 v2, 0 :: v_dual_mov_b32 v3, 0
	s_lshl_b64 s[72:73], s[42:43], 1
	s_delay_alu instid0(SALU_CYCLE_1)
	v_add_co_u32 v0, vcc_lo, v68, s72
	v_add_co_ci_u32_e32 v1, vcc_lo, s73, v69, vcc_lo
	s_and_saveexec_b32 s28, s12
	s_cbranch_execnz .LBB111_88
; %bb.71:                               ;   in Loop: Header=BB111_61 Depth=2
	s_or_b32 exec_lo, exec_lo, s28
	s_and_saveexec_b32 s28, s13
	s_cbranch_execnz .LBB111_89
.LBB111_72:                             ;   in Loop: Header=BB111_61 Depth=2
	s_or_b32 exec_lo, exec_lo, s28
	v_mov_b32_e32 v8, 0
	s_and_saveexec_b32 s28, s14
	s_cbranch_execnz .LBB111_90
.LBB111_73:                             ;   in Loop: Header=BB111_61 Depth=2
	s_or_b32 exec_lo, exec_lo, s28
	s_and_saveexec_b32 s28, s15
	s_cbranch_execnz .LBB111_91
.LBB111_74:                             ;   in Loop: Header=BB111_61 Depth=2
	s_or_b32 exec_lo, exec_lo, s28
	v_mov_b32_e32 v9, 0
	s_and_saveexec_b32 s28, s16
	s_cbranch_execnz .LBB111_92
.LBB111_75:                             ;   in Loop: Header=BB111_61 Depth=2
	s_or_b32 exec_lo, exec_lo, s28
	s_and_saveexec_b32 s28, s17
	s_cbranch_execnz .LBB111_93
.LBB111_76:                             ;   in Loop: Header=BB111_61 Depth=2
	s_or_b32 exec_lo, exec_lo, s28
	v_mov_b32_e32 v78, 0
	s_and_saveexec_b32 s28, s18
	s_cbranch_execnz .LBB111_94
.LBB111_77:                             ;   in Loop: Header=BB111_61 Depth=2
	s_or_b32 exec_lo, exec_lo, s28
	s_and_saveexec_b32 s28, s19
	s_cbranch_execz .LBB111_79
.LBB111_78:                             ;   in Loop: Header=BB111_61 Depth=2
	global_load_u16 v0, v[0:1], off offset:448
	s_waitcnt vmcnt(0)
	v_lshl_or_b32 v78, v0, 16, v78
.LBB111_79:                             ;   in Loop: Header=BB111_61 Depth=2
	s_or_b32 exec_lo, exec_lo, s28
	s_waitcnt vmcnt(0)
	ds_store_b16 v20, v3 offset:1056
	ds_store_b16 v28, v2 offset:64
	;; [unrolled: 1-line block ×3, first 2 shown]
	ds_store_b16_d16_hi v30, v8 offset:192
	ds_store_b16 v31, v9 offset:256
	ds_store_b16_d16_hi v32, v9 offset:320
	ds_store_b16 v33, v78 offset:384
	ds_store_b16_d16_hi v34, v78 offset:448
	; wave barrier
	ds_load_b128 v[0:3], v27 offset:1056
	s_and_not1_b32 vcc_lo, exec_lo, s31
	s_cbranch_vccnz .LBB111_95
; %bb.80:                               ;   in Loop: Header=BB111_61 Depth=2
	v_mov_b32_e32 v8, s71
	ds_load_b64 v[8:9], v8
	s_cbranch_execz .LBB111_96
	s_branch .LBB111_99
.LBB111_81:                             ;   in Loop: Header=BB111_61 Depth=2
	global_load_u16 v3, v[0:1], off
	s_or_b32 exec_lo, exec_lo, s28
	s_and_saveexec_b32 s28, s13
	s_cbranch_execz .LBB111_63
.LBB111_82:                             ;   in Loop: Header=BB111_61 Depth=2
	global_load_u16 v2, v[0:1], off offset:64
	s_or_b32 exec_lo, exec_lo, s28
	v_mov_b32_e32 v4, 0
	s_and_saveexec_b32 s28, s14
	s_cbranch_execz .LBB111_64
.LBB111_83:                             ;   in Loop: Header=BB111_61 Depth=2
	global_load_u16 v4, v[0:1], off offset:128
	s_or_b32 exec_lo, exec_lo, s28
	s_and_saveexec_b32 s28, s15
	s_cbranch_execz .LBB111_65
.LBB111_84:                             ;   in Loop: Header=BB111_61 Depth=2
	global_load_u16 v5, v[0:1], off offset:192
	s_waitcnt vmcnt(0)
	v_lshl_or_b32 v4, v5, 16, v4
	s_or_b32 exec_lo, exec_lo, s28
	v_mov_b32_e32 v5, 0
	s_and_saveexec_b32 s28, s16
	s_cbranch_execz .LBB111_66
.LBB111_85:                             ;   in Loop: Header=BB111_61 Depth=2
	global_load_u16 v5, v[0:1], off offset:256
	s_or_b32 exec_lo, exec_lo, s28
	s_and_saveexec_b32 s28, s17
	s_cbranch_execz .LBB111_67
.LBB111_86:                             ;   in Loop: Header=BB111_61 Depth=2
	global_load_u16 v6, v[0:1], off offset:320
	s_waitcnt vmcnt(0)
	v_lshl_or_b32 v5, v6, 16, v5
	s_or_b32 exec_lo, exec_lo, s28
	v_mov_b32_e32 v6, 0
	s_and_saveexec_b32 s28, s18
	s_cbranch_execz .LBB111_68
.LBB111_87:                             ;   in Loop: Header=BB111_61 Depth=2
	global_load_u16 v6, v[0:1], off offset:384
	s_or_b32 exec_lo, exec_lo, s28
	s_and_saveexec_b32 s28, s19
	s_cbranch_execnz .LBB111_69
	s_branch .LBB111_70
.LBB111_88:                             ;   in Loop: Header=BB111_61 Depth=2
	global_load_u16 v3, v[0:1], off
	s_or_b32 exec_lo, exec_lo, s28
	s_and_saveexec_b32 s28, s13
	s_cbranch_execz .LBB111_72
.LBB111_89:                             ;   in Loop: Header=BB111_61 Depth=2
	global_load_u16 v2, v[0:1], off offset:64
	s_or_b32 exec_lo, exec_lo, s28
	v_mov_b32_e32 v8, 0
	s_and_saveexec_b32 s28, s14
	s_cbranch_execz .LBB111_73
.LBB111_90:                             ;   in Loop: Header=BB111_61 Depth=2
	global_load_u16 v8, v[0:1], off offset:128
	s_or_b32 exec_lo, exec_lo, s28
	s_and_saveexec_b32 s28, s15
	s_cbranch_execz .LBB111_74
.LBB111_91:                             ;   in Loop: Header=BB111_61 Depth=2
	global_load_u16 v9, v[0:1], off offset:192
	s_waitcnt vmcnt(0)
	v_lshl_or_b32 v8, v9, 16, v8
	s_or_b32 exec_lo, exec_lo, s28
	v_mov_b32_e32 v9, 0
	s_and_saveexec_b32 s28, s16
	s_cbranch_execz .LBB111_75
.LBB111_92:                             ;   in Loop: Header=BB111_61 Depth=2
	global_load_u16 v9, v[0:1], off offset:256
	s_or_b32 exec_lo, exec_lo, s28
	s_and_saveexec_b32 s28, s17
	s_cbranch_execz .LBB111_76
.LBB111_93:                             ;   in Loop: Header=BB111_61 Depth=2
	global_load_u16 v78, v[0:1], off offset:320
	s_waitcnt vmcnt(0)
	v_lshl_or_b32 v9, v78, 16, v9
	s_or_b32 exec_lo, exec_lo, s28
	v_mov_b32_e32 v78, 0
	s_and_saveexec_b32 s28, s18
	s_cbranch_execz .LBB111_77
.LBB111_94:                             ;   in Loop: Header=BB111_61 Depth=2
	global_load_u16 v78, v[0:1], off offset:384
	s_or_b32 exec_lo, exec_lo, s28
	s_and_saveexec_b32 s28, s19
	s_cbranch_execnz .LBB111_78
	s_branch .LBB111_79
.LBB111_95:                             ;   in Loop: Header=BB111_61 Depth=2
                                        ; implicit-def: $vgpr8
.LBB111_96:                             ;   in Loop: Header=BB111_61 Depth=2
	s_waitcnt lgkmcnt(0)
	v_mov_b32_e32 v9, 0
	s_and_not1_b32 vcc_lo, exec_lo, s33
	s_cbranch_vccnz .LBB111_98
; %bb.97:                               ;   in Loop: Header=BB111_61 Depth=2
	s_mov_b32 s47, s53
	s_delay_alu instid0(SALU_CYCLE_1) | instskip(NEXT) | instid1(SALU_CYCLE_1)
	s_lshl_b64 s[72:73], s[46:47], 2
	s_add_u32 s72, s49, s72
	s_addc_u32 s73, s60, s73
	global_load_b32 v9, v13, s[72:73]
.LBB111_98:                             ;   in Loop: Header=BB111_61 Depth=2
	v_mov_b32_e32 v8, 1.0
.LBB111_99:                             ;   in Loop: Header=BB111_61 Depth=2
	s_waitcnt lgkmcnt(9)
	v_lshrrev_b32_e32 v78, 16, v5
	v_lshrrev_b32_e32 v81, 16, v7
	v_cvt_f32_f16_e32 v7, v7
	v_lshrrev_b32_e32 v79, 16, v6
	v_cvt_f32_f16_e32 v5, v5
	v_cvt_f32_f16_e32 v83, v78
	v_mul_f32_e32 v88, 0x3fb8aa3b, v77
	v_cvt_f32_f16_e32 v89, v81
	v_lshrrev_b32_e32 v77, 16, v4
	v_cvt_f32_f16_e32 v4, v4
	s_delay_alu instid0(VALU_DEP_4)
	v_dual_mul_f32 v83, v73, v83 :: v_dual_mul_f32 v80, v88, v49
	v_mul_f32_e32 v7, v70, v7
	v_cvt_f32_f16_e32 v85, v79
	v_cvt_f32_f16_e32 v77, v77
	v_mul_f32_e32 v79, v88, v51
	v_cmp_gt_f32_e32 vcc_lo, 0xc2fc0000, v80
	v_mul_f32_e32 v4, v76, v4
	v_cvt_f32_f16_e32 v6, v6
	v_mul_f32_e32 v91, v88, v56
	v_mul_f32_e32 v5, v74, v5
	v_cndmask_b32_e64 v80, 0, 0x42800000, vcc_lo
	v_cndmask_b32_e64 v81, 1.0, 0x1f800000, vcc_lo
	v_dual_mul_f32 v6, v72, v6 :: v_dual_mul_f32 v85, v71, v85
	v_mul_f32_e32 v89, v65, v89
	s_delay_alu instid0(VALU_DEP_4) | instskip(NEXT) | instid1(VALU_DEP_3)
	v_fmac_f32_e32 v80, v88, v49
	v_cndmask_b32_e64 v85, 0, v85, s25
	s_delay_alu instid0(VALU_DEP_3) | instskip(NEXT) | instid1(VALU_DEP_3)
	v_cndmask_b32_e64 v89, 0, v89, s27
	v_exp_f32_e32 v78, v80
	s_waitcnt_depctr 0xfff
	v_dual_mul_f32 v82, v88, v50 :: v_dual_mul_f32 v81, v78, v81
	s_delay_alu instid0(VALU_DEP_1) | instskip(SKIP_3) | instid1(VALU_DEP_4)
	v_cmp_gt_f32_e64 s28, 0xc2fc0000, v82
	v_cndmask_b32_e64 v78, 0, v4, s20
	v_mul_f32_e32 v4, v75, v77
	v_cmp_gt_f32_e32 vcc_lo, 0xc2fc0000, v79
	v_cndmask_b32_e64 v82, 0, 0x42800000, s28
	v_cndmask_b32_e64 v84, 1.0, 0x1f800000, s28
	s_delay_alu instid0(VALU_DEP_4) | instskip(SKIP_1) | instid1(VALU_DEP_4)
	v_cndmask_b32_e64 v77, 0, v4, s21
	v_cndmask_b32_e64 v79, 0, 0x42800000, vcc_lo
	v_fmac_f32_e32 v82, v88, v50
	s_delay_alu instid0(VALU_DEP_1) | instskip(SKIP_1) | instid1(VALU_DEP_1)
	v_exp_f32_e32 v80, v82
	v_mul_f32_e32 v82, v88, v52
	v_cmp_gt_f32_e64 s28, 0xc2fc0000, v82
	s_waitcnt_depctr 0xfff
	v_mul_f32_e32 v84, v80, v84
	v_cndmask_b32_e64 v80, 1.0, v81, s20
	v_cndmask_b32_e64 v81, 0, 0x42800000, s28
	s_delay_alu instid0(VALU_DEP_3) | instskip(SKIP_1) | instid1(VALU_DEP_3)
	v_cndmask_b32_e64 v82, 1.0, v84, s21
	v_cndmask_b32_e64 v84, 1.0, 0x1f800000, vcc_lo
	v_fmac_f32_e32 v81, v88, v52
	s_delay_alu instid0(VALU_DEP_1) | instskip(SKIP_1) | instid1(VALU_DEP_1)
	v_exp_f32_e32 v81, v81
	v_fmac_f32_e32 v79, v88, v51
	v_exp_f32_e32 v4, v79
	v_mul_f32_e32 v79, v88, v53
	s_delay_alu instid0(VALU_DEP_1)
	v_cmp_gt_f32_e32 vcc_lo, 0xc2fc0000, v79
	v_cndmask_b32_e64 v79, 0, v5, s22
	v_cndmask_b32_e64 v5, 1.0, 0x1f800000, s28
	s_waitcnt_depctr 0xfff
	v_mul_f32_e32 v4, v4, v84
	v_cndmask_b32_e64 v86, 0, 0x42800000, vcc_lo
	s_delay_alu instid0(VALU_DEP_2) | instskip(SKIP_1) | instid1(VALU_DEP_3)
	v_cndmask_b32_e64 v84, 1.0, v4, s22
	v_mul_f32_e32 v87, v88, v54
	v_fmac_f32_e32 v86, v88, v53
	v_mul_f32_e32 v4, v81, v5
	v_cndmask_b32_e64 v5, 1.0, 0x1f800000, vcc_lo
	v_cndmask_b32_e64 v81, 0, v83, s23
	v_cmp_gt_f32_e64 s28, 0xc2fc0000, v87
	v_exp_f32_e32 v90, v86
	v_cndmask_b32_e64 v86, 1.0, v4, s23
	v_cndmask_b32_e64 v83, 0, v6, s24
	s_delay_alu instid0(VALU_DEP_3) | instskip(SKIP_3) | instid1(VALU_DEP_4)
	v_cndmask_b32_e64 v87, 0, 0x42800000, s28
	v_cndmask_b32_e64 v6, 1.0, 0x1f800000, s28
	v_cmp_gt_f32_e64 s28, 0xc2fc0000, v91
	v_fma_f32 v91, v82, v78, v77
	v_fmac_f32_e32 v87, v88, v54
	s_delay_alu instid0(TRANS32_DEP_1) | instskip(NEXT) | instid1(VALU_DEP_2)
	v_mul_f32_e32 v5, v90, v5
	v_exp_f32_e32 v4, v87
	v_mul_f32_e32 v87, v88, v55
	s_delay_alu instid0(VALU_DEP_1) | instskip(NEXT) | instid1(VALU_DEP_3)
	v_cmp_gt_f32_e32 vcc_lo, 0xc2fc0000, v87
	v_cndmask_b32_e64 v87, 1.0, v5, s24
	v_cndmask_b32_e64 v5, 0, 0x42800000, s28
	s_waitcnt_depctr 0xfff
	v_mul_f32_e32 v4, v4, v6
	v_cndmask_b32_e64 v90, 0, 0x42800000, vcc_lo
	v_mul_f32_e32 v6, v82, v80
	v_fmac_f32_e32 v5, v88, v56
	s_delay_alu instid0(VALU_DEP_4) | instskip(NEXT) | instid1(VALU_DEP_4)
	v_cndmask_b32_e64 v92, 1.0, v4, s25
	v_fmac_f32_e32 v90, v88, v55
	s_delay_alu instid0(VALU_DEP_4)
	v_mul_f32_e32 v4, v6, v84
	v_fma_f32 v6, v91, v84, v79
	v_cndmask_b32_e64 v88, 1.0, 0x1f800000, vcc_lo
	v_exp_f32_e32 v5, v5
	v_exp_f32_e32 v90, v90
	v_mul_f32_e32 v4, v4, v86
	v_fma_f32 v6, v6, v86, v81
	s_delay_alu instid0(VALU_DEP_2) | instskip(NEXT) | instid1(VALU_DEP_2)
	v_mul_f32_e32 v4, v4, v87
	v_fma_f32 v6, v6, v87, v83
	s_waitcnt_depctr 0xfff
	v_mul_f32_e32 v90, v90, v88
	v_cndmask_b32_e64 v88, 0, v7, s26
	v_cndmask_b32_e64 v7, 1.0, 0x1f800000, s28
	v_mul_f32_e32 v4, v4, v92
	v_fma_f32 v6, v6, v92, v85
	v_cndmask_b32_e64 v90, 1.0, v90, s26
	s_delay_alu instid0(VALU_DEP_1) | instskip(NEXT) | instid1(VALU_DEP_1)
	v_dual_mul_f32 v5, v5, v7 :: v_dual_mul_f32 v4, v4, v90
	v_cndmask_b32_e64 v91, 1.0, v5, s27
	s_delay_alu instid0(VALU_DEP_4) | instskip(NEXT) | instid1(VALU_DEP_2)
	v_fma_f32 v5, v6, v90, v88
	v_mul_f32_e32 v4, v4, v91
	s_delay_alu instid0(VALU_DEP_2) | instskip(NEXT) | instid1(VALU_DEP_2)
	v_fma_f32 v5, v5, v91, v89
	v_mov_b32_dpp v7, v4 row_shr:1 row_mask:0xf bank_mask:0xf
	s_delay_alu instid0(VALU_DEP_2)
	v_mov_b32_dpp v6, v5 row_shr:1 row_mask:0xf bank_mask:0xf
	s_and_saveexec_b32 s28, s0
; %bb.100:                              ;   in Loop: Header=BB111_61 Depth=2
	s_delay_alu instid0(VALU_DEP_2) | instskip(NEXT) | instid1(VALU_DEP_1)
	v_mul_f32_e32 v7, v4, v7
	v_dual_fmac_f32 v5, v4, v6 :: v_dual_mov_b32 v4, v7
; %bb.101:                              ;   in Loop: Header=BB111_61 Depth=2
	s_or_b32 exec_lo, exec_lo, s28
	s_delay_alu instid0(VALU_DEP_1) | instskip(NEXT) | instid1(VALU_DEP_2)
	v_mov_b32_dpp v6, v4 row_shr:2 row_mask:0xf bank_mask:0xf
	v_mov_b32_dpp v7, v5 row_shr:2 row_mask:0xf bank_mask:0xf
	s_and_saveexec_b32 s28, s1
; %bb.102:                              ;   in Loop: Header=BB111_61 Depth=2
	s_delay_alu instid0(VALU_DEP_1) | instskip(NEXT) | instid1(VALU_DEP_3)
	v_fmac_f32_e32 v5, v4, v7
	v_mul_f32_e32 v4, v4, v6
; %bb.103:                              ;   in Loop: Header=BB111_61 Depth=2
	s_or_b32 exec_lo, exec_lo, s28
	s_delay_alu instid0(VALU_DEP_1) | instskip(NEXT) | instid1(VALU_DEP_3)
	v_mov_b32_dpp v6, v4 row_shr:4 row_mask:0xf bank_mask:0xf
	v_mov_b32_dpp v7, v5 row_shr:4 row_mask:0xf bank_mask:0xf
	s_and_saveexec_b32 s28, s2
; %bb.104:                              ;   in Loop: Header=BB111_61 Depth=2
	s_delay_alu instid0(VALU_DEP_1) | instskip(NEXT) | instid1(VALU_DEP_3)
	v_fmac_f32_e32 v5, v4, v7
	v_mul_f32_e32 v4, v4, v6
; %bb.105:                              ;   in Loop: Header=BB111_61 Depth=2
	s_or_b32 exec_lo, exec_lo, s28
	s_delay_alu instid0(VALU_DEP_1) | instskip(NEXT) | instid1(VALU_DEP_3)
	v_mov_b32_dpp v6, v4 row_shr:8 row_mask:0xf bank_mask:0xf
	v_mov_b32_dpp v7, v5 row_shr:8 row_mask:0xf bank_mask:0xf
	s_and_saveexec_b32 s28, s3
; %bb.106:                              ;   in Loop: Header=BB111_61 Depth=2
	s_delay_alu instid0(VALU_DEP_1) | instskip(NEXT) | instid1(VALU_DEP_3)
	v_fmac_f32_e32 v5, v4, v7
	v_mul_f32_e32 v4, v4, v6
; %bb.107:                              ;   in Loop: Header=BB111_61 Depth=2
	s_or_b32 exec_lo, exec_lo, s28
	ds_swizzle_b32 v7, v4 offset:swizzle(BROADCAST,32,15)
	ds_swizzle_b32 v6, v5 offset:swizzle(BROADCAST,32,15)
	s_and_saveexec_b32 s28, s4
	s_cbranch_execz .LBB111_109
; %bb.108:                              ;   in Loop: Header=BB111_61 Depth=2
	s_waitcnt lgkmcnt(1)
	v_mul_f32_e32 v7, v4, v7
	s_waitcnt lgkmcnt(0)
	s_delay_alu instid0(VALU_DEP_1)
	v_dual_fmac_f32 v5, v4, v6 :: v_dual_mov_b32 v4, v7
.LBB111_109:                            ;   in Loop: Header=BB111_61 Depth=2
	s_or_b32 exec_lo, exec_lo, s28
	s_and_saveexec_b32 s28, s5
	s_cbranch_execz .LBB111_111
; %bb.110:                              ;   in Loop: Header=BB111_61 Depth=2
	ds_store_b64 v35, v[4:5] offset:2112
.LBB111_111:                            ;   in Loop: Header=BB111_61 Depth=2
	s_or_b32 exec_lo, exec_lo, s28
	s_waitcnt vmcnt(0) lgkmcnt(0)
	s_waitcnt_vscnt null, 0x0
	s_barrier
	buffer_gl0_inv
	s_and_saveexec_b32 s28, s6
	s_cbranch_execz .LBB111_113
; %bb.112:                              ;   in Loop: Header=BB111_61 Depth=2
	ds_load_b64 v[6:7], v36 offset:2112
	s_waitcnt lgkmcnt(0)
	v_mov_b32_dpp v93, v6 row_shr:1 row_mask:0xf bank_mask:0xf
	v_mov_b32_dpp v94, v7 row_shr:1 row_mask:0xf bank_mask:0xf
	s_delay_alu instid0(VALU_DEP_2) | instskip(NEXT) | instid1(VALU_DEP_2)
	v_mul_f32_e32 v93, v6, v93
	v_fma_f32 v94, v6, v94, v7
	s_delay_alu instid0(VALU_DEP_2) | instskip(NEXT) | instid1(VALU_DEP_2)
	v_cndmask_b32_e64 v6, v93, v6, s7
	v_cndmask_b32_e64 v7, v94, v7, s7
	ds_store_b64 v36, v[6:7] offset:2112
.LBB111_113:                            ;   in Loop: Header=BB111_61 Depth=2
	s_or_b32 exec_lo, exec_lo, s28
	s_waitcnt lgkmcnt(0)
	s_barrier
	buffer_gl0_inv
                                        ; implicit-def: $vgpr7
	s_and_saveexec_b32 s28, s9
	s_cbranch_execz .LBB111_115
; %bb.114:                              ;   in Loop: Header=BB111_61 Depth=2
	ds_load_b64 v[6:7], v35 offset:2104
	s_waitcnt lgkmcnt(0)
	v_mul_f32_e32 v93, v4, v6
	s_delay_alu instid0(VALU_DEP_1)
	v_dual_fmac_f32 v5, v4, v7 :: v_dual_mov_b32 v4, v93
.LBB111_115:                            ;   in Loop: Header=BB111_61 Depth=2
	s_or_b32 exec_lo, exec_lo, s28
	ds_bpermute_b32 v93, v37, v4
	ds_bpermute_b32 v94, v37, v5
	s_and_saveexec_b32 s28, s8
	s_cbranch_execz .LBB111_119
; %bb.116:                              ;   in Loop: Header=BB111_61 Depth=2
	ds_load_b64 v[4:5], v13 offset:2120
	s_and_saveexec_b32 s39, s10
	s_cbranch_execz .LBB111_118
; %bb.117:                              ;   in Loop: Header=BB111_61 Depth=2
	ds_store_b64 v13, v[8:9] offset:2120
.LBB111_118:                            ;   in Loop: Header=BB111_61 Depth=2
	s_or_b32 exec_lo, exec_lo, s39
	s_waitcnt lgkmcnt(0)
	v_fmac_f32_e32 v5, v9, v4
	s_delay_alu instid0(VALU_DEP_1)
	v_dual_mul_f32 v8, v8, v4 :: v_dual_mov_b32 v9, v5
.LBB111_119:                            ;   in Loop: Header=BB111_61 Depth=2
	s_or_b32 exec_lo, exec_lo, s28
	s_waitcnt lgkmcnt(0)
	s_barrier
	buffer_gl0_inv
	ds_load_b32 v4, v13 offset:2124
	s_and_saveexec_b32 s28, s10
	s_cbranch_execz .LBB111_60
; %bb.120:                              ;   in Loop: Header=BB111_61 Depth=2
	v_mov_b32_e32 v5, s71
	s_and_not1_b32 vcc_lo, exec_lo, s69
	ds_store_b64 v5, v[8:9]
	s_cbranch_vccnz .LBB111_60
; %bb.121:                              ;   in Loop: Header=BB111_61 Depth=2
	s_mov_b32 s47, s53
	s_delay_alu instid0(SALU_CYCLE_1) | instskip(NEXT) | instid1(SALU_CYCLE_1)
	s_lshl_b64 s[72:73], s[46:47], 2
	s_add_u32 s72, s49, s72
	s_addc_u32 s73, s60, s73
	global_store_b32 v13, v9, s[72:73]
	s_branch .LBB111_60
.LBB111_122:                            ;   in Loop: Header=BB111_12 Depth=1
	v_cvt_f16_f32_e32 v0, v64
	v_cvt_f16_f32_e32 v1, v63
	;; [unrolled: 1-line block ×8, first 2 shown]
	s_waitcnt_vscnt null, 0x0
	v_pack_b32_f16 v3, v3, v4
	v_pack_b32_f16 v2, v2, v5
	;; [unrolled: 1-line block ×4, first 2 shown]
	s_barrier
	buffer_gl0_inv
	s_mov_b32 s31, s53
	ds_store_b128 v27, v[0:3]
	; wave barrier
	ds_load_u16 v8, v20 offset:64
	ds_load_u16 v7, v21 offset:128
	;; [unrolled: 1-line block ×7, first 2 shown]
	s_lshl_b64 s[20:21], s[30:31], 1
	s_delay_alu instid0(SALU_CYCLE_1)
	v_add_co_u32 v0, vcc_lo, v38, s20
	v_add_co_ci_u32_e32 v1, vcc_lo, s21, v39, vcc_lo
	s_and_saveexec_b32 s20, s12
	s_cbranch_execnz .LBB111_132
; %bb.123:                              ;   in Loop: Header=BB111_12 Depth=1
	s_or_b32 exec_lo, exec_lo, s20
	s_and_saveexec_b32 s12, s13
	s_cbranch_execnz .LBB111_133
.LBB111_124:                            ;   in Loop: Header=BB111_12 Depth=1
	s_or_b32 exec_lo, exec_lo, s12
	s_and_saveexec_b32 s12, s14
	s_cbranch_execnz .LBB111_134
.LBB111_125:                            ;   in Loop: Header=BB111_12 Depth=1
	s_or_b32 exec_lo, exec_lo, s12
	s_and_saveexec_b32 s12, s15
	s_cbranch_execnz .LBB111_135
.LBB111_126:                            ;   in Loop: Header=BB111_12 Depth=1
	s_or_b32 exec_lo, exec_lo, s12
	s_and_saveexec_b32 s12, s16
	s_cbranch_execnz .LBB111_136
.LBB111_127:                            ;   in Loop: Header=BB111_12 Depth=1
	s_or_b32 exec_lo, exec_lo, s12
	s_and_saveexec_b32 s12, s17
	s_cbranch_execnz .LBB111_137
.LBB111_128:                            ;   in Loop: Header=BB111_12 Depth=1
	s_or_b32 exec_lo, exec_lo, s12
	s_and_saveexec_b32 s12, s18
	s_cbranch_execnz .LBB111_138
.LBB111_129:                            ;   in Loop: Header=BB111_12 Depth=1
	s_or_b32 exec_lo, exec_lo, s12
	s_and_saveexec_b32 s12, s19
	s_cbranch_execz .LBB111_11
	s_branch .LBB111_139
.LBB111_130:                            ;   in Loop: Header=BB111_12 Depth=1
	global_load_u16 v51, v[4:5], off offset:320
	s_or_b32 exec_lo, exec_lo, s20
	s_and_saveexec_b32 s20, s18
	s_cbranch_execz .LBB111_40
.LBB111_131:                            ;   in Loop: Header=BB111_12 Depth=1
	global_load_u16 v50, v[4:5], off offset:384
	s_or_b32 exec_lo, exec_lo, s20
	v_mov_b32_e32 v52, 0
	s_and_saveexec_b32 s20, s19
	s_cbranch_execnz .LBB111_41
	s_branch .LBB111_42
.LBB111_132:                            ;   in Loop: Header=BB111_12 Depth=1
	ds_load_u16 v9, v20
	s_waitcnt lgkmcnt(0)
	global_store_b16 v[0:1], v9, off
	s_or_b32 exec_lo, exec_lo, s20
	s_and_saveexec_b32 s12, s13
	s_cbranch_execz .LBB111_124
.LBB111_133:                            ;   in Loop: Header=BB111_12 Depth=1
	s_waitcnt lgkmcnt(6)
	global_store_b16 v[0:1], v8, off offset:64
	s_or_b32 exec_lo, exec_lo, s12
	s_and_saveexec_b32 s12, s14
	s_cbranch_execz .LBB111_125
.LBB111_134:                            ;   in Loop: Header=BB111_12 Depth=1
	s_waitcnt lgkmcnt(5)
	global_store_b16 v[0:1], v7, off offset:128
	s_or_b32 exec_lo, exec_lo, s12
	s_and_saveexec_b32 s12, s15
	s_cbranch_execz .LBB111_126
.LBB111_135:                            ;   in Loop: Header=BB111_12 Depth=1
	s_waitcnt lgkmcnt(4)
	global_store_b16 v[0:1], v6, off offset:192
	s_or_b32 exec_lo, exec_lo, s12
	s_and_saveexec_b32 s12, s16
	s_cbranch_execz .LBB111_127
.LBB111_136:                            ;   in Loop: Header=BB111_12 Depth=1
	s_waitcnt lgkmcnt(3)
	global_store_b16 v[0:1], v5, off offset:256
	s_or_b32 exec_lo, exec_lo, s12
	s_and_saveexec_b32 s12, s17
	s_cbranch_execz .LBB111_128
.LBB111_137:                            ;   in Loop: Header=BB111_12 Depth=1
	s_waitcnt lgkmcnt(2)
	global_store_b16 v[0:1], v4, off offset:320
	s_or_b32 exec_lo, exec_lo, s12
	s_and_saveexec_b32 s12, s18
	s_cbranch_execz .LBB111_129
.LBB111_138:                            ;   in Loop: Header=BB111_12 Depth=1
	s_waitcnt lgkmcnt(1)
	global_store_b16 v[0:1], v3, off offset:384
	s_or_b32 exec_lo, exec_lo, s12
	s_and_saveexec_b32 s12, s19
	s_cbranch_execz .LBB111_11
.LBB111_139:                            ;   in Loop: Header=BB111_12 Depth=1
	s_waitcnt lgkmcnt(0)
	global_store_b16 v[0:1], v2, off offset:448
	s_branch .LBB111_11
.LBB111_140:
	s_nop 0
	s_sendmsg sendmsg(MSG_DEALLOC_VGPRS)
	s_endpgm
	.section	.rodata,"a",@progbits
	.p2align	6, 0x0
	.amdhsa_kernel _Z25selective_scan_fwd_kernelI32Selective_Scan_fwd_kernel_traitsILi64ELi8ELi1ELb0ELb1ELb1ELb0ELb0EN3c104HalfEffEEv13SSMParamsBase
		.amdhsa_group_segment_fixed_size 0
		.amdhsa_private_segment_fixed_size 0
		.amdhsa_kernarg_size 248
		.amdhsa_user_sgpr_count 14
		.amdhsa_user_sgpr_dispatch_ptr 0
		.amdhsa_user_sgpr_queue_ptr 0
		.amdhsa_user_sgpr_kernarg_segment_ptr 1
		.amdhsa_user_sgpr_dispatch_id 0
		.amdhsa_user_sgpr_private_segment_size 0
		.amdhsa_wavefront_size32 1
		.amdhsa_uses_dynamic_stack 0
		.amdhsa_enable_private_segment 0
		.amdhsa_system_sgpr_workgroup_id_x 1
		.amdhsa_system_sgpr_workgroup_id_y 1
		.amdhsa_system_sgpr_workgroup_id_z 0
		.amdhsa_system_sgpr_workgroup_info 0
		.amdhsa_system_vgpr_workitem_id 0
		.amdhsa_next_free_vgpr 95
		.amdhsa_next_free_sgpr 74
		.amdhsa_reserve_vcc 1
		.amdhsa_float_round_mode_32 0
		.amdhsa_float_round_mode_16_64 0
		.amdhsa_float_denorm_mode_32 3
		.amdhsa_float_denorm_mode_16_64 3
		.amdhsa_dx10_clamp 1
		.amdhsa_ieee_mode 1
		.amdhsa_fp16_overflow 0
		.amdhsa_workgroup_processor_mode 1
		.amdhsa_memory_ordered 1
		.amdhsa_forward_progress 0
		.amdhsa_shared_vgpr_count 0
		.amdhsa_exception_fp_ieee_invalid_op 0
		.amdhsa_exception_fp_denorm_src 0
		.amdhsa_exception_fp_ieee_div_zero 0
		.amdhsa_exception_fp_ieee_overflow 0
		.amdhsa_exception_fp_ieee_underflow 0
		.amdhsa_exception_fp_ieee_inexact 0
		.amdhsa_exception_int_div_zero 0
	.end_amdhsa_kernel
	.section	.text._Z25selective_scan_fwd_kernelI32Selective_Scan_fwd_kernel_traitsILi64ELi8ELi1ELb0ELb1ELb1ELb0ELb0EN3c104HalfEffEEv13SSMParamsBase,"axG",@progbits,_Z25selective_scan_fwd_kernelI32Selective_Scan_fwd_kernel_traitsILi64ELi8ELi1ELb0ELb1ELb1ELb0ELb0EN3c104HalfEffEEv13SSMParamsBase,comdat
.Lfunc_end111:
	.size	_Z25selective_scan_fwd_kernelI32Selective_Scan_fwd_kernel_traitsILi64ELi8ELi1ELb0ELb1ELb1ELb0ELb0EN3c104HalfEffEEv13SSMParamsBase, .Lfunc_end111-_Z25selective_scan_fwd_kernelI32Selective_Scan_fwd_kernel_traitsILi64ELi8ELi1ELb0ELb1ELb1ELb0ELb0EN3c104HalfEffEEv13SSMParamsBase
                                        ; -- End function
	.section	.AMDGPU.csdata,"",@progbits
; Kernel info:
; codeLenInByte = 11776
; NumSgprs: 76
; NumVgprs: 95
; ScratchSize: 0
; MemoryBound: 0
; FloatMode: 240
; IeeeMode: 1
; LDSByteSize: 0 bytes/workgroup (compile time only)
; SGPRBlocks: 9
; VGPRBlocks: 11
; NumSGPRsForWavesPerEU: 76
; NumVGPRsForWavesPerEU: 95
; Occupancy: 16
; WaveLimiterHint : 0
; COMPUTE_PGM_RSRC2:SCRATCH_EN: 0
; COMPUTE_PGM_RSRC2:USER_SGPR: 14
; COMPUTE_PGM_RSRC2:TRAP_HANDLER: 0
; COMPUTE_PGM_RSRC2:TGID_X_EN: 1
; COMPUTE_PGM_RSRC2:TGID_Y_EN: 1
; COMPUTE_PGM_RSRC2:TGID_Z_EN: 0
; COMPUTE_PGM_RSRC2:TIDIG_COMP_CNT: 0
	.section	.text._Z25selective_scan_fwd_kernelI32Selective_Scan_fwd_kernel_traitsILi64ELi16ELi1ELb1ELb1ELb1ELb1ELb1EN3c104HalfEffEEv13SSMParamsBase,"axG",@progbits,_Z25selective_scan_fwd_kernelI32Selective_Scan_fwd_kernel_traitsILi64ELi16ELi1ELb1ELb1ELb1ELb1ELb1EN3c104HalfEffEEv13SSMParamsBase,comdat
	.protected	_Z25selective_scan_fwd_kernelI32Selective_Scan_fwd_kernel_traitsILi64ELi16ELi1ELb1ELb1ELb1ELb1ELb1EN3c104HalfEffEEv13SSMParamsBase ; -- Begin function _Z25selective_scan_fwd_kernelI32Selective_Scan_fwd_kernel_traitsILi64ELi16ELi1ELb1ELb1ELb1ELb1ELb1EN3c104HalfEffEEv13SSMParamsBase
	.globl	_Z25selective_scan_fwd_kernelI32Selective_Scan_fwd_kernel_traitsILi64ELi16ELi1ELb1ELb1ELb1ELb1ELb1EN3c104HalfEffEEv13SSMParamsBase
	.p2align	8
	.type	_Z25selective_scan_fwd_kernelI32Selective_Scan_fwd_kernel_traitsILi64ELi16ELi1ELb1ELb1ELb1ELb1ELb1EN3c104HalfEffEEv13SSMParamsBase,@function
_Z25selective_scan_fwd_kernelI32Selective_Scan_fwd_kernel_traitsILi64ELi16ELi1ELb1ELb1ELb1ELb1ELb1EN3c104HalfEffEEv13SSMParamsBase: ; @_Z25selective_scan_fwd_kernelI32Selective_Scan_fwd_kernel_traitsILi64ELi16ELi1ELb1ELb1ELb1ELb1ELb1EN3c104HalfEffEEv13SSMParamsBase
; %bb.0:
	s_clause 0x2
	s_load_b32 s11, s[0:1], 0x18
	s_load_b256 s[36:43], s[0:1], 0xc8
	s_load_b128 s[4:7], s[0:1], 0xe8
	s_mov_b32 s12, s15
	s_ashr_i32 s15, s14, 31
	s_mov_b32 s47, 0
	s_lshl_b64 s[8:9], s[14:15], 2
	s_waitcnt lgkmcnt(0)
	s_abs_i32 s10, s11
	s_add_u32 s2, s42, s8
	v_cvt_f32_u32_e32 v1, s10
	s_addc_u32 s3, s43, s9
	s_cmp_eq_u64 s[6:7], 0
	s_delay_alu instid0(VALU_DEP_1) | instskip(SKIP_2) | instid1(VALU_DEP_1)
	v_rcp_iflag_f32_e32 v1, v1
	s_waitcnt_depctr 0xfff
	v_mul_f32_e32 v1, 0x4f7ffffe, v1
	v_cvt_u32_f32_e32 v1, v1
	s_delay_alu instid0(VALU_DEP_1)
	v_readfirstlane_b32 s33, v1
	s_cbranch_scc1 .LBB112_2
; %bb.1:
	v_mov_b32_e32 v1, 0
	s_add_u32 s6, s6, s14
	s_addc_u32 s7, s7, s15
	global_load_u8 v1, v1, s[6:7]
	s_waitcnt vmcnt(0)
	v_and_b32_e32 v1, 1, v1
	s_delay_alu instid0(VALU_DEP_1)
	v_cmp_eq_u32_e64 s47, 1, v1
.LBB112_2:
	s_load_b64 s[6:7], s[0:1], 0x20
	s_cmp_eq_u64 s[4:5], 0
	s_cbranch_scc1 .LBB112_4
; %bb.3:
	s_add_u32 s4, s4, s8
	s_addc_u32 s5, s5, s9
	s_load_b32 s14, s[4:5], 0x0
	s_waitcnt lgkmcnt(0)
	s_ashr_i32 s15, s14, 31
.LBB112_4:
	s_waitcnt lgkmcnt(0)
	s_cmp_eq_u64 s[6:7], s[14:15]
	s_cbranch_scc1 .LBB112_300
; %bb.5:
	s_load_b512 s[16:31], s[0:1], 0x88
	s_load_b64 s[34:35], s[2:3], 0x0
	s_mov_b32 s66, 0
	s_mov_b32 s67, 0
	s_waitcnt lgkmcnt(0)
	s_cmp_eq_u64 s[22:23], 0
	s_cbranch_scc1 .LBB112_7
; %bb.6:
	s_ashr_i32 s13, s12, 31
	s_delay_alu instid0(SALU_CYCLE_1) | instskip(NEXT) | instid1(SALU_CYCLE_1)
	s_lshl_b64 s[2:3], s[12:13], 2
	s_add_u32 s2, s22, s2
	s_addc_u32 s3, s23, s3
	s_load_b32 s67, s[2:3], 0x0
.LBB112_7:
	s_cmp_eq_u64 s[28:29], 0
	s_cbranch_scc1 .LBB112_9
; %bb.8:
	s_ashr_i32 s13, s12, 31
	s_delay_alu instid0(SALU_CYCLE_1) | instskip(NEXT) | instid1(SALU_CYCLE_1)
	s_lshl_b64 s[2:3], s[12:13], 2
	s_add_u32 s2, s28, s2
	s_addc_u32 s3, s29, s3
	s_load_b32 s66, s[2:3], 0x0
.LBB112_9:
	s_sub_i32 s68, s35, s34
	s_delay_alu instid0(SALU_CYCLE_1)
	s_cmp_lt_i32 s68, 1
	s_cbranch_scc1 .LBB112_300
; %bb.10:
	s_sub_i32 s2, 0, s10
	s_load_b256 s[48:55], s[0:1], 0x4c
	s_mul_i32 s2, s2, s33
	s_abs_i32 s3, s12
	s_mul_hi_u32 s2, s33, s2
	s_ashr_i32 s5, s11, 31
	s_add_i32 s33, s33, s2
	s_ashr_i32 s2, s12, 31
	s_mul_hi_u32 s4, s3, s33
	s_xor_b32 s5, s2, s5
	s_mul_i32 s6, s4, s10
	s_load_b256 s[56:63], s[0:1], 0x2c
	s_sub_i32 s2, s3, s6
	s_add_i32 s3, s4, 1
	s_sub_i32 s6, s2, s10
	s_cmp_ge_u32 s2, s10
	s_mov_b32 s65, 0
	s_cselect_b32 s3, s3, s4
	s_cselect_b32 s2, s6, s2
	s_add_i32 s4, s3, 1
	s_cmp_ge_u32 s2, s10
	s_waitcnt lgkmcnt(0)
	s_mul_i32 s64, s34, s50
	s_cselect_b32 s4, s4, s3
	s_lshl_b64 s[2:3], s[64:65], 1
	s_xor_b32 s4, s4, s5
	s_mul_i32 s64, s51, s12
	s_sub_i32 s6, s4, s5
	s_add_u32 s4, s24, s2
	s_addc_u32 s5, s25, s3
	s_lshl_b64 s[2:3], s[64:65], 1
	s_mul_i32 s64, s34, s52
	s_add_u32 s63, s4, s2
	s_addc_u32 s69, s5, s3
	s_lshl_b64 s[2:3], s[64:65], 1
	s_mul_i32 s64, s53, s12
	;; [unrolled: 4-line block ×3, first 2 shown]
	s_add_u32 s70, s4, s2
	s_addc_u32 s56, s5, s3
	s_load_b64 s[4:5], s[0:1], 0x7c
	v_dual_mov_b32 v21, 0 :: v_dual_lshlrev_b32 v18, 4, v0
	s_lshl_b64 s[2:3], s[64:65], 2
	s_mul_i32 s64, s34, s58
	s_add_u32 s71, s16, s2
	v_mbcnt_lo_u32_b32 v19, -1, 0
	v_and_b32_e32 v1, 0x200, v18
	s_addc_u32 s72, s17, s3
	s_lshl_b64 s[2:3], s[64:65], 1
	s_mul_i32 s64, s6, s61
	s_add_u32 s7, s18, s2
	s_addc_u32 s8, s19, s3
	s_clause 0x3
	s_load_b128 s[16:19], s[0:1], 0x6c
	s_load_b32 s74, s[0:1], 0x84
	s_load_b32 s77, s[0:1], 0xc
	;; [unrolled: 1-line block ×3, first 2 shown]
	v_or_b32_e32 v20, v19, v1
	s_lshl_b64 s[2:3], s[64:65], 1
	s_mul_i32 s64, s34, s62
	s_add_u32 s61, s7, s2
	s_addc_u32 s62, s8, s3
	s_lshl_b64 s[2:3], s[64:65], 1
	s_mul_i32 s64, s6, s49
	v_or_b32_e32 v24, 0x60, v20
	v_and_b32_e32 v14, 32, v0
	s_add_u32 s7, s20, s2
	s_addc_u32 s6, s21, s3
	s_lshl_b64 s[2:3], s[64:65], 1
	s_waitcnt lgkmcnt(0)
	s_mul_i32 s64, s14, s4
	s_add_u32 s49, s7, s2
	s_addc_u32 s73, s6, s3
	s_lshl_b64 s[2:3], s[64:65], 2
	v_or_b32_e32 v26, 0xa0, v20
	v_or_b32_e32 v28, 0xe0, v20
	;; [unrolled: 1-line block ×5, first 2 shown]
	v_lshrrev_b32_e32 v2, 5, v24
	v_or_b32_e32 v36, 0x1e0, v20
	v_or_b32_e32 v16, v19, v14
	s_mul_i32 s64, s5, s12
	s_add_u32 s4, s36, s2
	s_addc_u32 s5, s37, s3
	s_lshl_b64 s[2:3], s[64:65], 2
	v_or_b32_e32 v23, 64, v20
	s_add_u32 s75, s4, s2
	v_or_b32_e32 v25, 0x80, v20
	v_or_b32_e32 v27, 0xc0, v20
	;; [unrolled: 1-line block ×6, first 2 shown]
	v_and_b32_e32 v2, 18, v2
	v_lshrrev_b32_e32 v5, 5, v26
	v_lshrrev_b32_e32 v8, 5, v28
	v_lshrrev_b32_e32 v9, 5, v30
	v_lshrrev_b32_e32 v11, 5, v32
	v_lshrrev_b32_e32 v15, 5, v34
	v_lshrrev_b32_e32 v49, 5, v36
	v_lshrrev_b16 v50, 1, v16
	s_addc_u32 s76, s5, s3
	s_add_i32 s2, s68, 0x7ff
	v_lshrrev_b32_e32 v3, 5, v1
	s_lshr_b32 s78, s2, 11
	s_bitcmp1_b32 s0, 0
	v_lshrrev_b32_e32 v4, 5, v23
	v_lshrrev_b32_e32 v6, 5, v25
	v_add_lshl_u32 v2, v2, v20, 1
	v_and_b32_e32 v5, 20, v5
	v_lshrrev_b32_e32 v7, 5, v27
	v_and_b32_e32 v8, 22, v8
	v_lshrrev_b32_e32 v10, 5, v29
	;; [unrolled: 2-line block ×5, first 2 shown]
	v_and_b32_e32 v51, 30, v49
	v_lshlrev_b32_e32 v16, 4, v16
	v_and_b32_e32 v52, 30, v50
	s_cselect_b32 s79, -1, 0
	s_cmp_gt_i32 s77, 0
	v_add_lshl_u32 v3, v3, v20, 1
	s_cselect_b32 s80, -1, 0
	s_add_i32 s0, 0, 0x840
	v_add_lshl_u32 v4, v4, v20, 1
	v_add_lshl_u32 v6, v6, v20, 1
	v_add_nc_u32_e32 v39, 0, v2
	v_add_lshl_u32 v5, v5, v20, 1
	v_add_lshl_u32 v7, v7, v20, 1
	;; [unrolled: 1-line block ×12, first 2 shown]
	v_add_nc_u32_e32 v55, s0, v2
	v_and_b32_e32 v2, 15, v19
	s_and_b32 s1, s68, 0x3ff
	v_add_nc_u32_e32 v51, 0, v67
	v_add_nc_u32_e32 v53, s0, v3
	;; [unrolled: 1-line block ×15, first 2 shown]
	s_cmp_eq_u32 s1, 0
	v_add_nc_u32_e32 v68, s0, v16
	v_cmp_ne_u32_e64 s0, 0, v2
	v_cmp_lt_u32_e64 s1, 1, v2
	v_cmp_lt_u32_e64 s2, 3, v2
	;; [unrolled: 1-line block ×3, first 2 shown]
	v_add_nc_u32_e32 v2, -1, v19
	v_add_nc_u32_e32 v37, 0, v3
	v_lshrrev_b32_e32 v3, 2, v0
	s_mul_i32 s64, s34, s16
	v_add_nc_u32_e32 v41, 0, v5
	v_or_b32_e32 v5, 31, v14
	v_cmp_gt_i32_e32 vcc_lo, 0, v2
	s_cselect_b32 s81, -1, 0
	s_lshl_b64 s[14:15], s[64:65], 1
	v_and_b32_e32 v3, 8, v3
	s_add_i32 s82, s78, -1
	v_cndmask_b32_e32 v2, v2, v19, vcc_lo
	s_mul_i32 s64, s17, s12
	s_add_u32 s13, s30, s14
	s_addc_u32 s16, s31, s15
	s_lshl_b64 s[14:15], s[64:65], 1
	v_cmp_eq_u32_e64 s5, v5, v0
	v_cmp_gt_u32_e64 s6, 2, v0
	v_lshl_add_u32 v70, v0, 3, 0
	v_cmp_gt_u32_e64 s8, 32, v0
	v_cmp_lt_u32_e64 s9, 31, v0
	v_cmp_eq_u32_e64 s10, 0, v0
	s_mul_i32 s64, s34, s54
	v_lshlrev_b32_e32 v0, 1, v19
	s_add_u32 s13, s13, s14
	v_add_nc_u32_e32 v69, 0, v3
	v_and_b32_e32 v3, 1, v19
	s_addc_u32 s16, s16, s15
	s_lshl_b64 s[14:15], s[64:65], 1
	v_add_nc_u32_e32 v38, 0, v4
	v_and_b32_e32 v4, 16, v19
	s_mul_i32 s64, s55, s12
	s_add_u32 s17, s38, s14
	v_lshlrev_b32_e32 v71, 2, v2
	s_addc_u32 s20, s39, s15
	s_lshl_b64 s[14:15], s[64:65], 1
	v_add_co_u32 v2, s13, s13, v0
	s_mul_i32 s64, s34, s18
	v_cmp_eq_u32_e64 s7, 0, v3
	v_add_co_ci_u32_e64 v3, null, s16, 0, s13
	s_add_u32 s16, s17, s14
	v_cmp_ne_u32_e64 s4, 0, v4
	s_addc_u32 s17, s20, s15
	s_lshl_b64 s[14:15], s[64:65], 1
	v_lshlrev_b32_e32 v4, 1, v1
	s_mul_i32 s64, s19, s12
	s_add_u32 s14, s40, s14
	s_addc_u32 s15, s41, s15
	s_lshl_b64 s[12:13], s[64:65], 1
	v_add_co_u32 v72, vcc_lo, v2, v4
	s_add_u32 s12, s14, s12
	v_add_co_u32 v2, s14, s16, v0
	v_add_co_ci_u32_e32 v73, vcc_lo, 0, v3, vcc_lo
	v_add_co_ci_u32_e64 v3, null, s17, 0, s14
	s_addc_u32 s13, s15, s13
	v_add_co_u32 v0, s12, s12, v0
	s_delay_alu instid0(VALU_DEP_1) | instskip(SKIP_2) | instid1(VALU_DEP_4)
	v_add_co_ci_u32_e64 v5, null, s13, 0, s12
	v_add_co_u32 v74, vcc_lo, v2, v4
	v_add_co_ci_u32_e32 v75, vcc_lo, 0, v3, vcc_lo
	v_add_co_u32 v76, vcc_lo, v0, v4
	v_or_b32_e32 v22, 32, v20
	v_add_nc_u32_e32 v40, 0, v6
	v_add_nc_u32_e32 v42, 0, v7
	;; [unrolled: 1-line block ×11, first 2 shown]
	v_cmp_eq_u32_e64 s11, 0, v19
	v_add_co_ci_u32_e32 v77, vcc_lo, 0, v5, vcc_lo
	v_or_b32_e32 v78, 1, v18
	v_or_b32_e32 v79, 2, v18
	;; [unrolled: 1-line block ×15, first 2 shown]
	v_lshlrev_b32_e32 v93, 1, v1
	s_mov_b32 s83, 0x3e9b6dac
	s_add_i32 s84, 0, 0x1090
	s_mov_b32 s85, 0xbfb8aa3b
	s_mov_b32 s86, 0xb2a5705f
	;; [unrolled: 1-line block ×3, first 2 shown]
	s_branch .LBB112_12
.LBB112_11:                             ;   in Loop: Header=BB112_12 Depth=1
	s_or_b32 exec_lo, exec_lo, s12
	s_add_u32 s70, s70, 0x800
	s_addc_u32 s56, s56, 0
	s_add_u32 s63, s63, 0x800
	s_addc_u32 s69, s69, 0
	;; [unrolled: 2-line block ×4, first 2 shown]
	s_add_i32 s87, s87, 1
	s_delay_alu instid0(SALU_CYCLE_1)
	s_cmp_lg_u32 s87, s78
	s_cbranch_scc0 .LBB112_300
.LBB112_12:                             ; =>This Loop Header: Depth=1
                                        ;     Child Loop BB112_109 Depth 2
	s_waitcnt lgkmcnt(14)
	v_lshlrev_b32_e32 v16, 1, v19
	s_lshl_b32 s50, s87, 10
	s_waitcnt lgkmcnt(0)
	v_mov_b32_e32 v2, 0
	s_sub_i32 s40, s68, s50
	v_add_co_u32 v0, s12, s63, v16
	s_delay_alu instid0(VALU_DEP_1) | instskip(SKIP_1) | instid1(VALU_DEP_3)
	v_add_co_ci_u32_e64 v1, null, s69, 0, s12
	v_cmp_gt_u32_e64 s12, s40, v20
	v_add_co_u32 v0, vcc_lo, v0, v93
	s_delay_alu instid0(VALU_DEP_3)
	v_add_co_ci_u32_e32 v1, vcc_lo, 0, v1, vcc_lo
	s_waitcnt_vscnt null, 0x0
	s_barrier
	buffer_gl0_inv
	s_and_saveexec_b32 s13, s12
	s_cbranch_execz .LBB112_14
; %bb.13:                               ;   in Loop: Header=BB112_12 Depth=1
	global_load_u16 v2, v[0:1], off
.LBB112_14:                             ;   in Loop: Header=BB112_12 Depth=1
	s_or_b32 exec_lo, exec_lo, s13
	v_cmp_gt_u32_e64 s13, s40, v22
	v_dual_mov_b32 v3, 0 :: v_dual_mov_b32 v4, 0
	s_delay_alu instid0(VALU_DEP_2)
	s_and_saveexec_b32 s14, s13
	s_cbranch_execz .LBB112_16
; %bb.15:                               ;   in Loop: Header=BB112_12 Depth=1
	global_load_u16 v4, v[0:1], off offset:64
.LBB112_16:                             ;   in Loop: Header=BB112_12 Depth=1
	s_or_b32 exec_lo, exec_lo, s14
	v_cmp_gt_u32_e64 s14, s40, v23
	s_delay_alu instid0(VALU_DEP_1)
	s_and_saveexec_b32 s15, s14
	s_cbranch_execz .LBB112_18
; %bb.17:                               ;   in Loop: Header=BB112_12 Depth=1
	global_load_u16 v3, v[0:1], off offset:128
.LBB112_18:                             ;   in Loop: Header=BB112_12 Depth=1
	s_or_b32 exec_lo, exec_lo, s15
	v_cmp_gt_u32_e64 s15, s40, v24
	v_dual_mov_b32 v5, 0 :: v_dual_mov_b32 v6, 0
	s_delay_alu instid0(VALU_DEP_2)
	s_and_saveexec_b32 s16, s15
	s_cbranch_execz .LBB112_20
; %bb.19:                               ;   in Loop: Header=BB112_12 Depth=1
	global_load_u16 v6, v[0:1], off offset:192
.LBB112_20:                             ;   in Loop: Header=BB112_12 Depth=1
	s_or_b32 exec_lo, exec_lo, s16
	v_cmp_gt_u32_e64 s16, s40, v25
	s_delay_alu instid0(VALU_DEP_1)
	s_and_saveexec_b32 s17, s16
	s_cbranch_execz .LBB112_22
; %bb.21:                               ;   in Loop: Header=BB112_12 Depth=1
	global_load_u16 v5, v[0:1], off offset:256
.LBB112_22:                             ;   in Loop: Header=BB112_12 Depth=1
	;; [unrolled: 17-line block ×3, first 2 shown]
	s_or_b32 exec_lo, exec_lo, s19
	v_cmp_gt_u32_e64 s19, s40, v28
	v_mov_b32_e32 v9, 0
	v_mov_b32_e32 v11, 0
	s_delay_alu instid0(VALU_DEP_3)
	s_and_saveexec_b32 s20, s19
	s_cbranch_execz .LBB112_28
; %bb.27:                               ;   in Loop: Header=BB112_12 Depth=1
	global_load_u16 v11, v[0:1], off offset:448
.LBB112_28:                             ;   in Loop: Header=BB112_12 Depth=1
	s_or_b32 exec_lo, exec_lo, s20
	v_cmp_gt_u32_e64 s20, s40, v29
	s_delay_alu instid0(VALU_DEP_1)
	s_and_saveexec_b32 s21, s20
	s_cbranch_execz .LBB112_30
; %bb.29:                               ;   in Loop: Header=BB112_12 Depth=1
	global_load_u16 v9, v[0:1], off offset:512
.LBB112_30:                             ;   in Loop: Header=BB112_12 Depth=1
	s_or_b32 exec_lo, exec_lo, s21
	v_cmp_gt_u32_e64 s21, s40, v30
	v_dual_mov_b32 v12, 0 :: v_dual_mov_b32 v13, 0
	s_delay_alu instid0(VALU_DEP_2)
	s_and_saveexec_b32 s22, s21
	s_cbranch_execz .LBB112_32
; %bb.31:                               ;   in Loop: Header=BB112_12 Depth=1
	global_load_u16 v13, v[0:1], off offset:576
.LBB112_32:                             ;   in Loop: Header=BB112_12 Depth=1
	s_or_b32 exec_lo, exec_lo, s22
	v_cmp_gt_u32_e64 s22, s40, v31
	s_delay_alu instid0(VALU_DEP_1)
	s_and_saveexec_b32 s23, s22
	s_cbranch_execz .LBB112_34
; %bb.33:                               ;   in Loop: Header=BB112_12 Depth=1
	global_load_u16 v12, v[0:1], off offset:640
.LBB112_34:                             ;   in Loop: Header=BB112_12 Depth=1
	s_or_b32 exec_lo, exec_lo, s23
	v_cmp_gt_u32_e64 s23, s40, v32
	v_dual_mov_b32 v14, 0 :: v_dual_mov_b32 v15, 0
	s_delay_alu instid0(VALU_DEP_2)
	s_and_saveexec_b32 s24, s23
	s_cbranch_execz .LBB112_36
; %bb.35:                               ;   in Loop: Header=BB112_12 Depth=1
	global_load_u16 v15, v[0:1], off offset:704
.LBB112_36:                             ;   in Loop: Header=BB112_12 Depth=1
	s_or_b32 exec_lo, exec_lo, s24
	v_cmp_gt_u32_e64 s24, s40, v33
	s_delay_alu instid0(VALU_DEP_1)
	s_and_saveexec_b32 s25, s24
	s_cbranch_execz .LBB112_38
; %bb.37:                               ;   in Loop: Header=BB112_12 Depth=1
	global_load_u16 v14, v[0:1], off offset:768
.LBB112_38:                             ;   in Loop: Header=BB112_12 Depth=1
	s_or_b32 exec_lo, exec_lo, s25
	v_cmp_gt_u32_e64 s25, s40, v34
	v_dual_mov_b32 v17, 0 :: v_dual_mov_b32 v94, 0
	s_delay_alu instid0(VALU_DEP_2)
	s_and_saveexec_b32 s26, s25
	s_cbranch_execz .LBB112_40
; %bb.39:                               ;   in Loop: Header=BB112_12 Depth=1
	global_load_u16 v94, v[0:1], off offset:832
.LBB112_40:                             ;   in Loop: Header=BB112_12 Depth=1
	s_or_b32 exec_lo, exec_lo, s26
	v_cmp_gt_u32_e64 s26, s40, v35
	s_delay_alu instid0(VALU_DEP_1)
	s_and_saveexec_b32 s27, s26
	s_cbranch_execz .LBB112_42
; %bb.41:                               ;   in Loop: Header=BB112_12 Depth=1
	global_load_u16 v17, v[0:1], off offset:896
.LBB112_42:                             ;   in Loop: Header=BB112_12 Depth=1
	s_or_b32 exec_lo, exec_lo, s27
	v_cmp_gt_u32_e64 s27, s40, v36
	v_dual_mov_b32 v10, 0 :: v_dual_mov_b32 v95, 0
	s_delay_alu instid0(VALU_DEP_2)
	s_and_saveexec_b32 s28, s27
	s_cbranch_execz .LBB112_44
; %bb.43:                               ;   in Loop: Header=BB112_12 Depth=1
	global_load_u16 v95, v[0:1], off offset:960
.LBB112_44:                             ;   in Loop: Header=BB112_12 Depth=1
	s_or_b32 exec_lo, exec_lo, s28
	s_waitcnt vmcnt(0)
	ds_store_b16 v37, v2
	ds_store_b16 v37, v4 offset:64
	ds_store_b16 v38, v3 offset:128
	;; [unrolled: 1-line block ×15, first 2 shown]
	; wave barrier
	ds_load_b128 v[0:3], v52
	ds_load_b128 v[4:7], v52 offset:16
	v_add_co_u32 v8, s28, s70, v16
	s_delay_alu instid0(VALU_DEP_1) | instskip(SKIP_1) | instid1(VALU_DEP_2)
	v_add_co_ci_u32_e64 v9, null, s56, 0, s28
	s_waitcnt lgkmcnt(0)
	v_add_co_u32 v8, vcc_lo, v8, v93
	s_delay_alu instid0(VALU_DEP_2)
	v_add_co_ci_u32_e32 v9, vcc_lo, 0, v9, vcc_lo
	s_barrier
	buffer_gl0_inv
	s_and_saveexec_b32 s28, s12
	s_cbranch_execz .LBB112_46
; %bb.45:                               ;   in Loop: Header=BB112_12 Depth=1
	global_load_u16 v10, v[8:9], off
.LBB112_46:                             ;   in Loop: Header=BB112_12 Depth=1
	s_or_b32 exec_lo, exec_lo, s28
	v_dual_mov_b32 v11, 0 :: v_dual_mov_b32 v12, 0
	s_and_saveexec_b32 s28, s13
	s_cbranch_execz .LBB112_48
; %bb.47:                               ;   in Loop: Header=BB112_12 Depth=1
	global_load_u16 v12, v[8:9], off offset:64
.LBB112_48:                             ;   in Loop: Header=BB112_12 Depth=1
	s_or_b32 exec_lo, exec_lo, s28
	s_and_saveexec_b32 s28, s14
	s_cbranch_execz .LBB112_50
; %bb.49:                               ;   in Loop: Header=BB112_12 Depth=1
	global_load_u16 v11, v[8:9], off offset:128
.LBB112_50:                             ;   in Loop: Header=BB112_12 Depth=1
	s_or_b32 exec_lo, exec_lo, s28
	v_dual_mov_b32 v13, 0 :: v_dual_mov_b32 v14, 0
	s_and_saveexec_b32 s28, s15
	s_cbranch_execz .LBB112_52
; %bb.51:                               ;   in Loop: Header=BB112_12 Depth=1
	global_load_u16 v14, v[8:9], off offset:192
.LBB112_52:                             ;   in Loop: Header=BB112_12 Depth=1
	s_or_b32 exec_lo, exec_lo, s28
	s_and_saveexec_b32 s28, s16
	s_cbranch_execz .LBB112_54
; %bb.53:                               ;   in Loop: Header=BB112_12 Depth=1
	global_load_u16 v13, v[8:9], off offset:256
.LBB112_54:                             ;   in Loop: Header=BB112_12 Depth=1
	s_or_b32 exec_lo, exec_lo, s28
	v_mov_b32_e32 v15, 0
	v_mov_b32_e32 v17, 0
	s_and_saveexec_b32 s28, s17
	s_cbranch_execz .LBB112_56
; %bb.55:                               ;   in Loop: Header=BB112_12 Depth=1
	global_load_u16 v17, v[8:9], off offset:320
.LBB112_56:                             ;   in Loop: Header=BB112_12 Depth=1
	s_or_b32 exec_lo, exec_lo, s28
	s_and_saveexec_b32 s28, s18
	s_cbranch_execz .LBB112_58
; %bb.57:                               ;   in Loop: Header=BB112_12 Depth=1
	global_load_u16 v15, v[8:9], off offset:384
.LBB112_58:                             ;   in Loop: Header=BB112_12 Depth=1
	s_or_b32 exec_lo, exec_lo, s28
	v_dual_mov_b32 v94, 0 :: v_dual_mov_b32 v95, 0
	s_and_saveexec_b32 s28, s19
	s_cbranch_execz .LBB112_60
; %bb.59:                               ;   in Loop: Header=BB112_12 Depth=1
	global_load_u16 v95, v[8:9], off offset:448
.LBB112_60:                             ;   in Loop: Header=BB112_12 Depth=1
	s_or_b32 exec_lo, exec_lo, s28
	s_and_saveexec_b32 s28, s20
	s_cbranch_execz .LBB112_62
; %bb.61:                               ;   in Loop: Header=BB112_12 Depth=1
	global_load_u16 v94, v[8:9], off offset:512
.LBB112_62:                             ;   in Loop: Header=BB112_12 Depth=1
	s_or_b32 exec_lo, exec_lo, s28
	v_dual_mov_b32 v96, 0 :: v_dual_mov_b32 v97, 0
	;; [unrolled: 13-line block ×4, first 2 shown]
	s_and_saveexec_b32 s28, s25
	s_cbranch_execnz .LBB112_267
; %bb.71:                               ;   in Loop: Header=BB112_12 Depth=1
	s_or_b32 exec_lo, exec_lo, s28
	s_and_saveexec_b32 s28, s26
	s_cbranch_execnz .LBB112_268
.LBB112_72:                             ;   in Loop: Header=BB112_12 Depth=1
	s_or_b32 exec_lo, exec_lo, s28
	v_mov_b32_e32 v102, 0
	s_and_saveexec_b32 s28, s27
	s_cbranch_execz .LBB112_74
.LBB112_73:                             ;   in Loop: Header=BB112_12 Depth=1
	global_load_u16 v102, v[8:9], off offset:960
.LBB112_74:                             ;   in Loop: Header=BB112_12 Depth=1
	s_or_b32 exec_lo, exec_lo, s28
	s_waitcnt vmcnt(0)
	ds_store_b16 v37, v10
	ds_store_b16 v37, v12 offset:64
	ds_store_b16 v38, v11 offset:128
	;; [unrolled: 1-line block ×15, first 2 shown]
	; wave barrier
	ds_load_b128 v[12:15], v52
	ds_load_b128 v[8:11], v52 offset:16
	s_waitcnt lgkmcnt(1)
	v_cvt_f32_f16_e32 v17, v12
	s_delay_alu instid0(VALU_DEP_1) | instskip(NEXT) | instid1(VALU_DEP_1)
	v_add_f32_e32 v94, s66, v17
	v_cmp_ge_f32_e32 vcc_lo, 0x41a00000, v94
	s_and_b32 s28, s79, vcc_lo
	s_delay_alu instid0(SALU_CYCLE_1)
	s_and_saveexec_b32 s29, s28
	s_cbranch_execz .LBB112_76
; %bb.75:                               ;   in Loop: Header=BB112_12 Depth=1
	v_mul_f32_e32 v17, 0x3fb8aa3b, v94
	v_cmp_ngt_f32_e32 vcc_lo, 0xc2ce8ed0, v94
	s_delay_alu instid0(VALU_DEP_2) | instskip(SKIP_1) | instid1(VALU_DEP_1)
	v_rndne_f32_e32 v95, v17
	v_fma_f32 v96, 0x3fb8aa3b, v94, -v17
	v_dual_sub_f32 v17, v17, v95 :: v_dual_fmac_f32 v96, 0x32a5705f, v94
	v_cvt_i32_f32_e32 v95, v95
	s_delay_alu instid0(VALU_DEP_2) | instskip(NEXT) | instid1(VALU_DEP_1)
	v_add_f32_e32 v17, v17, v96
	v_exp_f32_e32 v17, v17
	s_waitcnt_depctr 0xfff
	v_ldexp_f32 v17, v17, v95
	s_delay_alu instid0(VALU_DEP_1) | instskip(SKIP_1) | instid1(VALU_DEP_2)
	v_cndmask_b32_e32 v17, 0, v17, vcc_lo
	v_cmp_nlt_f32_e32 vcc_lo, 0x42b17218, v94
	v_cndmask_b32_e32 v17, 0x7f800000, v17, vcc_lo
	s_delay_alu instid0(VALU_DEP_1) | instskip(NEXT) | instid1(VALU_DEP_1)
	v_add_f32_e32 v96, 1.0, v17
	v_cvt_f64_f32_e32 v[94:95], v96
	s_delay_alu instid0(VALU_DEP_1) | instskip(SKIP_1) | instid1(VALU_DEP_1)
	v_frexp_exp_i32_f64_e32 v94, v[94:95]
	v_frexp_mant_f32_e32 v95, v96
	v_cmp_gt_f32_e32 vcc_lo, 0x3f2aaaab, v95
	v_add_f32_e32 v95, -1.0, v96
	s_delay_alu instid0(VALU_DEP_1) | instskip(NEXT) | instid1(VALU_DEP_1)
	v_dual_sub_f32 v98, v95, v96 :: v_dual_sub_f32 v95, v17, v95
	v_add_f32_e32 v98, 1.0, v98
	v_subrev_co_ci_u32_e32 v94, vcc_lo, 0, v94, vcc_lo
	s_delay_alu instid0(VALU_DEP_1) | instskip(SKIP_1) | instid1(VALU_DEP_2)
	v_sub_nc_u32_e32 v97, 0, v94
	v_cvt_f32_i32_e32 v94, v94
	v_ldexp_f32 v96, v96, v97
	v_add_f32_e32 v95, v95, v98
	s_delay_alu instid0(VALU_DEP_1) | instskip(NEXT) | instid1(VALU_DEP_3)
	v_ldexp_f32 v95, v95, v97
	v_add_f32_e32 v99, 1.0, v96
	s_delay_alu instid0(VALU_DEP_1) | instskip(NEXT) | instid1(VALU_DEP_1)
	v_add_f32_e32 v98, -1.0, v99
	v_sub_f32_e32 v98, v96, v98
	v_cmp_eq_f32_e32 vcc_lo, 0x7f800000, v17
	v_cmp_gt_f32_e64 s28, 0x33800000, v17
	s_delay_alu instid0(VALU_DEP_3) | instskip(NEXT) | instid1(VALU_DEP_2)
	v_dual_add_f32 v98, v95, v98 :: v_dual_add_f32 v97, -1.0, v96
	s_or_b32 vcc_lo, s28, vcc_lo
	s_delay_alu instid0(VALU_DEP_1) | instskip(NEXT) | instid1(VALU_DEP_1)
	v_add_f32_e32 v100, 1.0, v97
	v_sub_f32_e32 v96, v96, v100
	s_delay_alu instid0(VALU_DEP_3) | instskip(NEXT) | instid1(VALU_DEP_1)
	v_add_f32_e32 v100, v99, v98
	v_sub_f32_e32 v99, v99, v100
	s_delay_alu instid0(VALU_DEP_3) | instskip(SKIP_1) | instid1(VALU_DEP_2)
	v_add_f32_e32 v95, v95, v96
	v_rcp_f32_e32 v96, v100
	v_add_f32_e32 v98, v98, v99
	s_delay_alu instid0(VALU_DEP_2) | instskip(NEXT) | instid1(VALU_DEP_1)
	v_add_f32_e32 v101, v97, v95
	v_sub_f32_e32 v97, v97, v101
	s_waitcnt_depctr 0xfff
	v_dual_mul_f32 v102, v101, v96 :: v_dual_add_f32 v95, v95, v97
	s_delay_alu instid0(VALU_DEP_1) | instskip(NEXT) | instid1(VALU_DEP_1)
	v_mul_f32_e32 v103, v100, v102
	v_fma_f32 v99, v102, v100, -v103
	s_delay_alu instid0(VALU_DEP_1) | instskip(NEXT) | instid1(VALU_DEP_1)
	v_fmac_f32_e32 v99, v102, v98
	v_add_f32_e32 v104, v103, v99
	s_delay_alu instid0(VALU_DEP_1) | instskip(NEXT) | instid1(VALU_DEP_1)
	v_sub_f32_e32 v105, v101, v104
	v_sub_f32_e32 v101, v101, v105
	;; [unrolled: 1-line block ×3, first 2 shown]
	s_delay_alu instid0(VALU_DEP_2) | instskip(NEXT) | instid1(VALU_DEP_2)
	v_sub_f32_e32 v101, v101, v104
	v_sub_f32_e32 v97, v97, v99
	s_delay_alu instid0(VALU_DEP_2) | instskip(NEXT) | instid1(VALU_DEP_1)
	v_add_f32_e32 v95, v95, v101
	v_add_f32_e32 v95, v97, v95
	s_delay_alu instid0(VALU_DEP_1) | instskip(NEXT) | instid1(VALU_DEP_1)
	v_add_f32_e32 v97, v105, v95
	v_mul_f32_e32 v99, v96, v97
	s_delay_alu instid0(VALU_DEP_1) | instskip(NEXT) | instid1(VALU_DEP_1)
	v_dual_sub_f32 v104, v105, v97 :: v_dual_mul_f32 v101, v100, v99
	v_add_f32_e32 v95, v95, v104
	s_delay_alu instid0(VALU_DEP_2) | instskip(NEXT) | instid1(VALU_DEP_1)
	v_fma_f32 v100, v99, v100, -v101
	v_fmac_f32_e32 v100, v99, v98
	s_delay_alu instid0(VALU_DEP_1) | instskip(NEXT) | instid1(VALU_DEP_1)
	v_add_f32_e32 v98, v101, v100
	v_sub_f32_e32 v103, v97, v98
	v_sub_f32_e32 v101, v98, v101
	s_delay_alu instid0(VALU_DEP_2) | instskip(NEXT) | instid1(VALU_DEP_1)
	v_sub_f32_e32 v97, v97, v103
	v_sub_f32_e32 v97, v97, v98
	s_delay_alu instid0(VALU_DEP_1) | instskip(SKIP_1) | instid1(VALU_DEP_1)
	v_dual_sub_f32 v98, v101, v100 :: v_dual_add_f32 v95, v95, v97
	v_add_f32_e32 v97, v102, v99
	v_dual_add_f32 v95, v98, v95 :: v_dual_sub_f32 v98, v97, v102
	s_delay_alu instid0(VALU_DEP_1) | instskip(NEXT) | instid1(VALU_DEP_1)
	v_add_f32_e32 v95, v103, v95
	v_dual_sub_f32 v98, v99, v98 :: v_dual_mul_f32 v95, v96, v95
	s_delay_alu instid0(VALU_DEP_1) | instskip(NEXT) | instid1(VALU_DEP_1)
	v_add_f32_e32 v95, v98, v95
	v_add_f32_e32 v96, v97, v95
	s_delay_alu instid0(VALU_DEP_1) | instskip(NEXT) | instid1(VALU_DEP_1)
	v_mul_f32_e32 v98, v96, v96
	v_fmaak_f32 v99, s83, v98, 0x3ecc95a3
	v_mul_f32_e32 v100, v96, v98
	s_delay_alu instid0(VALU_DEP_2) | instskip(SKIP_2) | instid1(VALU_DEP_3)
	v_fmaak_f32 v98, v98, v99, 0x3f2aaada
	v_ldexp_f32 v99, v96, 1
	v_sub_f32_e32 v96, v96, v97
	v_mul_f32_e32 v98, v100, v98
	s_delay_alu instid0(VALU_DEP_2) | instskip(NEXT) | instid1(VALU_DEP_2)
	v_dual_mul_f32 v100, 0x3f317218, v94 :: v_dual_sub_f32 v95, v95, v96
	v_add_f32_e32 v97, v99, v98
	s_delay_alu instid0(VALU_DEP_2) | instskip(NEXT) | instid1(VALU_DEP_2)
	v_ldexp_f32 v95, v95, 1
	v_sub_f32_e32 v96, v97, v99
	s_delay_alu instid0(VALU_DEP_4) | instskip(NEXT) | instid1(VALU_DEP_1)
	v_fma_f32 v99, 0x3f317218, v94, -v100
	v_dual_sub_f32 v96, v98, v96 :: v_dual_fmac_f32 v99, 0xb102e308, v94
	s_delay_alu instid0(VALU_DEP_1) | instskip(NEXT) | instid1(VALU_DEP_1)
	v_dual_add_f32 v94, v95, v96 :: v_dual_add_f32 v95, v100, v99
	v_add_f32_e32 v96, v97, v94
	s_delay_alu instid0(VALU_DEP_2) | instskip(NEXT) | instid1(VALU_DEP_2)
	v_sub_f32_e32 v100, v95, v100
	v_dual_add_f32 v98, v95, v96 :: v_dual_sub_f32 v97, v96, v97
	s_delay_alu instid0(VALU_DEP_2) | instskip(NEXT) | instid1(VALU_DEP_2)
	v_sub_f32_e32 v99, v99, v100
	v_sub_f32_e32 v101, v98, v95
	s_delay_alu instid0(VALU_DEP_3) | instskip(NEXT) | instid1(VALU_DEP_2)
	v_sub_f32_e32 v94, v94, v97
	v_sub_f32_e32 v102, v98, v101
	s_delay_alu instid0(VALU_DEP_2) | instskip(NEXT) | instid1(VALU_DEP_2)
	v_dual_sub_f32 v96, v96, v101 :: v_dual_add_f32 v97, v99, v94
	v_sub_f32_e32 v95, v95, v102
	s_delay_alu instid0(VALU_DEP_1) | instskip(NEXT) | instid1(VALU_DEP_3)
	v_add_f32_e32 v95, v96, v95
	v_sub_f32_e32 v96, v97, v99
	s_delay_alu instid0(VALU_DEP_2) | instskip(NEXT) | instid1(VALU_DEP_2)
	v_add_f32_e32 v95, v97, v95
	v_sub_f32_e32 v97, v97, v96
	v_sub_f32_e32 v94, v94, v96
	s_delay_alu instid0(VALU_DEP_2) | instskip(NEXT) | instid1(VALU_DEP_1)
	v_dual_add_f32 v100, v98, v95 :: v_dual_sub_f32 v97, v99, v97
	v_sub_f32_e32 v96, v100, v98
	s_delay_alu instid0(VALU_DEP_1) | instskip(NEXT) | instid1(VALU_DEP_1)
	v_dual_add_f32 v94, v94, v97 :: v_dual_sub_f32 v95, v95, v96
	v_add_f32_e32 v94, v94, v95
	s_delay_alu instid0(VALU_DEP_1) | instskip(NEXT) | instid1(VALU_DEP_1)
	v_add_f32_e32 v94, v100, v94
	v_cndmask_b32_e32 v94, v94, v17, vcc_lo
.LBB112_76:                             ;   in Loop: Header=BB112_12 Depth=1
	s_or_b32 exec_lo, exec_lo, s29
	v_lshrrev_b32_e32 v12, 16, v12
	s_delay_alu instid0(VALU_DEP_1) | instskip(NEXT) | instid1(VALU_DEP_1)
	v_cvt_f32_f16_e32 v12, v12
	v_add_f32_e32 v95, s66, v12
	s_delay_alu instid0(VALU_DEP_1) | instskip(SKIP_1) | instid1(SALU_CYCLE_1)
	v_cmp_ge_f32_e32 vcc_lo, 0x41a00000, v95
	s_and_b32 s28, s79, vcc_lo
	s_and_saveexec_b32 s29, s28
	s_cbranch_execz .LBB112_78
; %bb.77:                               ;   in Loop: Header=BB112_12 Depth=1
	v_mul_f32_e32 v12, 0x3fb8aa3b, v95
	v_cmp_ngt_f32_e32 vcc_lo, 0xc2ce8ed0, v95
	s_delay_alu instid0(VALU_DEP_2) | instskip(SKIP_1) | instid1(VALU_DEP_2)
	v_rndne_f32_e32 v17, v12
	v_fma_f32 v96, 0x3fb8aa3b, v95, -v12
	v_sub_f32_e32 v12, v12, v17
	s_delay_alu instid0(VALU_DEP_2) | instskip(SKIP_1) | instid1(VALU_DEP_2)
	v_fmac_f32_e32 v96, 0x32a5705f, v95
	v_cvt_i32_f32_e32 v17, v17
	v_add_f32_e32 v12, v12, v96
	s_delay_alu instid0(VALU_DEP_1) | instskip(SKIP_2) | instid1(VALU_DEP_1)
	v_exp_f32_e32 v12, v12
	s_waitcnt_depctr 0xfff
	v_ldexp_f32 v12, v12, v17
	v_cndmask_b32_e32 v12, 0, v12, vcc_lo
	v_cmp_nlt_f32_e32 vcc_lo, 0x42b17218, v95
	s_delay_alu instid0(VALU_DEP_2) | instskip(NEXT) | instid1(VALU_DEP_1)
	v_cndmask_b32_e32 v12, 0x7f800000, v12, vcc_lo
	v_add_f32_e32 v17, 1.0, v12
	s_delay_alu instid0(VALU_DEP_1) | instskip(NEXT) | instid1(VALU_DEP_1)
	v_cvt_f64_f32_e32 v[95:96], v17
	v_frexp_exp_i32_f64_e32 v95, v[95:96]
	v_frexp_mant_f32_e32 v96, v17
	s_delay_alu instid0(VALU_DEP_1) | instskip(SKIP_1) | instid1(VALU_DEP_1)
	v_cmp_gt_f32_e32 vcc_lo, 0x3f2aaaab, v96
	v_add_f32_e32 v96, -1.0, v17
	v_sub_f32_e32 v98, v96, v17
	v_sub_f32_e32 v96, v12, v96
	s_delay_alu instid0(VALU_DEP_2) | instskip(NEXT) | instid1(VALU_DEP_1)
	v_add_f32_e32 v98, 1.0, v98
	v_add_f32_e32 v96, v96, v98
	v_subrev_co_ci_u32_e32 v95, vcc_lo, 0, v95, vcc_lo
	s_delay_alu instid0(VALU_DEP_1) | instskip(SKIP_1) | instid1(VALU_DEP_2)
	v_sub_nc_u32_e32 v97, 0, v95
	v_cvt_f32_i32_e32 v95, v95
	v_ldexp_f32 v17, v17, v97
	v_ldexp_f32 v96, v96, v97
	s_delay_alu instid0(VALU_DEP_2) | instskip(NEXT) | instid1(VALU_DEP_1)
	v_add_f32_e32 v99, 1.0, v17
	v_dual_add_f32 v97, -1.0, v17 :: v_dual_add_f32 v98, -1.0, v99
	s_delay_alu instid0(VALU_DEP_1) | instskip(NEXT) | instid1(VALU_DEP_2)
	v_add_f32_e32 v100, 1.0, v97
	v_sub_f32_e32 v98, v17, v98
	s_delay_alu instid0(VALU_DEP_2) | instskip(NEXT) | instid1(VALU_DEP_1)
	v_sub_f32_e32 v17, v17, v100
	v_add_f32_e32 v17, v96, v17
	s_delay_alu instid0(VALU_DEP_1) | instskip(SKIP_2) | instid1(VALU_DEP_3)
	v_add_f32_e32 v101, v97, v17
	v_cmp_eq_f32_e32 vcc_lo, 0x7f800000, v12
	v_cmp_gt_f32_e64 s28, 0x33800000, v12
	v_dual_sub_f32 v97, v97, v101 :: v_dual_add_f32 v98, v96, v98
	s_delay_alu instid0(VALU_DEP_2) | instskip(NEXT) | instid1(VALU_DEP_1)
	s_or_b32 vcc_lo, s28, vcc_lo
	v_dual_add_f32 v17, v17, v97 :: v_dual_add_f32 v100, v99, v98
	s_delay_alu instid0(VALU_DEP_1) | instskip(SKIP_1) | instid1(VALU_DEP_1)
	v_rcp_f32_e32 v96, v100
	v_sub_f32_e32 v99, v99, v100
	v_add_f32_e32 v98, v98, v99
	s_waitcnt_depctr 0xfff
	v_mul_f32_e32 v102, v101, v96
	s_delay_alu instid0(VALU_DEP_1) | instskip(NEXT) | instid1(VALU_DEP_1)
	v_mul_f32_e32 v103, v100, v102
	v_fma_f32 v99, v102, v100, -v103
	s_delay_alu instid0(VALU_DEP_1) | instskip(NEXT) | instid1(VALU_DEP_1)
	v_fmac_f32_e32 v99, v102, v98
	v_add_f32_e32 v104, v103, v99
	s_delay_alu instid0(VALU_DEP_1) | instskip(SKIP_1) | instid1(VALU_DEP_2)
	v_sub_f32_e32 v105, v101, v104
	v_sub_f32_e32 v97, v104, v103
	;; [unrolled: 1-line block ×3, first 2 shown]
	s_delay_alu instid0(VALU_DEP_2) | instskip(NEXT) | instid1(VALU_DEP_2)
	v_sub_f32_e32 v97, v97, v99
	v_sub_f32_e32 v101, v101, v104
	s_delay_alu instid0(VALU_DEP_1) | instskip(NEXT) | instid1(VALU_DEP_1)
	v_add_f32_e32 v17, v17, v101
	v_add_f32_e32 v17, v97, v17
	s_delay_alu instid0(VALU_DEP_1) | instskip(NEXT) | instid1(VALU_DEP_1)
	v_add_f32_e32 v97, v105, v17
	v_mul_f32_e32 v99, v96, v97
	s_delay_alu instid0(VALU_DEP_1) | instskip(NEXT) | instid1(VALU_DEP_1)
	v_mul_f32_e32 v101, v100, v99
	v_fma_f32 v100, v99, v100, -v101
	s_delay_alu instid0(VALU_DEP_1) | instskip(SKIP_1) | instid1(VALU_DEP_2)
	v_fmac_f32_e32 v100, v99, v98
	v_sub_f32_e32 v104, v105, v97
	v_add_f32_e32 v98, v101, v100
	s_delay_alu instid0(VALU_DEP_2) | instskip(NEXT) | instid1(VALU_DEP_2)
	v_add_f32_e32 v17, v17, v104
	v_sub_f32_e32 v103, v97, v98
	s_delay_alu instid0(VALU_DEP_1) | instskip(NEXT) | instid1(VALU_DEP_1)
	v_sub_f32_e32 v97, v97, v103
	v_sub_f32_e32 v97, v97, v98
	s_delay_alu instid0(VALU_DEP_1) | instskip(SKIP_2) | instid1(VALU_DEP_1)
	v_add_f32_e32 v17, v17, v97
	v_add_f32_e32 v97, v102, v99
	v_sub_f32_e32 v101, v98, v101
	v_sub_f32_e32 v98, v101, v100
	s_delay_alu instid0(VALU_DEP_1) | instskip(NEXT) | instid1(VALU_DEP_1)
	v_dual_add_f32 v17, v98, v17 :: v_dual_sub_f32 v98, v97, v102
	v_add_f32_e32 v17, v103, v17
	s_delay_alu instid0(VALU_DEP_1) | instskip(NEXT) | instid1(VALU_DEP_1)
	v_dual_sub_f32 v98, v99, v98 :: v_dual_mul_f32 v17, v96, v17
	v_add_f32_e32 v17, v98, v17
	s_delay_alu instid0(VALU_DEP_1) | instskip(NEXT) | instid1(VALU_DEP_1)
	v_add_f32_e32 v96, v97, v17
	v_mul_f32_e32 v98, v96, v96
	s_delay_alu instid0(VALU_DEP_1) | instskip(SKIP_1) | instid1(VALU_DEP_2)
	v_fmaak_f32 v99, s83, v98, 0x3ecc95a3
	v_mul_f32_e32 v100, v96, v98
	v_fmaak_f32 v98, v98, v99, 0x3f2aaada
	v_ldexp_f32 v99, v96, 1
	s_delay_alu instid0(VALU_DEP_2) | instskip(SKIP_1) | instid1(VALU_DEP_2)
	v_mul_f32_e32 v98, v100, v98
	v_sub_f32_e32 v96, v96, v97
	v_dual_mul_f32 v100, 0x3f317218, v95 :: v_dual_add_f32 v97, v99, v98
	s_delay_alu instid0(VALU_DEP_2) | instskip(NEXT) | instid1(VALU_DEP_2)
	v_sub_f32_e32 v17, v17, v96
	v_sub_f32_e32 v96, v97, v99
	s_delay_alu instid0(VALU_DEP_3) | instskip(NEXT) | instid1(VALU_DEP_3)
	v_fma_f32 v99, 0x3f317218, v95, -v100
	v_ldexp_f32 v17, v17, 1
	s_delay_alu instid0(VALU_DEP_2) | instskip(NEXT) | instid1(VALU_DEP_1)
	v_dual_sub_f32 v96, v98, v96 :: v_dual_fmac_f32 v99, 0xb102e308, v95
	v_add_f32_e32 v17, v17, v96
	s_delay_alu instid0(VALU_DEP_1) | instskip(NEXT) | instid1(VALU_DEP_1)
	v_dual_add_f32 v95, v100, v99 :: v_dual_add_f32 v96, v97, v17
	v_sub_f32_e32 v100, v95, v100
	s_delay_alu instid0(VALU_DEP_2) | instskip(NEXT) | instid1(VALU_DEP_2)
	v_dual_add_f32 v98, v95, v96 :: v_dual_sub_f32 v97, v96, v97
	v_sub_f32_e32 v99, v99, v100
	s_delay_alu instid0(VALU_DEP_2) | instskip(NEXT) | instid1(VALU_DEP_1)
	v_sub_f32_e32 v101, v98, v95
	v_sub_f32_e32 v102, v98, v101
	;; [unrolled: 1-line block ×4, first 2 shown]
	s_delay_alu instid0(VALU_DEP_1) | instskip(NEXT) | instid1(VALU_DEP_4)
	v_add_f32_e32 v97, v99, v17
	v_sub_f32_e32 v95, v95, v102
	s_delay_alu instid0(VALU_DEP_1) | instskip(NEXT) | instid1(VALU_DEP_3)
	v_add_f32_e32 v95, v96, v95
	v_sub_f32_e32 v96, v97, v99
	s_delay_alu instid0(VALU_DEP_2) | instskip(NEXT) | instid1(VALU_DEP_2)
	v_add_f32_e32 v95, v97, v95
	v_sub_f32_e32 v97, v97, v96
	s_delay_alu instid0(VALU_DEP_2) | instskip(NEXT) | instid1(VALU_DEP_1)
	v_dual_sub_f32 v17, v17, v96 :: v_dual_add_f32 v100, v98, v95
	v_dual_sub_f32 v96, v100, v98 :: v_dual_sub_f32 v97, v99, v97
	s_delay_alu instid0(VALU_DEP_1) | instskip(NEXT) | instid1(VALU_DEP_2)
	v_sub_f32_e32 v95, v95, v96
	v_add_f32_e32 v17, v17, v97
	s_delay_alu instid0(VALU_DEP_1) | instskip(NEXT) | instid1(VALU_DEP_1)
	v_add_f32_e32 v17, v17, v95
	v_add_f32_e32 v17, v100, v17
	s_delay_alu instid0(VALU_DEP_1)
	v_cndmask_b32_e32 v95, v17, v12, vcc_lo
.LBB112_78:                             ;   in Loop: Header=BB112_12 Depth=1
	s_or_b32 exec_lo, exec_lo, s29
	v_cvt_f32_f16_e32 v12, v13
	s_delay_alu instid0(VALU_DEP_1) | instskip(NEXT) | instid1(VALU_DEP_1)
	v_add_f32_e32 v96, s66, v12
	v_cmp_ge_f32_e32 vcc_lo, 0x41a00000, v96
	s_and_b32 s28, s79, vcc_lo
	s_delay_alu instid0(SALU_CYCLE_1)
	s_and_saveexec_b32 s29, s28
	s_cbranch_execz .LBB112_80
; %bb.79:                               ;   in Loop: Header=BB112_12 Depth=1
	v_mul_f32_e32 v12, 0x3fb8aa3b, v96
	v_cmp_ngt_f32_e32 vcc_lo, 0xc2ce8ed0, v96
	s_delay_alu instid0(VALU_DEP_2) | instskip(SKIP_1) | instid1(VALU_DEP_1)
	v_rndne_f32_e32 v17, v12
	v_fma_f32 v97, 0x3fb8aa3b, v96, -v12
	v_dual_sub_f32 v12, v12, v17 :: v_dual_fmac_f32 v97, 0x32a5705f, v96
	v_cvt_i32_f32_e32 v17, v17
	s_delay_alu instid0(VALU_DEP_2) | instskip(NEXT) | instid1(VALU_DEP_1)
	v_add_f32_e32 v12, v12, v97
	v_exp_f32_e32 v12, v12
	s_waitcnt_depctr 0xfff
	v_ldexp_f32 v12, v12, v17
	s_delay_alu instid0(VALU_DEP_1) | instskip(SKIP_1) | instid1(VALU_DEP_2)
	v_cndmask_b32_e32 v12, 0, v12, vcc_lo
	v_cmp_nlt_f32_e32 vcc_lo, 0x42b17218, v96
	v_cndmask_b32_e32 v12, 0x7f800000, v12, vcc_lo
	s_delay_alu instid0(VALU_DEP_1) | instskip(NEXT) | instid1(VALU_DEP_1)
	v_add_f32_e32 v17, 1.0, v12
	v_cvt_f64_f32_e32 v[96:97], v17
	s_delay_alu instid0(VALU_DEP_1) | instskip(SKIP_1) | instid1(VALU_DEP_1)
	v_frexp_exp_i32_f64_e32 v96, v[96:97]
	v_frexp_mant_f32_e32 v97, v17
	v_cmp_gt_f32_e32 vcc_lo, 0x3f2aaaab, v97
	v_add_f32_e32 v97, -1.0, v17
	s_delay_alu instid0(VALU_DEP_1) | instskip(SKIP_1) | instid1(VALU_DEP_2)
	v_sub_f32_e32 v99, v97, v17
	v_sub_f32_e32 v97, v12, v97
	v_add_f32_e32 v99, 1.0, v99
	s_delay_alu instid0(VALU_DEP_1) | instskip(SKIP_3) | instid1(VALU_DEP_2)
	v_add_f32_e32 v97, v97, v99
	v_cmp_gt_f32_e64 s28, 0x33800000, v12
	v_subrev_co_ci_u32_e32 v96, vcc_lo, 0, v96, vcc_lo
	v_cmp_eq_f32_e32 vcc_lo, 0x7f800000, v12
	v_sub_nc_u32_e32 v98, 0, v96
	v_cvt_f32_i32_e32 v96, v96
	s_or_b32 vcc_lo, s28, vcc_lo
	s_delay_alu instid0(VALU_DEP_2) | instskip(SKIP_1) | instid1(VALU_DEP_2)
	v_ldexp_f32 v17, v17, v98
	v_ldexp_f32 v97, v97, v98
	v_add_f32_e32 v100, 1.0, v17
	s_delay_alu instid0(VALU_DEP_1) | instskip(NEXT) | instid1(VALU_DEP_1)
	v_dual_add_f32 v98, -1.0, v17 :: v_dual_add_f32 v99, -1.0, v100
	v_add_f32_e32 v101, 1.0, v98
	s_delay_alu instid0(VALU_DEP_2) | instskip(NEXT) | instid1(VALU_DEP_2)
	v_sub_f32_e32 v99, v17, v99
	v_sub_f32_e32 v17, v17, v101
	s_delay_alu instid0(VALU_DEP_1) | instskip(NEXT) | instid1(VALU_DEP_1)
	v_add_f32_e32 v17, v97, v17
	v_dual_add_f32 v102, v98, v17 :: v_dual_add_f32 v99, v97, v99
	s_delay_alu instid0(VALU_DEP_1) | instskip(NEXT) | instid1(VALU_DEP_1)
	v_dual_sub_f32 v98, v98, v102 :: v_dual_add_f32 v101, v100, v99
	v_rcp_f32_e32 v97, v101
	v_sub_f32_e32 v100, v100, v101
	s_delay_alu instid0(VALU_DEP_1) | instskip(SKIP_2) | instid1(VALU_DEP_1)
	v_add_f32_e32 v99, v99, v100
	s_waitcnt_depctr 0xfff
	v_mul_f32_e32 v103, v102, v97
	v_mul_f32_e32 v104, v101, v103
	s_delay_alu instid0(VALU_DEP_1) | instskip(NEXT) | instid1(VALU_DEP_1)
	v_fma_f32 v100, v103, v101, -v104
	v_fmac_f32_e32 v100, v103, v99
	s_delay_alu instid0(VALU_DEP_1) | instskip(NEXT) | instid1(VALU_DEP_1)
	v_add_f32_e32 v105, v104, v100
	v_sub_f32_e32 v106, v102, v105
	s_delay_alu instid0(VALU_DEP_1) | instskip(SKIP_2) | instid1(VALU_DEP_3)
	v_sub_f32_e32 v102, v102, v106
	v_add_f32_e32 v17, v17, v98
	v_sub_f32_e32 v98, v105, v104
	v_sub_f32_e32 v102, v102, v105
	s_delay_alu instid0(VALU_DEP_1) | instskip(NEXT) | instid1(VALU_DEP_1)
	v_dual_sub_f32 v98, v98, v100 :: v_dual_add_f32 v17, v17, v102
	v_add_f32_e32 v17, v98, v17
	s_delay_alu instid0(VALU_DEP_1) | instskip(NEXT) | instid1(VALU_DEP_1)
	v_add_f32_e32 v98, v106, v17
	v_mul_f32_e32 v100, v97, v98
	s_delay_alu instid0(VALU_DEP_1) | instskip(NEXT) | instid1(VALU_DEP_1)
	v_dual_sub_f32 v105, v106, v98 :: v_dual_mul_f32 v102, v101, v100
	v_add_f32_e32 v17, v17, v105
	s_delay_alu instid0(VALU_DEP_2) | instskip(NEXT) | instid1(VALU_DEP_1)
	v_fma_f32 v101, v100, v101, -v102
	v_fmac_f32_e32 v101, v100, v99
	s_delay_alu instid0(VALU_DEP_1) | instskip(NEXT) | instid1(VALU_DEP_1)
	v_add_f32_e32 v99, v102, v101
	v_sub_f32_e32 v104, v98, v99
	s_delay_alu instid0(VALU_DEP_1) | instskip(NEXT) | instid1(VALU_DEP_1)
	v_sub_f32_e32 v98, v98, v104
	v_sub_f32_e32 v98, v98, v99
	s_delay_alu instid0(VALU_DEP_1) | instskip(SKIP_1) | instid1(VALU_DEP_1)
	v_dual_add_f32 v17, v17, v98 :: v_dual_add_f32 v98, v103, v100
	v_sub_f32_e32 v102, v99, v102
	v_sub_f32_e32 v99, v102, v101
	s_delay_alu instid0(VALU_DEP_1) | instskip(NEXT) | instid1(VALU_DEP_4)
	v_add_f32_e32 v17, v99, v17
	v_sub_f32_e32 v99, v98, v103
	s_delay_alu instid0(VALU_DEP_2) | instskip(NEXT) | instid1(VALU_DEP_2)
	v_add_f32_e32 v17, v104, v17
	v_sub_f32_e32 v99, v100, v99
	s_delay_alu instid0(VALU_DEP_2) | instskip(NEXT) | instid1(VALU_DEP_1)
	v_mul_f32_e32 v17, v97, v17
	v_add_f32_e32 v17, v99, v17
	s_delay_alu instid0(VALU_DEP_1) | instskip(NEXT) | instid1(VALU_DEP_1)
	v_add_f32_e32 v97, v98, v17
	v_mul_f32_e32 v99, v97, v97
	s_delay_alu instid0(VALU_DEP_1) | instskip(SKIP_1) | instid1(VALU_DEP_2)
	v_fmaak_f32 v100, s83, v99, 0x3ecc95a3
	v_mul_f32_e32 v101, v97, v99
	v_fmaak_f32 v99, v99, v100, 0x3f2aaada
	v_ldexp_f32 v100, v97, 1
	v_sub_f32_e32 v97, v97, v98
	s_delay_alu instid0(VALU_DEP_3) | instskip(SKIP_1) | instid1(VALU_DEP_2)
	v_mul_f32_e32 v99, v101, v99
	v_mul_f32_e32 v101, 0x3f317218, v96
	v_dual_sub_f32 v17, v17, v97 :: v_dual_add_f32 v98, v100, v99
	s_delay_alu instid0(VALU_DEP_1) | instskip(NEXT) | instid1(VALU_DEP_2)
	v_ldexp_f32 v17, v17, 1
	v_sub_f32_e32 v97, v98, v100
	s_delay_alu instid0(VALU_DEP_4) | instskip(NEXT) | instid1(VALU_DEP_1)
	v_fma_f32 v100, 0x3f317218, v96, -v101
	v_dual_sub_f32 v97, v99, v97 :: v_dual_fmac_f32 v100, 0xb102e308, v96
	s_delay_alu instid0(VALU_DEP_1) | instskip(NEXT) | instid1(VALU_DEP_1)
	v_add_f32_e32 v17, v17, v97
	v_dual_add_f32 v96, v101, v100 :: v_dual_add_f32 v97, v98, v17
	s_delay_alu instid0(VALU_DEP_1) | instskip(NEXT) | instid1(VALU_DEP_2)
	v_sub_f32_e32 v101, v96, v101
	v_dual_add_f32 v99, v96, v97 :: v_dual_sub_f32 v98, v97, v98
	s_delay_alu instid0(VALU_DEP_2) | instskip(NEXT) | instid1(VALU_DEP_2)
	v_sub_f32_e32 v100, v100, v101
	v_dual_sub_f32 v102, v99, v96 :: v_dual_sub_f32 v17, v17, v98
	s_delay_alu instid0(VALU_DEP_1) | instskip(NEXT) | instid1(VALU_DEP_2)
	v_sub_f32_e32 v103, v99, v102
	v_dual_sub_f32 v97, v97, v102 :: v_dual_add_f32 v98, v100, v17
	s_delay_alu instid0(VALU_DEP_2) | instskip(NEXT) | instid1(VALU_DEP_1)
	v_sub_f32_e32 v96, v96, v103
	v_add_f32_e32 v96, v97, v96
	s_delay_alu instid0(VALU_DEP_3) | instskip(NEXT) | instid1(VALU_DEP_2)
	v_sub_f32_e32 v97, v98, v100
	v_add_f32_e32 v96, v98, v96
	s_delay_alu instid0(VALU_DEP_2) | instskip(SKIP_1) | instid1(VALU_DEP_2)
	v_sub_f32_e32 v98, v98, v97
	v_sub_f32_e32 v17, v17, v97
	v_dual_add_f32 v101, v99, v96 :: v_dual_sub_f32 v98, v100, v98
	s_delay_alu instid0(VALU_DEP_1) | instskip(NEXT) | instid1(VALU_DEP_1)
	v_sub_f32_e32 v97, v101, v99
	v_dual_add_f32 v17, v17, v98 :: v_dual_sub_f32 v96, v96, v97
	s_delay_alu instid0(VALU_DEP_1) | instskip(NEXT) | instid1(VALU_DEP_1)
	v_add_f32_e32 v17, v17, v96
	v_add_f32_e32 v17, v101, v17
	s_delay_alu instid0(VALU_DEP_1)
	v_cndmask_b32_e32 v96, v17, v12, vcc_lo
.LBB112_80:                             ;   in Loop: Header=BB112_12 Depth=1
	s_or_b32 exec_lo, exec_lo, s29
	v_lshrrev_b32_e32 v12, 16, v13
	s_delay_alu instid0(VALU_DEP_1) | instskip(NEXT) | instid1(VALU_DEP_1)
	v_cvt_f32_f16_e32 v12, v12
	v_add_f32_e32 v97, s66, v12
	s_delay_alu instid0(VALU_DEP_1) | instskip(SKIP_1) | instid1(SALU_CYCLE_1)
	v_cmp_ge_f32_e32 vcc_lo, 0x41a00000, v97
	s_and_b32 s28, s79, vcc_lo
	s_and_saveexec_b32 s29, s28
	s_cbranch_execz .LBB112_82
; %bb.81:                               ;   in Loop: Header=BB112_12 Depth=1
	v_mul_f32_e32 v12, 0x3fb8aa3b, v97
	v_cmp_ngt_f32_e32 vcc_lo, 0xc2ce8ed0, v97
	s_delay_alu instid0(VALU_DEP_2) | instskip(SKIP_1) | instid1(VALU_DEP_2)
	v_rndne_f32_e32 v13, v12
	v_fma_f32 v17, 0x3fb8aa3b, v97, -v12
	v_sub_f32_e32 v12, v12, v13
	s_delay_alu instid0(VALU_DEP_2) | instskip(SKIP_1) | instid1(VALU_DEP_2)
	v_fmac_f32_e32 v17, 0x32a5705f, v97
	v_cvt_i32_f32_e32 v13, v13
	v_add_f32_e32 v12, v12, v17
	s_delay_alu instid0(VALU_DEP_1) | instskip(SKIP_2) | instid1(VALU_DEP_1)
	v_exp_f32_e32 v12, v12
	s_waitcnt_depctr 0xfff
	v_ldexp_f32 v12, v12, v13
	v_cndmask_b32_e32 v12, 0, v12, vcc_lo
	v_cmp_nlt_f32_e32 vcc_lo, 0x42b17218, v97
	s_delay_alu instid0(VALU_DEP_2) | instskip(NEXT) | instid1(VALU_DEP_1)
	v_cndmask_b32_e32 v17, 0x7f800000, v12, vcc_lo
	v_add_f32_e32 v97, 1.0, v17
	s_delay_alu instid0(VALU_DEP_1) | instskip(NEXT) | instid1(VALU_DEP_1)
	v_cvt_f64_f32_e32 v[12:13], v97
	v_frexp_exp_i32_f64_e32 v12, v[12:13]
	v_frexp_mant_f32_e32 v13, v97
	s_delay_alu instid0(VALU_DEP_1) | instskip(SKIP_1) | instid1(VALU_DEP_1)
	v_cmp_gt_f32_e32 vcc_lo, 0x3f2aaaab, v13
	v_add_f32_e32 v13, -1.0, v97
	v_sub_f32_e32 v99, v13, v97
	s_delay_alu instid0(VALU_DEP_1) | instskip(SKIP_1) | instid1(VALU_DEP_1)
	v_add_f32_e32 v99, 1.0, v99
	v_subrev_co_ci_u32_e32 v12, vcc_lo, 0, v12, vcc_lo
	v_sub_nc_u32_e32 v98, 0, v12
	v_cvt_f32_i32_e32 v12, v12
	s_delay_alu instid0(VALU_DEP_2) | instskip(NEXT) | instid1(VALU_DEP_1)
	v_ldexp_f32 v97, v97, v98
	v_add_f32_e32 v100, 1.0, v97
	v_sub_f32_e32 v13, v17, v13
	v_cmp_eq_f32_e32 vcc_lo, 0x7f800000, v17
	v_cmp_gt_f32_e64 s28, 0x33800000, v17
	s_delay_alu instid0(VALU_DEP_3) | instskip(SKIP_1) | instid1(VALU_DEP_3)
	v_add_f32_e32 v13, v13, v99
	v_add_f32_e32 v99, -1.0, v100
	s_or_b32 vcc_lo, s28, vcc_lo
	s_delay_alu instid0(VALU_DEP_2) | instskip(NEXT) | instid1(VALU_DEP_2)
	v_ldexp_f32 v13, v13, v98
	v_dual_add_f32 v98, -1.0, v97 :: v_dual_sub_f32 v99, v97, v99
	s_delay_alu instid0(VALU_DEP_1) | instskip(NEXT) | instid1(VALU_DEP_2)
	v_add_f32_e32 v101, 1.0, v98
	v_add_f32_e32 v99, v13, v99
	s_delay_alu instid0(VALU_DEP_2) | instskip(NEXT) | instid1(VALU_DEP_1)
	v_sub_f32_e32 v97, v97, v101
	v_add_f32_e32 v13, v13, v97
	s_delay_alu instid0(VALU_DEP_1) | instskip(NEXT) | instid1(VALU_DEP_1)
	v_dual_add_f32 v102, v98, v13 :: v_dual_add_f32 v101, v100, v99
	v_sub_f32_e32 v98, v98, v102
	s_delay_alu instid0(VALU_DEP_2) | instskip(NEXT) | instid1(VALU_DEP_1)
	v_rcp_f32_e32 v97, v101
	v_dual_sub_f32 v100, v100, v101 :: v_dual_add_f32 v13, v13, v98
	s_delay_alu instid0(VALU_DEP_1) | instskip(SKIP_2) | instid1(VALU_DEP_1)
	v_add_f32_e32 v99, v99, v100
	s_waitcnt_depctr 0xfff
	v_mul_f32_e32 v103, v102, v97
	v_mul_f32_e32 v104, v101, v103
	s_delay_alu instid0(VALU_DEP_1) | instskip(NEXT) | instid1(VALU_DEP_1)
	v_fma_f32 v100, v103, v101, -v104
	v_fmac_f32_e32 v100, v103, v99
	s_delay_alu instid0(VALU_DEP_1) | instskip(NEXT) | instid1(VALU_DEP_1)
	v_add_f32_e32 v105, v104, v100
	v_sub_f32_e32 v106, v102, v105
	v_sub_f32_e32 v98, v105, v104
	s_delay_alu instid0(VALU_DEP_2) | instskip(NEXT) | instid1(VALU_DEP_2)
	v_sub_f32_e32 v102, v102, v106
	v_sub_f32_e32 v98, v98, v100
	s_delay_alu instid0(VALU_DEP_2) | instskip(NEXT) | instid1(VALU_DEP_1)
	v_sub_f32_e32 v102, v102, v105
	v_add_f32_e32 v13, v13, v102
	s_delay_alu instid0(VALU_DEP_1) | instskip(NEXT) | instid1(VALU_DEP_1)
	v_add_f32_e32 v13, v98, v13
	v_add_f32_e32 v98, v106, v13
	s_delay_alu instid0(VALU_DEP_1) | instskip(NEXT) | instid1(VALU_DEP_1)
	v_mul_f32_e32 v100, v97, v98
	v_dual_sub_f32 v105, v106, v98 :: v_dual_mul_f32 v102, v101, v100
	s_delay_alu instid0(VALU_DEP_1) | instskip(NEXT) | instid1(VALU_DEP_1)
	v_fma_f32 v101, v100, v101, -v102
	v_fmac_f32_e32 v101, v100, v99
	s_delay_alu instid0(VALU_DEP_1) | instskip(NEXT) | instid1(VALU_DEP_1)
	v_add_f32_e32 v99, v102, v101
	v_dual_add_f32 v13, v13, v105 :: v_dual_sub_f32 v104, v98, v99
	s_delay_alu instid0(VALU_DEP_1) | instskip(NEXT) | instid1(VALU_DEP_1)
	v_sub_f32_e32 v98, v98, v104
	v_sub_f32_e32 v98, v98, v99
	s_delay_alu instid0(VALU_DEP_1) | instskip(SKIP_1) | instid1(VALU_DEP_1)
	v_dual_add_f32 v13, v13, v98 :: v_dual_add_f32 v98, v103, v100
	v_sub_f32_e32 v102, v99, v102
	v_sub_f32_e32 v99, v102, v101
	s_delay_alu instid0(VALU_DEP_1) | instskip(NEXT) | instid1(VALU_DEP_4)
	v_add_f32_e32 v13, v99, v13
	v_sub_f32_e32 v99, v98, v103
	s_delay_alu instid0(VALU_DEP_2) | instskip(NEXT) | instid1(VALU_DEP_2)
	v_add_f32_e32 v13, v104, v13
	v_sub_f32_e32 v99, v100, v99
	s_delay_alu instid0(VALU_DEP_2) | instskip(NEXT) | instid1(VALU_DEP_1)
	v_mul_f32_e32 v13, v97, v13
	v_add_f32_e32 v13, v99, v13
	s_delay_alu instid0(VALU_DEP_1) | instskip(NEXT) | instid1(VALU_DEP_1)
	v_add_f32_e32 v97, v98, v13
	v_mul_f32_e32 v99, v97, v97
	s_delay_alu instid0(VALU_DEP_1) | instskip(SKIP_1) | instid1(VALU_DEP_2)
	v_fmaak_f32 v100, s83, v99, 0x3ecc95a3
	v_mul_f32_e32 v101, v97, v99
	v_fmaak_f32 v99, v99, v100, 0x3f2aaada
	v_ldexp_f32 v100, v97, 1
	v_sub_f32_e32 v97, v97, v98
	s_delay_alu instid0(VALU_DEP_3) | instskip(SKIP_1) | instid1(VALU_DEP_2)
	v_mul_f32_e32 v99, v101, v99
	v_mul_f32_e32 v101, 0x3f317218, v12
	v_dual_sub_f32 v13, v13, v97 :: v_dual_add_f32 v98, v100, v99
	s_delay_alu instid0(VALU_DEP_1) | instskip(NEXT) | instid1(VALU_DEP_2)
	v_ldexp_f32 v13, v13, 1
	v_sub_f32_e32 v97, v98, v100
	s_delay_alu instid0(VALU_DEP_4) | instskip(NEXT) | instid1(VALU_DEP_1)
	v_fma_f32 v100, 0x3f317218, v12, -v101
	v_dual_sub_f32 v97, v99, v97 :: v_dual_fmac_f32 v100, 0xb102e308, v12
	s_delay_alu instid0(VALU_DEP_1) | instskip(NEXT) | instid1(VALU_DEP_2)
	v_add_f32_e32 v12, v13, v97
	v_add_f32_e32 v13, v101, v100
	s_delay_alu instid0(VALU_DEP_2) | instskip(NEXT) | instid1(VALU_DEP_2)
	v_add_f32_e32 v97, v98, v12
	v_sub_f32_e32 v101, v13, v101
	s_delay_alu instid0(VALU_DEP_2) | instskip(SKIP_1) | instid1(VALU_DEP_3)
	v_add_f32_e32 v99, v13, v97
	v_sub_f32_e32 v98, v97, v98
	v_sub_f32_e32 v100, v100, v101
	s_delay_alu instid0(VALU_DEP_3) | instskip(NEXT) | instid1(VALU_DEP_3)
	v_sub_f32_e32 v102, v99, v13
	v_sub_f32_e32 v12, v12, v98
	s_delay_alu instid0(VALU_DEP_2) | instskip(NEXT) | instid1(VALU_DEP_2)
	v_sub_f32_e32 v103, v99, v102
	v_dual_sub_f32 v97, v97, v102 :: v_dual_add_f32 v98, v100, v12
	s_delay_alu instid0(VALU_DEP_2) | instskip(NEXT) | instid1(VALU_DEP_1)
	v_sub_f32_e32 v13, v13, v103
	v_add_f32_e32 v13, v97, v13
	s_delay_alu instid0(VALU_DEP_3) | instskip(NEXT) | instid1(VALU_DEP_2)
	v_sub_f32_e32 v97, v98, v100
	v_add_f32_e32 v13, v98, v13
	s_delay_alu instid0(VALU_DEP_2) | instskip(SKIP_1) | instid1(VALU_DEP_1)
	v_sub_f32_e32 v12, v12, v97
	v_sub_f32_e32 v98, v98, v97
	v_dual_add_f32 v101, v99, v13 :: v_dual_sub_f32 v98, v100, v98
	s_delay_alu instid0(VALU_DEP_1) | instskip(NEXT) | instid1(VALU_DEP_1)
	v_dual_sub_f32 v97, v101, v99 :: v_dual_add_f32 v12, v12, v98
	v_sub_f32_e32 v13, v13, v97
	s_delay_alu instid0(VALU_DEP_1) | instskip(NEXT) | instid1(VALU_DEP_1)
	v_add_f32_e32 v12, v12, v13
	v_add_f32_e32 v12, v101, v12
	s_delay_alu instid0(VALU_DEP_1)
	v_cndmask_b32_e32 v97, v12, v17, vcc_lo
.LBB112_82:                             ;   in Loop: Header=BB112_12 Depth=1
	s_or_b32 exec_lo, exec_lo, s29
	v_cvt_f32_f16_e32 v12, v14
	s_delay_alu instid0(VALU_DEP_1) | instskip(NEXT) | instid1(VALU_DEP_1)
	v_add_f32_e32 v98, s66, v12
	v_cmp_ge_f32_e32 vcc_lo, 0x41a00000, v98
	s_and_b32 s28, s79, vcc_lo
	s_delay_alu instid0(SALU_CYCLE_1)
	s_and_saveexec_b32 s29, s28
	s_cbranch_execz .LBB112_84
; %bb.83:                               ;   in Loop: Header=BB112_12 Depth=1
	v_mul_f32_e32 v12, 0x3fb8aa3b, v98
	v_cmp_ngt_f32_e32 vcc_lo, 0xc2ce8ed0, v98
	s_delay_alu instid0(VALU_DEP_2) | instskip(SKIP_1) | instid1(VALU_DEP_1)
	v_rndne_f32_e32 v13, v12
	v_fma_f32 v17, 0x3fb8aa3b, v98, -v12
	v_dual_sub_f32 v12, v12, v13 :: v_dual_fmac_f32 v17, 0x32a5705f, v98
	v_cvt_i32_f32_e32 v13, v13
	s_delay_alu instid0(VALU_DEP_2) | instskip(NEXT) | instid1(VALU_DEP_1)
	v_add_f32_e32 v12, v12, v17
	v_exp_f32_e32 v12, v12
	s_waitcnt_depctr 0xfff
	v_ldexp_f32 v12, v12, v13
	s_delay_alu instid0(VALU_DEP_1) | instskip(SKIP_1) | instid1(VALU_DEP_2)
	v_cndmask_b32_e32 v12, 0, v12, vcc_lo
	v_cmp_nlt_f32_e32 vcc_lo, 0x42b17218, v98
	v_cndmask_b32_e32 v17, 0x7f800000, v12, vcc_lo
	s_delay_alu instid0(VALU_DEP_1) | instskip(NEXT) | instid1(VALU_DEP_1)
	v_add_f32_e32 v98, 1.0, v17
	v_cvt_f64_f32_e32 v[12:13], v98
	s_delay_alu instid0(VALU_DEP_1) | instskip(SKIP_1) | instid1(VALU_DEP_1)
	v_frexp_exp_i32_f64_e32 v12, v[12:13]
	v_frexp_mant_f32_e32 v13, v98
	v_cmp_gt_f32_e32 vcc_lo, 0x3f2aaaab, v13
	v_add_f32_e32 v13, -1.0, v98
	s_delay_alu instid0(VALU_DEP_1) | instskip(SKIP_2) | instid1(VALU_DEP_3)
	v_sub_f32_e32 v100, v13, v98
	v_sub_f32_e32 v13, v17, v13
	v_cmp_gt_f32_e64 s28, 0x33800000, v17
	v_add_f32_e32 v100, 1.0, v100
	s_delay_alu instid0(VALU_DEP_1) | instskip(SKIP_2) | instid1(VALU_DEP_2)
	v_add_f32_e32 v13, v13, v100
	v_subrev_co_ci_u32_e32 v12, vcc_lo, 0, v12, vcc_lo
	v_cmp_eq_f32_e32 vcc_lo, 0x7f800000, v17
	v_sub_nc_u32_e32 v99, 0, v12
	v_cvt_f32_i32_e32 v12, v12
	s_or_b32 vcc_lo, s28, vcc_lo
	s_delay_alu instid0(VALU_DEP_2) | instskip(SKIP_1) | instid1(VALU_DEP_2)
	v_ldexp_f32 v98, v98, v99
	v_ldexp_f32 v13, v13, v99
	v_add_f32_e32 v99, -1.0, v98
	s_delay_alu instid0(VALU_DEP_1) | instskip(NEXT) | instid1(VALU_DEP_1)
	v_dual_add_f32 v101, 1.0, v98 :: v_dual_add_f32 v102, 1.0, v99
	v_add_f32_e32 v100, -1.0, v101
	s_delay_alu instid0(VALU_DEP_1) | instskip(NEXT) | instid1(VALU_DEP_3)
	v_sub_f32_e32 v100, v98, v100
	v_sub_f32_e32 v98, v98, v102
	s_delay_alu instid0(VALU_DEP_2) | instskip(NEXT) | instid1(VALU_DEP_2)
	v_add_f32_e32 v100, v13, v100
	v_add_f32_e32 v13, v13, v98
	s_delay_alu instid0(VALU_DEP_1) | instskip(NEXT) | instid1(VALU_DEP_1)
	v_dual_add_f32 v103, v99, v13 :: v_dual_add_f32 v102, v101, v100
	v_sub_f32_e32 v99, v99, v103
	s_delay_alu instid0(VALU_DEP_2) | instskip(SKIP_1) | instid1(VALU_DEP_1)
	v_rcp_f32_e32 v98, v102
	v_sub_f32_e32 v101, v101, v102
	v_dual_add_f32 v13, v13, v99 :: v_dual_add_f32 v100, v100, v101
	s_waitcnt_depctr 0xfff
	v_mul_f32_e32 v104, v103, v98
	s_delay_alu instid0(VALU_DEP_1) | instskip(NEXT) | instid1(VALU_DEP_1)
	v_mul_f32_e32 v105, v102, v104
	v_fma_f32 v101, v104, v102, -v105
	s_delay_alu instid0(VALU_DEP_1) | instskip(NEXT) | instid1(VALU_DEP_1)
	v_fmac_f32_e32 v101, v104, v100
	v_add_f32_e32 v106, v105, v101
	s_delay_alu instid0(VALU_DEP_1) | instskip(SKIP_1) | instid1(VALU_DEP_2)
	v_sub_f32_e32 v107, v103, v106
	v_sub_f32_e32 v99, v106, v105
	;; [unrolled: 1-line block ×3, first 2 shown]
	s_delay_alu instid0(VALU_DEP_2) | instskip(NEXT) | instid1(VALU_DEP_2)
	v_sub_f32_e32 v99, v99, v101
	v_sub_f32_e32 v103, v103, v106
	s_delay_alu instid0(VALU_DEP_1) | instskip(NEXT) | instid1(VALU_DEP_1)
	v_add_f32_e32 v13, v13, v103
	v_add_f32_e32 v13, v99, v13
	s_delay_alu instid0(VALU_DEP_1) | instskip(NEXT) | instid1(VALU_DEP_1)
	v_add_f32_e32 v99, v107, v13
	v_mul_f32_e32 v101, v98, v99
	s_delay_alu instid0(VALU_DEP_1) | instskip(NEXT) | instid1(VALU_DEP_1)
	v_dual_sub_f32 v106, v107, v99 :: v_dual_mul_f32 v103, v102, v101
	v_add_f32_e32 v13, v13, v106
	s_delay_alu instid0(VALU_DEP_2) | instskip(NEXT) | instid1(VALU_DEP_1)
	v_fma_f32 v102, v101, v102, -v103
	v_fmac_f32_e32 v102, v101, v100
	s_delay_alu instid0(VALU_DEP_1) | instskip(NEXT) | instid1(VALU_DEP_1)
	v_add_f32_e32 v100, v103, v102
	v_sub_f32_e32 v105, v99, v100
	s_delay_alu instid0(VALU_DEP_1) | instskip(NEXT) | instid1(VALU_DEP_1)
	v_sub_f32_e32 v99, v99, v105
	v_sub_f32_e32 v99, v99, v100
	s_delay_alu instid0(VALU_DEP_1) | instskip(SKIP_2) | instid1(VALU_DEP_1)
	v_add_f32_e32 v13, v13, v99
	v_add_f32_e32 v99, v104, v101
	v_sub_f32_e32 v103, v100, v103
	v_sub_f32_e32 v100, v103, v102
	s_delay_alu instid0(VALU_DEP_1) | instskip(NEXT) | instid1(VALU_DEP_1)
	v_dual_add_f32 v13, v100, v13 :: v_dual_sub_f32 v100, v99, v104
	v_add_f32_e32 v13, v105, v13
	s_delay_alu instid0(VALU_DEP_1) | instskip(NEXT) | instid1(VALU_DEP_1)
	v_dual_sub_f32 v100, v101, v100 :: v_dual_mul_f32 v13, v98, v13
	v_add_f32_e32 v13, v100, v13
	s_delay_alu instid0(VALU_DEP_1) | instskip(NEXT) | instid1(VALU_DEP_1)
	v_add_f32_e32 v98, v99, v13
	v_mul_f32_e32 v100, v98, v98
	s_delay_alu instid0(VALU_DEP_1) | instskip(SKIP_1) | instid1(VALU_DEP_2)
	v_fmaak_f32 v101, s83, v100, 0x3ecc95a3
	v_mul_f32_e32 v102, v98, v100
	v_fmaak_f32 v100, v100, v101, 0x3f2aaada
	v_ldexp_f32 v101, v98, 1
	v_sub_f32_e32 v98, v98, v99
	s_delay_alu instid0(VALU_DEP_3) | instskip(NEXT) | instid1(VALU_DEP_2)
	v_mul_f32_e32 v100, v102, v100
	v_dual_mul_f32 v102, 0x3f317218, v12 :: v_dual_sub_f32 v13, v13, v98
	s_delay_alu instid0(VALU_DEP_2) | instskip(NEXT) | instid1(VALU_DEP_2)
	v_add_f32_e32 v99, v101, v100
	v_ldexp_f32 v13, v13, 1
	s_delay_alu instid0(VALU_DEP_2) | instskip(NEXT) | instid1(VALU_DEP_4)
	v_sub_f32_e32 v98, v99, v101
	v_fma_f32 v101, 0x3f317218, v12, -v102
	s_delay_alu instid0(VALU_DEP_1) | instskip(NEXT) | instid1(VALU_DEP_1)
	v_dual_sub_f32 v98, v100, v98 :: v_dual_fmac_f32 v101, 0xb102e308, v12
	v_add_f32_e32 v12, v13, v98
	s_delay_alu instid0(VALU_DEP_1) | instskip(NEXT) | instid1(VALU_DEP_1)
	v_add_f32_e32 v98, v99, v12
	v_sub_f32_e32 v99, v98, v99
	s_delay_alu instid0(VALU_DEP_1) | instskip(NEXT) | instid1(VALU_DEP_1)
	v_dual_sub_f32 v12, v12, v99 :: v_dual_add_f32 v13, v102, v101
	v_add_f32_e32 v100, v13, v98
	s_delay_alu instid0(VALU_DEP_1) | instskip(NEXT) | instid1(VALU_DEP_1)
	v_dual_sub_f32 v102, v13, v102 :: v_dual_sub_f32 v103, v100, v13
	v_dual_sub_f32 v101, v101, v102 :: v_dual_sub_f32 v104, v100, v103
	s_delay_alu instid0(VALU_DEP_1) | instskip(NEXT) | instid1(VALU_DEP_2)
	v_dual_sub_f32 v98, v98, v103 :: v_dual_add_f32 v99, v101, v12
	v_sub_f32_e32 v13, v13, v104
	s_delay_alu instid0(VALU_DEP_1) | instskip(NEXT) | instid1(VALU_DEP_3)
	v_add_f32_e32 v13, v98, v13
	v_sub_f32_e32 v98, v99, v101
	s_delay_alu instid0(VALU_DEP_2) | instskip(NEXT) | instid1(VALU_DEP_2)
	v_add_f32_e32 v13, v99, v13
	v_sub_f32_e32 v99, v99, v98
	v_sub_f32_e32 v12, v12, v98
	s_delay_alu instid0(VALU_DEP_2) | instskip(NEXT) | instid1(VALU_DEP_1)
	v_dual_add_f32 v102, v100, v13 :: v_dual_sub_f32 v99, v101, v99
	v_sub_f32_e32 v98, v102, v100
	s_delay_alu instid0(VALU_DEP_1) | instskip(NEXT) | instid1(VALU_DEP_1)
	v_dual_add_f32 v12, v12, v99 :: v_dual_sub_f32 v13, v13, v98
	v_add_f32_e32 v12, v12, v13
	s_delay_alu instid0(VALU_DEP_1) | instskip(NEXT) | instid1(VALU_DEP_1)
	v_add_f32_e32 v12, v102, v12
	v_cndmask_b32_e32 v98, v12, v17, vcc_lo
.LBB112_84:                             ;   in Loop: Header=BB112_12 Depth=1
	s_or_b32 exec_lo, exec_lo, s29
	v_lshrrev_b32_e32 v12, 16, v14
	s_delay_alu instid0(VALU_DEP_1) | instskip(NEXT) | instid1(VALU_DEP_1)
	v_cvt_f32_f16_e32 v12, v12
	v_add_f32_e32 v99, s66, v12
	s_delay_alu instid0(VALU_DEP_1) | instskip(SKIP_1) | instid1(SALU_CYCLE_1)
	v_cmp_ge_f32_e32 vcc_lo, 0x41a00000, v99
	s_and_b32 s28, s79, vcc_lo
	s_and_saveexec_b32 s29, s28
	s_cbranch_execz .LBB112_86
; %bb.85:                               ;   in Loop: Header=BB112_12 Depth=1
	v_mul_f32_e32 v12, 0x3fb8aa3b, v99
	v_cmp_ngt_f32_e32 vcc_lo, 0xc2ce8ed0, v99
	s_delay_alu instid0(VALU_DEP_2) | instskip(SKIP_1) | instid1(VALU_DEP_2)
	v_rndne_f32_e32 v13, v12
	v_fma_f32 v14, 0x3fb8aa3b, v99, -v12
	v_sub_f32_e32 v12, v12, v13
	s_delay_alu instid0(VALU_DEP_2) | instskip(SKIP_1) | instid1(VALU_DEP_2)
	v_fmac_f32_e32 v14, 0x32a5705f, v99
	v_cvt_i32_f32_e32 v13, v13
	v_add_f32_e32 v12, v12, v14
	s_delay_alu instid0(VALU_DEP_1) | instskip(SKIP_2) | instid1(VALU_DEP_1)
	v_exp_f32_e32 v12, v12
	s_waitcnt_depctr 0xfff
	v_ldexp_f32 v12, v12, v13
	v_cndmask_b32_e32 v12, 0, v12, vcc_lo
	v_cmp_nlt_f32_e32 vcc_lo, 0x42b17218, v99
	s_delay_alu instid0(VALU_DEP_2) | instskip(NEXT) | instid1(VALU_DEP_1)
	v_cndmask_b32_e32 v14, 0x7f800000, v12, vcc_lo
	v_add_f32_e32 v17, 1.0, v14
	s_delay_alu instid0(VALU_DEP_1) | instskip(NEXT) | instid1(VALU_DEP_1)
	v_cvt_f64_f32_e32 v[12:13], v17
	v_frexp_exp_i32_f64_e32 v12, v[12:13]
	v_frexp_mant_f32_e32 v13, v17
	s_delay_alu instid0(VALU_DEP_1) | instskip(SKIP_1) | instid1(VALU_DEP_1)
	v_cmp_gt_f32_e32 vcc_lo, 0x3f2aaaab, v13
	v_add_f32_e32 v13, -1.0, v17
	v_sub_f32_e32 v100, v13, v17
	v_sub_f32_e32 v13, v14, v13
	v_subrev_co_ci_u32_e32 v12, vcc_lo, 0, v12, vcc_lo
	s_delay_alu instid0(VALU_DEP_1) | instskip(SKIP_1) | instid1(VALU_DEP_2)
	v_sub_nc_u32_e32 v99, 0, v12
	v_cvt_f32_i32_e32 v12, v12
	v_ldexp_f32 v17, v17, v99
	s_delay_alu instid0(VALU_DEP_1) | instskip(NEXT) | instid1(VALU_DEP_1)
	v_dual_add_f32 v100, 1.0, v100 :: v_dual_add_f32 v101, 1.0, v17
	v_dual_add_f32 v13, v13, v100 :: v_dual_add_f32 v100, -1.0, v101
	s_delay_alu instid0(VALU_DEP_1) | instskip(SKIP_4) | instid1(VALU_DEP_4)
	v_ldexp_f32 v13, v13, v99
	v_add_f32_e32 v99, -1.0, v17
	v_cmp_eq_f32_e32 vcc_lo, 0x7f800000, v14
	v_cmp_gt_f32_e64 s28, 0x33800000, v14
	v_sub_f32_e32 v100, v17, v100
	v_add_f32_e32 v102, 1.0, v99
	s_delay_alu instid0(VALU_DEP_3) | instskip(NEXT) | instid1(VALU_DEP_2)
	s_or_b32 vcc_lo, s28, vcc_lo
	v_add_f32_e32 v100, v13, v100
	s_delay_alu instid0(VALU_DEP_2) | instskip(NEXT) | instid1(VALU_DEP_1)
	v_sub_f32_e32 v17, v17, v102
	v_add_f32_e32 v13, v13, v17
	s_delay_alu instid0(VALU_DEP_1) | instskip(NEXT) | instid1(VALU_DEP_1)
	v_dual_add_f32 v103, v99, v13 :: v_dual_add_f32 v102, v101, v100
	v_sub_f32_e32 v99, v99, v103
	s_delay_alu instid0(VALU_DEP_2) | instskip(SKIP_1) | instid1(VALU_DEP_1)
	v_rcp_f32_e32 v17, v102
	v_sub_f32_e32 v101, v101, v102
	v_dual_add_f32 v13, v13, v99 :: v_dual_add_f32 v100, v100, v101
	s_waitcnt_depctr 0xfff
	v_mul_f32_e32 v104, v103, v17
	s_delay_alu instid0(VALU_DEP_1) | instskip(NEXT) | instid1(VALU_DEP_1)
	v_mul_f32_e32 v105, v102, v104
	v_fma_f32 v101, v104, v102, -v105
	s_delay_alu instid0(VALU_DEP_1) | instskip(NEXT) | instid1(VALU_DEP_1)
	v_fmac_f32_e32 v101, v104, v100
	v_add_f32_e32 v106, v105, v101
	s_delay_alu instid0(VALU_DEP_1) | instskip(NEXT) | instid1(VALU_DEP_1)
	v_sub_f32_e32 v107, v103, v106
	v_sub_f32_e32 v103, v103, v107
	;; [unrolled: 1-line block ×3, first 2 shown]
	s_delay_alu instid0(VALU_DEP_2) | instskip(NEXT) | instid1(VALU_DEP_2)
	v_sub_f32_e32 v103, v103, v106
	v_sub_f32_e32 v99, v99, v101
	s_delay_alu instid0(VALU_DEP_2) | instskip(NEXT) | instid1(VALU_DEP_1)
	v_add_f32_e32 v13, v13, v103
	v_add_f32_e32 v13, v99, v13
	s_delay_alu instid0(VALU_DEP_1) | instskip(NEXT) | instid1(VALU_DEP_1)
	v_add_f32_e32 v99, v107, v13
	v_mul_f32_e32 v101, v17, v99
	s_delay_alu instid0(VALU_DEP_1) | instskip(NEXT) | instid1(VALU_DEP_1)
	v_dual_sub_f32 v106, v107, v99 :: v_dual_mul_f32 v103, v102, v101
	v_add_f32_e32 v13, v13, v106
	s_delay_alu instid0(VALU_DEP_2) | instskip(NEXT) | instid1(VALU_DEP_1)
	v_fma_f32 v102, v101, v102, -v103
	v_fmac_f32_e32 v102, v101, v100
	s_delay_alu instid0(VALU_DEP_1) | instskip(NEXT) | instid1(VALU_DEP_1)
	v_add_f32_e32 v100, v103, v102
	v_sub_f32_e32 v105, v99, v100
	v_sub_f32_e32 v103, v100, v103
	s_delay_alu instid0(VALU_DEP_2) | instskip(NEXT) | instid1(VALU_DEP_1)
	v_sub_f32_e32 v99, v99, v105
	v_sub_f32_e32 v99, v99, v100
	s_delay_alu instid0(VALU_DEP_1) | instskip(SKIP_1) | instid1(VALU_DEP_1)
	v_dual_sub_f32 v100, v103, v102 :: v_dual_add_f32 v13, v13, v99
	v_add_f32_e32 v99, v104, v101
	v_dual_add_f32 v13, v100, v13 :: v_dual_sub_f32 v100, v99, v104
	s_delay_alu instid0(VALU_DEP_1) | instskip(NEXT) | instid1(VALU_DEP_2)
	v_add_f32_e32 v13, v105, v13
	v_sub_f32_e32 v100, v101, v100
	s_delay_alu instid0(VALU_DEP_2) | instskip(NEXT) | instid1(VALU_DEP_1)
	v_mul_f32_e32 v13, v17, v13
	v_add_f32_e32 v13, v100, v13
	s_delay_alu instid0(VALU_DEP_1) | instskip(NEXT) | instid1(VALU_DEP_1)
	v_add_f32_e32 v17, v99, v13
	v_mul_f32_e32 v100, v17, v17
	s_delay_alu instid0(VALU_DEP_1) | instskip(SKIP_1) | instid1(VALU_DEP_2)
	v_fmaak_f32 v101, s83, v100, 0x3ecc95a3
	v_mul_f32_e32 v102, v17, v100
	v_fmaak_f32 v100, v100, v101, 0x3f2aaada
	v_ldexp_f32 v101, v17, 1
	s_delay_alu instid0(VALU_DEP_2) | instskip(NEXT) | instid1(VALU_DEP_1)
	v_dual_sub_f32 v17, v17, v99 :: v_dual_mul_f32 v100, v102, v100
	v_dual_mul_f32 v102, 0x3f317218, v12 :: v_dual_sub_f32 v13, v13, v17
	s_delay_alu instid0(VALU_DEP_2) | instskip(NEXT) | instid1(VALU_DEP_2)
	v_add_f32_e32 v99, v101, v100
	v_ldexp_f32 v13, v13, 1
	s_delay_alu instid0(VALU_DEP_2) | instskip(NEXT) | instid1(VALU_DEP_4)
	v_sub_f32_e32 v17, v99, v101
	v_fma_f32 v101, 0x3f317218, v12, -v102
	s_delay_alu instid0(VALU_DEP_2) | instskip(NEXT) | instid1(VALU_DEP_1)
	v_sub_f32_e32 v17, v100, v17
	v_dual_fmac_f32 v101, 0xb102e308, v12 :: v_dual_add_f32 v12, v13, v17
	s_delay_alu instid0(VALU_DEP_1) | instskip(NEXT) | instid1(VALU_DEP_1)
	v_add_f32_e32 v13, v102, v101
	v_dual_add_f32 v17, v99, v12 :: v_dual_sub_f32 v102, v13, v102
	s_delay_alu instid0(VALU_DEP_1) | instskip(SKIP_1) | instid1(VALU_DEP_3)
	v_add_f32_e32 v100, v13, v17
	v_sub_f32_e32 v99, v17, v99
	v_sub_f32_e32 v101, v101, v102
	s_delay_alu instid0(VALU_DEP_3) | instskip(NEXT) | instid1(VALU_DEP_3)
	v_sub_f32_e32 v103, v100, v13
	v_sub_f32_e32 v12, v12, v99
	s_delay_alu instid0(VALU_DEP_2) | instskip(SKIP_1) | instid1(VALU_DEP_3)
	v_sub_f32_e32 v104, v100, v103
	v_sub_f32_e32 v17, v17, v103
	v_add_f32_e32 v99, v101, v12
	s_delay_alu instid0(VALU_DEP_3) | instskip(NEXT) | instid1(VALU_DEP_1)
	v_sub_f32_e32 v13, v13, v104
	v_add_f32_e32 v13, v17, v13
	s_delay_alu instid0(VALU_DEP_3) | instskip(NEXT) | instid1(VALU_DEP_2)
	v_sub_f32_e32 v17, v99, v101
	v_add_f32_e32 v13, v99, v13
	s_delay_alu instid0(VALU_DEP_2) | instskip(SKIP_1) | instid1(VALU_DEP_2)
	v_sub_f32_e32 v99, v99, v17
	v_sub_f32_e32 v12, v12, v17
	v_dual_add_f32 v102, v100, v13 :: v_dual_sub_f32 v99, v101, v99
	s_delay_alu instid0(VALU_DEP_1) | instskip(NEXT) | instid1(VALU_DEP_1)
	v_dual_sub_f32 v17, v102, v100 :: v_dual_add_f32 v12, v12, v99
	v_sub_f32_e32 v13, v13, v17
	s_delay_alu instid0(VALU_DEP_1) | instskip(NEXT) | instid1(VALU_DEP_1)
	v_add_f32_e32 v12, v12, v13
	v_add_f32_e32 v12, v102, v12
	s_delay_alu instid0(VALU_DEP_1)
	v_cndmask_b32_e32 v99, v12, v14, vcc_lo
.LBB112_86:                             ;   in Loop: Header=BB112_12 Depth=1
	s_or_b32 exec_lo, exec_lo, s29
	v_cvt_f32_f16_e32 v12, v15
	s_delay_alu instid0(VALU_DEP_1) | instskip(NEXT) | instid1(VALU_DEP_1)
	v_add_f32_e32 v100, s66, v12
	v_cmp_ge_f32_e32 vcc_lo, 0x41a00000, v100
	s_and_b32 s28, s79, vcc_lo
	s_delay_alu instid0(SALU_CYCLE_1)
	s_and_saveexec_b32 s29, s28
	s_cbranch_execz .LBB112_88
; %bb.87:                               ;   in Loop: Header=BB112_12 Depth=1
	v_mul_f32_e32 v12, 0x3fb8aa3b, v100
	v_cmp_ngt_f32_e32 vcc_lo, 0xc2ce8ed0, v100
	s_delay_alu instid0(VALU_DEP_2) | instskip(SKIP_1) | instid1(VALU_DEP_2)
	v_rndne_f32_e32 v13, v12
	v_fma_f32 v14, 0x3fb8aa3b, v100, -v12
	v_sub_f32_e32 v12, v12, v13
	s_delay_alu instid0(VALU_DEP_2) | instskip(SKIP_1) | instid1(VALU_DEP_2)
	v_fmac_f32_e32 v14, 0x32a5705f, v100
	v_cvt_i32_f32_e32 v13, v13
	v_add_f32_e32 v12, v12, v14
	s_delay_alu instid0(VALU_DEP_1) | instskip(SKIP_2) | instid1(VALU_DEP_1)
	v_exp_f32_e32 v12, v12
	s_waitcnt_depctr 0xfff
	v_ldexp_f32 v12, v12, v13
	v_cndmask_b32_e32 v12, 0, v12, vcc_lo
	v_cmp_nlt_f32_e32 vcc_lo, 0x42b17218, v100
	s_delay_alu instid0(VALU_DEP_2) | instskip(NEXT) | instid1(VALU_DEP_1)
	v_cndmask_b32_e32 v14, 0x7f800000, v12, vcc_lo
	v_add_f32_e32 v17, 1.0, v14
	s_delay_alu instid0(VALU_DEP_1) | instskip(NEXT) | instid1(VALU_DEP_1)
	v_cvt_f64_f32_e32 v[12:13], v17
	v_frexp_exp_i32_f64_e32 v12, v[12:13]
	v_frexp_mant_f32_e32 v13, v17
	s_delay_alu instid0(VALU_DEP_1) | instskip(SKIP_1) | instid1(VALU_DEP_1)
	v_cmp_gt_f32_e32 vcc_lo, 0x3f2aaaab, v13
	v_add_f32_e32 v13, -1.0, v17
	v_sub_f32_e32 v101, v13, v17
	s_delay_alu instid0(VALU_DEP_1) | instskip(SKIP_2) | instid1(VALU_DEP_2)
	v_add_f32_e32 v101, 1.0, v101
	v_sub_f32_e32 v13, v14, v13
	v_cmp_gt_f32_e64 s28, 0x33800000, v14
	v_add_f32_e32 v13, v13, v101
	v_subrev_co_ci_u32_e32 v12, vcc_lo, 0, v12, vcc_lo
	v_cmp_eq_f32_e32 vcc_lo, 0x7f800000, v14
	s_delay_alu instid0(VALU_DEP_2) | instskip(SKIP_2) | instid1(VALU_DEP_2)
	v_sub_nc_u32_e32 v100, 0, v12
	v_cvt_f32_i32_e32 v12, v12
	s_or_b32 vcc_lo, s28, vcc_lo
	v_ldexp_f32 v17, v17, v100
	v_ldexp_f32 v13, v13, v100
	s_delay_alu instid0(VALU_DEP_2) | instskip(NEXT) | instid1(VALU_DEP_1)
	v_add_f32_e32 v100, -1.0, v17
	v_dual_add_f32 v102, 1.0, v17 :: v_dual_add_f32 v103, 1.0, v100
	s_delay_alu instid0(VALU_DEP_1) | instskip(NEXT) | instid1(VALU_DEP_1)
	v_add_f32_e32 v101, -1.0, v102
	v_sub_f32_e32 v101, v17, v101
	s_delay_alu instid0(VALU_DEP_3) | instskip(NEXT) | instid1(VALU_DEP_2)
	v_sub_f32_e32 v17, v17, v103
	v_add_f32_e32 v101, v13, v101
	s_delay_alu instid0(VALU_DEP_2) | instskip(NEXT) | instid1(VALU_DEP_1)
	v_add_f32_e32 v13, v13, v17
	v_add_f32_e32 v104, v100, v13
	s_delay_alu instid0(VALU_DEP_1) | instskip(NEXT) | instid1(VALU_DEP_1)
	v_dual_sub_f32 v100, v100, v104 :: v_dual_add_f32 v103, v102, v101
	v_add_f32_e32 v13, v13, v100
	s_delay_alu instid0(VALU_DEP_2) | instskip(SKIP_1) | instid1(VALU_DEP_1)
	v_rcp_f32_e32 v17, v103
	v_sub_f32_e32 v102, v102, v103
	v_add_f32_e32 v101, v101, v102
	s_waitcnt_depctr 0xfff
	v_mul_f32_e32 v105, v104, v17
	s_delay_alu instid0(VALU_DEP_1) | instskip(NEXT) | instid1(VALU_DEP_1)
	v_mul_f32_e32 v106, v103, v105
	v_fma_f32 v102, v105, v103, -v106
	s_delay_alu instid0(VALU_DEP_1) | instskip(NEXT) | instid1(VALU_DEP_1)
	v_fmac_f32_e32 v102, v105, v101
	v_add_f32_e32 v107, v106, v102
	s_delay_alu instid0(VALU_DEP_1) | instskip(SKIP_1) | instid1(VALU_DEP_2)
	v_sub_f32_e32 v108, v104, v107
	v_sub_f32_e32 v100, v107, v106
	;; [unrolled: 1-line block ×3, first 2 shown]
	s_delay_alu instid0(VALU_DEP_1) | instskip(NEXT) | instid1(VALU_DEP_1)
	v_sub_f32_e32 v104, v104, v107
	v_dual_sub_f32 v100, v100, v102 :: v_dual_add_f32 v13, v13, v104
	s_delay_alu instid0(VALU_DEP_1) | instskip(NEXT) | instid1(VALU_DEP_1)
	v_add_f32_e32 v13, v100, v13
	v_add_f32_e32 v100, v108, v13
	s_delay_alu instid0(VALU_DEP_1) | instskip(NEXT) | instid1(VALU_DEP_1)
	v_mul_f32_e32 v102, v17, v100
	v_dual_sub_f32 v107, v108, v100 :: v_dual_mul_f32 v104, v103, v102
	s_delay_alu instid0(VALU_DEP_1) | instskip(NEXT) | instid1(VALU_DEP_2)
	v_add_f32_e32 v13, v13, v107
	v_fma_f32 v103, v102, v103, -v104
	s_delay_alu instid0(VALU_DEP_1) | instskip(NEXT) | instid1(VALU_DEP_1)
	v_fmac_f32_e32 v103, v102, v101
	v_add_f32_e32 v101, v104, v103
	s_delay_alu instid0(VALU_DEP_1) | instskip(NEXT) | instid1(VALU_DEP_1)
	v_sub_f32_e32 v106, v100, v101
	v_sub_f32_e32 v100, v100, v106
	s_delay_alu instid0(VALU_DEP_1) | instskip(NEXT) | instid1(VALU_DEP_1)
	v_sub_f32_e32 v100, v100, v101
	v_add_f32_e32 v13, v13, v100
	v_add_f32_e32 v100, v105, v102
	v_sub_f32_e32 v104, v101, v104
	s_delay_alu instid0(VALU_DEP_1) | instskip(NEXT) | instid1(VALU_DEP_1)
	v_sub_f32_e32 v101, v104, v103
	v_add_f32_e32 v13, v101, v13
	s_delay_alu instid0(VALU_DEP_4) | instskip(NEXT) | instid1(VALU_DEP_2)
	v_sub_f32_e32 v101, v100, v105
	v_add_f32_e32 v13, v106, v13
	s_delay_alu instid0(VALU_DEP_2) | instskip(NEXT) | instid1(VALU_DEP_2)
	v_sub_f32_e32 v101, v102, v101
	v_mul_f32_e32 v13, v17, v13
	s_delay_alu instid0(VALU_DEP_1) | instskip(NEXT) | instid1(VALU_DEP_1)
	v_add_f32_e32 v13, v101, v13
	v_add_f32_e32 v17, v100, v13
	s_delay_alu instid0(VALU_DEP_1) | instskip(NEXT) | instid1(VALU_DEP_1)
	v_mul_f32_e32 v101, v17, v17
	v_fmaak_f32 v102, s83, v101, 0x3ecc95a3
	v_mul_f32_e32 v103, v17, v101
	s_delay_alu instid0(VALU_DEP_2) | instskip(SKIP_1) | instid1(VALU_DEP_2)
	v_fmaak_f32 v101, v101, v102, 0x3f2aaada
	v_ldexp_f32 v102, v17, 1
	v_mul_f32_e32 v101, v103, v101
	s_delay_alu instid0(VALU_DEP_1) | instskip(NEXT) | instid1(VALU_DEP_1)
	v_dual_sub_f32 v17, v17, v100 :: v_dual_add_f32 v100, v102, v101
	v_sub_f32_e32 v13, v13, v17
	s_delay_alu instid0(VALU_DEP_2) | instskip(NEXT) | instid1(VALU_DEP_2)
	v_sub_f32_e32 v17, v100, v102
	v_ldexp_f32 v13, v13, 1
	s_delay_alu instid0(VALU_DEP_2) | instskip(SKIP_1) | instid1(VALU_DEP_1)
	v_sub_f32_e32 v17, v101, v17
	v_mul_f32_e32 v103, 0x3f317218, v12
	v_fma_f32 v102, 0x3f317218, v12, -v103
	s_delay_alu instid0(VALU_DEP_1) | instskip(NEXT) | instid1(VALU_DEP_1)
	v_fmac_f32_e32 v102, 0xb102e308, v12
	v_dual_add_f32 v12, v13, v17 :: v_dual_add_f32 v13, v103, v102
	s_delay_alu instid0(VALU_DEP_1) | instskip(NEXT) | instid1(VALU_DEP_1)
	v_add_f32_e32 v17, v100, v12
	v_add_f32_e32 v101, v13, v17
	v_sub_f32_e32 v100, v17, v100
	s_delay_alu instid0(VALU_DEP_2) | instskip(NEXT) | instid1(VALU_DEP_2)
	v_sub_f32_e32 v104, v101, v13
	v_dual_sub_f32 v12, v12, v100 :: v_dual_sub_f32 v103, v13, v103
	s_delay_alu instid0(VALU_DEP_2) | instskip(NEXT) | instid1(VALU_DEP_2)
	v_sub_f32_e32 v105, v101, v104
	v_dual_sub_f32 v17, v17, v104 :: v_dual_sub_f32 v102, v102, v103
	s_delay_alu instid0(VALU_DEP_1) | instskip(NEXT) | instid1(VALU_DEP_1)
	v_dual_sub_f32 v13, v13, v105 :: v_dual_add_f32 v100, v102, v12
	v_add_f32_e32 v13, v17, v13
	s_delay_alu instid0(VALU_DEP_2) | instskip(NEXT) | instid1(VALU_DEP_2)
	v_sub_f32_e32 v17, v100, v102
	v_add_f32_e32 v13, v100, v13
	s_delay_alu instid0(VALU_DEP_2) | instskip(SKIP_1) | instid1(VALU_DEP_2)
	v_sub_f32_e32 v100, v100, v17
	v_sub_f32_e32 v12, v12, v17
	v_dual_add_f32 v103, v101, v13 :: v_dual_sub_f32 v100, v102, v100
	s_delay_alu instid0(VALU_DEP_1) | instskip(NEXT) | instid1(VALU_DEP_1)
	v_dual_sub_f32 v17, v103, v101 :: v_dual_add_f32 v12, v12, v100
	v_sub_f32_e32 v13, v13, v17
	s_delay_alu instid0(VALU_DEP_1) | instskip(NEXT) | instid1(VALU_DEP_1)
	v_add_f32_e32 v12, v12, v13
	v_add_f32_e32 v12, v103, v12
	s_delay_alu instid0(VALU_DEP_1)
	v_cndmask_b32_e32 v100, v12, v14, vcc_lo
.LBB112_88:                             ;   in Loop: Header=BB112_12 Depth=1
	s_or_b32 exec_lo, exec_lo, s29
	v_lshrrev_b32_e32 v12, 16, v15
	s_delay_alu instid0(VALU_DEP_1) | instskip(NEXT) | instid1(VALU_DEP_1)
	v_cvt_f32_f16_e32 v12, v12
	v_add_f32_e32 v101, s66, v12
	s_delay_alu instid0(VALU_DEP_1) | instskip(SKIP_1) | instid1(SALU_CYCLE_1)
	v_cmp_ge_f32_e32 vcc_lo, 0x41a00000, v101
	s_and_b32 s28, s79, vcc_lo
	s_and_saveexec_b32 s29, s28
	s_cbranch_execz .LBB112_90
; %bb.89:                               ;   in Loop: Header=BB112_12 Depth=1
	v_mul_f32_e32 v12, 0x3fb8aa3b, v101
	v_cmp_ngt_f32_e32 vcc_lo, 0xc2ce8ed0, v101
	s_delay_alu instid0(VALU_DEP_2) | instskip(SKIP_1) | instid1(VALU_DEP_2)
	v_rndne_f32_e32 v13, v12
	v_fma_f32 v14, 0x3fb8aa3b, v101, -v12
	v_sub_f32_e32 v12, v12, v13
	s_delay_alu instid0(VALU_DEP_2) | instskip(SKIP_1) | instid1(VALU_DEP_2)
	v_fmac_f32_e32 v14, 0x32a5705f, v101
	v_cvt_i32_f32_e32 v13, v13
	v_add_f32_e32 v12, v12, v14
	s_delay_alu instid0(VALU_DEP_1) | instskip(SKIP_2) | instid1(VALU_DEP_1)
	v_exp_f32_e32 v12, v12
	s_waitcnt_depctr 0xfff
	v_ldexp_f32 v12, v12, v13
	v_cndmask_b32_e32 v12, 0, v12, vcc_lo
	v_cmp_nlt_f32_e32 vcc_lo, 0x42b17218, v101
	s_delay_alu instid0(VALU_DEP_2) | instskip(NEXT) | instid1(VALU_DEP_1)
	v_cndmask_b32_e32 v14, 0x7f800000, v12, vcc_lo
	v_add_f32_e32 v15, 1.0, v14
	s_delay_alu instid0(VALU_DEP_1) | instskip(NEXT) | instid1(VALU_DEP_1)
	v_cvt_f64_f32_e32 v[12:13], v15
	v_frexp_exp_i32_f64_e32 v12, v[12:13]
	v_frexp_mant_f32_e32 v13, v15
	s_delay_alu instid0(VALU_DEP_1) | instskip(SKIP_1) | instid1(VALU_DEP_1)
	v_cmp_gt_f32_e32 vcc_lo, 0x3f2aaaab, v13
	v_add_f32_e32 v13, -1.0, v15
	v_sub_f32_e32 v101, v13, v15
	v_sub_f32_e32 v13, v14, v13
	s_delay_alu instid0(VALU_DEP_2) | instskip(NEXT) | instid1(VALU_DEP_1)
	v_add_f32_e32 v101, 1.0, v101
	v_add_f32_e32 v13, v13, v101
	v_cmp_gt_f32_e64 s28, 0x33800000, v14
	v_subrev_co_ci_u32_e32 v12, vcc_lo, 0, v12, vcc_lo
	v_cmp_eq_f32_e32 vcc_lo, 0x7f800000, v14
	s_delay_alu instid0(VALU_DEP_2) | instskip(SKIP_2) | instid1(VALU_DEP_2)
	v_sub_nc_u32_e32 v17, 0, v12
	v_cvt_f32_i32_e32 v12, v12
	s_or_b32 vcc_lo, s28, vcc_lo
	v_ldexp_f32 v15, v15, v17
	v_ldexp_f32 v13, v13, v17
	s_delay_alu instid0(VALU_DEP_2) | instskip(SKIP_1) | instid1(VALU_DEP_2)
	v_add_f32_e32 v102, 1.0, v15
	v_add_f32_e32 v17, -1.0, v15
	v_add_f32_e32 v101, -1.0, v102
	s_delay_alu instid0(VALU_DEP_2) | instskip(NEXT) | instid1(VALU_DEP_2)
	v_add_f32_e32 v103, 1.0, v17
	v_sub_f32_e32 v101, v15, v101
	s_delay_alu instid0(VALU_DEP_2) | instskip(NEXT) | instid1(VALU_DEP_2)
	v_sub_f32_e32 v15, v15, v103
	v_add_f32_e32 v101, v13, v101
	s_delay_alu instid0(VALU_DEP_2) | instskip(NEXT) | instid1(VALU_DEP_1)
	v_add_f32_e32 v13, v13, v15
	v_add_f32_e32 v104, v17, v13
	s_delay_alu instid0(VALU_DEP_3) | instskip(NEXT) | instid1(VALU_DEP_1)
	v_add_f32_e32 v103, v102, v101
	v_rcp_f32_e32 v15, v103
	v_sub_f32_e32 v102, v102, v103
	s_delay_alu instid0(VALU_DEP_1) | instskip(SKIP_2) | instid1(VALU_DEP_1)
	v_add_f32_e32 v101, v101, v102
	s_waitcnt_depctr 0xfff
	v_mul_f32_e32 v105, v104, v15
	v_dual_mul_f32 v106, v103, v105 :: v_dual_sub_f32 v17, v17, v104
	s_delay_alu instid0(VALU_DEP_1) | instskip(NEXT) | instid1(VALU_DEP_2)
	v_fma_f32 v102, v105, v103, -v106
	v_add_f32_e32 v13, v13, v17
	s_delay_alu instid0(VALU_DEP_2) | instskip(NEXT) | instid1(VALU_DEP_1)
	v_fmac_f32_e32 v102, v105, v101
	v_add_f32_e32 v107, v106, v102
	s_delay_alu instid0(VALU_DEP_1) | instskip(NEXT) | instid1(VALU_DEP_1)
	v_dual_sub_f32 v108, v104, v107 :: v_dual_sub_f32 v17, v107, v106
	v_dual_sub_f32 v104, v104, v108 :: v_dual_sub_f32 v17, v17, v102
	s_delay_alu instid0(VALU_DEP_1) | instskip(NEXT) | instid1(VALU_DEP_1)
	v_sub_f32_e32 v104, v104, v107
	v_add_f32_e32 v13, v13, v104
	s_delay_alu instid0(VALU_DEP_1) | instskip(NEXT) | instid1(VALU_DEP_1)
	v_add_f32_e32 v13, v17, v13
	v_add_f32_e32 v17, v108, v13
	s_delay_alu instid0(VALU_DEP_1) | instskip(NEXT) | instid1(VALU_DEP_1)
	v_mul_f32_e32 v102, v15, v17
	v_dual_sub_f32 v107, v108, v17 :: v_dual_mul_f32 v104, v103, v102
	s_delay_alu instid0(VALU_DEP_1) | instskip(NEXT) | instid1(VALU_DEP_2)
	v_add_f32_e32 v13, v13, v107
	v_fma_f32 v103, v102, v103, -v104
	s_delay_alu instid0(VALU_DEP_1) | instskip(NEXT) | instid1(VALU_DEP_1)
	v_fmac_f32_e32 v103, v102, v101
	v_add_f32_e32 v101, v104, v103
	s_delay_alu instid0(VALU_DEP_1) | instskip(SKIP_1) | instid1(VALU_DEP_2)
	v_sub_f32_e32 v106, v17, v101
	v_sub_f32_e32 v104, v101, v104
	v_sub_f32_e32 v17, v17, v106
	s_delay_alu instid0(VALU_DEP_1) | instskip(NEXT) | instid1(VALU_DEP_3)
	v_sub_f32_e32 v17, v17, v101
	v_sub_f32_e32 v101, v104, v103
	s_delay_alu instid0(VALU_DEP_2) | instskip(SKIP_1) | instid1(VALU_DEP_2)
	v_add_f32_e32 v13, v13, v17
	v_add_f32_e32 v17, v105, v102
	;; [unrolled: 1-line block ×3, first 2 shown]
	s_delay_alu instid0(VALU_DEP_2) | instskip(NEXT) | instid1(VALU_DEP_2)
	v_sub_f32_e32 v101, v17, v105
	v_add_f32_e32 v13, v106, v13
	s_delay_alu instid0(VALU_DEP_2) | instskip(NEXT) | instid1(VALU_DEP_2)
	v_sub_f32_e32 v101, v102, v101
	v_mul_f32_e32 v13, v15, v13
	s_delay_alu instid0(VALU_DEP_1) | instskip(NEXT) | instid1(VALU_DEP_1)
	v_add_f32_e32 v13, v101, v13
	v_add_f32_e32 v15, v17, v13
	s_delay_alu instid0(VALU_DEP_1) | instskip(NEXT) | instid1(VALU_DEP_1)
	v_mul_f32_e32 v101, v15, v15
	v_fmaak_f32 v102, s83, v101, 0x3ecc95a3
	v_mul_f32_e32 v103, v15, v101
	s_delay_alu instid0(VALU_DEP_2) | instskip(SKIP_2) | instid1(VALU_DEP_3)
	v_fmaak_f32 v101, v101, v102, 0x3f2aaada
	v_ldexp_f32 v102, v15, 1
	v_sub_f32_e32 v15, v15, v17
	v_mul_f32_e32 v101, v103, v101
	v_mul_f32_e32 v103, 0x3f317218, v12
	s_delay_alu instid0(VALU_DEP_3) | instskip(NEXT) | instid1(VALU_DEP_3)
	v_sub_f32_e32 v13, v13, v15
	v_add_f32_e32 v17, v102, v101
	s_delay_alu instid0(VALU_DEP_2) | instskip(NEXT) | instid1(VALU_DEP_2)
	v_ldexp_f32 v13, v13, 1
	v_sub_f32_e32 v15, v17, v102
	v_fma_f32 v102, 0x3f317218, v12, -v103
	s_delay_alu instid0(VALU_DEP_1) | instskip(NEXT) | instid1(VALU_DEP_1)
	v_dual_sub_f32 v15, v101, v15 :: v_dual_fmac_f32 v102, 0xb102e308, v12
	v_dual_add_f32 v12, v13, v15 :: v_dual_add_f32 v13, v103, v102
	s_delay_alu instid0(VALU_DEP_1) | instskip(NEXT) | instid1(VALU_DEP_1)
	v_add_f32_e32 v15, v17, v12
	v_add_f32_e32 v101, v13, v15
	v_sub_f32_e32 v17, v15, v17
	s_delay_alu instid0(VALU_DEP_2) | instskip(NEXT) | instid1(VALU_DEP_2)
	v_sub_f32_e32 v104, v101, v13
	v_dual_sub_f32 v103, v13, v103 :: v_dual_sub_f32 v12, v12, v17
	s_delay_alu instid0(VALU_DEP_1) | instskip(SKIP_1) | instid1(VALU_DEP_2)
	v_dual_sub_f32 v105, v101, v104 :: v_dual_sub_f32 v102, v102, v103
	v_sub_f32_e32 v15, v15, v104
	v_sub_f32_e32 v13, v13, v105
	s_delay_alu instid0(VALU_DEP_3) | instskip(NEXT) | instid1(VALU_DEP_2)
	v_add_f32_e32 v17, v102, v12
	v_add_f32_e32 v13, v15, v13
	s_delay_alu instid0(VALU_DEP_2) | instskip(NEXT) | instid1(VALU_DEP_2)
	v_sub_f32_e32 v15, v17, v102
	v_add_f32_e32 v13, v17, v13
	s_delay_alu instid0(VALU_DEP_2) | instskip(NEXT) | instid1(VALU_DEP_2)
	v_sub_f32_e32 v17, v17, v15
	v_dual_sub_f32 v12, v12, v15 :: v_dual_add_f32 v103, v101, v13
	s_delay_alu instid0(VALU_DEP_2) | instskip(NEXT) | instid1(VALU_DEP_2)
	v_sub_f32_e32 v17, v102, v17
	v_sub_f32_e32 v15, v103, v101
	s_delay_alu instid0(VALU_DEP_1) | instskip(NEXT) | instid1(VALU_DEP_1)
	v_dual_add_f32 v12, v12, v17 :: v_dual_sub_f32 v13, v13, v15
	v_add_f32_e32 v12, v12, v13
	s_delay_alu instid0(VALU_DEP_1) | instskip(NEXT) | instid1(VALU_DEP_1)
	v_add_f32_e32 v12, v103, v12
	v_cndmask_b32_e32 v101, v12, v14, vcc_lo
.LBB112_90:                             ;   in Loop: Header=BB112_12 Depth=1
	s_or_b32 exec_lo, exec_lo, s29
	s_waitcnt lgkmcnt(0)
	v_cvt_f32_f16_e32 v12, v8
	s_delay_alu instid0(VALU_DEP_1) | instskip(NEXT) | instid1(VALU_DEP_1)
	v_add_f32_e32 v104, s66, v12
	v_cmp_ge_f32_e32 vcc_lo, 0x41a00000, v104
	s_and_b32 s28, s79, vcc_lo
	s_delay_alu instid0(SALU_CYCLE_1)
	s_and_saveexec_b32 s29, s28
	s_cbranch_execz .LBB112_92
; %bb.91:                               ;   in Loop: Header=BB112_12 Depth=1
	v_mul_f32_e32 v12, 0x3fb8aa3b, v104
	v_cmp_ngt_f32_e32 vcc_lo, 0xc2ce8ed0, v104
	s_delay_alu instid0(VALU_DEP_2) | instskip(SKIP_1) | instid1(VALU_DEP_2)
	v_rndne_f32_e32 v13, v12
	v_fma_f32 v14, 0x3fb8aa3b, v104, -v12
	v_sub_f32_e32 v12, v12, v13
	s_delay_alu instid0(VALU_DEP_2) | instskip(SKIP_1) | instid1(VALU_DEP_2)
	v_fmac_f32_e32 v14, 0x32a5705f, v104
	v_cvt_i32_f32_e32 v13, v13
	v_add_f32_e32 v12, v12, v14
	s_delay_alu instid0(VALU_DEP_1) | instskip(SKIP_2) | instid1(VALU_DEP_1)
	v_exp_f32_e32 v12, v12
	s_waitcnt_depctr 0xfff
	v_ldexp_f32 v12, v12, v13
	v_cndmask_b32_e32 v12, 0, v12, vcc_lo
	v_cmp_nlt_f32_e32 vcc_lo, 0x42b17218, v104
	s_delay_alu instid0(VALU_DEP_2) | instskip(NEXT) | instid1(VALU_DEP_1)
	v_cndmask_b32_e32 v14, 0x7f800000, v12, vcc_lo
	v_add_f32_e32 v15, 1.0, v14
	s_delay_alu instid0(VALU_DEP_1) | instskip(NEXT) | instid1(VALU_DEP_1)
	v_cvt_f64_f32_e32 v[12:13], v15
	v_frexp_exp_i32_f64_e32 v12, v[12:13]
	v_frexp_mant_f32_e32 v13, v15
	s_delay_alu instid0(VALU_DEP_1) | instskip(SKIP_1) | instid1(VALU_DEP_1)
	v_cmp_gt_f32_e32 vcc_lo, 0x3f2aaaab, v13
	v_add_f32_e32 v13, -1.0, v15
	v_dual_sub_f32 v102, v13, v15 :: v_dual_sub_f32 v13, v14, v13
	s_delay_alu instid0(VALU_DEP_1) | instskip(NEXT) | instid1(VALU_DEP_1)
	v_add_f32_e32 v102, 1.0, v102
	v_add_f32_e32 v13, v13, v102
	v_subrev_co_ci_u32_e32 v12, vcc_lo, 0, v12, vcc_lo
	s_delay_alu instid0(VALU_DEP_1) | instskip(SKIP_1) | instid1(VALU_DEP_2)
	v_sub_nc_u32_e32 v17, 0, v12
	v_cvt_f32_i32_e32 v12, v12
	v_ldexp_f32 v15, v15, v17
	v_ldexp_f32 v13, v13, v17
	s_delay_alu instid0(VALU_DEP_2) | instskip(SKIP_3) | instid1(VALU_DEP_4)
	v_add_f32_e32 v103, 1.0, v15
	v_add_f32_e32 v17, -1.0, v15
	v_cmp_eq_f32_e32 vcc_lo, 0x7f800000, v14
	v_cmp_gt_f32_e64 s28, 0x33800000, v14
	v_add_f32_e32 v102, -1.0, v103
	s_delay_alu instid0(VALU_DEP_4) | instskip(NEXT) | instid1(VALU_DEP_3)
	v_add_f32_e32 v104, 1.0, v17
	s_or_b32 vcc_lo, s28, vcc_lo
	s_delay_alu instid0(VALU_DEP_2) | instskip(NEXT) | instid1(VALU_DEP_1)
	v_sub_f32_e32 v102, v15, v102
	v_dual_sub_f32 v15, v15, v104 :: v_dual_add_f32 v102, v13, v102
	s_delay_alu instid0(VALU_DEP_1) | instskip(NEXT) | instid1(VALU_DEP_1)
	v_add_f32_e32 v13, v13, v15
	v_dual_add_f32 v105, v17, v13 :: v_dual_add_f32 v104, v103, v102
	s_delay_alu instid0(VALU_DEP_1) | instskip(NEXT) | instid1(VALU_DEP_2)
	v_sub_f32_e32 v17, v17, v105
	v_rcp_f32_e32 v15, v104
	v_sub_f32_e32 v103, v103, v104
	s_delay_alu instid0(VALU_DEP_1) | instskip(SKIP_2) | instid1(VALU_DEP_1)
	v_dual_add_f32 v102, v102, v103 :: v_dual_add_f32 v13, v13, v17
	s_waitcnt_depctr 0xfff
	v_mul_f32_e32 v106, v105, v15
	v_mul_f32_e32 v107, v104, v106
	s_delay_alu instid0(VALU_DEP_1) | instskip(NEXT) | instid1(VALU_DEP_1)
	v_fma_f32 v103, v106, v104, -v107
	v_fmac_f32_e32 v103, v106, v102
	s_delay_alu instid0(VALU_DEP_1) | instskip(NEXT) | instid1(VALU_DEP_1)
	v_add_f32_e32 v108, v107, v103
	v_sub_f32_e32 v109, v105, v108
	s_delay_alu instid0(VALU_DEP_1) | instskip(SKIP_1) | instid1(VALU_DEP_2)
	v_sub_f32_e32 v105, v105, v109
	v_sub_f32_e32 v17, v108, v107
	;; [unrolled: 1-line block ×3, first 2 shown]
	s_delay_alu instid0(VALU_DEP_2) | instskip(NEXT) | instid1(VALU_DEP_2)
	v_sub_f32_e32 v17, v17, v103
	v_add_f32_e32 v13, v13, v105
	s_delay_alu instid0(VALU_DEP_1) | instskip(NEXT) | instid1(VALU_DEP_1)
	v_add_f32_e32 v13, v17, v13
	v_add_f32_e32 v17, v109, v13
	s_delay_alu instid0(VALU_DEP_1) | instskip(NEXT) | instid1(VALU_DEP_1)
	v_mul_f32_e32 v103, v15, v17
	v_dual_sub_f32 v108, v109, v17 :: v_dual_mul_f32 v105, v104, v103
	s_delay_alu instid0(VALU_DEP_1) | instskip(NEXT) | instid1(VALU_DEP_2)
	v_add_f32_e32 v13, v13, v108
	v_fma_f32 v104, v103, v104, -v105
	s_delay_alu instid0(VALU_DEP_1) | instskip(NEXT) | instid1(VALU_DEP_1)
	v_fmac_f32_e32 v104, v103, v102
	v_add_f32_e32 v102, v105, v104
	s_delay_alu instid0(VALU_DEP_1) | instskip(NEXT) | instid1(VALU_DEP_1)
	v_sub_f32_e32 v107, v17, v102
	v_sub_f32_e32 v17, v17, v107
	s_delay_alu instid0(VALU_DEP_1) | instskip(NEXT) | instid1(VALU_DEP_1)
	v_sub_f32_e32 v17, v17, v102
	v_add_f32_e32 v13, v13, v17
	v_add_f32_e32 v17, v106, v103
	v_sub_f32_e32 v105, v102, v105
	s_delay_alu instid0(VALU_DEP_1) | instskip(NEXT) | instid1(VALU_DEP_1)
	v_sub_f32_e32 v102, v105, v104
	v_dual_add_f32 v13, v102, v13 :: v_dual_sub_f32 v102, v17, v106
	s_delay_alu instid0(VALU_DEP_1) | instskip(NEXT) | instid1(VALU_DEP_2)
	v_add_f32_e32 v13, v107, v13
	v_sub_f32_e32 v102, v103, v102
	s_delay_alu instid0(VALU_DEP_2) | instskip(NEXT) | instid1(VALU_DEP_1)
	v_mul_f32_e32 v13, v15, v13
	v_add_f32_e32 v13, v102, v13
	s_delay_alu instid0(VALU_DEP_1) | instskip(NEXT) | instid1(VALU_DEP_1)
	v_add_f32_e32 v15, v17, v13
	v_mul_f32_e32 v102, v15, v15
	s_delay_alu instid0(VALU_DEP_1) | instskip(SKIP_1) | instid1(VALU_DEP_2)
	v_fmaak_f32 v103, s83, v102, 0x3ecc95a3
	v_mul_f32_e32 v104, v15, v102
	v_fmaak_f32 v102, v102, v103, 0x3f2aaada
	v_ldexp_f32 v103, v15, 1
	s_delay_alu instid0(VALU_DEP_2) | instskip(NEXT) | instid1(VALU_DEP_1)
	v_dual_sub_f32 v15, v15, v17 :: v_dual_mul_f32 v102, v104, v102
	v_dual_mul_f32 v104, 0x3f317218, v12 :: v_dual_sub_f32 v13, v13, v15
	s_delay_alu instid0(VALU_DEP_2) | instskip(NEXT) | instid1(VALU_DEP_2)
	v_add_f32_e32 v17, v103, v102
	v_ldexp_f32 v13, v13, 1
	s_delay_alu instid0(VALU_DEP_2) | instskip(NEXT) | instid1(VALU_DEP_4)
	v_sub_f32_e32 v15, v17, v103
	v_fma_f32 v103, 0x3f317218, v12, -v104
	s_delay_alu instid0(VALU_DEP_2) | instskip(NEXT) | instid1(VALU_DEP_1)
	v_sub_f32_e32 v15, v102, v15
	v_dual_fmac_f32 v103, 0xb102e308, v12 :: v_dual_add_f32 v12, v13, v15
	s_delay_alu instid0(VALU_DEP_1) | instskip(NEXT) | instid1(VALU_DEP_2)
	v_add_f32_e32 v13, v104, v103
	v_add_f32_e32 v15, v17, v12
	s_delay_alu instid0(VALU_DEP_2) | instskip(NEXT) | instid1(VALU_DEP_2)
	v_sub_f32_e32 v104, v13, v104
	v_dual_add_f32 v102, v13, v15 :: v_dual_sub_f32 v17, v15, v17
	s_delay_alu instid0(VALU_DEP_2) | instskip(NEXT) | instid1(VALU_DEP_2)
	v_sub_f32_e32 v103, v103, v104
	v_sub_f32_e32 v105, v102, v13
	s_delay_alu instid0(VALU_DEP_3) | instskip(NEXT) | instid1(VALU_DEP_2)
	v_sub_f32_e32 v12, v12, v17
	v_sub_f32_e32 v106, v102, v105
	v_sub_f32_e32 v15, v15, v105
	s_delay_alu instid0(VALU_DEP_3) | instskip(NEXT) | instid1(VALU_DEP_3)
	v_add_f32_e32 v17, v103, v12
	v_sub_f32_e32 v13, v13, v106
	s_delay_alu instid0(VALU_DEP_1) | instskip(NEXT) | instid1(VALU_DEP_3)
	v_add_f32_e32 v13, v15, v13
	v_sub_f32_e32 v15, v17, v103
	s_delay_alu instid0(VALU_DEP_2) | instskip(NEXT) | instid1(VALU_DEP_2)
	v_add_f32_e32 v13, v17, v13
	v_sub_f32_e32 v17, v17, v15
	v_sub_f32_e32 v12, v12, v15
	s_delay_alu instid0(VALU_DEP_3) | instskip(NEXT) | instid1(VALU_DEP_3)
	v_add_f32_e32 v104, v102, v13
	v_sub_f32_e32 v17, v103, v17
	s_delay_alu instid0(VALU_DEP_2) | instskip(NEXT) | instid1(VALU_DEP_1)
	v_sub_f32_e32 v15, v104, v102
	v_dual_add_f32 v12, v12, v17 :: v_dual_sub_f32 v13, v13, v15
	s_delay_alu instid0(VALU_DEP_1) | instskip(NEXT) | instid1(VALU_DEP_1)
	v_add_f32_e32 v12, v12, v13
	v_add_f32_e32 v12, v104, v12
	s_delay_alu instid0(VALU_DEP_1)
	v_cndmask_b32_e32 v104, v12, v14, vcc_lo
.LBB112_92:                             ;   in Loop: Header=BB112_12 Depth=1
	s_or_b32 exec_lo, exec_lo, s29
	v_lshrrev_b32_e32 v8, 16, v8
	s_delay_alu instid0(VALU_DEP_1) | instskip(NEXT) | instid1(VALU_DEP_1)
	v_cvt_f32_f16_e32 v8, v8
	v_add_f32_e32 v115, s66, v8
	s_delay_alu instid0(VALU_DEP_1) | instskip(SKIP_1) | instid1(SALU_CYCLE_1)
	v_cmp_ge_f32_e32 vcc_lo, 0x41a00000, v115
	s_and_b32 s28, s79, vcc_lo
	s_and_saveexec_b32 s29, s28
	s_cbranch_execz .LBB112_94
; %bb.93:                               ;   in Loop: Header=BB112_12 Depth=1
	v_mul_f32_e32 v8, 0x3fb8aa3b, v115
	v_cmp_ngt_f32_e32 vcc_lo, 0xc2ce8ed0, v115
	s_delay_alu instid0(VALU_DEP_2) | instskip(SKIP_1) | instid1(VALU_DEP_1)
	v_rndne_f32_e32 v12, v8
	v_fma_f32 v13, 0x3fb8aa3b, v115, -v8
	v_dual_sub_f32 v8, v8, v12 :: v_dual_fmac_f32 v13, 0x32a5705f, v115
	v_cvt_i32_f32_e32 v12, v12
	s_delay_alu instid0(VALU_DEP_2) | instskip(NEXT) | instid1(VALU_DEP_1)
	v_add_f32_e32 v8, v8, v13
	v_exp_f32_e32 v8, v8
	s_waitcnt_depctr 0xfff
	v_ldexp_f32 v8, v8, v12
	s_delay_alu instid0(VALU_DEP_1) | instskip(SKIP_1) | instid1(VALU_DEP_2)
	v_cndmask_b32_e32 v8, 0, v8, vcc_lo
	v_cmp_nlt_f32_e32 vcc_lo, 0x42b17218, v115
	v_cndmask_b32_e32 v8, 0x7f800000, v8, vcc_lo
	s_delay_alu instid0(VALU_DEP_1) | instskip(NEXT) | instid1(VALU_DEP_1)
	v_add_f32_e32 v14, 1.0, v8
	v_cvt_f64_f32_e32 v[12:13], v14
	s_delay_alu instid0(VALU_DEP_1) | instskip(SKIP_1) | instid1(VALU_DEP_1)
	v_frexp_exp_i32_f64_e32 v12, v[12:13]
	v_frexp_mant_f32_e32 v13, v14
	v_cmp_gt_f32_e32 vcc_lo, 0x3f2aaaab, v13
	v_add_f32_e32 v13, -1.0, v14
	s_delay_alu instid0(VALU_DEP_1) | instskip(SKIP_1) | instid1(VALU_DEP_2)
	v_sub_f32_e32 v17, v13, v14
	v_sub_f32_e32 v13, v8, v13
	v_add_f32_e32 v17, 1.0, v17
	s_delay_alu instid0(VALU_DEP_1) | instskip(SKIP_3) | instid1(VALU_DEP_2)
	v_add_f32_e32 v13, v13, v17
	v_cmp_gt_f32_e64 s28, 0x33800000, v8
	v_subrev_co_ci_u32_e32 v12, vcc_lo, 0, v12, vcc_lo
	v_cmp_eq_f32_e32 vcc_lo, 0x7f800000, v8
	v_sub_nc_u32_e32 v15, 0, v12
	v_cvt_f32_i32_e32 v12, v12
	s_or_b32 vcc_lo, s28, vcc_lo
	s_delay_alu instid0(VALU_DEP_2) | instskip(SKIP_1) | instid1(VALU_DEP_2)
	v_ldexp_f32 v14, v14, v15
	v_ldexp_f32 v13, v13, v15
	v_add_f32_e32 v102, 1.0, v14
	v_add_f32_e32 v15, -1.0, v14
	s_delay_alu instid0(VALU_DEP_1) | instskip(NEXT) | instid1(VALU_DEP_3)
	v_add_f32_e32 v103, 1.0, v15
	v_add_f32_e32 v17, -1.0, v102
	s_delay_alu instid0(VALU_DEP_1) | instskip(NEXT) | instid1(VALU_DEP_1)
	v_sub_f32_e32 v17, v14, v17
	v_dual_sub_f32 v14, v14, v103 :: v_dual_add_f32 v17, v13, v17
	s_delay_alu instid0(VALU_DEP_1) | instskip(NEXT) | instid1(VALU_DEP_1)
	v_add_f32_e32 v103, v102, v17
	v_sub_f32_e32 v102, v102, v103
	s_delay_alu instid0(VALU_DEP_1) | instskip(NEXT) | instid1(VALU_DEP_4)
	v_add_f32_e32 v17, v17, v102
	v_add_f32_e32 v13, v13, v14
	v_rcp_f32_e32 v14, v103
	s_delay_alu instid0(VALU_DEP_1) | instskip(SKIP_2) | instid1(VALU_DEP_1)
	v_add_f32_e32 v105, v15, v13
	s_waitcnt_depctr 0xfff
	v_dual_sub_f32 v15, v15, v105 :: v_dual_mul_f32 v106, v105, v14
	v_mul_f32_e32 v107, v103, v106
	s_delay_alu instid0(VALU_DEP_1) | instskip(NEXT) | instid1(VALU_DEP_1)
	v_fma_f32 v102, v106, v103, -v107
	v_dual_fmac_f32 v102, v106, v17 :: v_dual_add_f32 v13, v13, v15
	s_delay_alu instid0(VALU_DEP_1) | instskip(NEXT) | instid1(VALU_DEP_1)
	v_add_f32_e32 v108, v107, v102
	v_sub_f32_e32 v109, v105, v108
	v_sub_f32_e32 v15, v108, v107
	s_delay_alu instid0(VALU_DEP_2) | instskip(NEXT) | instid1(VALU_DEP_2)
	v_sub_f32_e32 v105, v105, v109
	v_sub_f32_e32 v15, v15, v102
	s_delay_alu instid0(VALU_DEP_2) | instskip(NEXT) | instid1(VALU_DEP_1)
	v_sub_f32_e32 v105, v105, v108
	v_add_f32_e32 v13, v13, v105
	s_delay_alu instid0(VALU_DEP_1) | instskip(NEXT) | instid1(VALU_DEP_1)
	v_add_f32_e32 v13, v15, v13
	v_add_f32_e32 v15, v109, v13
	s_delay_alu instid0(VALU_DEP_1) | instskip(NEXT) | instid1(VALU_DEP_1)
	v_mul_f32_e32 v102, v14, v15
	v_dual_sub_f32 v108, v109, v15 :: v_dual_mul_f32 v105, v103, v102
	s_delay_alu instid0(VALU_DEP_1) | instskip(NEXT) | instid1(VALU_DEP_2)
	v_add_f32_e32 v13, v13, v108
	v_fma_f32 v103, v102, v103, -v105
	s_delay_alu instid0(VALU_DEP_1) | instskip(NEXT) | instid1(VALU_DEP_1)
	v_fmac_f32_e32 v103, v102, v17
	v_add_f32_e32 v17, v105, v103
	s_delay_alu instid0(VALU_DEP_1) | instskip(SKIP_1) | instid1(VALU_DEP_2)
	v_sub_f32_e32 v107, v15, v17
	v_sub_f32_e32 v105, v17, v105
	;; [unrolled: 1-line block ×3, first 2 shown]
	s_delay_alu instid0(VALU_DEP_1) | instskip(NEXT) | instid1(VALU_DEP_3)
	v_sub_f32_e32 v15, v15, v17
	v_sub_f32_e32 v17, v105, v103
	s_delay_alu instid0(VALU_DEP_2) | instskip(SKIP_1) | instid1(VALU_DEP_2)
	v_add_f32_e32 v13, v13, v15
	v_add_f32_e32 v15, v106, v102
	;; [unrolled: 1-line block ×3, first 2 shown]
	s_delay_alu instid0(VALU_DEP_2) | instskip(NEXT) | instid1(VALU_DEP_2)
	v_sub_f32_e32 v17, v15, v106
	v_add_f32_e32 v13, v107, v13
	s_delay_alu instid0(VALU_DEP_2) | instskip(NEXT) | instid1(VALU_DEP_2)
	v_sub_f32_e32 v17, v102, v17
	v_mul_f32_e32 v13, v14, v13
	s_delay_alu instid0(VALU_DEP_1) | instskip(NEXT) | instid1(VALU_DEP_1)
	v_add_f32_e32 v13, v17, v13
	v_add_f32_e32 v14, v15, v13
	s_delay_alu instid0(VALU_DEP_1) | instskip(NEXT) | instid1(VALU_DEP_1)
	v_mul_f32_e32 v17, v14, v14
	v_fmaak_f32 v102, s83, v17, 0x3ecc95a3
	v_mul_f32_e32 v103, v14, v17
	s_delay_alu instid0(VALU_DEP_2) | instskip(SKIP_1) | instid1(VALU_DEP_2)
	v_fmaak_f32 v17, v17, v102, 0x3f2aaada
	v_ldexp_f32 v102, v14, 1
	v_dual_sub_f32 v14, v14, v15 :: v_dual_mul_f32 v17, v103, v17
	v_mul_f32_e32 v103, 0x3f317218, v12
	s_delay_alu instid0(VALU_DEP_2) | instskip(NEXT) | instid1(VALU_DEP_3)
	v_sub_f32_e32 v13, v13, v14
	v_add_f32_e32 v15, v102, v17
	s_delay_alu instid0(VALU_DEP_2) | instskip(NEXT) | instid1(VALU_DEP_2)
	v_ldexp_f32 v13, v13, 1
	v_sub_f32_e32 v14, v15, v102
	v_fma_f32 v102, 0x3f317218, v12, -v103
	s_delay_alu instid0(VALU_DEP_2) | instskip(NEXT) | instid1(VALU_DEP_2)
	v_sub_f32_e32 v14, v17, v14
	v_fmac_f32_e32 v102, 0xb102e308, v12
	s_delay_alu instid0(VALU_DEP_2) | instskip(NEXT) | instid1(VALU_DEP_2)
	v_add_f32_e32 v12, v13, v14
	v_add_f32_e32 v13, v103, v102
	s_delay_alu instid0(VALU_DEP_1) | instskip(NEXT) | instid1(VALU_DEP_1)
	v_dual_add_f32 v14, v15, v12 :: v_dual_sub_f32 v103, v13, v103
	v_add_f32_e32 v17, v13, v14
	v_sub_f32_e32 v15, v14, v15
	s_delay_alu instid0(VALU_DEP_2) | instskip(NEXT) | instid1(VALU_DEP_2)
	v_dual_sub_f32 v102, v102, v103 :: v_dual_sub_f32 v105, v17, v13
	v_sub_f32_e32 v12, v12, v15
	s_delay_alu instid0(VALU_DEP_2) | instskip(SKIP_1) | instid1(VALU_DEP_3)
	v_sub_f32_e32 v106, v17, v105
	v_sub_f32_e32 v14, v14, v105
	v_add_f32_e32 v15, v102, v12
	s_delay_alu instid0(VALU_DEP_3) | instskip(NEXT) | instid1(VALU_DEP_1)
	v_sub_f32_e32 v13, v13, v106
	v_dual_add_f32 v13, v14, v13 :: v_dual_sub_f32 v14, v15, v102
	s_delay_alu instid0(VALU_DEP_1) | instskip(NEXT) | instid1(VALU_DEP_2)
	v_add_f32_e32 v13, v15, v13
	v_sub_f32_e32 v15, v15, v14
	s_delay_alu instid0(VALU_DEP_2) | instskip(NEXT) | instid1(VALU_DEP_1)
	v_dual_sub_f32 v12, v12, v14 :: v_dual_add_f32 v103, v17, v13
	v_dual_sub_f32 v15, v102, v15 :: v_dual_sub_f32 v14, v103, v17
	s_delay_alu instid0(VALU_DEP_1) | instskip(NEXT) | instid1(VALU_DEP_1)
	v_dual_add_f32 v12, v12, v15 :: v_dual_sub_f32 v13, v13, v14
	v_add_f32_e32 v12, v12, v13
	s_delay_alu instid0(VALU_DEP_1) | instskip(NEXT) | instid1(VALU_DEP_1)
	v_add_f32_e32 v12, v103, v12
	v_cndmask_b32_e32 v115, v12, v8, vcc_lo
.LBB112_94:                             ;   in Loop: Header=BB112_12 Depth=1
	s_or_b32 exec_lo, exec_lo, s29
	v_cvt_f32_f16_e32 v8, v9
	s_delay_alu instid0(VALU_DEP_1) | instskip(NEXT) | instid1(VALU_DEP_1)
	v_add_f32_e32 v118, s66, v8
	v_cmp_ge_f32_e32 vcc_lo, 0x41a00000, v118
	s_and_b32 s28, s79, vcc_lo
	s_delay_alu instid0(SALU_CYCLE_1)
	s_and_saveexec_b32 s29, s28
	s_cbranch_execz .LBB112_96
; %bb.95:                               ;   in Loop: Header=BB112_12 Depth=1
	v_mul_f32_e32 v8, 0x3fb8aa3b, v118
	v_cmp_ngt_f32_e32 vcc_lo, 0xc2ce8ed0, v118
	s_delay_alu instid0(VALU_DEP_2) | instskip(SKIP_1) | instid1(VALU_DEP_1)
	v_rndne_f32_e32 v12, v8
	v_fma_f32 v13, 0x3fb8aa3b, v118, -v8
	v_dual_sub_f32 v8, v8, v12 :: v_dual_fmac_f32 v13, 0x32a5705f, v118
	v_cvt_i32_f32_e32 v12, v12
	s_delay_alu instid0(VALU_DEP_2) | instskip(NEXT) | instid1(VALU_DEP_1)
	v_add_f32_e32 v8, v8, v13
	v_exp_f32_e32 v8, v8
	s_waitcnt_depctr 0xfff
	v_ldexp_f32 v8, v8, v12
	s_delay_alu instid0(VALU_DEP_1) | instskip(SKIP_1) | instid1(VALU_DEP_2)
	v_cndmask_b32_e32 v8, 0, v8, vcc_lo
	v_cmp_nlt_f32_e32 vcc_lo, 0x42b17218, v118
	v_cndmask_b32_e32 v8, 0x7f800000, v8, vcc_lo
	s_delay_alu instid0(VALU_DEP_1) | instskip(NEXT) | instid1(VALU_DEP_1)
	v_add_f32_e32 v14, 1.0, v8
	v_cvt_f64_f32_e32 v[12:13], v14
	s_delay_alu instid0(VALU_DEP_1) | instskip(SKIP_1) | instid1(VALU_DEP_1)
	v_frexp_exp_i32_f64_e32 v12, v[12:13]
	v_frexp_mant_f32_e32 v13, v14
	v_cmp_gt_f32_e32 vcc_lo, 0x3f2aaaab, v13
	v_add_f32_e32 v13, -1.0, v14
	s_delay_alu instid0(VALU_DEP_1) | instskip(SKIP_1) | instid1(VALU_DEP_2)
	v_sub_f32_e32 v17, v13, v14
	v_sub_f32_e32 v13, v8, v13
	v_add_f32_e32 v17, 1.0, v17
	s_delay_alu instid0(VALU_DEP_1) | instskip(SKIP_3) | instid1(VALU_DEP_2)
	v_add_f32_e32 v13, v13, v17
	v_cmp_gt_f32_e64 s28, 0x33800000, v8
	v_subrev_co_ci_u32_e32 v12, vcc_lo, 0, v12, vcc_lo
	v_cmp_eq_f32_e32 vcc_lo, 0x7f800000, v8
	v_sub_nc_u32_e32 v15, 0, v12
	v_cvt_f32_i32_e32 v12, v12
	s_or_b32 vcc_lo, s28, vcc_lo
	s_delay_alu instid0(VALU_DEP_2) | instskip(SKIP_1) | instid1(VALU_DEP_2)
	v_ldexp_f32 v14, v14, v15
	v_ldexp_f32 v13, v13, v15
	v_add_f32_e32 v102, 1.0, v14
	v_add_f32_e32 v15, -1.0, v14
	s_delay_alu instid0(VALU_DEP_1) | instskip(NEXT) | instid1(VALU_DEP_3)
	v_add_f32_e32 v103, 1.0, v15
	v_add_f32_e32 v17, -1.0, v102
	s_delay_alu instid0(VALU_DEP_1) | instskip(NEXT) | instid1(VALU_DEP_1)
	v_sub_f32_e32 v17, v14, v17
	v_dual_sub_f32 v14, v14, v103 :: v_dual_add_f32 v17, v13, v17
	s_delay_alu instid0(VALU_DEP_1) | instskip(NEXT) | instid1(VALU_DEP_1)
	v_add_f32_e32 v103, v102, v17
	v_sub_f32_e32 v102, v102, v103
	s_delay_alu instid0(VALU_DEP_1) | instskip(NEXT) | instid1(VALU_DEP_4)
	v_add_f32_e32 v17, v17, v102
	v_add_f32_e32 v13, v13, v14
	v_rcp_f32_e32 v14, v103
	s_delay_alu instid0(VALU_DEP_1) | instskip(SKIP_2) | instid1(VALU_DEP_1)
	v_add_f32_e32 v105, v15, v13
	s_waitcnt_depctr 0xfff
	v_dual_sub_f32 v15, v15, v105 :: v_dual_mul_f32 v106, v105, v14
	v_mul_f32_e32 v107, v103, v106
	s_delay_alu instid0(VALU_DEP_1) | instskip(NEXT) | instid1(VALU_DEP_1)
	v_fma_f32 v102, v106, v103, -v107
	v_dual_fmac_f32 v102, v106, v17 :: v_dual_add_f32 v13, v13, v15
	s_delay_alu instid0(VALU_DEP_1) | instskip(NEXT) | instid1(VALU_DEP_1)
	v_add_f32_e32 v108, v107, v102
	v_sub_f32_e32 v109, v105, v108
	v_sub_f32_e32 v15, v108, v107
	s_delay_alu instid0(VALU_DEP_2) | instskip(NEXT) | instid1(VALU_DEP_2)
	v_sub_f32_e32 v105, v105, v109
	v_sub_f32_e32 v15, v15, v102
	s_delay_alu instid0(VALU_DEP_2) | instskip(NEXT) | instid1(VALU_DEP_1)
	v_sub_f32_e32 v105, v105, v108
	v_add_f32_e32 v13, v13, v105
	s_delay_alu instid0(VALU_DEP_1) | instskip(NEXT) | instid1(VALU_DEP_1)
	v_add_f32_e32 v13, v15, v13
	v_add_f32_e32 v15, v109, v13
	s_delay_alu instid0(VALU_DEP_1) | instskip(NEXT) | instid1(VALU_DEP_1)
	v_mul_f32_e32 v102, v14, v15
	v_dual_sub_f32 v108, v109, v15 :: v_dual_mul_f32 v105, v103, v102
	s_delay_alu instid0(VALU_DEP_1) | instskip(NEXT) | instid1(VALU_DEP_2)
	v_add_f32_e32 v13, v13, v108
	v_fma_f32 v103, v102, v103, -v105
	s_delay_alu instid0(VALU_DEP_1) | instskip(NEXT) | instid1(VALU_DEP_1)
	v_fmac_f32_e32 v103, v102, v17
	v_add_f32_e32 v17, v105, v103
	s_delay_alu instid0(VALU_DEP_1) | instskip(SKIP_1) | instid1(VALU_DEP_2)
	v_sub_f32_e32 v107, v15, v17
	v_sub_f32_e32 v105, v17, v105
	;; [unrolled: 1-line block ×3, first 2 shown]
	s_delay_alu instid0(VALU_DEP_1) | instskip(NEXT) | instid1(VALU_DEP_3)
	v_sub_f32_e32 v15, v15, v17
	v_sub_f32_e32 v17, v105, v103
	s_delay_alu instid0(VALU_DEP_2) | instskip(SKIP_1) | instid1(VALU_DEP_2)
	v_add_f32_e32 v13, v13, v15
	v_add_f32_e32 v15, v106, v102
	;; [unrolled: 1-line block ×3, first 2 shown]
	s_delay_alu instid0(VALU_DEP_2) | instskip(NEXT) | instid1(VALU_DEP_2)
	v_sub_f32_e32 v17, v15, v106
	v_add_f32_e32 v13, v107, v13
	s_delay_alu instid0(VALU_DEP_2) | instskip(NEXT) | instid1(VALU_DEP_2)
	v_sub_f32_e32 v17, v102, v17
	v_mul_f32_e32 v13, v14, v13
	s_delay_alu instid0(VALU_DEP_1) | instskip(NEXT) | instid1(VALU_DEP_1)
	v_add_f32_e32 v13, v17, v13
	v_add_f32_e32 v14, v15, v13
	s_delay_alu instid0(VALU_DEP_1) | instskip(NEXT) | instid1(VALU_DEP_1)
	v_mul_f32_e32 v17, v14, v14
	v_fmaak_f32 v102, s83, v17, 0x3ecc95a3
	v_mul_f32_e32 v103, v14, v17
	s_delay_alu instid0(VALU_DEP_2) | instskip(SKIP_1) | instid1(VALU_DEP_2)
	v_fmaak_f32 v17, v17, v102, 0x3f2aaada
	v_ldexp_f32 v102, v14, 1
	v_dual_sub_f32 v14, v14, v15 :: v_dual_mul_f32 v17, v103, v17
	v_mul_f32_e32 v103, 0x3f317218, v12
	s_delay_alu instid0(VALU_DEP_2) | instskip(NEXT) | instid1(VALU_DEP_3)
	v_sub_f32_e32 v13, v13, v14
	v_add_f32_e32 v15, v102, v17
	s_delay_alu instid0(VALU_DEP_2) | instskip(NEXT) | instid1(VALU_DEP_2)
	v_ldexp_f32 v13, v13, 1
	v_sub_f32_e32 v14, v15, v102
	v_fma_f32 v102, 0x3f317218, v12, -v103
	s_delay_alu instid0(VALU_DEP_2) | instskip(NEXT) | instid1(VALU_DEP_2)
	v_sub_f32_e32 v14, v17, v14
	v_fmac_f32_e32 v102, 0xb102e308, v12
	s_delay_alu instid0(VALU_DEP_2) | instskip(NEXT) | instid1(VALU_DEP_2)
	v_add_f32_e32 v12, v13, v14
	v_add_f32_e32 v13, v103, v102
	s_delay_alu instid0(VALU_DEP_1) | instskip(NEXT) | instid1(VALU_DEP_1)
	v_dual_add_f32 v14, v15, v12 :: v_dual_sub_f32 v103, v13, v103
	v_add_f32_e32 v17, v13, v14
	v_sub_f32_e32 v15, v14, v15
	s_delay_alu instid0(VALU_DEP_2) | instskip(NEXT) | instid1(VALU_DEP_2)
	v_dual_sub_f32 v102, v102, v103 :: v_dual_sub_f32 v105, v17, v13
	v_sub_f32_e32 v12, v12, v15
	s_delay_alu instid0(VALU_DEP_2) | instskip(SKIP_1) | instid1(VALU_DEP_3)
	v_sub_f32_e32 v106, v17, v105
	v_sub_f32_e32 v14, v14, v105
	v_add_f32_e32 v15, v102, v12
	s_delay_alu instid0(VALU_DEP_3) | instskip(NEXT) | instid1(VALU_DEP_1)
	v_sub_f32_e32 v13, v13, v106
	v_dual_add_f32 v13, v14, v13 :: v_dual_sub_f32 v14, v15, v102
	s_delay_alu instid0(VALU_DEP_1) | instskip(NEXT) | instid1(VALU_DEP_2)
	v_add_f32_e32 v13, v15, v13
	v_sub_f32_e32 v15, v15, v14
	s_delay_alu instid0(VALU_DEP_2) | instskip(NEXT) | instid1(VALU_DEP_1)
	v_dual_sub_f32 v12, v12, v14 :: v_dual_add_f32 v103, v17, v13
	v_dual_sub_f32 v15, v102, v15 :: v_dual_sub_f32 v14, v103, v17
	s_delay_alu instid0(VALU_DEP_1) | instskip(NEXT) | instid1(VALU_DEP_1)
	v_dual_add_f32 v12, v12, v15 :: v_dual_sub_f32 v13, v13, v14
	v_add_f32_e32 v12, v12, v13
	s_delay_alu instid0(VALU_DEP_1) | instskip(NEXT) | instid1(VALU_DEP_1)
	v_add_f32_e32 v12, v103, v12
	v_cndmask_b32_e32 v118, v12, v8, vcc_lo
.LBB112_96:                             ;   in Loop: Header=BB112_12 Depth=1
	s_or_b32 exec_lo, exec_lo, s29
	v_lshrrev_b32_e32 v8, 16, v9
	s_delay_alu instid0(VALU_DEP_1) | instskip(NEXT) | instid1(VALU_DEP_1)
	v_cvt_f32_f16_e32 v8, v8
	v_add_f32_e32 v121, s66, v8
	s_delay_alu instid0(VALU_DEP_1) | instskip(SKIP_1) | instid1(SALU_CYCLE_1)
	v_cmp_ge_f32_e32 vcc_lo, 0x41a00000, v121
	s_and_b32 s28, s79, vcc_lo
	s_and_saveexec_b32 s29, s28
	s_cbranch_execz .LBB112_98
; %bb.97:                               ;   in Loop: Header=BB112_12 Depth=1
	v_mul_f32_e32 v8, 0x3fb8aa3b, v121
	v_cmp_ngt_f32_e32 vcc_lo, 0xc2ce8ed0, v121
	s_delay_alu instid0(VALU_DEP_2) | instskip(SKIP_1) | instid1(VALU_DEP_2)
	v_rndne_f32_e32 v9, v8
	v_fma_f32 v12, 0x3fb8aa3b, v121, -v8
	v_sub_f32_e32 v8, v8, v9
	s_delay_alu instid0(VALU_DEP_2) | instskip(SKIP_1) | instid1(VALU_DEP_2)
	v_fmac_f32_e32 v12, 0x32a5705f, v121
	v_cvt_i32_f32_e32 v9, v9
	v_add_f32_e32 v8, v8, v12
	s_delay_alu instid0(VALU_DEP_1) | instskip(SKIP_2) | instid1(VALU_DEP_1)
	v_exp_f32_e32 v8, v8
	s_waitcnt_depctr 0xfff
	v_ldexp_f32 v8, v8, v9
	v_cndmask_b32_e32 v8, 0, v8, vcc_lo
	v_cmp_nlt_f32_e32 vcc_lo, 0x42b17218, v121
	s_delay_alu instid0(VALU_DEP_2) | instskip(NEXT) | instid1(VALU_DEP_1)
	v_cndmask_b32_e32 v12, 0x7f800000, v8, vcc_lo
	v_add_f32_e32 v13, 1.0, v12
	s_delay_alu instid0(VALU_DEP_1) | instskip(NEXT) | instid1(VALU_DEP_1)
	v_cvt_f64_f32_e32 v[8:9], v13
	v_frexp_exp_i32_f64_e32 v8, v[8:9]
	v_frexp_mant_f32_e32 v9, v13
	s_delay_alu instid0(VALU_DEP_1) | instskip(SKIP_1) | instid1(VALU_DEP_1)
	v_cmp_gt_f32_e32 vcc_lo, 0x3f2aaaab, v9
	v_add_f32_e32 v9, -1.0, v13
	v_sub_f32_e32 v15, v9, v13
	s_delay_alu instid0(VALU_DEP_1) | instskip(SKIP_1) | instid1(VALU_DEP_1)
	v_add_f32_e32 v15, 1.0, v15
	v_subrev_co_ci_u32_e32 v8, vcc_lo, 0, v8, vcc_lo
	v_sub_nc_u32_e32 v14, 0, v8
	v_cvt_f32_i32_e32 v8, v8
	s_delay_alu instid0(VALU_DEP_2) | instskip(NEXT) | instid1(VALU_DEP_1)
	v_ldexp_f32 v13, v13, v14
	v_add_f32_e32 v17, 1.0, v13
	v_sub_f32_e32 v9, v12, v9
	v_cmp_eq_f32_e32 vcc_lo, 0x7f800000, v12
	v_cmp_gt_f32_e64 s28, 0x33800000, v12
	s_delay_alu instid0(VALU_DEP_3) | instskip(SKIP_1) | instid1(VALU_DEP_3)
	v_add_f32_e32 v9, v9, v15
	v_add_f32_e32 v15, -1.0, v17
	s_or_b32 vcc_lo, s28, vcc_lo
	s_delay_alu instid0(VALU_DEP_2) | instskip(NEXT) | instid1(VALU_DEP_2)
	v_ldexp_f32 v9, v9, v14
	v_dual_add_f32 v14, -1.0, v13 :: v_dual_sub_f32 v15, v13, v15
	s_delay_alu instid0(VALU_DEP_1) | instskip(NEXT) | instid1(VALU_DEP_1)
	v_dual_add_f32 v102, 1.0, v14 :: v_dual_add_f32 v15, v9, v15
	v_sub_f32_e32 v13, v13, v102
	s_delay_alu instid0(VALU_DEP_1) | instskip(NEXT) | instid1(VALU_DEP_1)
	v_add_f32_e32 v9, v9, v13
	v_dual_add_f32 v102, v17, v15 :: v_dual_add_f32 v103, v14, v9
	s_delay_alu instid0(VALU_DEP_1) | instskip(NEXT) | instid1(VALU_DEP_1)
	v_rcp_f32_e32 v13, v102
	v_dual_sub_f32 v17, v17, v102 :: v_dual_sub_f32 v14, v14, v103
	s_delay_alu instid0(VALU_DEP_1) | instskip(SKIP_2) | instid1(VALU_DEP_1)
	v_add_f32_e32 v9, v9, v14
	s_waitcnt_depctr 0xfff
	v_mul_f32_e32 v105, v103, v13
	v_mul_f32_e32 v106, v102, v105
	v_add_f32_e32 v15, v15, v17
	s_delay_alu instid0(VALU_DEP_2) | instskip(NEXT) | instid1(VALU_DEP_1)
	v_fma_f32 v17, v105, v102, -v106
	v_fmac_f32_e32 v17, v105, v15
	s_delay_alu instid0(VALU_DEP_1) | instskip(NEXT) | instid1(VALU_DEP_1)
	v_add_f32_e32 v107, v106, v17
	v_sub_f32_e32 v108, v103, v107
	v_sub_f32_e32 v14, v107, v106
	s_delay_alu instid0(VALU_DEP_1) | instskip(NEXT) | instid1(VALU_DEP_1)
	v_dual_sub_f32 v103, v103, v108 :: v_dual_sub_f32 v14, v14, v17
	v_sub_f32_e32 v103, v103, v107
	s_delay_alu instid0(VALU_DEP_1) | instskip(NEXT) | instid1(VALU_DEP_1)
	v_add_f32_e32 v9, v9, v103
	v_add_f32_e32 v9, v14, v9
	s_delay_alu instid0(VALU_DEP_1) | instskip(NEXT) | instid1(VALU_DEP_1)
	v_add_f32_e32 v14, v108, v9
	v_mul_f32_e32 v17, v13, v14
	v_sub_f32_e32 v107, v108, v14
	s_delay_alu instid0(VALU_DEP_2) | instskip(NEXT) | instid1(VALU_DEP_2)
	v_mul_f32_e32 v103, v102, v17
	v_add_f32_e32 v9, v9, v107
	s_delay_alu instid0(VALU_DEP_2) | instskip(NEXT) | instid1(VALU_DEP_1)
	v_fma_f32 v102, v17, v102, -v103
	v_fmac_f32_e32 v102, v17, v15
	s_delay_alu instid0(VALU_DEP_1) | instskip(NEXT) | instid1(VALU_DEP_1)
	v_add_f32_e32 v15, v103, v102
	v_sub_f32_e32 v106, v14, v15
	s_delay_alu instid0(VALU_DEP_1) | instskip(NEXT) | instid1(VALU_DEP_1)
	v_dual_sub_f32 v103, v15, v103 :: v_dual_sub_f32 v14, v14, v106
	v_dual_sub_f32 v14, v14, v15 :: v_dual_sub_f32 v15, v103, v102
	s_delay_alu instid0(VALU_DEP_1) | instskip(SKIP_1) | instid1(VALU_DEP_2)
	v_add_f32_e32 v9, v9, v14
	v_add_f32_e32 v14, v105, v17
	;; [unrolled: 1-line block ×3, first 2 shown]
	s_delay_alu instid0(VALU_DEP_2) | instskip(NEXT) | instid1(VALU_DEP_2)
	v_sub_f32_e32 v15, v14, v105
	v_add_f32_e32 v9, v106, v9
	s_delay_alu instid0(VALU_DEP_2) | instskip(NEXT) | instid1(VALU_DEP_2)
	v_sub_f32_e32 v15, v17, v15
	v_mul_f32_e32 v9, v13, v9
	s_delay_alu instid0(VALU_DEP_1) | instskip(NEXT) | instid1(VALU_DEP_1)
	v_add_f32_e32 v9, v15, v9
	v_add_f32_e32 v13, v14, v9
	s_delay_alu instid0(VALU_DEP_1) | instskip(NEXT) | instid1(VALU_DEP_1)
	v_mul_f32_e32 v15, v13, v13
	v_fmaak_f32 v17, s83, v15, 0x3ecc95a3
	s_delay_alu instid0(VALU_DEP_1) | instskip(SKIP_2) | instid1(VALU_DEP_3)
	v_dual_mul_f32 v102, v13, v15 :: v_dual_fmaak_f32 v15, v15, v17, 0x3f2aaada
	v_ldexp_f32 v17, v13, 1
	v_sub_f32_e32 v13, v13, v14
	v_dual_mul_f32 v15, v102, v15 :: v_dual_mul_f32 v102, 0x3f317218, v8
	s_delay_alu instid0(VALU_DEP_2) | instskip(NEXT) | instid1(VALU_DEP_2)
	v_sub_f32_e32 v9, v9, v13
	v_add_f32_e32 v14, v17, v15
	s_delay_alu instid0(VALU_DEP_2) | instskip(NEXT) | instid1(VALU_DEP_2)
	v_ldexp_f32 v9, v9, 1
	v_sub_f32_e32 v13, v14, v17
	v_fma_f32 v17, 0x3f317218, v8, -v102
	s_delay_alu instid0(VALU_DEP_2) | instskip(NEXT) | instid1(VALU_DEP_1)
	v_sub_f32_e32 v13, v15, v13
	v_dual_fmac_f32 v17, 0xb102e308, v8 :: v_dual_add_f32 v8, v9, v13
	s_delay_alu instid0(VALU_DEP_1) | instskip(NEXT) | instid1(VALU_DEP_1)
	v_add_f32_e32 v9, v102, v17
	v_dual_add_f32 v13, v14, v8 :: v_dual_sub_f32 v102, v9, v102
	s_delay_alu instid0(VALU_DEP_1) | instskip(SKIP_1) | instid1(VALU_DEP_3)
	v_add_f32_e32 v15, v9, v13
	v_sub_f32_e32 v14, v13, v14
	v_sub_f32_e32 v17, v17, v102
	s_delay_alu instid0(VALU_DEP_2) | instskip(NEXT) | instid1(VALU_DEP_1)
	v_dual_sub_f32 v103, v15, v9 :: v_dual_sub_f32 v8, v8, v14
	v_sub_f32_e32 v105, v15, v103
	v_sub_f32_e32 v13, v13, v103
	s_delay_alu instid0(VALU_DEP_3) | instskip(NEXT) | instid1(VALU_DEP_3)
	v_add_f32_e32 v14, v17, v8
	v_sub_f32_e32 v9, v9, v105
	s_delay_alu instid0(VALU_DEP_1) | instskip(NEXT) | instid1(VALU_DEP_3)
	v_add_f32_e32 v9, v13, v9
	v_sub_f32_e32 v13, v14, v17
	s_delay_alu instid0(VALU_DEP_2) | instskip(NEXT) | instid1(VALU_DEP_2)
	v_add_f32_e32 v9, v14, v9
	v_sub_f32_e32 v14, v14, v13
	v_sub_f32_e32 v8, v8, v13
	s_delay_alu instid0(VALU_DEP_3) | instskip(NEXT) | instid1(VALU_DEP_1)
	v_add_f32_e32 v102, v15, v9
	v_dual_sub_f32 v14, v17, v14 :: v_dual_sub_f32 v13, v102, v15
	s_delay_alu instid0(VALU_DEP_1) | instskip(NEXT) | instid1(VALU_DEP_1)
	v_dual_add_f32 v8, v8, v14 :: v_dual_sub_f32 v9, v9, v13
	v_add_f32_e32 v8, v8, v9
	s_delay_alu instid0(VALU_DEP_1) | instskip(NEXT) | instid1(VALU_DEP_1)
	v_add_f32_e32 v8, v102, v8
	v_cndmask_b32_e32 v121, v8, v12, vcc_lo
.LBB112_98:                             ;   in Loop: Header=BB112_12 Depth=1
	s_or_b32 exec_lo, exec_lo, s29
	v_cvt_f32_f16_e32 v8, v10
	s_delay_alu instid0(VALU_DEP_1) | instskip(NEXT) | instid1(VALU_DEP_1)
	v_add_f32_e32 v122, s66, v8
	v_cmp_ge_f32_e32 vcc_lo, 0x41a00000, v122
	s_and_b32 s28, s79, vcc_lo
	s_delay_alu instid0(SALU_CYCLE_1)
	s_and_saveexec_b32 s29, s28
	s_cbranch_execz .LBB112_100
; %bb.99:                               ;   in Loop: Header=BB112_12 Depth=1
	v_mul_f32_e32 v8, 0x3fb8aa3b, v122
	v_cmp_ngt_f32_e32 vcc_lo, 0xc2ce8ed0, v122
	s_delay_alu instid0(VALU_DEP_2) | instskip(SKIP_1) | instid1(VALU_DEP_2)
	v_rndne_f32_e32 v9, v8
	v_fma_f32 v12, 0x3fb8aa3b, v122, -v8
	v_sub_f32_e32 v8, v8, v9
	s_delay_alu instid0(VALU_DEP_2) | instskip(SKIP_1) | instid1(VALU_DEP_2)
	v_fmac_f32_e32 v12, 0x32a5705f, v122
	v_cvt_i32_f32_e32 v9, v9
	v_add_f32_e32 v8, v8, v12
	s_delay_alu instid0(VALU_DEP_1) | instskip(SKIP_2) | instid1(VALU_DEP_1)
	v_exp_f32_e32 v8, v8
	s_waitcnt_depctr 0xfff
	v_ldexp_f32 v8, v8, v9
	v_cndmask_b32_e32 v8, 0, v8, vcc_lo
	v_cmp_nlt_f32_e32 vcc_lo, 0x42b17218, v122
	s_delay_alu instid0(VALU_DEP_2) | instskip(NEXT) | instid1(VALU_DEP_1)
	v_cndmask_b32_e32 v12, 0x7f800000, v8, vcc_lo
	v_add_f32_e32 v13, 1.0, v12
	s_delay_alu instid0(VALU_DEP_1) | instskip(NEXT) | instid1(VALU_DEP_1)
	v_cvt_f64_f32_e32 v[8:9], v13
	v_frexp_exp_i32_f64_e32 v8, v[8:9]
	v_frexp_mant_f32_e32 v9, v13
	s_delay_alu instid0(VALU_DEP_1) | instskip(SKIP_1) | instid1(VALU_DEP_1)
	v_cmp_gt_f32_e32 vcc_lo, 0x3f2aaaab, v9
	v_add_f32_e32 v9, -1.0, v13
	v_sub_f32_e32 v15, v9, v13
	s_delay_alu instid0(VALU_DEP_1) | instskip(SKIP_1) | instid1(VALU_DEP_1)
	v_add_f32_e32 v15, 1.0, v15
	v_subrev_co_ci_u32_e32 v8, vcc_lo, 0, v8, vcc_lo
	v_sub_nc_u32_e32 v14, 0, v8
	v_cvt_f32_i32_e32 v8, v8
	s_delay_alu instid0(VALU_DEP_2) | instskip(NEXT) | instid1(VALU_DEP_1)
	v_ldexp_f32 v13, v13, v14
	v_add_f32_e32 v17, 1.0, v13
	v_sub_f32_e32 v9, v12, v9
	v_cmp_eq_f32_e32 vcc_lo, 0x7f800000, v12
	v_cmp_gt_f32_e64 s28, 0x33800000, v12
	s_delay_alu instid0(VALU_DEP_3) | instskip(NEXT) | instid1(VALU_DEP_2)
	v_add_f32_e32 v9, v9, v15
	s_or_b32 vcc_lo, s28, vcc_lo
	s_delay_alu instid0(VALU_DEP_1) | instskip(SKIP_1) | instid1(VALU_DEP_1)
	v_ldexp_f32 v9, v9, v14
	v_add_f32_e32 v14, -1.0, v13
	v_dual_add_f32 v15, -1.0, v17 :: v_dual_add_f32 v102, 1.0, v14
	s_delay_alu instid0(VALU_DEP_1) | instskip(NEXT) | instid1(VALU_DEP_2)
	v_sub_f32_e32 v15, v13, v15
	v_sub_f32_e32 v13, v13, v102
	s_delay_alu instid0(VALU_DEP_2) | instskip(NEXT) | instid1(VALU_DEP_2)
	v_add_f32_e32 v15, v9, v15
	v_add_f32_e32 v9, v9, v13
	s_delay_alu instid0(VALU_DEP_1) | instskip(NEXT) | instid1(VALU_DEP_1)
	v_dual_add_f32 v102, v17, v15 :: v_dual_add_f32 v103, v14, v9
	v_rcp_f32_e32 v13, v102
	s_delay_alu instid0(VALU_DEP_1) | instskip(NEXT) | instid1(VALU_DEP_1)
	v_dual_sub_f32 v17, v17, v102 :: v_dual_sub_f32 v14, v14, v103
	v_add_f32_e32 v15, v15, v17
	s_delay_alu instid0(VALU_DEP_2) | instskip(SKIP_2) | instid1(VALU_DEP_1)
	v_add_f32_e32 v9, v9, v14
	s_waitcnt_depctr 0xfff
	v_mul_f32_e32 v105, v103, v13
	v_mul_f32_e32 v106, v102, v105
	s_delay_alu instid0(VALU_DEP_1) | instskip(NEXT) | instid1(VALU_DEP_1)
	v_fma_f32 v17, v105, v102, -v106
	v_fmac_f32_e32 v17, v105, v15
	s_delay_alu instid0(VALU_DEP_1) | instskip(NEXT) | instid1(VALU_DEP_1)
	v_add_f32_e32 v107, v106, v17
	v_sub_f32_e32 v108, v103, v107
	v_sub_f32_e32 v14, v107, v106
	s_delay_alu instid0(VALU_DEP_1) | instskip(NEXT) | instid1(VALU_DEP_1)
	v_dual_sub_f32 v103, v103, v108 :: v_dual_sub_f32 v14, v14, v17
	v_sub_f32_e32 v103, v103, v107
	s_delay_alu instid0(VALU_DEP_1) | instskip(NEXT) | instid1(VALU_DEP_1)
	v_add_f32_e32 v9, v9, v103
	v_add_f32_e32 v9, v14, v9
	s_delay_alu instid0(VALU_DEP_1) | instskip(NEXT) | instid1(VALU_DEP_1)
	v_add_f32_e32 v14, v108, v9
	v_mul_f32_e32 v17, v13, v14
	v_sub_f32_e32 v107, v108, v14
	s_delay_alu instid0(VALU_DEP_2) | instskip(NEXT) | instid1(VALU_DEP_2)
	v_mul_f32_e32 v103, v102, v17
	v_add_f32_e32 v9, v9, v107
	s_delay_alu instid0(VALU_DEP_2) | instskip(NEXT) | instid1(VALU_DEP_1)
	v_fma_f32 v102, v17, v102, -v103
	v_fmac_f32_e32 v102, v17, v15
	s_delay_alu instid0(VALU_DEP_1) | instskip(NEXT) | instid1(VALU_DEP_1)
	v_add_f32_e32 v15, v103, v102
	v_sub_f32_e32 v106, v14, v15
	s_delay_alu instid0(VALU_DEP_1) | instskip(NEXT) | instid1(VALU_DEP_1)
	v_dual_sub_f32 v103, v15, v103 :: v_dual_sub_f32 v14, v14, v106
	v_dual_sub_f32 v14, v14, v15 :: v_dual_sub_f32 v15, v103, v102
	s_delay_alu instid0(VALU_DEP_1) | instskip(SKIP_1) | instid1(VALU_DEP_2)
	v_add_f32_e32 v9, v9, v14
	v_add_f32_e32 v14, v105, v17
	;; [unrolled: 1-line block ×3, first 2 shown]
	s_delay_alu instid0(VALU_DEP_2) | instskip(NEXT) | instid1(VALU_DEP_2)
	v_sub_f32_e32 v15, v14, v105
	v_add_f32_e32 v9, v106, v9
	s_delay_alu instid0(VALU_DEP_2) | instskip(NEXT) | instid1(VALU_DEP_2)
	v_sub_f32_e32 v15, v17, v15
	v_mul_f32_e32 v9, v13, v9
	s_delay_alu instid0(VALU_DEP_1) | instskip(NEXT) | instid1(VALU_DEP_1)
	v_add_f32_e32 v9, v15, v9
	v_add_f32_e32 v13, v14, v9
	s_delay_alu instid0(VALU_DEP_1) | instskip(NEXT) | instid1(VALU_DEP_1)
	v_mul_f32_e32 v15, v13, v13
	v_fmaak_f32 v17, s83, v15, 0x3ecc95a3
	s_delay_alu instid0(VALU_DEP_1) | instskip(SKIP_2) | instid1(VALU_DEP_3)
	v_dual_mul_f32 v102, v13, v15 :: v_dual_fmaak_f32 v15, v15, v17, 0x3f2aaada
	v_ldexp_f32 v17, v13, 1
	v_sub_f32_e32 v13, v13, v14
	v_dual_mul_f32 v15, v102, v15 :: v_dual_mul_f32 v102, 0x3f317218, v8
	s_delay_alu instid0(VALU_DEP_2) | instskip(NEXT) | instid1(VALU_DEP_2)
	v_sub_f32_e32 v9, v9, v13
	v_add_f32_e32 v14, v17, v15
	s_delay_alu instid0(VALU_DEP_2) | instskip(NEXT) | instid1(VALU_DEP_2)
	v_ldexp_f32 v9, v9, 1
	v_sub_f32_e32 v13, v14, v17
	v_fma_f32 v17, 0x3f317218, v8, -v102
	s_delay_alu instid0(VALU_DEP_2) | instskip(NEXT) | instid1(VALU_DEP_1)
	v_sub_f32_e32 v13, v15, v13
	v_dual_fmac_f32 v17, 0xb102e308, v8 :: v_dual_add_f32 v8, v9, v13
	s_delay_alu instid0(VALU_DEP_1) | instskip(NEXT) | instid1(VALU_DEP_1)
	v_add_f32_e32 v9, v102, v17
	v_dual_add_f32 v13, v14, v8 :: v_dual_sub_f32 v102, v9, v102
	s_delay_alu instid0(VALU_DEP_1) | instskip(SKIP_1) | instid1(VALU_DEP_3)
	v_add_f32_e32 v15, v9, v13
	v_sub_f32_e32 v14, v13, v14
	v_sub_f32_e32 v17, v17, v102
	s_delay_alu instid0(VALU_DEP_2) | instskip(NEXT) | instid1(VALU_DEP_1)
	v_dual_sub_f32 v103, v15, v9 :: v_dual_sub_f32 v8, v8, v14
	v_sub_f32_e32 v105, v15, v103
	v_sub_f32_e32 v13, v13, v103
	s_delay_alu instid0(VALU_DEP_3) | instskip(NEXT) | instid1(VALU_DEP_3)
	v_add_f32_e32 v14, v17, v8
	v_sub_f32_e32 v9, v9, v105
	s_delay_alu instid0(VALU_DEP_1) | instskip(NEXT) | instid1(VALU_DEP_3)
	v_add_f32_e32 v9, v13, v9
	v_sub_f32_e32 v13, v14, v17
	s_delay_alu instid0(VALU_DEP_2) | instskip(NEXT) | instid1(VALU_DEP_2)
	v_add_f32_e32 v9, v14, v9
	v_sub_f32_e32 v14, v14, v13
	v_sub_f32_e32 v8, v8, v13
	s_delay_alu instid0(VALU_DEP_3) | instskip(NEXT) | instid1(VALU_DEP_1)
	v_add_f32_e32 v102, v15, v9
	v_dual_sub_f32 v14, v17, v14 :: v_dual_sub_f32 v13, v102, v15
	s_delay_alu instid0(VALU_DEP_1) | instskip(NEXT) | instid1(VALU_DEP_1)
	v_dual_add_f32 v8, v8, v14 :: v_dual_sub_f32 v9, v9, v13
	v_add_f32_e32 v8, v8, v9
	s_delay_alu instid0(VALU_DEP_1) | instskip(NEXT) | instid1(VALU_DEP_1)
	v_add_f32_e32 v8, v102, v8
	v_cndmask_b32_e32 v122, v8, v12, vcc_lo
.LBB112_100:                            ;   in Loop: Header=BB112_12 Depth=1
	s_or_b32 exec_lo, exec_lo, s29
	v_lshrrev_b32_e32 v8, 16, v10
	s_delay_alu instid0(VALU_DEP_1) | instskip(NEXT) | instid1(VALU_DEP_1)
	v_cvt_f32_f16_e32 v8, v8
	v_add_f32_e32 v123, s66, v8
	s_delay_alu instid0(VALU_DEP_1) | instskip(SKIP_1) | instid1(SALU_CYCLE_1)
	v_cmp_ge_f32_e32 vcc_lo, 0x41a00000, v123
	s_and_b32 s28, s79, vcc_lo
	s_and_saveexec_b32 s29, s28
	s_cbranch_execz .LBB112_102
; %bb.101:                              ;   in Loop: Header=BB112_12 Depth=1
	v_mul_f32_e32 v8, 0x3fb8aa3b, v123
	v_cmp_ngt_f32_e32 vcc_lo, 0xc2ce8ed0, v123
	s_delay_alu instid0(VALU_DEP_2) | instskip(SKIP_1) | instid1(VALU_DEP_2)
	v_rndne_f32_e32 v9, v8
	v_fma_f32 v10, 0x3fb8aa3b, v123, -v8
	v_sub_f32_e32 v8, v8, v9
	s_delay_alu instid0(VALU_DEP_2) | instskip(SKIP_1) | instid1(VALU_DEP_2)
	v_fmac_f32_e32 v10, 0x32a5705f, v123
	v_cvt_i32_f32_e32 v9, v9
	v_add_f32_e32 v8, v8, v10
	s_delay_alu instid0(VALU_DEP_1) | instskip(SKIP_2) | instid1(VALU_DEP_1)
	v_exp_f32_e32 v8, v8
	s_waitcnt_depctr 0xfff
	v_ldexp_f32 v8, v8, v9
	v_cndmask_b32_e32 v8, 0, v8, vcc_lo
	v_cmp_nlt_f32_e32 vcc_lo, 0x42b17218, v123
	s_delay_alu instid0(VALU_DEP_2) | instskip(NEXT) | instid1(VALU_DEP_1)
	v_cndmask_b32_e32 v10, 0x7f800000, v8, vcc_lo
	v_add_f32_e32 v12, 1.0, v10
	s_delay_alu instid0(VALU_DEP_1) | instskip(NEXT) | instid1(VALU_DEP_1)
	v_cvt_f64_f32_e32 v[8:9], v12
	v_frexp_exp_i32_f64_e32 v8, v[8:9]
	v_frexp_mant_f32_e32 v9, v12
	s_delay_alu instid0(VALU_DEP_1) | instskip(SKIP_1) | instid1(VALU_DEP_1)
	v_cmp_gt_f32_e32 vcc_lo, 0x3f2aaaab, v9
	v_add_f32_e32 v9, -1.0, v12
	v_dual_sub_f32 v14, v9, v12 :: v_dual_sub_f32 v9, v10, v9
	v_subrev_co_ci_u32_e32 v8, vcc_lo, 0, v8, vcc_lo
	s_delay_alu instid0(VALU_DEP_1) | instskip(SKIP_1) | instid1(VALU_DEP_2)
	v_sub_nc_u32_e32 v13, 0, v8
	v_cvt_f32_i32_e32 v8, v8
	v_ldexp_f32 v12, v12, v13
	s_delay_alu instid0(VALU_DEP_1) | instskip(NEXT) | instid1(VALU_DEP_1)
	v_dual_add_f32 v14, 1.0, v14 :: v_dual_add_f32 v15, 1.0, v12
	v_add_f32_e32 v9, v9, v14
	s_delay_alu instid0(VALU_DEP_1) | instskip(NEXT) | instid1(VALU_DEP_3)
	v_ldexp_f32 v9, v9, v13
	v_dual_add_f32 v13, -1.0, v12 :: v_dual_add_f32 v14, -1.0, v15
	s_delay_alu instid0(VALU_DEP_1) | instskip(NEXT) | instid1(VALU_DEP_1)
	v_dual_add_f32 v17, 1.0, v13 :: v_dual_sub_f32 v14, v12, v14
	v_sub_f32_e32 v12, v12, v17
	s_delay_alu instid0(VALU_DEP_2) | instskip(NEXT) | instid1(VALU_DEP_2)
	v_add_f32_e32 v14, v9, v14
	v_add_f32_e32 v9, v9, v12
	s_delay_alu instid0(VALU_DEP_2) | instskip(SKIP_2) | instid1(VALU_DEP_3)
	v_add_f32_e32 v17, v15, v14
	v_cmp_eq_f32_e32 vcc_lo, 0x7f800000, v10
	v_cmp_gt_f32_e64 s28, 0x33800000, v10
	v_rcp_f32_e32 v12, v17
	v_sub_f32_e32 v15, v15, v17
	s_delay_alu instid0(VALU_DEP_2) | instskip(NEXT) | instid1(VALU_DEP_1)
	s_or_b32 vcc_lo, s28, vcc_lo
	v_add_f32_e32 v14, v14, v15
	v_add_f32_e32 v102, v13, v9
	s_waitcnt_depctr 0xfff
	v_mul_f32_e32 v103, v102, v12
	s_delay_alu instid0(VALU_DEP_1) | instskip(NEXT) | instid1(VALU_DEP_1)
	v_mul_f32_e32 v105, v17, v103
	v_fma_f32 v15, v103, v17, -v105
	s_delay_alu instid0(VALU_DEP_1) | instskip(SKIP_1) | instid1(VALU_DEP_2)
	v_fmac_f32_e32 v15, v103, v14
	v_sub_f32_e32 v13, v13, v102
	v_add_f32_e32 v106, v105, v15
	s_delay_alu instid0(VALU_DEP_2) | instskip(NEXT) | instid1(VALU_DEP_2)
	v_add_f32_e32 v9, v9, v13
	v_sub_f32_e32 v107, v102, v106
	v_sub_f32_e32 v13, v106, v105
	s_delay_alu instid0(VALU_DEP_2) | instskip(NEXT) | instid1(VALU_DEP_1)
	v_sub_f32_e32 v102, v102, v107
	v_dual_sub_f32 v13, v13, v15 :: v_dual_sub_f32 v102, v102, v106
	s_delay_alu instid0(VALU_DEP_1) | instskip(NEXT) | instid1(VALU_DEP_1)
	v_add_f32_e32 v9, v9, v102
	v_add_f32_e32 v9, v13, v9
	s_delay_alu instid0(VALU_DEP_1) | instskip(NEXT) | instid1(VALU_DEP_1)
	v_add_f32_e32 v13, v107, v9
	v_mul_f32_e32 v15, v12, v13
	v_sub_f32_e32 v106, v107, v13
	s_delay_alu instid0(VALU_DEP_2) | instskip(NEXT) | instid1(VALU_DEP_1)
	v_mul_f32_e32 v102, v17, v15
	v_fma_f32 v17, v15, v17, -v102
	s_delay_alu instid0(VALU_DEP_1) | instskip(NEXT) | instid1(VALU_DEP_1)
	v_fmac_f32_e32 v17, v15, v14
	v_add_f32_e32 v14, v102, v17
	s_delay_alu instid0(VALU_DEP_1) | instskip(SKIP_2) | instid1(VALU_DEP_3)
	v_sub_f32_e32 v105, v13, v14
	v_sub_f32_e32 v102, v14, v102
	v_add_f32_e32 v9, v9, v106
	v_sub_f32_e32 v13, v13, v105
	s_delay_alu instid0(VALU_DEP_1) | instskip(NEXT) | instid1(VALU_DEP_1)
	v_dual_sub_f32 v13, v13, v14 :: v_dual_sub_f32 v14, v102, v17
	v_add_f32_e32 v9, v9, v13
	v_add_f32_e32 v13, v103, v15
	s_delay_alu instid0(VALU_DEP_1) | instskip(NEXT) | instid1(VALU_DEP_1)
	v_dual_add_f32 v9, v14, v9 :: v_dual_sub_f32 v14, v13, v103
	v_dual_add_f32 v9, v105, v9 :: v_dual_sub_f32 v14, v15, v14
	s_delay_alu instid0(VALU_DEP_1) | instskip(NEXT) | instid1(VALU_DEP_1)
	v_mul_f32_e32 v9, v12, v9
	v_add_f32_e32 v9, v14, v9
	s_delay_alu instid0(VALU_DEP_1) | instskip(NEXT) | instid1(VALU_DEP_1)
	v_add_f32_e32 v12, v13, v9
	v_mul_f32_e32 v14, v12, v12
	s_delay_alu instid0(VALU_DEP_1) | instskip(NEXT) | instid1(VALU_DEP_1)
	v_fmaak_f32 v15, s83, v14, 0x3ecc95a3
	v_dual_mul_f32 v17, v12, v14 :: v_dual_fmaak_f32 v14, v14, v15, 0x3f2aaada
	v_ldexp_f32 v15, v12, 1
	s_delay_alu instid0(VALU_DEP_2) | instskip(SKIP_1) | instid1(VALU_DEP_2)
	v_mul_f32_e32 v14, v17, v14
	v_dual_sub_f32 v12, v12, v13 :: v_dual_mul_f32 v17, 0x3f317218, v8
	v_add_f32_e32 v13, v15, v14
	s_delay_alu instid0(VALU_DEP_2) | instskip(NEXT) | instid1(VALU_DEP_2)
	v_sub_f32_e32 v9, v9, v12
	v_sub_f32_e32 v12, v13, v15
	s_delay_alu instid0(VALU_DEP_4) | instskip(NEXT) | instid1(VALU_DEP_3)
	v_fma_f32 v15, 0x3f317218, v8, -v17
	v_ldexp_f32 v9, v9, 1
	s_delay_alu instid0(VALU_DEP_3) | instskip(NEXT) | instid1(VALU_DEP_3)
	v_sub_f32_e32 v12, v14, v12
	v_fmac_f32_e32 v15, 0xb102e308, v8
	s_delay_alu instid0(VALU_DEP_2) | instskip(NEXT) | instid1(VALU_DEP_1)
	v_add_f32_e32 v8, v9, v12
	v_add_f32_e32 v12, v13, v8
	s_delay_alu instid0(VALU_DEP_1) | instskip(NEXT) | instid1(VALU_DEP_1)
	v_sub_f32_e32 v13, v12, v13
	v_dual_sub_f32 v8, v8, v13 :: v_dual_add_f32 v9, v17, v15
	s_delay_alu instid0(VALU_DEP_1) | instskip(NEXT) | instid1(VALU_DEP_1)
	v_add_f32_e32 v14, v9, v12
	v_sub_f32_e32 v102, v14, v9
	s_delay_alu instid0(VALU_DEP_1) | instskip(NEXT) | instid1(VALU_DEP_1)
	v_dual_sub_f32 v17, v9, v17 :: v_dual_sub_f32 v12, v12, v102
	v_sub_f32_e32 v15, v15, v17
	s_delay_alu instid0(VALU_DEP_1) | instskip(SKIP_1) | instid1(VALU_DEP_1)
	v_add_f32_e32 v13, v15, v8
	v_sub_f32_e32 v103, v14, v102
	v_sub_f32_e32 v9, v9, v103
	s_delay_alu instid0(VALU_DEP_1) | instskip(NEXT) | instid1(VALU_DEP_1)
	v_dual_add_f32 v9, v12, v9 :: v_dual_sub_f32 v12, v13, v15
	v_add_f32_e32 v9, v13, v9
	s_delay_alu instid0(VALU_DEP_2) | instskip(NEXT) | instid1(VALU_DEP_2)
	v_sub_f32_e32 v13, v13, v12
	v_dual_sub_f32 v8, v8, v12 :: v_dual_add_f32 v17, v14, v9
	s_delay_alu instid0(VALU_DEP_1) | instskip(NEXT) | instid1(VALU_DEP_1)
	v_dual_sub_f32 v13, v15, v13 :: v_dual_sub_f32 v12, v17, v14
	v_dual_add_f32 v8, v8, v13 :: v_dual_sub_f32 v9, v9, v12
	s_delay_alu instid0(VALU_DEP_1) | instskip(NEXT) | instid1(VALU_DEP_1)
	v_add_f32_e32 v8, v8, v9
	v_add_f32_e32 v8, v17, v8
	s_delay_alu instid0(VALU_DEP_1)
	v_cndmask_b32_e32 v123, v8, v10, vcc_lo
.LBB112_102:                            ;   in Loop: Header=BB112_12 Depth=1
	s_or_b32 exec_lo, exec_lo, s29
	v_cvt_f32_f16_e32 v8, v11
	s_delay_alu instid0(VALU_DEP_1) | instskip(NEXT) | instid1(VALU_DEP_1)
	v_add_f32_e32 v124, s66, v8
	v_cmp_ge_f32_e32 vcc_lo, 0x41a00000, v124
	s_and_b32 s28, s79, vcc_lo
	s_delay_alu instid0(SALU_CYCLE_1)
	s_and_saveexec_b32 s29, s28
	s_cbranch_execz .LBB112_104
; %bb.103:                              ;   in Loop: Header=BB112_12 Depth=1
	v_mul_f32_e32 v8, 0x3fb8aa3b, v124
	v_cmp_ngt_f32_e32 vcc_lo, 0xc2ce8ed0, v124
	s_delay_alu instid0(VALU_DEP_2) | instskip(SKIP_1) | instid1(VALU_DEP_2)
	v_rndne_f32_e32 v9, v8
	v_fma_f32 v10, 0x3fb8aa3b, v124, -v8
	v_sub_f32_e32 v8, v8, v9
	s_delay_alu instid0(VALU_DEP_2) | instskip(SKIP_1) | instid1(VALU_DEP_2)
	v_fmac_f32_e32 v10, 0x32a5705f, v124
	v_cvt_i32_f32_e32 v9, v9
	v_add_f32_e32 v8, v8, v10
	s_delay_alu instid0(VALU_DEP_1) | instskip(SKIP_2) | instid1(VALU_DEP_1)
	v_exp_f32_e32 v8, v8
	s_waitcnt_depctr 0xfff
	v_ldexp_f32 v8, v8, v9
	v_cndmask_b32_e32 v8, 0, v8, vcc_lo
	v_cmp_nlt_f32_e32 vcc_lo, 0x42b17218, v124
	s_delay_alu instid0(VALU_DEP_2) | instskip(NEXT) | instid1(VALU_DEP_1)
	v_cndmask_b32_e32 v10, 0x7f800000, v8, vcc_lo
	v_add_f32_e32 v12, 1.0, v10
	s_delay_alu instid0(VALU_DEP_1) | instskip(NEXT) | instid1(VALU_DEP_1)
	v_cvt_f64_f32_e32 v[8:9], v12
	v_frexp_exp_i32_f64_e32 v8, v[8:9]
	v_frexp_mant_f32_e32 v9, v12
	s_delay_alu instid0(VALU_DEP_1) | instskip(SKIP_1) | instid1(VALU_DEP_1)
	v_cmp_gt_f32_e32 vcc_lo, 0x3f2aaaab, v9
	v_add_f32_e32 v9, -1.0, v12
	v_dual_sub_f32 v14, v9, v12 :: v_dual_sub_f32 v9, v10, v9
	v_subrev_co_ci_u32_e32 v8, vcc_lo, 0, v8, vcc_lo
	s_delay_alu instid0(VALU_DEP_1) | instskip(SKIP_1) | instid1(VALU_DEP_2)
	v_sub_nc_u32_e32 v13, 0, v8
	v_cvt_f32_i32_e32 v8, v8
	v_ldexp_f32 v12, v12, v13
	s_delay_alu instid0(VALU_DEP_1) | instskip(NEXT) | instid1(VALU_DEP_1)
	v_dual_add_f32 v14, 1.0, v14 :: v_dual_add_f32 v15, 1.0, v12
	v_add_f32_e32 v9, v9, v14
	s_delay_alu instid0(VALU_DEP_1) | instskip(NEXT) | instid1(VALU_DEP_3)
	v_ldexp_f32 v9, v9, v13
	v_dual_add_f32 v13, -1.0, v12 :: v_dual_add_f32 v14, -1.0, v15
	s_delay_alu instid0(VALU_DEP_1) | instskip(NEXT) | instid1(VALU_DEP_1)
	v_dual_add_f32 v17, 1.0, v13 :: v_dual_sub_f32 v14, v12, v14
	v_sub_f32_e32 v12, v12, v17
	s_delay_alu instid0(VALU_DEP_2) | instskip(NEXT) | instid1(VALU_DEP_2)
	v_add_f32_e32 v14, v9, v14
	v_add_f32_e32 v9, v9, v12
	s_delay_alu instid0(VALU_DEP_2) | instskip(SKIP_2) | instid1(VALU_DEP_3)
	v_add_f32_e32 v17, v15, v14
	v_cmp_eq_f32_e32 vcc_lo, 0x7f800000, v10
	v_cmp_gt_f32_e64 s28, 0x33800000, v10
	v_rcp_f32_e32 v12, v17
	v_sub_f32_e32 v15, v15, v17
	s_delay_alu instid0(VALU_DEP_2) | instskip(NEXT) | instid1(VALU_DEP_1)
	s_or_b32 vcc_lo, s28, vcc_lo
	v_add_f32_e32 v14, v14, v15
	v_add_f32_e32 v102, v13, v9
	s_waitcnt_depctr 0xfff
	v_mul_f32_e32 v103, v102, v12
	s_delay_alu instid0(VALU_DEP_1) | instskip(NEXT) | instid1(VALU_DEP_1)
	v_mul_f32_e32 v105, v17, v103
	v_fma_f32 v15, v103, v17, -v105
	s_delay_alu instid0(VALU_DEP_1) | instskip(SKIP_1) | instid1(VALU_DEP_2)
	v_fmac_f32_e32 v15, v103, v14
	v_sub_f32_e32 v13, v13, v102
	v_add_f32_e32 v106, v105, v15
	s_delay_alu instid0(VALU_DEP_2) | instskip(NEXT) | instid1(VALU_DEP_2)
	v_add_f32_e32 v9, v9, v13
	v_sub_f32_e32 v107, v102, v106
	v_sub_f32_e32 v13, v106, v105
	s_delay_alu instid0(VALU_DEP_2) | instskip(NEXT) | instid1(VALU_DEP_1)
	v_sub_f32_e32 v102, v102, v107
	v_dual_sub_f32 v13, v13, v15 :: v_dual_sub_f32 v102, v102, v106
	s_delay_alu instid0(VALU_DEP_1) | instskip(NEXT) | instid1(VALU_DEP_1)
	v_add_f32_e32 v9, v9, v102
	v_add_f32_e32 v9, v13, v9
	s_delay_alu instid0(VALU_DEP_1) | instskip(NEXT) | instid1(VALU_DEP_1)
	v_add_f32_e32 v13, v107, v9
	v_mul_f32_e32 v15, v12, v13
	v_sub_f32_e32 v106, v107, v13
	s_delay_alu instid0(VALU_DEP_2) | instskip(NEXT) | instid1(VALU_DEP_1)
	v_mul_f32_e32 v102, v17, v15
	v_fma_f32 v17, v15, v17, -v102
	s_delay_alu instid0(VALU_DEP_1) | instskip(NEXT) | instid1(VALU_DEP_1)
	v_fmac_f32_e32 v17, v15, v14
	v_add_f32_e32 v14, v102, v17
	s_delay_alu instid0(VALU_DEP_1) | instskip(SKIP_2) | instid1(VALU_DEP_3)
	v_sub_f32_e32 v105, v13, v14
	v_sub_f32_e32 v102, v14, v102
	v_add_f32_e32 v9, v9, v106
	v_sub_f32_e32 v13, v13, v105
	s_delay_alu instid0(VALU_DEP_1) | instskip(NEXT) | instid1(VALU_DEP_1)
	v_dual_sub_f32 v13, v13, v14 :: v_dual_sub_f32 v14, v102, v17
	v_add_f32_e32 v9, v9, v13
	v_add_f32_e32 v13, v103, v15
	s_delay_alu instid0(VALU_DEP_1) | instskip(NEXT) | instid1(VALU_DEP_1)
	v_dual_add_f32 v9, v14, v9 :: v_dual_sub_f32 v14, v13, v103
	v_dual_add_f32 v9, v105, v9 :: v_dual_sub_f32 v14, v15, v14
	s_delay_alu instid0(VALU_DEP_1) | instskip(NEXT) | instid1(VALU_DEP_1)
	v_mul_f32_e32 v9, v12, v9
	v_add_f32_e32 v9, v14, v9
	s_delay_alu instid0(VALU_DEP_1) | instskip(NEXT) | instid1(VALU_DEP_1)
	v_add_f32_e32 v12, v13, v9
	v_mul_f32_e32 v14, v12, v12
	s_delay_alu instid0(VALU_DEP_1) | instskip(NEXT) | instid1(VALU_DEP_1)
	v_fmaak_f32 v15, s83, v14, 0x3ecc95a3
	v_dual_mul_f32 v17, v12, v14 :: v_dual_fmaak_f32 v14, v14, v15, 0x3f2aaada
	v_ldexp_f32 v15, v12, 1
	s_delay_alu instid0(VALU_DEP_2) | instskip(SKIP_1) | instid1(VALU_DEP_2)
	v_mul_f32_e32 v14, v17, v14
	v_dual_sub_f32 v12, v12, v13 :: v_dual_mul_f32 v17, 0x3f317218, v8
	v_add_f32_e32 v13, v15, v14
	s_delay_alu instid0(VALU_DEP_2) | instskip(NEXT) | instid1(VALU_DEP_2)
	v_sub_f32_e32 v9, v9, v12
	v_sub_f32_e32 v12, v13, v15
	s_delay_alu instid0(VALU_DEP_4) | instskip(NEXT) | instid1(VALU_DEP_3)
	v_fma_f32 v15, 0x3f317218, v8, -v17
	v_ldexp_f32 v9, v9, 1
	s_delay_alu instid0(VALU_DEP_3) | instskip(NEXT) | instid1(VALU_DEP_3)
	v_sub_f32_e32 v12, v14, v12
	v_fmac_f32_e32 v15, 0xb102e308, v8
	s_delay_alu instid0(VALU_DEP_2) | instskip(NEXT) | instid1(VALU_DEP_1)
	v_add_f32_e32 v8, v9, v12
	v_add_f32_e32 v12, v13, v8
	s_delay_alu instid0(VALU_DEP_1) | instskip(NEXT) | instid1(VALU_DEP_1)
	v_sub_f32_e32 v13, v12, v13
	v_dual_sub_f32 v8, v8, v13 :: v_dual_add_f32 v9, v17, v15
	s_delay_alu instid0(VALU_DEP_1) | instskip(NEXT) | instid1(VALU_DEP_1)
	v_add_f32_e32 v14, v9, v12
	v_sub_f32_e32 v102, v14, v9
	s_delay_alu instid0(VALU_DEP_1) | instskip(NEXT) | instid1(VALU_DEP_1)
	v_dual_sub_f32 v17, v9, v17 :: v_dual_sub_f32 v12, v12, v102
	v_sub_f32_e32 v15, v15, v17
	s_delay_alu instid0(VALU_DEP_1) | instskip(SKIP_1) | instid1(VALU_DEP_1)
	v_add_f32_e32 v13, v15, v8
	v_sub_f32_e32 v103, v14, v102
	v_sub_f32_e32 v9, v9, v103
	s_delay_alu instid0(VALU_DEP_1) | instskip(NEXT) | instid1(VALU_DEP_1)
	v_dual_add_f32 v9, v12, v9 :: v_dual_sub_f32 v12, v13, v15
	v_add_f32_e32 v9, v13, v9
	s_delay_alu instid0(VALU_DEP_2) | instskip(NEXT) | instid1(VALU_DEP_2)
	v_sub_f32_e32 v13, v13, v12
	v_dual_sub_f32 v8, v8, v12 :: v_dual_add_f32 v17, v14, v9
	s_delay_alu instid0(VALU_DEP_1) | instskip(NEXT) | instid1(VALU_DEP_1)
	v_dual_sub_f32 v13, v15, v13 :: v_dual_sub_f32 v12, v17, v14
	v_dual_add_f32 v8, v8, v13 :: v_dual_sub_f32 v9, v9, v12
	s_delay_alu instid0(VALU_DEP_1) | instskip(NEXT) | instid1(VALU_DEP_1)
	v_add_f32_e32 v8, v8, v9
	v_add_f32_e32 v8, v17, v8
	s_delay_alu instid0(VALU_DEP_1)
	v_cndmask_b32_e32 v124, v8, v10, vcc_lo
.LBB112_104:                            ;   in Loop: Header=BB112_12 Depth=1
	s_or_b32 exec_lo, exec_lo, s29
	v_lshrrev_b32_e32 v8, 16, v11
	s_delay_alu instid0(VALU_DEP_1) | instskip(NEXT) | instid1(VALU_DEP_1)
	v_cvt_f32_f16_e32 v8, v8
	v_add_f32_e32 v125, s66, v8
	s_delay_alu instid0(VALU_DEP_1) | instskip(SKIP_1) | instid1(SALU_CYCLE_1)
	v_cmp_ge_f32_e32 vcc_lo, 0x41a00000, v125
	s_and_b32 s28, s79, vcc_lo
	s_and_saveexec_b32 s29, s28
	s_cbranch_execz .LBB112_106
; %bb.105:                              ;   in Loop: Header=BB112_12 Depth=1
	v_mul_f32_e32 v8, 0x3fb8aa3b, v125
	v_cmp_ngt_f32_e32 vcc_lo, 0xc2ce8ed0, v125
	s_delay_alu instid0(VALU_DEP_2) | instskip(SKIP_1) | instid1(VALU_DEP_2)
	v_rndne_f32_e32 v9, v8
	v_fma_f32 v10, 0x3fb8aa3b, v125, -v8
	v_sub_f32_e32 v8, v8, v9
	s_delay_alu instid0(VALU_DEP_2) | instskip(SKIP_1) | instid1(VALU_DEP_2)
	v_fmac_f32_e32 v10, 0x32a5705f, v125
	v_cvt_i32_f32_e32 v9, v9
	v_add_f32_e32 v8, v8, v10
	s_delay_alu instid0(VALU_DEP_1) | instskip(SKIP_2) | instid1(VALU_DEP_1)
	v_exp_f32_e32 v8, v8
	s_waitcnt_depctr 0xfff
	v_ldexp_f32 v8, v8, v9
	v_cndmask_b32_e32 v8, 0, v8, vcc_lo
	v_cmp_nlt_f32_e32 vcc_lo, 0x42b17218, v125
	s_delay_alu instid0(VALU_DEP_2) | instskip(NEXT) | instid1(VALU_DEP_1)
	v_cndmask_b32_e32 v10, 0x7f800000, v8, vcc_lo
	v_add_f32_e32 v11, 1.0, v10
	s_delay_alu instid0(VALU_DEP_1) | instskip(NEXT) | instid1(VALU_DEP_1)
	v_cvt_f64_f32_e32 v[8:9], v11
	v_frexp_exp_i32_f64_e32 v8, v[8:9]
	v_frexp_mant_f32_e32 v9, v11
	s_delay_alu instid0(VALU_DEP_1) | instskip(SKIP_1) | instid1(VALU_DEP_1)
	v_cmp_gt_f32_e32 vcc_lo, 0x3f2aaaab, v9
	v_add_f32_e32 v9, -1.0, v11
	v_sub_f32_e32 v13, v9, v11
	v_sub_f32_e32 v9, v10, v9
	s_delay_alu instid0(VALU_DEP_2) | instskip(NEXT) | instid1(VALU_DEP_1)
	v_add_f32_e32 v13, 1.0, v13
	v_add_f32_e32 v9, v9, v13
	v_cmp_gt_f32_e64 s28, 0x33800000, v10
	v_subrev_co_ci_u32_e32 v8, vcc_lo, 0, v8, vcc_lo
	v_cmp_eq_f32_e32 vcc_lo, 0x7f800000, v10
	s_delay_alu instid0(VALU_DEP_2) | instskip(SKIP_2) | instid1(VALU_DEP_2)
	v_sub_nc_u32_e32 v12, 0, v8
	v_cvt_f32_i32_e32 v8, v8
	s_or_b32 vcc_lo, s28, vcc_lo
	v_ldexp_f32 v11, v11, v12
	v_ldexp_f32 v9, v9, v12
	s_delay_alu instid0(VALU_DEP_2) | instskip(NEXT) | instid1(VALU_DEP_1)
	v_add_f32_e32 v14, 1.0, v11
	v_dual_add_f32 v12, -1.0, v11 :: v_dual_add_f32 v13, -1.0, v14
	s_delay_alu instid0(VALU_DEP_1) | instskip(NEXT) | instid1(VALU_DEP_2)
	v_add_f32_e32 v15, 1.0, v12
	v_sub_f32_e32 v13, v11, v13
	s_delay_alu instid0(VALU_DEP_2) | instskip(NEXT) | instid1(VALU_DEP_2)
	v_sub_f32_e32 v11, v11, v15
	v_add_f32_e32 v13, v9, v13
	s_delay_alu instid0(VALU_DEP_2) | instskip(NEXT) | instid1(VALU_DEP_2)
	v_add_f32_e32 v9, v9, v11
	v_add_f32_e32 v15, v14, v13
	s_delay_alu instid0(VALU_DEP_1) | instskip(NEXT) | instid1(VALU_DEP_2)
	v_rcp_f32_e32 v11, v15
	v_dual_add_f32 v17, v12, v9 :: v_dual_sub_f32 v14, v14, v15
	s_delay_alu instid0(VALU_DEP_1) | instskip(SKIP_2) | instid1(VALU_DEP_1)
	v_dual_sub_f32 v12, v12, v17 :: v_dual_add_f32 v13, v13, v14
	s_waitcnt_depctr 0xfff
	v_mul_f32_e32 v102, v17, v11
	v_mul_f32_e32 v103, v15, v102
	s_delay_alu instid0(VALU_DEP_1) | instskip(NEXT) | instid1(VALU_DEP_1)
	v_fma_f32 v14, v102, v15, -v103
	v_dual_fmac_f32 v14, v102, v13 :: v_dual_add_f32 v9, v9, v12
	s_delay_alu instid0(VALU_DEP_1) | instskip(NEXT) | instid1(VALU_DEP_1)
	v_add_f32_e32 v105, v103, v14
	v_sub_f32_e32 v106, v17, v105
	v_sub_f32_e32 v12, v105, v103
	s_delay_alu instid0(VALU_DEP_2) | instskip(NEXT) | instid1(VALU_DEP_1)
	v_sub_f32_e32 v17, v17, v106
	v_dual_sub_f32 v12, v12, v14 :: v_dual_sub_f32 v17, v17, v105
	s_delay_alu instid0(VALU_DEP_1) | instskip(NEXT) | instid1(VALU_DEP_1)
	v_add_f32_e32 v9, v9, v17
	v_add_f32_e32 v9, v12, v9
	s_delay_alu instid0(VALU_DEP_1) | instskip(NEXT) | instid1(VALU_DEP_1)
	v_add_f32_e32 v12, v106, v9
	v_mul_f32_e32 v14, v11, v12
	v_sub_f32_e32 v105, v106, v12
	s_delay_alu instid0(VALU_DEP_2) | instskip(NEXT) | instid1(VALU_DEP_2)
	v_mul_f32_e32 v17, v15, v14
	v_add_f32_e32 v9, v9, v105
	s_delay_alu instid0(VALU_DEP_2) | instskip(NEXT) | instid1(VALU_DEP_1)
	v_fma_f32 v15, v14, v15, -v17
	v_fmac_f32_e32 v15, v14, v13
	s_delay_alu instid0(VALU_DEP_1) | instskip(NEXT) | instid1(VALU_DEP_1)
	v_add_f32_e32 v13, v17, v15
	v_sub_f32_e32 v103, v12, v13
	s_delay_alu instid0(VALU_DEP_1) | instskip(NEXT) | instid1(VALU_DEP_1)
	v_dual_sub_f32 v17, v13, v17 :: v_dual_sub_f32 v12, v12, v103
	v_dual_sub_f32 v12, v12, v13 :: v_dual_sub_f32 v13, v17, v15
	s_delay_alu instid0(VALU_DEP_1) | instskip(NEXT) | instid1(VALU_DEP_1)
	v_dual_add_f32 v9, v9, v12 :: v_dual_add_f32 v12, v102, v14
	v_add_f32_e32 v9, v13, v9
	s_delay_alu instid0(VALU_DEP_2) | instskip(NEXT) | instid1(VALU_DEP_2)
	v_sub_f32_e32 v13, v12, v102
	v_add_f32_e32 v9, v103, v9
	s_delay_alu instid0(VALU_DEP_2) | instskip(NEXT) | instid1(VALU_DEP_2)
	v_sub_f32_e32 v13, v14, v13
	v_mul_f32_e32 v9, v11, v9
	s_delay_alu instid0(VALU_DEP_1) | instskip(NEXT) | instid1(VALU_DEP_1)
	v_add_f32_e32 v9, v13, v9
	v_add_f32_e32 v11, v12, v9
	s_delay_alu instid0(VALU_DEP_1) | instskip(NEXT) | instid1(VALU_DEP_1)
	v_mul_f32_e32 v13, v11, v11
	v_fmaak_f32 v14, s83, v13, 0x3ecc95a3
	v_mul_f32_e32 v15, v11, v13
	s_delay_alu instid0(VALU_DEP_2) | instskip(SKIP_2) | instid1(VALU_DEP_3)
	v_fmaak_f32 v13, v13, v14, 0x3f2aaada
	v_ldexp_f32 v14, v11, 1
	v_sub_f32_e32 v11, v11, v12
	v_mul_f32_e32 v13, v15, v13
	v_mul_f32_e32 v15, 0x3f317218, v8
	s_delay_alu instid0(VALU_DEP_2) | instskip(NEXT) | instid1(VALU_DEP_1)
	v_dual_sub_f32 v9, v9, v11 :: v_dual_add_f32 v12, v14, v13
	v_ldexp_f32 v9, v9, 1
	s_delay_alu instid0(VALU_DEP_2) | instskip(NEXT) | instid1(VALU_DEP_4)
	v_sub_f32_e32 v11, v12, v14
	v_fma_f32 v14, 0x3f317218, v8, -v15
	s_delay_alu instid0(VALU_DEP_1) | instskip(NEXT) | instid1(VALU_DEP_1)
	v_dual_sub_f32 v11, v13, v11 :: v_dual_fmac_f32 v14, 0xb102e308, v8
	v_dual_add_f32 v8, v9, v11 :: v_dual_add_f32 v9, v15, v14
	s_delay_alu instid0(VALU_DEP_1) | instskip(NEXT) | instid1(VALU_DEP_2)
	v_add_f32_e32 v11, v12, v8
	v_sub_f32_e32 v15, v9, v15
	s_delay_alu instid0(VALU_DEP_2) | instskip(NEXT) | instid1(VALU_DEP_1)
	v_dual_add_f32 v13, v9, v11 :: v_dual_sub_f32 v12, v11, v12
	v_dual_sub_f32 v14, v14, v15 :: v_dual_sub_f32 v17, v13, v9
	s_delay_alu instid0(VALU_DEP_2) | instskip(NEXT) | instid1(VALU_DEP_2)
	v_sub_f32_e32 v8, v8, v12
	v_sub_f32_e32 v102, v13, v17
	s_delay_alu instid0(VALU_DEP_2) | instskip(NEXT) | instid1(VALU_DEP_2)
	v_dual_sub_f32 v11, v11, v17 :: v_dual_add_f32 v12, v14, v8
	v_sub_f32_e32 v9, v9, v102
	s_delay_alu instid0(VALU_DEP_1) | instskip(NEXT) | instid1(VALU_DEP_3)
	v_add_f32_e32 v9, v11, v9
	v_sub_f32_e32 v11, v12, v14
	s_delay_alu instid0(VALU_DEP_2) | instskip(NEXT) | instid1(VALU_DEP_2)
	v_add_f32_e32 v9, v12, v9
	v_sub_f32_e32 v12, v12, v11
	s_delay_alu instid0(VALU_DEP_2) | instskip(NEXT) | instid1(VALU_DEP_1)
	v_dual_sub_f32 v8, v8, v11 :: v_dual_add_f32 v15, v13, v9
	v_dual_sub_f32 v12, v14, v12 :: v_dual_sub_f32 v11, v15, v13
	s_delay_alu instid0(VALU_DEP_1) | instskip(NEXT) | instid1(VALU_DEP_1)
	v_dual_add_f32 v8, v8, v12 :: v_dual_sub_f32 v9, v9, v11
	v_add_f32_e32 v8, v8, v9
	s_delay_alu instid0(VALU_DEP_1) | instskip(NEXT) | instid1(VALU_DEP_1)
	v_add_f32_e32 v8, v15, v8
	v_cndmask_b32_e32 v125, v8, v10, vcc_lo
.LBB112_106:                            ;   in Loop: Header=BB112_12 Depth=1
	s_or_b32 exec_lo, exec_lo, s29
	v_lshrrev_b32_e32 v9, 16, v6
	v_lshrrev_b32_e32 v10, 16, v7
	;; [unrolled: 1-line block ×6, first 2 shown]
	v_cvt_f32_f16_e32 v8, v7
	v_cvt_f32_f16_e32 v7, v9
	;; [unrolled: 1-line block ×7, first 2 shown]
	v_lshrrev_b32_e32 v14, 16, v1
	v_lshrrev_b32_e32 v15, 16, v0
	v_cvt_f32_f16_e32 v6, v6
	v_cvt_f32_f16_e32 v5, v5
	;; [unrolled: 1-line block ×9, first 2 shown]
	v_dual_mul_f32 v106, s67, v8 :: v_dual_mul_f32 v107, s67, v6
	v_dual_mul_f32 v102, s67, v7 :: v_dual_mul_f32 v103, s67, v9
	;; [unrolled: 1-line block ×7, first 2 shown]
	v_mul_f32_e32 v113, s67, v15
	v_mul_f32_e32 v112, s67, v11
	s_and_b32 vcc_lo, exec_lo, s80
	s_barrier
	buffer_gl0_inv
	s_cbranch_vccz .LBB112_202
; %bb.107:                              ;   in Loop: Header=BB112_12 Depth=1
	v_dual_mul_f32 v126, v125, v11 :: v_dual_mul_f32 v131, v124, v8
	v_add_co_u32 v11, s28, s61, v16
	s_delay_alu instid0(VALU_DEP_1) | instskip(SKIP_1) | instid1(VALU_DEP_1)
	v_add_co_ci_u32_e64 v17, null, s62, 0, s28
	v_add_co_u32 v16, s28, s49, v16
	v_add_co_ci_u32_e64 v130, null, s73, 0, s28
	s_delay_alu instid0(VALU_DEP_4) | instskip(NEXT) | instid1(VALU_DEP_4)
	v_add_co_u32 v127, vcc_lo, v11, v93
	v_add_co_ci_u32_e32 v128, vcc_lo, 0, v17, vcc_lo
	s_delay_alu instid0(VALU_DEP_4) | instskip(NEXT) | instid1(VALU_DEP_4)
	v_add_co_u32 v129, vcc_lo, v16, v93
	v_add_co_ci_u32_e32 v130, vcc_lo, 0, v130, vcc_lo
	v_cmp_gt_u32_e32 vcc_lo, s40, v18
	s_cmp_lg_u32 s87, 0
	v_cmp_gt_u32_e64 s30, s40, v79
	s_cselect_b32 s51, -1, 0
	s_cmp_eq_u32 s87, s82
	v_cmp_gt_u32_e64 s31, s40, v80
	s_cselect_b32 s88, -1, 0
	s_or_b32 s28, s81, vcc_lo
	v_cmp_gt_u32_e32 vcc_lo, s40, v78
	v_cmp_gt_u32_e64 s33, s40, v81
	v_cmp_gt_u32_e64 s34, s40, v82
	;; [unrolled: 1-line block ×4, first 2 shown]
	s_or_b32 s29, s81, vcc_lo
	v_cmp_gt_u32_e32 vcc_lo, s40, v83
	v_cmp_gt_u32_e64 s38, s40, v86
	v_cmp_gt_u32_e64 s39, s40, v87
	;; [unrolled: 1-line block ×4, first 2 shown]
	s_or_b32 s35, s81, vcc_lo
	v_cmp_gt_u32_e32 vcc_lo, s40, v88
	v_cmp_gt_u32_e64 s43, s40, v91
	v_cmp_gt_u32_e64 s44, s40, v92
	v_dual_mul_f32 v132, v123, v7 :: v_dual_mul_f32 v133, v122, v6
	v_dual_mul_f32 v134, v121, v9 :: v_dual_mul_f32 v137, v104, v4
	;; [unrolled: 1-line block ×7, first 2 shown]
	s_mov_b32 s64, 0
	s_or_b32 s30, s81, s30
	s_or_b32 s31, s81, s31
	;; [unrolled: 1-line block ×8, first 2 shown]
	s_or_b32 s40, s81, vcc_lo
	s_or_b32 s41, s81, s41
	s_or_b32 s42, s81, s42
	;; [unrolled: 1-line block ×4, first 2 shown]
	s_mov_b32 s52, s64
	s_mov_b32 s54, s64
	s_mov_b32 s58, s64
	s_mov_b32 s89, s77
	s_mov_b32 s90, s84
	s_branch .LBB112_109
.LBB112_108:                            ;   in Loop: Header=BB112_109 Depth=2
	s_or_b32 exec_lo, exec_lo, s45
	v_cndmask_b32_e64 v9, v175, v11, s11
	v_cndmask_b32_e64 v10, v174, v10, s11
	s_add_i32 s89, s89, -1
	s_add_i32 s90, s90, 8
	s_add_i32 s58, s58, s74
	v_fma_f32 v9, v9, v146, v15
	v_mul_f32_e32 v10, v10, v146
	s_add_i32 s54, s54, s48
	s_add_i32 s52, s52, s60
	s_add_i32 s64, s64, s57
	v_cndmask_b32_e64 v9, v9, v15, s10
	v_cndmask_b32_e64 v10, v10, v146, s10
	s_cmp_eq_u32 s89, 0
	s_waitcnt lgkmcnt(0)
	s_delay_alu instid0(VALU_DEP_1) | instskip(NEXT) | instid1(VALU_DEP_1)
	v_fmac_f32_e32 v9, v8, v10
	v_fmac_f32_e32 v12, v9, v148
	s_delay_alu instid0(VALU_DEP_1) | instskip(NEXT) | instid1(VALU_DEP_1)
	v_fmac_f32_e32 v13, v12, v150
	v_fmac_f32_e32 v14, v13, v152
	v_fma_mix_f32 v120, v9, v4, v120 op_sel_hi:[0,1,0]
	s_delay_alu instid0(VALU_DEP_2) | instskip(SKIP_2) | instid1(VALU_DEP_3)
	v_fmac_f32_e32 v147, v14, v154
	v_fma_mix_f32 v113, v12, v4, v113 op_sel:[0,1,0] op_sel_hi:[0,1,0]
	v_fma_mix_f32 v114, v14, v5, v114 op_sel:[0,1,0] op_sel_hi:[0,1,0]
	v_fmac_f32_e32 v149, v147, v155
	v_fma_mix_f32 v117, v147, v6, v117 op_sel_hi:[0,1,0]
	s_delay_alu instid0(VALU_DEP_2) | instskip(SKIP_1) | instid1(VALU_DEP_2)
	v_fmac_f32_e32 v151, v149, v157
	v_fma_mix_f32 v110, v149, v6, v110 op_sel:[0,1,0] op_sel_hi:[0,1,0]
	v_fmac_f32_e32 v153, v151, v160
	s_delay_alu instid0(VALU_DEP_1) | instskip(SKIP_1) | instid1(VALU_DEP_2)
	v_fmac_f32_e32 v156, v153, v161
	v_fma_mix_f32 v119, v13, v5, v119 op_sel_hi:[0,1,0]
	v_fmac_f32_e32 v158, v156, v162
	v_fma_mix_f32 v116, v151, v7, v116 op_sel_hi:[0,1,0]
	v_fma_mix_f32 v111, v156, v0, v111 op_sel_hi:[0,1,0]
	s_delay_alu instid0(VALU_DEP_3) | instskip(SKIP_1) | instid1(VALU_DEP_2)
	v_fmac_f32_e32 v159, v158, v163
	v_fma_mix_f32 v105, v158, v0, v105 op_sel:[0,1,0] op_sel_hi:[0,1,0]
	v_fmac_f32_e32 v164, v159, v170
	v_fma_mix_f32 v108, v159, v1, v108 op_sel_hi:[0,1,0]
	s_delay_alu instid0(VALU_DEP_2) | instskip(NEXT) | instid1(VALU_DEP_1)
	v_fmac_f32_e32 v165, v164, v167
	v_fmac_f32_e32 v166, v165, v169
	v_fma_mix_f32 v109, v153, v7, v109 op_sel:[0,1,0] op_sel_hi:[0,1,0]
	s_delay_alu instid0(VALU_DEP_2) | instskip(SKIP_2) | instid1(VALU_DEP_3)
	v_fmac_f32_e32 v168, v166, v172
	v_fma_mix_f32 v107, v165, v2, v107 op_sel_hi:[0,1,0]
	v_fma_mix_f32 v102, v166, v2, v102 op_sel:[0,1,0] op_sel_hi:[0,1,0]
	v_fmac_f32_e32 v171, v168, v173
	v_fma_mix_f32 v103, v164, v1, v103 op_sel:[0,1,0] op_sel_hi:[0,1,0]
	v_fma_mix_f32 v106, v168, v3, v106 op_sel_hi:[0,1,0]
	s_delay_alu instid0(VALU_DEP_3)
	v_fma_mix_f32 v112, v171, v3, v112 op_sel:[0,1,0] op_sel_hi:[0,1,0]
	s_cbranch_scc1 .LBB112_202
.LBB112_109:                            ;   Parent Loop BB112_12 Depth=1
                                        ; =>  This Inner Loop Header: Depth=2
	s_lshl_b64 s[92:93], s[64:65], 2
	s_mov_b32 s53, s65
	s_add_u32 s92, s71, s92
	s_addc_u32 s93, s72, s93
	v_dual_mov_b32 v2, 0 :: v_dual_mov_b32 v3, 0
	global_load_b32 v146, v21, s[92:93]
	s_lshl_b64 s[92:93], s[52:53], 1
	s_delay_alu instid0(SALU_CYCLE_1)
	v_add_co_u32 v0, vcc_lo, v127, s92
	v_add_co_ci_u32_e32 v1, vcc_lo, s93, v128, vcc_lo
	s_and_saveexec_b32 s45, s12
	s_cbranch_execnz .LBB112_145
; %bb.110:                              ;   in Loop: Header=BB112_109 Depth=2
	s_or_b32 exec_lo, exec_lo, s45
	s_and_saveexec_b32 s45, s13
	s_cbranch_execnz .LBB112_146
.LBB112_111:                            ;   in Loop: Header=BB112_109 Depth=2
	s_or_b32 exec_lo, exec_lo, s45
	v_mov_b32_e32 v4, 0
	s_and_saveexec_b32 s45, s14
	s_cbranch_execnz .LBB112_147
.LBB112_112:                            ;   in Loop: Header=BB112_109 Depth=2
	s_or_b32 exec_lo, exec_lo, s45
	s_and_saveexec_b32 s45, s15
	s_cbranch_execnz .LBB112_148
.LBB112_113:                            ;   in Loop: Header=BB112_109 Depth=2
	s_or_b32 exec_lo, exec_lo, s45
	v_mov_b32_e32 v5, 0
	s_and_saveexec_b32 s45, s16
	s_cbranch_execnz .LBB112_149
.LBB112_114:                            ;   in Loop: Header=BB112_109 Depth=2
	s_or_b32 exec_lo, exec_lo, s45
	s_and_saveexec_b32 s45, s17
	s_cbranch_execnz .LBB112_150
.LBB112_115:                            ;   in Loop: Header=BB112_109 Depth=2
	s_or_b32 exec_lo, exec_lo, s45
	v_mov_b32_e32 v6, 0
	s_and_saveexec_b32 s45, s18
	s_cbranch_execnz .LBB112_151
.LBB112_116:                            ;   in Loop: Header=BB112_109 Depth=2
	s_or_b32 exec_lo, exec_lo, s45
	s_and_saveexec_b32 s45, s19
	s_cbranch_execnz .LBB112_152
.LBB112_117:                            ;   in Loop: Header=BB112_109 Depth=2
	s_or_b32 exec_lo, exec_lo, s45
	v_mov_b32_e32 v7, 0
	s_and_saveexec_b32 s45, s20
	s_cbranch_execnz .LBB112_153
.LBB112_118:                            ;   in Loop: Header=BB112_109 Depth=2
	s_or_b32 exec_lo, exec_lo, s45
	s_and_saveexec_b32 s45, s21
	s_cbranch_execnz .LBB112_154
.LBB112_119:                            ;   in Loop: Header=BB112_109 Depth=2
	s_or_b32 exec_lo, exec_lo, s45
	v_mov_b32_e32 v8, 0
	s_and_saveexec_b32 s45, s22
	s_cbranch_execnz .LBB112_155
.LBB112_120:                            ;   in Loop: Header=BB112_109 Depth=2
	s_or_b32 exec_lo, exec_lo, s45
	s_and_saveexec_b32 s45, s23
	s_cbranch_execnz .LBB112_156
.LBB112_121:                            ;   in Loop: Header=BB112_109 Depth=2
	s_or_b32 exec_lo, exec_lo, s45
	v_mov_b32_e32 v9, 0
	s_and_saveexec_b32 s45, s24
	s_cbranch_execnz .LBB112_157
.LBB112_122:                            ;   in Loop: Header=BB112_109 Depth=2
	s_or_b32 exec_lo, exec_lo, s45
	s_and_saveexec_b32 s45, s25
	s_cbranch_execnz .LBB112_158
.LBB112_123:                            ;   in Loop: Header=BB112_109 Depth=2
	s_or_b32 exec_lo, exec_lo, s45
	v_mov_b32_e32 v10, 0
	s_and_saveexec_b32 s45, s26
	s_cbranch_execnz .LBB112_159
.LBB112_124:                            ;   in Loop: Header=BB112_109 Depth=2
	s_or_b32 exec_lo, exec_lo, s45
	s_and_saveexec_b32 s45, s27
	s_cbranch_execz .LBB112_126
.LBB112_125:                            ;   in Loop: Header=BB112_109 Depth=2
	global_load_u16 v0, v[0:1], off offset:960
	s_waitcnt vmcnt(0)
	v_lshl_or_b32 v10, v0, 16, v10
.LBB112_126:                            ;   in Loop: Header=BB112_109 Depth=2
	s_or_b32 exec_lo, exec_lo, s45
	s_waitcnt vmcnt(0)
	ds_store_b16 v37, v3
	ds_store_b16 v37, v2 offset:64
	ds_store_b16 v38, v4 offset:128
	ds_store_b16_d16_hi v39, v4 offset:192
	ds_store_b16 v40, v5 offset:256
	ds_store_b16_d16_hi v41, v5 offset:320
	;; [unrolled: 2-line block ×7, first 2 shown]
	; wave barrier
	ds_load_b128 v[12:15], v52
	ds_load_b128 v[8:11], v52 offset:16
	s_mov_b32 s55, s65
	v_dual_mov_b32 v2, 0 :: v_dual_mov_b32 v3, 0
	s_lshl_b64 s[92:93], s[54:55], 1
	s_delay_alu instid0(SALU_CYCLE_1)
	v_add_co_u32 v0, vcc_lo, v129, s92
	v_add_co_ci_u32_e32 v1, vcc_lo, s93, v130, vcc_lo
	s_and_saveexec_b32 s45, s12
	s_cbranch_execnz .LBB112_160
; %bb.127:                              ;   in Loop: Header=BB112_109 Depth=2
	s_or_b32 exec_lo, exec_lo, s45
	s_and_saveexec_b32 s45, s13
	s_cbranch_execnz .LBB112_161
.LBB112_128:                            ;   in Loop: Header=BB112_109 Depth=2
	s_or_b32 exec_lo, exec_lo, s45
	v_mov_b32_e32 v4, 0
	s_and_saveexec_b32 s45, s14
	s_cbranch_execnz .LBB112_162
.LBB112_129:                            ;   in Loop: Header=BB112_109 Depth=2
	s_or_b32 exec_lo, exec_lo, s45
	s_and_saveexec_b32 s45, s15
	s_cbranch_execnz .LBB112_163
.LBB112_130:                            ;   in Loop: Header=BB112_109 Depth=2
	s_or_b32 exec_lo, exec_lo, s45
	v_mov_b32_e32 v5, 0
	s_and_saveexec_b32 s45, s16
	s_cbranch_execnz .LBB112_164
.LBB112_131:                            ;   in Loop: Header=BB112_109 Depth=2
	s_or_b32 exec_lo, exec_lo, s45
	s_and_saveexec_b32 s45, s17
	s_cbranch_execnz .LBB112_165
.LBB112_132:                            ;   in Loop: Header=BB112_109 Depth=2
	s_or_b32 exec_lo, exec_lo, s45
	v_mov_b32_e32 v6, 0
	s_and_saveexec_b32 s45, s18
	s_cbranch_execnz .LBB112_166
.LBB112_133:                            ;   in Loop: Header=BB112_109 Depth=2
	s_or_b32 exec_lo, exec_lo, s45
	s_and_saveexec_b32 s45, s19
	s_cbranch_execnz .LBB112_167
.LBB112_134:                            ;   in Loop: Header=BB112_109 Depth=2
	s_or_b32 exec_lo, exec_lo, s45
	v_mov_b32_e32 v7, 0
	s_and_saveexec_b32 s45, s20
	s_cbranch_execnz .LBB112_168
.LBB112_135:                            ;   in Loop: Header=BB112_109 Depth=2
	s_or_b32 exec_lo, exec_lo, s45
	s_and_saveexec_b32 s45, s21
	s_cbranch_execnz .LBB112_169
.LBB112_136:                            ;   in Loop: Header=BB112_109 Depth=2
	s_or_b32 exec_lo, exec_lo, s45
	v_mov_b32_e32 v16, 0
	s_and_saveexec_b32 s45, s22
	s_cbranch_execnz .LBB112_170
.LBB112_137:                            ;   in Loop: Header=BB112_109 Depth=2
	s_or_b32 exec_lo, exec_lo, s45
	s_and_saveexec_b32 s45, s23
	s_cbranch_execnz .LBB112_171
.LBB112_138:                            ;   in Loop: Header=BB112_109 Depth=2
	s_or_b32 exec_lo, exec_lo, s45
	v_mov_b32_e32 v17, 0
	s_and_saveexec_b32 s45, s24
	s_cbranch_execnz .LBB112_172
.LBB112_139:                            ;   in Loop: Header=BB112_109 Depth=2
	s_or_b32 exec_lo, exec_lo, s45
	s_and_saveexec_b32 s45, s25
	s_cbranch_execnz .LBB112_173
.LBB112_140:                            ;   in Loop: Header=BB112_109 Depth=2
	s_or_b32 exec_lo, exec_lo, s45
	v_mov_b32_e32 v147, 0
	s_and_saveexec_b32 s45, s26
	s_cbranch_execnz .LBB112_174
.LBB112_141:                            ;   in Loop: Header=BB112_109 Depth=2
	s_or_b32 exec_lo, exec_lo, s45
	s_and_saveexec_b32 s45, s27
	s_cbranch_execz .LBB112_143
.LBB112_142:                            ;   in Loop: Header=BB112_109 Depth=2
	global_load_u16 v0, v[0:1], off offset:960
	s_waitcnt vmcnt(0)
	v_lshl_or_b32 v147, v0, 16, v147
.LBB112_143:                            ;   in Loop: Header=BB112_109 Depth=2
	s_or_b32 exec_lo, exec_lo, s45
	s_waitcnt vmcnt(0)
	ds_store_b16 v37, v3 offset:2112
	ds_store_b16 v53, v2 offset:64
	;; [unrolled: 1-line block ×3, first 2 shown]
	ds_store_b16_d16_hi v55, v4 offset:192
	ds_store_b16 v56, v5 offset:256
	ds_store_b16_d16_hi v57, v5 offset:320
	ds_store_b16 v58, v6 offset:384
	;; [unrolled: 2-line block ×6, first 2 shown]
	ds_store_b16_d16_hi v67, v147 offset:960
	; wave barrier
	ds_load_b128 v[4:7], v52 offset:2112
	ds_load_b128 v[0:3], v68 offset:16
	s_and_not1_b32 vcc_lo, exec_lo, s51
	s_cbranch_vccnz .LBB112_175
; %bb.144:                              ;   in Loop: Header=BB112_109 Depth=2
	v_mov_b32_e32 v16, s90
	ds_load_b64 v[16:17], v16
	s_cbranch_execz .LBB112_176
	s_branch .LBB112_179
.LBB112_145:                            ;   in Loop: Header=BB112_109 Depth=2
	global_load_u16 v3, v[0:1], off
	s_or_b32 exec_lo, exec_lo, s45
	s_and_saveexec_b32 s45, s13
	s_cbranch_execz .LBB112_111
.LBB112_146:                            ;   in Loop: Header=BB112_109 Depth=2
	global_load_u16 v2, v[0:1], off offset:64
	s_or_b32 exec_lo, exec_lo, s45
	v_mov_b32_e32 v4, 0
	s_and_saveexec_b32 s45, s14
	s_cbranch_execz .LBB112_112
.LBB112_147:                            ;   in Loop: Header=BB112_109 Depth=2
	global_load_u16 v4, v[0:1], off offset:128
	s_or_b32 exec_lo, exec_lo, s45
	s_and_saveexec_b32 s45, s15
	s_cbranch_execz .LBB112_113
.LBB112_148:                            ;   in Loop: Header=BB112_109 Depth=2
	global_load_u16 v5, v[0:1], off offset:192
	s_waitcnt vmcnt(0)
	v_lshl_or_b32 v4, v5, 16, v4
	s_or_b32 exec_lo, exec_lo, s45
	v_mov_b32_e32 v5, 0
	s_and_saveexec_b32 s45, s16
	s_cbranch_execz .LBB112_114
.LBB112_149:                            ;   in Loop: Header=BB112_109 Depth=2
	global_load_u16 v5, v[0:1], off offset:256
	s_or_b32 exec_lo, exec_lo, s45
	s_and_saveexec_b32 s45, s17
	s_cbranch_execz .LBB112_115
.LBB112_150:                            ;   in Loop: Header=BB112_109 Depth=2
	global_load_u16 v6, v[0:1], off offset:320
	s_waitcnt vmcnt(0)
	v_lshl_or_b32 v5, v6, 16, v5
	s_or_b32 exec_lo, exec_lo, s45
	v_mov_b32_e32 v6, 0
	s_and_saveexec_b32 s45, s18
	s_cbranch_execz .LBB112_116
.LBB112_151:                            ;   in Loop: Header=BB112_109 Depth=2
	global_load_u16 v6, v[0:1], off offset:384
	s_or_b32 exec_lo, exec_lo, s45
	s_and_saveexec_b32 s45, s19
	s_cbranch_execz .LBB112_117
.LBB112_152:                            ;   in Loop: Header=BB112_109 Depth=2
	global_load_u16 v7, v[0:1], off offset:448
	s_waitcnt vmcnt(0)
	v_lshl_or_b32 v6, v7, 16, v6
	s_or_b32 exec_lo, exec_lo, s45
	v_mov_b32_e32 v7, 0
	s_and_saveexec_b32 s45, s20
	s_cbranch_execz .LBB112_118
.LBB112_153:                            ;   in Loop: Header=BB112_109 Depth=2
	global_load_u16 v7, v[0:1], off offset:512
	s_or_b32 exec_lo, exec_lo, s45
	s_and_saveexec_b32 s45, s21
	s_cbranch_execz .LBB112_119
.LBB112_154:                            ;   in Loop: Header=BB112_109 Depth=2
	global_load_u16 v8, v[0:1], off offset:576
	s_waitcnt vmcnt(0)
	v_lshl_or_b32 v7, v8, 16, v7
	s_or_b32 exec_lo, exec_lo, s45
	v_mov_b32_e32 v8, 0
	s_and_saveexec_b32 s45, s22
	s_cbranch_execz .LBB112_120
.LBB112_155:                            ;   in Loop: Header=BB112_109 Depth=2
	global_load_u16 v8, v[0:1], off offset:640
	s_or_b32 exec_lo, exec_lo, s45
	s_and_saveexec_b32 s45, s23
	s_cbranch_execz .LBB112_121
.LBB112_156:                            ;   in Loop: Header=BB112_109 Depth=2
	global_load_u16 v9, v[0:1], off offset:704
	s_waitcnt vmcnt(0)
	v_lshl_or_b32 v8, v9, 16, v8
	s_or_b32 exec_lo, exec_lo, s45
	v_mov_b32_e32 v9, 0
	s_and_saveexec_b32 s45, s24
	s_cbranch_execz .LBB112_122
.LBB112_157:                            ;   in Loop: Header=BB112_109 Depth=2
	global_load_u16 v9, v[0:1], off offset:768
	s_or_b32 exec_lo, exec_lo, s45
	s_and_saveexec_b32 s45, s25
	s_cbranch_execz .LBB112_123
.LBB112_158:                            ;   in Loop: Header=BB112_109 Depth=2
	global_load_u16 v10, v[0:1], off offset:832
	s_waitcnt vmcnt(0)
	v_lshl_or_b32 v9, v10, 16, v9
	s_or_b32 exec_lo, exec_lo, s45
	v_mov_b32_e32 v10, 0
	s_and_saveexec_b32 s45, s26
	s_cbranch_execz .LBB112_124
.LBB112_159:                            ;   in Loop: Header=BB112_109 Depth=2
	global_load_u16 v10, v[0:1], off offset:896
	s_or_b32 exec_lo, exec_lo, s45
	s_and_saveexec_b32 s45, s27
	s_cbranch_execnz .LBB112_125
	s_branch .LBB112_126
.LBB112_160:                            ;   in Loop: Header=BB112_109 Depth=2
	global_load_u16 v3, v[0:1], off
	s_or_b32 exec_lo, exec_lo, s45
	s_and_saveexec_b32 s45, s13
	s_cbranch_execz .LBB112_128
.LBB112_161:                            ;   in Loop: Header=BB112_109 Depth=2
	global_load_u16 v2, v[0:1], off offset:64
	s_or_b32 exec_lo, exec_lo, s45
	v_mov_b32_e32 v4, 0
	s_and_saveexec_b32 s45, s14
	s_cbranch_execz .LBB112_129
.LBB112_162:                            ;   in Loop: Header=BB112_109 Depth=2
	global_load_u16 v4, v[0:1], off offset:128
	s_or_b32 exec_lo, exec_lo, s45
	s_and_saveexec_b32 s45, s15
	s_cbranch_execz .LBB112_130
.LBB112_163:                            ;   in Loop: Header=BB112_109 Depth=2
	global_load_u16 v5, v[0:1], off offset:192
	s_waitcnt vmcnt(0)
	v_lshl_or_b32 v4, v5, 16, v4
	s_or_b32 exec_lo, exec_lo, s45
	v_mov_b32_e32 v5, 0
	s_and_saveexec_b32 s45, s16
	s_cbranch_execz .LBB112_131
.LBB112_164:                            ;   in Loop: Header=BB112_109 Depth=2
	global_load_u16 v5, v[0:1], off offset:256
	s_or_b32 exec_lo, exec_lo, s45
	s_and_saveexec_b32 s45, s17
	s_cbranch_execz .LBB112_132
.LBB112_165:                            ;   in Loop: Header=BB112_109 Depth=2
	global_load_u16 v6, v[0:1], off offset:320
	s_waitcnt vmcnt(0)
	v_lshl_or_b32 v5, v6, 16, v5
	s_or_b32 exec_lo, exec_lo, s45
	v_mov_b32_e32 v6, 0
	s_and_saveexec_b32 s45, s18
	s_cbranch_execz .LBB112_133
.LBB112_166:                            ;   in Loop: Header=BB112_109 Depth=2
	global_load_u16 v6, v[0:1], off offset:384
	s_or_b32 exec_lo, exec_lo, s45
	s_and_saveexec_b32 s45, s19
	s_cbranch_execz .LBB112_134
.LBB112_167:                            ;   in Loop: Header=BB112_109 Depth=2
	global_load_u16 v7, v[0:1], off offset:448
	s_waitcnt vmcnt(0)
	v_lshl_or_b32 v6, v7, 16, v6
	s_or_b32 exec_lo, exec_lo, s45
	v_mov_b32_e32 v7, 0
	s_and_saveexec_b32 s45, s20
	s_cbranch_execz .LBB112_135
.LBB112_168:                            ;   in Loop: Header=BB112_109 Depth=2
	global_load_u16 v7, v[0:1], off offset:512
	s_or_b32 exec_lo, exec_lo, s45
	s_and_saveexec_b32 s45, s21
	s_cbranch_execz .LBB112_136
.LBB112_169:                            ;   in Loop: Header=BB112_109 Depth=2
	global_load_u16 v16, v[0:1], off offset:576
	s_waitcnt vmcnt(0)
	v_lshl_or_b32 v7, v16, 16, v7
	s_or_b32 exec_lo, exec_lo, s45
	v_mov_b32_e32 v16, 0
	s_and_saveexec_b32 s45, s22
	s_cbranch_execz .LBB112_137
.LBB112_170:                            ;   in Loop: Header=BB112_109 Depth=2
	global_load_u16 v16, v[0:1], off offset:640
	s_or_b32 exec_lo, exec_lo, s45
	s_and_saveexec_b32 s45, s23
	s_cbranch_execz .LBB112_138
.LBB112_171:                            ;   in Loop: Header=BB112_109 Depth=2
	global_load_u16 v17, v[0:1], off offset:704
	s_waitcnt vmcnt(0)
	v_lshl_or_b32 v16, v17, 16, v16
	s_or_b32 exec_lo, exec_lo, s45
	v_mov_b32_e32 v17, 0
	s_and_saveexec_b32 s45, s24
	s_cbranch_execz .LBB112_139
.LBB112_172:                            ;   in Loop: Header=BB112_109 Depth=2
	global_load_u16 v17, v[0:1], off offset:768
	s_or_b32 exec_lo, exec_lo, s45
	s_and_saveexec_b32 s45, s25
	s_cbranch_execz .LBB112_140
.LBB112_173:                            ;   in Loop: Header=BB112_109 Depth=2
	global_load_u16 v147, v[0:1], off offset:832
	s_waitcnt vmcnt(0)
	v_lshl_or_b32 v17, v147, 16, v17
	s_or_b32 exec_lo, exec_lo, s45
	v_mov_b32_e32 v147, 0
	s_and_saveexec_b32 s45, s26
	s_cbranch_execz .LBB112_141
.LBB112_174:                            ;   in Loop: Header=BB112_109 Depth=2
	global_load_u16 v147, v[0:1], off offset:896
	s_or_b32 exec_lo, exec_lo, s45
	s_and_saveexec_b32 s45, s27
	s_cbranch_execnz .LBB112_142
	s_branch .LBB112_143
.LBB112_175:                            ;   in Loop: Header=BB112_109 Depth=2
                                        ; implicit-def: $vgpr16
.LBB112_176:                            ;   in Loop: Header=BB112_109 Depth=2
	s_waitcnt lgkmcnt(0)
	v_mov_b32_e32 v17, 0
	s_and_not1_b32 vcc_lo, exec_lo, s47
	s_cbranch_vccnz .LBB112_178
; %bb.177:                              ;   in Loop: Header=BB112_109 Depth=2
	s_mov_b32 s59, s65
	s_delay_alu instid0(SALU_CYCLE_1) | instskip(NEXT) | instid1(SALU_CYCLE_1)
	s_lshl_b64 s[92:93], s[58:59], 2
	s_add_u32 s92, s75, s92
	s_addc_u32 s93, s76, s93
	global_load_b32 v17, v21, s[92:93]
.LBB112_178:                            ;   in Loop: Header=BB112_109 Depth=2
	v_mov_b32_e32 v16, 1.0
.LBB112_179:                            ;   in Loop: Header=BB112_109 Depth=2
	v_mul_f32_e32 v168, 0x3fb8aa3b, v146
	s_waitcnt lgkmcnt(19)
	v_lshrrev_b32_e32 v148, 16, v13
	v_lshrrev_b32_e32 v149, 16, v14
	v_cvt_f32_f16_e32 v13, v13
	v_cvt_f32_f16_e64 v156, v14
	v_mul_f32_e32 v14, v168, v94
	v_lshrrev_b32_e32 v147, 16, v12
	v_lshrrev_b32_e32 v150, 16, v15
	v_mul_f32_e32 v13, v143, v13
	v_cvt_f32_f16_e32 v12, v12
	v_cmp_gt_f32_e32 vcc_lo, 0xc2fc0000, v14
	v_cvt_f32_f16_e64 v157, v15
	v_mul_f32_e32 v15, v168, v95
	v_cvt_f32_f16_e64 v155, v148
	v_mul_f32_e32 v12, v145, v12
	v_cndmask_b32_e64 v14, 0, 0x42800000, vcc_lo
	v_mul_f32_e32 v146, v168, v96
	v_cmp_gt_f32_e64 s45, 0xc2fc0000, v15
	v_cndmask_b32_e64 v148, 1.0, 0x1f800000, vcc_lo
	s_waitcnt lgkmcnt(18)
	v_lshrrev_b32_e32 v151, 16, v8
	v_fmac_f32_e32 v14, v168, v94
	v_cvt_f32_f16_e64 v147, v147
	v_cndmask_b32_e64 v15, 0, 0x42800000, s45
	v_cvt_f32_f16_e64 v158, v150
	v_cmp_gt_f32_e32 vcc_lo, 0xc2fc0000, v146
	v_exp_f32_e32 v14, v14
	v_mul_f32_e32 v146, v168, v97
	v_fmac_f32_e32 v15, v168, v95
	v_cvt_f32_f16_e64 v159, v151
	v_cndmask_b32_e64 v151, 0, 0x42800000, vcc_lo
	v_lshrrev_b32_e32 v152, 16, v9
	v_lshrrev_b32_e32 v153, 16, v10
	;; [unrolled: 1-line block ×3, first 2 shown]
	v_cvt_f32_f16_e32 v9, v9
	v_cvt_f32_f16_e32 v8, v8
	v_mul_f32_e32 v14, v14, v148
	v_exp_f32_e32 v150, v15
	v_cndmask_b32_e64 v15, 0, v12, s28
	v_cndmask_b32_e64 v12, 1.0, 0x1f800000, s45
	v_cmp_gt_f32_e64 s45, 0xc2fc0000, v146
	v_cndmask_b32_e64 v146, 1.0, v14, s28
	v_mul_f32_e32 v14, v144, v147
	v_cvt_f32_f16_e64 v164, v152
	v_cvt_f32_f16_e64 v166, v153
	v_cndmask_b32_e64 v148, 0, 0x42800000, s45
	v_cvt_f32_f16_e64 v171, v154
	v_mul_f32_e32 v147, v150, v12
	v_cndmask_b32_e64 v12, 0, v14, s29
	v_cndmask_b32_e64 v14, 1.0, 0x1f800000, vcc_lo
	v_fmac_f32_e32 v151, v168, v96
	v_fmac_f32_e32 v148, v168, v97
	v_dual_mul_f32 v153, v168, v99 :: v_dual_mul_f32 v158, v138, v158
	v_dual_mul_f32 v154, v168, v100 :: v_dual_mul_f32 v9, v135, v9
	s_delay_alu instid0(VALU_DEP_4)
	v_exp_f32_e32 v150, v151
	v_mul_f32_e32 v151, v168, v98
	v_exp_f32_e32 v152, v148
	v_cndmask_b32_e64 v148, 1.0, v147, s29
	v_cndmask_b32_e64 v147, 1.0, 0x1f800000, s45
	v_cmp_gt_f32_e64 s45, 0xc2fc0000, v153
	v_cvt_f32_f16_e32 v10, v10
	v_cvt_f32_f16_e32 v11, v11
	v_mul_f32_e32 v169, v168, v122
	s_delay_alu instid0(TRANS32_DEP_2) | instskip(SKIP_1) | instid1(TRANS32_DEP_1)
	v_dual_mul_f32 v159, v136, v159 :: v_dual_mul_f32 v14, v150, v14
	v_cndmask_b32_e64 v153, 0, 0x42800000, s45
	v_dual_mul_f32 v147, v152, v147 :: v_dual_mul_f32 v10, v133, v10
	v_cndmask_b32_e64 v13, 0, v13, s30
	s_delay_alu instid0(VALU_DEP_4)
	v_cndmask_b32_e64 v150, 1.0, v14, s30
	v_mul_f32_e32 v14, v142, v155
	v_cmp_gt_f32_e32 vcc_lo, 0xc2fc0000, v151
	v_cndmask_b32_e64 v152, 1.0, v147, s31
	v_dual_fmac_f32 v153, v168, v99 :: v_dual_mul_f32 v8, v137, v8
	v_mul_f32_e32 v155, v168, v101
	v_cndmask_b32_e64 v151, 0, 0x42800000, vcc_lo
	v_cndmask_b32_e64 v147, 1.0, 0x1f800000, vcc_lo
	v_cmp_gt_f32_e32 vcc_lo, 0xc2fc0000, v154
	v_exp_f32_e32 v153, v153
	v_cmp_gt_f32_e64 s46, 0xc2fc0000, v155
	v_fmac_f32_e32 v151, v168, v98
	v_mul_f32_e32 v162, v168, v115
	v_cndmask_b32_e64 v154, 0, 0x42800000, vcc_lo
	v_cvt_f32_f16_e64 v149, v149
	v_cndmask_b32_e64 v155, 0, 0x42800000, s46
	v_exp_f32_e32 v151, v151
	v_cndmask_b32_e64 v14, 0, v14, s31
	v_dual_fmac_f32 v154, v168, v100 :: v_dual_mul_f32 v11, v131, v11
	s_delay_alu instid0(VALU_DEP_3) | instskip(SKIP_2) | instid1(VALU_DEP_4)
	v_fmac_f32_e32 v155, v168, v101
	v_mul_f32_e32 v170, v168, v123
	v_mul_f32_e32 v166, v132, v166
	v_exp_f32_e32 v160, v154
	s_delay_alu instid0(TRANS32_DEP_2)
	v_mul_f32_e32 v151, v151, v147
	v_mul_f32_e32 v147, v141, v156
	v_cndmask_b32_e64 v156, 1.0, 0x1f800000, s45
	v_cmp_gt_f32_e64 s45, 0xc2fc0000, v162
	v_mul_f32_e32 v162, v168, v121
	v_cndmask_b32_e64 v154, 1.0, v151, s33
	v_cndmask_b32_e64 v147, 0, v147, s33
	v_mul_f32_e32 v151, v153, v156
	v_cndmask_b32_e64 v153, 1.0, 0x1f800000, vcc_lo
	v_exp_f32_e32 v156, v155
	v_cndmask_b32_e64 v166, 0, v166, s42
	s_delay_alu instid0(VALU_DEP_3) | instskip(NEXT) | instid1(VALU_DEP_3)
	v_cndmask_b32_e64 v155, 1.0, v151, s34
	v_mul_f32_e32 v153, v160, v153
	v_mul_f32_e32 v151, v139, v157
	v_cndmask_b32_e64 v160, 1.0, 0x1f800000, s46
	s_delay_alu instid0(VALU_DEP_3)
	v_cndmask_b32_e64 v157, 1.0, v153, s35
	v_mul_f32_e32 v161, v168, v104
	v_cndmask_b32_e64 v153, 0, v158, s36
	v_mul_f32_e32 v158, v168, v118
	v_mul_f32_e32 v156, v156, v160
	v_cndmask_b32_e64 v151, 0, v151, s35
	v_cmp_gt_f32_e32 vcc_lo, 0xc2fc0000, v161
	s_delay_alu instid0(VALU_DEP_4) | instskip(NEXT) | instid1(VALU_DEP_4)
	v_cmp_gt_f32_e64 s46, 0xc2fc0000, v158
	v_cndmask_b32_e64 v160, 1.0, v156, s36
	v_cndmask_b32_e64 v161, 0, 0x42800000, vcc_lo
	v_cndmask_b32_e64 v163, 1.0, 0x1f800000, vcc_lo
	s_delay_alu instid0(VALU_DEP_4) | instskip(SKIP_1) | instid1(VALU_DEP_4)
	v_cndmask_b32_e64 v158, 0, 0x42800000, s46
	v_cmp_gt_f32_e32 vcc_lo, 0xc2fc0000, v162
	v_fmac_f32_e32 v161, v168, v104
	s_delay_alu instid0(VALU_DEP_3) | instskip(SKIP_1) | instid1(VALU_DEP_3)
	v_fmac_f32_e32 v158, v168, v118
	v_cndmask_b32_e64 v162, 0, 0x42800000, vcc_lo
	v_exp_f32_e32 v156, v161
	v_cndmask_b32_e64 v161, 0, 0x42800000, s45
	s_delay_alu instid0(VALU_DEP_2) | instskip(NEXT) | instid1(VALU_DEP_2)
	v_fmac_f32_e32 v162, v168, v121
	v_fmac_f32_e32 v161, v168, v115
	s_delay_alu instid0(VALU_DEP_2) | instskip(NEXT) | instid1(VALU_DEP_1)
	v_exp_f32_e32 v167, v162
	v_exp_f32_e32 v165, v161
	s_delay_alu instid0(TRANS32_DEP_3)
	v_mul_f32_e32 v161, v156, v163
	v_cndmask_b32_e64 v156, 0, v8, s37
	v_exp_f32_e32 v8, v158
	v_cndmask_b32_e64 v158, 1.0, 0x1f800000, s45
	v_cndmask_b32_e64 v163, 1.0, 0x1f800000, s46
	v_cmp_gt_f32_e64 s45, 0xc2fc0000, v170
	v_cndmask_b32_e64 v161, 1.0, v161, s37
	s_delay_alu instid0(TRANS32_DEP_2) | instid1(VALU_DEP_4)
	v_mul_f32_e32 v162, v165, v158
	v_cndmask_b32_e64 v165, 1.0, 0x1f800000, vcc_lo
	v_cmp_gt_f32_e32 vcc_lo, 0xc2fc0000, v169
	s_delay_alu instid0(TRANS32_DEP_1)
	v_mul_f32_e32 v8, v8, v163
	v_cndmask_b32_e64 v158, 0, v159, s38
	v_cndmask_b32_e64 v159, 0, v9, s39
	v_mul_f32_e32 v9, v134, v164
	v_fma_f32 v169, v148, v15, v12
	v_cndmask_b32_e64 v163, 1.0, v8, s39
	v_mul_f32_e32 v8, v167, v165
	v_cndmask_b32_e64 v165, 0, 0x42800000, vcc_lo
	v_mul_f32_e32 v167, v148, v146
	v_cndmask_b32_e64 v164, 0, v9, s40
	v_cndmask_b32_e64 v162, 1.0, v162, s38
	v_cndmask_b32_e64 v170, 1.0, v8, s40
	v_fmac_f32_e32 v165, v168, v122
	v_mul_f32_e32 v9, v167, v150
	v_fma_f32 v167, v169, v150, v13
	v_cndmask_b32_e64 v8, 1.0, 0x1f800000, vcc_lo
	v_cndmask_b32_e64 v169, 0, 0x42800000, s45
	v_exp_f32_e32 v165, v165
	v_mul_f32_e32 v149, v140, v149
	v_mul_f32_e32 v9, v9, v152
	v_fma_f32 v167, v167, v152, v14
	v_fmac_f32_e32 v169, v168, v123
	s_delay_alu instid0(VALU_DEP_3) | instskip(NEXT) | instid1(VALU_DEP_3)
	v_mul_f32_e32 v9, v9, v154
	v_fma_f32 v167, v167, v154, v147
	s_delay_alu instid0(VALU_DEP_3) | instskip(NEXT) | instid1(TRANS32_DEP_2)
	v_exp_f32_e32 v169, v169
	v_mul_f32_e32 v8, v165, v8
	v_cndmask_b32_e64 v149, 0, v149, s34
	v_mul_f32_e32 v9, v9, v155
	v_cndmask_b32_e64 v165, 0, v10, s41
	v_cndmask_b32_e64 v10, 1.0, 0x1f800000, s45
	s_delay_alu instid0(VALU_DEP_4)
	v_fma_f32 v172, v167, v155, v149
	v_cndmask_b32_e64 v167, 1.0, v8, s41
	v_mul_f32_e32 v8, v9, v157
	s_delay_alu instid0(TRANS32_DEP_1) | instid1(VALU_DEP_4)
	v_mul_f32_e32 v10, v169, v10
	s_delay_alu instid0(VALU_DEP_4) | instskip(SKIP_1) | instid1(VALU_DEP_4)
	v_fma_f32 v9, v172, v157, v151
	v_mul_f32_e32 v172, v168, v124
	v_mul_f32_e32 v8, v8, v160
	s_delay_alu instid0(VALU_DEP_3) | instskip(NEXT) | instid1(VALU_DEP_3)
	v_fma_f32 v9, v9, v160, v153
	v_cmp_gt_f32_e32 vcc_lo, 0xc2fc0000, v172
	v_mul_f32_e32 v172, v168, v125
	s_delay_alu instid0(VALU_DEP_4) | instskip(NEXT) | instid1(VALU_DEP_4)
	v_mul_f32_e32 v8, v8, v161
	v_fma_f32 v9, v9, v161, v156
	v_cndmask_b32_e64 v169, 0, 0x42800000, vcc_lo
	s_delay_alu instid0(VALU_DEP_4) | instskip(NEXT) | instid1(VALU_DEP_4)
	v_cmp_gt_f32_e64 s45, 0xc2fc0000, v172
	v_mul_f32_e32 v8, v8, v162
	s_delay_alu instid0(VALU_DEP_4) | instskip(NEXT) | instid1(VALU_DEP_4)
	v_fma_f32 v9, v9, v162, v158
	v_fmac_f32_e32 v169, v168, v124
	s_delay_alu instid0(VALU_DEP_4) | instskip(NEXT) | instid1(VALU_DEP_4)
	v_cndmask_b32_e64 v172, 0, 0x42800000, s45
	v_mul_f32_e32 v8, v8, v163
	s_delay_alu instid0(VALU_DEP_4) | instskip(NEXT) | instid1(VALU_DEP_4)
	v_fma_f32 v9, v9, v163, v159
	v_exp_f32_e32 v173, v169
	s_delay_alu instid0(VALU_DEP_3)
	v_fmac_f32_e32 v172, v168, v125
	v_cndmask_b32_e64 v169, 1.0, v10, s42
	v_cndmask_b32_e64 v10, 1.0, 0x1f800000, vcc_lo
	v_mul_f32_e32 v8, v8, v170
	v_fma_f32 v9, v9, v170, v164
	v_exp_f32_e32 v174, v172
	v_cndmask_b32_e64 v168, 0, v11, s43
	v_cndmask_b32_e64 v11, 1.0, 0x1f800000, s45
	v_mul_f32_e32 v8, v8, v167
	v_mul_f32_e32 v10, v173, v10
	v_fma_f32 v9, v9, v167, v165
	s_delay_alu instid0(VALU_DEP_3) | instskip(NEXT) | instid1(VALU_DEP_3)
	v_mul_f32_e32 v8, v8, v169
	v_cndmask_b32_e64 v172, 1.0, v10, s43
	v_mul_f32_e32 v10, v126, v171
	s_delay_alu instid0(TRANS32_DEP_1) | instskip(SKIP_1) | instid1(VALU_DEP_4)
	v_mul_f32_e32 v11, v174, v11
	v_fma_f32 v9, v9, v169, v166
	v_mul_f32_e32 v8, v8, v172
	s_delay_alu instid0(VALU_DEP_4) | instskip(NEXT) | instid1(VALU_DEP_4)
	v_cndmask_b32_e64 v171, 0, v10, s44
	v_cndmask_b32_e64 v173, 1.0, v11, s44
	s_delay_alu instid0(VALU_DEP_4) | instskip(NEXT) | instid1(VALU_DEP_2)
	v_fma_f32 v9, v9, v172, v168
	v_mul_f32_e32 v8, v8, v173
	s_delay_alu instid0(VALU_DEP_2) | instskip(NEXT) | instid1(VALU_DEP_2)
	v_fma_f32 v9, v9, v173, v171
	v_mov_b32_dpp v11, v8 row_shr:1 row_mask:0xf bank_mask:0xf
	s_delay_alu instid0(VALU_DEP_2)
	v_mov_b32_dpp v10, v9 row_shr:1 row_mask:0xf bank_mask:0xf
	s_and_saveexec_b32 s45, s0
; %bb.180:                              ;   in Loop: Header=BB112_109 Depth=2
	s_delay_alu instid0(VALU_DEP_2) | instskip(NEXT) | instid1(VALU_DEP_1)
	v_mul_f32_e32 v11, v8, v11
	v_dual_fmac_f32 v9, v8, v10 :: v_dual_mov_b32 v8, v11
; %bb.181:                              ;   in Loop: Header=BB112_109 Depth=2
	s_or_b32 exec_lo, exec_lo, s45
	s_delay_alu instid0(VALU_DEP_1) | instskip(NEXT) | instid1(VALU_DEP_2)
	v_mov_b32_dpp v10, v8 row_shr:2 row_mask:0xf bank_mask:0xf
	v_mov_b32_dpp v11, v9 row_shr:2 row_mask:0xf bank_mask:0xf
	s_and_saveexec_b32 s45, s1
; %bb.182:                              ;   in Loop: Header=BB112_109 Depth=2
	s_delay_alu instid0(VALU_DEP_1) | instskip(NEXT) | instid1(VALU_DEP_3)
	v_fmac_f32_e32 v9, v8, v11
	v_mul_f32_e32 v8, v8, v10
; %bb.183:                              ;   in Loop: Header=BB112_109 Depth=2
	s_or_b32 exec_lo, exec_lo, s45
	s_delay_alu instid0(VALU_DEP_1) | instskip(NEXT) | instid1(VALU_DEP_3)
	v_mov_b32_dpp v10, v8 row_shr:4 row_mask:0xf bank_mask:0xf
	v_mov_b32_dpp v11, v9 row_shr:4 row_mask:0xf bank_mask:0xf
	s_and_saveexec_b32 s45, s2
; %bb.184:                              ;   in Loop: Header=BB112_109 Depth=2
	s_delay_alu instid0(VALU_DEP_1) | instskip(NEXT) | instid1(VALU_DEP_3)
	v_fmac_f32_e32 v9, v8, v11
	v_mul_f32_e32 v8, v8, v10
; %bb.185:                              ;   in Loop: Header=BB112_109 Depth=2
	s_or_b32 exec_lo, exec_lo, s45
	s_delay_alu instid0(VALU_DEP_1) | instskip(NEXT) | instid1(VALU_DEP_3)
	v_mov_b32_dpp v10, v8 row_shr:8 row_mask:0xf bank_mask:0xf
	v_mov_b32_dpp v11, v9 row_shr:8 row_mask:0xf bank_mask:0xf
	s_and_saveexec_b32 s45, s3
; %bb.186:                              ;   in Loop: Header=BB112_109 Depth=2
	s_delay_alu instid0(VALU_DEP_1) | instskip(NEXT) | instid1(VALU_DEP_3)
	v_fmac_f32_e32 v9, v8, v11
	v_mul_f32_e32 v8, v8, v10
; %bb.187:                              ;   in Loop: Header=BB112_109 Depth=2
	s_or_b32 exec_lo, exec_lo, s45
	ds_swizzle_b32 v11, v8 offset:swizzle(BROADCAST,32,15)
	ds_swizzle_b32 v10, v9 offset:swizzle(BROADCAST,32,15)
	s_and_saveexec_b32 s45, s4
	s_cbranch_execz .LBB112_189
; %bb.188:                              ;   in Loop: Header=BB112_109 Depth=2
	s_waitcnt lgkmcnt(1)
	v_mul_f32_e32 v11, v8, v11
	s_waitcnt lgkmcnt(0)
	s_delay_alu instid0(VALU_DEP_1)
	v_dual_fmac_f32 v9, v8, v10 :: v_dual_mov_b32 v8, v11
.LBB112_189:                            ;   in Loop: Header=BB112_109 Depth=2
	s_or_b32 exec_lo, exec_lo, s45
	s_and_saveexec_b32 s45, s5
	s_cbranch_execz .LBB112_191
; %bb.190:                              ;   in Loop: Header=BB112_109 Depth=2
	ds_store_b64 v69, v[8:9] offset:4224
.LBB112_191:                            ;   in Loop: Header=BB112_109 Depth=2
	s_or_b32 exec_lo, exec_lo, s45
	s_waitcnt vmcnt(0) lgkmcnt(0)
	s_waitcnt_vscnt null, 0x0
	s_barrier
	buffer_gl0_inv
	s_and_saveexec_b32 s45, s6
	s_cbranch_execz .LBB112_193
; %bb.192:                              ;   in Loop: Header=BB112_109 Depth=2
	ds_load_b64 v[10:11], v70 offset:4224
	s_waitcnt lgkmcnt(0)
	v_mov_b32_dpp v174, v10 row_shr:1 row_mask:0xf bank_mask:0xf
	v_mov_b32_dpp v175, v11 row_shr:1 row_mask:0xf bank_mask:0xf
	s_delay_alu instid0(VALU_DEP_2) | instskip(NEXT) | instid1(VALU_DEP_2)
	v_mul_f32_e32 v174, v10, v174
	v_fma_f32 v175, v10, v175, v11
	s_delay_alu instid0(VALU_DEP_2) | instskip(NEXT) | instid1(VALU_DEP_2)
	v_cndmask_b32_e64 v10, v174, v10, s7
	v_cndmask_b32_e64 v11, v175, v11, s7
	ds_store_b64 v70, v[10:11] offset:4224
.LBB112_193:                            ;   in Loop: Header=BB112_109 Depth=2
	s_or_b32 exec_lo, exec_lo, s45
	s_waitcnt lgkmcnt(0)
	s_barrier
	buffer_gl0_inv
                                        ; implicit-def: $vgpr11
	s_and_saveexec_b32 s45, s9
	s_cbranch_execz .LBB112_195
; %bb.194:                              ;   in Loop: Header=BB112_109 Depth=2
	ds_load_b64 v[10:11], v69 offset:4216
	s_waitcnt lgkmcnt(0)
	v_mul_f32_e32 v174, v8, v10
	s_delay_alu instid0(VALU_DEP_1)
	v_dual_fmac_f32 v9, v8, v11 :: v_dual_mov_b32 v8, v174
.LBB112_195:                            ;   in Loop: Header=BB112_109 Depth=2
	s_or_b32 exec_lo, exec_lo, s45
	ds_bpermute_b32 v174, v71, v8
	ds_bpermute_b32 v175, v71, v9
	s_and_saveexec_b32 s45, s8
	s_cbranch_execz .LBB112_199
; %bb.196:                              ;   in Loop: Header=BB112_109 Depth=2
	ds_load_b64 v[8:9], v21 offset:4232
	s_and_saveexec_b32 s46, s10
	s_cbranch_execz .LBB112_198
; %bb.197:                              ;   in Loop: Header=BB112_109 Depth=2
	ds_store_b64 v21, v[16:17] offset:4232
.LBB112_198:                            ;   in Loop: Header=BB112_109 Depth=2
	s_or_b32 exec_lo, exec_lo, s46
	s_waitcnt lgkmcnt(0)
	v_fmac_f32_e32 v9, v17, v8
	s_delay_alu instid0(VALU_DEP_1)
	v_dual_mul_f32 v16, v16, v8 :: v_dual_mov_b32 v17, v9
.LBB112_199:                            ;   in Loop: Header=BB112_109 Depth=2
	s_or_b32 exec_lo, exec_lo, s45
	s_waitcnt lgkmcnt(0)
	s_barrier
	buffer_gl0_inv
	ds_load_b32 v8, v21 offset:4236
	s_and_saveexec_b32 s45, s10
	s_cbranch_execz .LBB112_108
; %bb.200:                              ;   in Loop: Header=BB112_109 Depth=2
	v_mov_b32_e32 v9, s90
	s_and_not1_b32 vcc_lo, exec_lo, s88
	ds_store_b64 v9, v[16:17]
	s_cbranch_vccnz .LBB112_108
; %bb.201:                              ;   in Loop: Header=BB112_109 Depth=2
	s_mov_b32 s59, s65
	s_delay_alu instid0(SALU_CYCLE_1) | instskip(NEXT) | instid1(SALU_CYCLE_1)
	s_lshl_b64 s[92:93], s[58:59], 2
	s_add_u32 s92, s75, s92
	s_addc_u32 s93, s76, s93
	global_store_b32 v21, v17, s[92:93]
	s_branch .LBB112_108
.LBB112_202:                            ;   in Loop: Header=BB112_12 Depth=1
	v_cvt_f16_f32_e32 v0, v120
	v_cvt_f16_f32_e32 v4, v113
	;; [unrolled: 1-line block ×16, first 2 shown]
	v_pack_b32_f16 v3, v3, v7
	v_pack_b32_f16 v2, v2, v6
	;; [unrolled: 1-line block ×8, first 2 shown]
	s_waitcnt_vscnt null, 0x0
	s_barrier
	buffer_gl0_inv
	ds_store_b128 v52, v[0:3]
	ds_store_b128 v52, v[4:7] offset:16
	; wave barrier
	ds_load_u16 v16, v37 offset:64
	ds_load_u16 v15, v38 offset:128
	;; [unrolled: 1-line block ×15, first 2 shown]
	s_mov_b32 s51, s65
	s_delay_alu instid0(SALU_CYCLE_1) | instskip(NEXT) | instid1(SALU_CYCLE_1)
	s_lshl_b64 s[34:35], s[50:51], 1
	v_add_co_u32 v0, vcc_lo, v72, s34
	v_add_co_ci_u32_e32 v1, vcc_lo, s35, v73, vcc_lo
	s_and_saveexec_b32 s28, s12
	s_cbranch_execnz .LBB112_269
; %bb.203:                              ;   in Loop: Header=BB112_12 Depth=1
	s_or_b32 exec_lo, exec_lo, s28
	s_and_saveexec_b32 s28, s13
	s_cbranch_execnz .LBB112_270
.LBB112_204:                            ;   in Loop: Header=BB112_12 Depth=1
	s_or_b32 exec_lo, exec_lo, s28
	s_and_saveexec_b32 s28, s14
	s_cbranch_execnz .LBB112_271
.LBB112_205:                            ;   in Loop: Header=BB112_12 Depth=1
	s_or_b32 exec_lo, exec_lo, s28
	s_and_saveexec_b32 s28, s15
	s_cbranch_execnz .LBB112_272
.LBB112_206:                            ;   in Loop: Header=BB112_12 Depth=1
	s_or_b32 exec_lo, exec_lo, s28
	s_and_saveexec_b32 s28, s16
	s_cbranch_execnz .LBB112_273
.LBB112_207:                            ;   in Loop: Header=BB112_12 Depth=1
	s_or_b32 exec_lo, exec_lo, s28
	s_and_saveexec_b32 s28, s17
	s_cbranch_execnz .LBB112_274
.LBB112_208:                            ;   in Loop: Header=BB112_12 Depth=1
	s_or_b32 exec_lo, exec_lo, s28
	s_and_saveexec_b32 s28, s18
	s_cbranch_execnz .LBB112_275
.LBB112_209:                            ;   in Loop: Header=BB112_12 Depth=1
	s_or_b32 exec_lo, exec_lo, s28
	s_and_saveexec_b32 s28, s19
	s_cbranch_execnz .LBB112_276
.LBB112_210:                            ;   in Loop: Header=BB112_12 Depth=1
	s_or_b32 exec_lo, exec_lo, s28
	s_and_saveexec_b32 s28, s20
	s_cbranch_execnz .LBB112_277
.LBB112_211:                            ;   in Loop: Header=BB112_12 Depth=1
	s_or_b32 exec_lo, exec_lo, s28
	s_and_saveexec_b32 s28, s21
	s_cbranch_execnz .LBB112_278
.LBB112_212:                            ;   in Loop: Header=BB112_12 Depth=1
	s_or_b32 exec_lo, exec_lo, s28
	s_and_saveexec_b32 s28, s22
	s_cbranch_execnz .LBB112_279
.LBB112_213:                            ;   in Loop: Header=BB112_12 Depth=1
	s_or_b32 exec_lo, exec_lo, s28
	s_and_saveexec_b32 s28, s23
	s_cbranch_execnz .LBB112_280
.LBB112_214:                            ;   in Loop: Header=BB112_12 Depth=1
	s_or_b32 exec_lo, exec_lo, s28
	s_and_saveexec_b32 s28, s24
	s_cbranch_execnz .LBB112_281
.LBB112_215:                            ;   in Loop: Header=BB112_12 Depth=1
	s_or_b32 exec_lo, exec_lo, s28
	s_and_saveexec_b32 s28, s25
	s_cbranch_execnz .LBB112_282
.LBB112_216:                            ;   in Loop: Header=BB112_12 Depth=1
	s_or_b32 exec_lo, exec_lo, s28
	s_and_saveexec_b32 s28, s26
	s_cbranch_execnz .LBB112_283
.LBB112_217:                            ;   in Loop: Header=BB112_12 Depth=1
	s_or_b32 exec_lo, exec_lo, s28
	s_and_saveexec_b32 s28, s27
	s_cbranch_execz .LBB112_219
.LBB112_218:                            ;   in Loop: Header=BB112_12 Depth=1
	s_waitcnt lgkmcnt(0)
	global_store_b16 v[0:1], v2, off offset:960
.LBB112_219:                            ;   in Loop: Header=BB112_12 Depth=1
	s_or_b32 exec_lo, exec_lo, s28
	v_add_co_u32 v0, vcc_lo, v74, s34
	v_add_co_ci_u32_e32 v1, vcc_lo, s35, v75, vcc_lo
	s_waitcnt lgkmcnt(0)
	v_dual_mov_b32 v2, 0 :: v_dual_mov_b32 v3, 0
	s_waitcnt_vscnt null, 0x0
	s_barrier
	buffer_gl0_inv
	s_and_saveexec_b32 s28, s12
	s_cbranch_execz .LBB112_221
; %bb.220:                              ;   in Loop: Header=BB112_12 Depth=1
	global_load_u16 v3, v[0:1], off
.LBB112_221:                            ;   in Loop: Header=BB112_12 Depth=1
	s_or_b32 exec_lo, exec_lo, s28
	s_and_saveexec_b32 s28, s13
	s_cbranch_execz .LBB112_223
; %bb.222:                              ;   in Loop: Header=BB112_12 Depth=1
	global_load_u16 v2, v[0:1], off offset:64
.LBB112_223:                            ;   in Loop: Header=BB112_12 Depth=1
	s_or_b32 exec_lo, exec_lo, s28
	v_dual_mov_b32 v4, 0 :: v_dual_mov_b32 v5, 0
	s_and_saveexec_b32 s28, s14
	s_cbranch_execz .LBB112_225
; %bb.224:                              ;   in Loop: Header=BB112_12 Depth=1
	global_load_u16 v5, v[0:1], off offset:128
.LBB112_225:                            ;   in Loop: Header=BB112_12 Depth=1
	s_or_b32 exec_lo, exec_lo, s28
	s_and_saveexec_b32 s28, s15
	s_cbranch_execz .LBB112_227
; %bb.226:                              ;   in Loop: Header=BB112_12 Depth=1
	global_load_u16 v4, v[0:1], off offset:192
.LBB112_227:                            ;   in Loop: Header=BB112_12 Depth=1
	s_or_b32 exec_lo, exec_lo, s28
	v_dual_mov_b32 v6, 0 :: v_dual_mov_b32 v7, 0
	s_and_saveexec_b32 s28, s16
	s_cbranch_execz .LBB112_229
; %bb.228:                              ;   in Loop: Header=BB112_12 Depth=1
	global_load_u16 v7, v[0:1], off offset:256
.LBB112_229:                            ;   in Loop: Header=BB112_12 Depth=1
	;; [unrolled: 13-line block ×7, first 2 shown]
	s_or_b32 exec_lo, exec_lo, s28
	s_and_saveexec_b32 s28, s27
	s_cbranch_execz .LBB112_251
; %bb.250:                              ;   in Loop: Header=BB112_12 Depth=1
	global_load_u16 v16, v[0:1], off offset:960
.LBB112_251:                            ;   in Loop: Header=BB112_12 Depth=1
	s_or_b32 exec_lo, exec_lo, s28
	s_waitcnt vmcnt(0)
	ds_store_b16 v37, v3
	ds_store_b16 v37, v2 offset:64
	ds_store_b16 v38, v5 offset:128
	;; [unrolled: 1-line block ×15, first 2 shown]
	; wave barrier
	ds_load_b128 v[4:7], v52
	ds_load_b128 v[0:3], v52 offset:16
	s_waitcnt lgkmcnt(0)
	s_barrier
	buffer_gl0_inv
	v_lshrrev_b32_e32 v8, 16, v4
	v_lshrrev_b32_e32 v9, 16, v5
	v_cvt_f32_f16_e32 v10, v5
	v_cvt_f32_f16_e32 v11, v4
	v_lshrrev_b32_e32 v104, 16, v6
	v_cvt_f32_f16_e32 v8, v8
	v_cvt_f32_f16_e32 v9, v9
	v_mul_f32_e32 v12, 0xbfb8aa3b, v10
	v_mul_f32_e32 v14, 0xbfb8aa3b, v11
	v_cvt_f32_f16_e32 v104, v104
	v_mul_f32_e32 v13, 0xbfb8aa3b, v8
	v_mul_f32_e32 v15, 0xbfb8aa3b, v9
	v_rndne_f32_e32 v16, v12
	v_fma_mix_f32 v17, v5, s85, -v12 op_sel_hi:[1,0,0]
	v_cmp_nlt_f32_e32 vcc_lo, 0x42ce8ed0, v8
	v_rndne_f32_e32 v94, v13
	v_fma_mix_f32 v95, v4, s85, -v13 op_sel:[1,0,0] op_sel_hi:[1,0,0]
	v_fma_mix_f32 v97, v5, s85, -v15 op_sel:[1,0,0] op_sel_hi:[1,0,0]
	v_rndne_f32_e32 v96, v15
	s_delay_alu instid0(VALU_DEP_4) | instskip(NEXT) | instid1(VALU_DEP_4)
	v_dual_sub_f32 v12, v12, v16 :: v_dual_sub_f32 v13, v13, v94
	v_fma_mix_f32 v95, v4, s86, v95 op_sel:[1,0,0] op_sel_hi:[1,0,0]
	s_delay_alu instid0(VALU_DEP_4) | instskip(SKIP_4) | instid1(VALU_DEP_4)
	v_fma_mix_f32 v97, v5, s86, v97 op_sel:[1,0,0] op_sel_hi:[1,0,0]
	v_fma_mix_f32 v5, v5, s86, v17 op_sel_hi:[1,0,0]
	v_rndne_f32_e32 v17, v14
	v_sub_f32_e32 v15, v15, v96
	v_cvt_i32_f32_e32 v16, v16
	v_add_f32_e32 v5, v12, v5
	s_delay_alu instid0(VALU_DEP_4) | instskip(SKIP_2) | instid1(VALU_DEP_4)
	v_dual_sub_f32 v12, v14, v17 :: v_dual_add_f32 v13, v13, v95
	v_fma_mix_f32 v95, v4, s85, -v14 op_sel_hi:[1,0,0]
	v_add_f32_e32 v15, v15, v97
	v_exp_f32_e32 v5, v5
	v_cvt_i32_f32_e32 v17, v17
	s_delay_alu instid0(VALU_DEP_3) | instskip(NEXT) | instid1(VALU_DEP_3)
	v_fma_mix_f32 v4, v4, s86, v95 op_sel_hi:[1,0,0]
	v_exp_f32_e32 v14, v15
	v_cvt_i32_f32_e32 v15, v94
	s_delay_alu instid0(VALU_DEP_2) | instskip(SKIP_2) | instid1(TRANS32_DEP_3)
	v_add_f32_e32 v4, v12, v4
	v_exp_f32_e32 v13, v13
	v_cvt_i32_f32_e32 v12, v96
	v_ldexp_f32 v5, v5, v16
	s_delay_alu instid0(VALU_DEP_3)
	v_exp_f32_e32 v4, v4
	s_delay_alu instid0(TRANS32_DEP_3) | instid1(VALU_DEP_2)
	v_ldexp_f32 v12, v14, v12
	s_waitcnt_depctr 0xfff
	v_ldexp_f32 v13, v13, v15
	v_ldexp_f32 v4, v4, v17
	s_delay_alu instid0(VALU_DEP_2)
	v_cndmask_b32_e32 v13, 0, v13, vcc_lo
	v_cmp_nlt_f32_e32 vcc_lo, 0x42ce8ed0, v9
	v_cndmask_b32_e32 v12, 0, v12, vcc_lo
	v_cmp_nlt_f32_e32 vcc_lo, 0x42ce8ed0, v10
	v_cndmask_b32_e32 v5, 0, v5, vcc_lo
	v_cmp_ngt_f32_e32 vcc_lo, 0xc2b17218, v8
	v_cndmask_b32_e32 v13, 0x7f800000, v13, vcc_lo
	v_cmp_ngt_f32_e32 vcc_lo, 0xc2b17218, v9
	;; [unrolled: 2-line block ×3, first 2 shown]
	s_delay_alu instid0(VALU_DEP_2) | instskip(NEXT) | instid1(VALU_DEP_1)
	v_add_f32_e32 v12, 1.0, v12
	v_div_scale_f32 v15, null, v12, v12, v9
	v_div_scale_f32 v99, s28, v9, v12, v9
	s_delay_alu instid0(VALU_DEP_2) | instskip(SKIP_4) | instid1(VALU_DEP_3)
	v_rcp_f32_e32 v94, v15
	s_waitcnt_depctr 0xfff
	v_fma_f32 v98, -v15, v94, 1.0
	v_cndmask_b32_e32 v5, 0x7f800000, v5, vcc_lo
	v_cmp_nlt_f32_e32 vcc_lo, 0x42ce8ed0, v11
	v_fmac_f32_e32 v94, v98, v94
	s_delay_alu instid0(VALU_DEP_3) | instskip(SKIP_2) | instid1(VALU_DEP_3)
	v_add_f32_e32 v14, 1.0, v5
	v_cndmask_b32_e32 v4, 0, v4, vcc_lo
	v_cmp_ngt_f32_e32 vcc_lo, 0xc2b17218, v11
	v_div_scale_f32 v16, null, v14, v14, v10
	s_delay_alu instid0(VALU_DEP_3) | instskip(NEXT) | instid1(VALU_DEP_2)
	v_cndmask_b32_e32 v4, 0x7f800000, v4, vcc_lo
	v_rcp_f32_e32 v95, v16
	s_delay_alu instid0(VALU_DEP_1) | instskip(NEXT) | instid1(VALU_DEP_1)
	v_dual_add_f32 v96, 1.0, v4 :: v_dual_add_f32 v13, 1.0, v13
	v_div_scale_f32 v101, null, v96, v96, v11
	s_waitcnt_depctr 0xfff
	v_fma_f32 v100, -v16, v95, 1.0
	v_rcp_f32_e32 v122, v101
	s_delay_alu instid0(VALU_DEP_1) | instskip(SKIP_2) | instid1(VALU_DEP_3)
	v_dual_fmac_f32 v95, v100, v95 :: v_dual_mul_f32 v100, v99, v94
	v_div_scale_f32 v5, null, v13, v13, v8
	v_div_scale_f32 v4, vcc_lo, v8, v13, v8
	v_fma_f32 v121, -v15, v100, v99
	s_delay_alu instid0(VALU_DEP_3) | instskip(SKIP_2) | instid1(VALU_DEP_1)
	v_rcp_f32_e32 v17, v5
	s_waitcnt_depctr 0xfff
	v_fma_f32 v97, -v5, v17, 1.0
	v_fmac_f32_e32 v17, v97, v17
	v_div_scale_f32 v97, s29, v10, v14, v10
	s_delay_alu instid0(VALU_DEP_1) | instskip(NEXT) | instid1(VALU_DEP_1)
	v_dual_mul_f32 v98, v4, v17 :: v_dual_mul_f32 v115, v97, v95
	v_fma_f32 v118, -v5, v98, v4
	s_delay_alu instid0(VALU_DEP_2) | instskip(SKIP_1) | instid1(VALU_DEP_3)
	v_fma_f32 v123, -v16, v115, v97
	v_dual_fmac_f32 v100, v121, v94 :: v_dual_mul_f32 v121, 0xbfb8aa3b, v104
	v_fmac_f32_e32 v98, v118, v17
	v_lshrrev_b32_e32 v118, 16, v7
	s_delay_alu instid0(VALU_DEP_4) | instskip(NEXT) | instid1(VALU_DEP_3)
	v_fmac_f32_e32 v115, v123, v95
	v_fma_f32 v4, -v5, v98, v4
	v_fma_f32 v5, -v15, v100, v99
	v_fma_f32 v15, -v101, v122, 1.0
	v_cvt_f32_f16_e32 v99, v118
	v_rndne_f32_e32 v118, v121
	v_div_fmas_f32 v4, v4, v17, v98
	s_mov_b32 vcc_lo, s28
	v_fma_mix_f32 v17, v6, s85, -v121 op_sel:[1,0,0] op_sel_hi:[1,0,0]
	v_div_fmas_f32 v5, v5, v94, v100
	v_fmac_f32_e32 v122, v15, v122
	v_div_fixup_f32 v4, v4, v13, v8
	v_mul_f32_e32 v13, 0xbfb8aa3b, v99
	v_div_scale_f32 v8, s28, v11, v96, v11
	v_div_fixup_f32 v5, v5, v12, v9
	v_sub_f32_e32 v9, v121, v118
	v_fma_mix_f32 v12, v6, s86, v17 op_sel:[1,0,0] op_sel_hi:[1,0,0]
	v_fma_f32 v15, -v16, v115, v97
	v_mul_f32_e32 v16, v8, v122
	s_mov_b32 vcc_lo, s29
	v_rndne_f32_e32 v17, v13
	v_add_f32_e32 v9, v9, v12
	v_cvt_f32_f16_e32 v12, v7
	v_div_fmas_f32 v15, v15, v95, v115
	v_fma_mix_f32 v94, v7, s85, -v13 op_sel:[1,0,0] op_sel_hi:[1,0,0]
	v_fma_f32 v97, -v101, v16, v8
	v_sub_f32_e32 v13, v13, v17
	v_mul_f32_e32 v95, 0xbfb8aa3b, v12
	v_exp_f32_e32 v9, v9
	v_fma_mix_f32 v94, v7, s86, v94 op_sel:[1,0,0] op_sel_hi:[1,0,0]
	v_fmac_f32_e32 v16, v97, v122
	v_cvt_i32_f32_e32 v98, v118
	v_rndne_f32_e32 v100, v95
	v_fma_mix_f32 v115, v7, s85, -v95 op_sel_hi:[1,0,0]
	v_add_f32_e32 v13, v13, v94
	v_cmp_nlt_f32_e32 vcc_lo, 0x42ce8ed0, v104
	v_cvt_i32_f32_e32 v17, v17
	v_sub_f32_e32 v94, v95, v100
	v_fma_mix_f32 v7, v7, s86, v115 op_sel_hi:[1,0,0]
	v_cvt_f32_f16_e32 v95, v6
	v_ldexp_f32 v9, v9, v98
	v_fma_f32 v8, -v101, v16, v8
	v_div_fixup_f32 v10, v15, v14, v10
	v_add_f32_e32 v7, v94, v7
	v_mul_f32_e32 v94, 0xbfb8aa3b, v95
	s_delay_alu instid0(VALU_DEP_2) | instskip(NEXT) | instid1(VALU_DEP_1)
	v_exp_f32_e32 v7, v7
	v_rndne_f32_e32 v97, v94
	v_fma_mix_f32 v98, v6, s85, -v94 op_sel_hi:[1,0,0]
	s_delay_alu instid0(VALU_DEP_2) | instskip(SKIP_1) | instid1(VALU_DEP_2)
	v_sub_f32_e32 v94, v94, v97
	v_exp_f32_e32 v13, v13
	v_fma_mix_f32 v6, v6, s86, v98 op_sel_hi:[1,0,0]
	v_cndmask_b32_e32 v9, 0, v9, vcc_lo
	v_cmp_ngt_f32_e32 vcc_lo, 0xc2b17218, v104
	s_delay_alu instid0(VALU_DEP_3) | instskip(SKIP_1) | instid1(VALU_DEP_4)
	v_add_f32_e32 v6, v94, v6
	v_cvt_i32_f32_e32 v94, v97
	v_cndmask_b32_e32 v9, 0x7f800000, v9, vcc_lo
	v_cmp_nlt_f32_e32 vcc_lo, 0x42ce8ed0, v99
	s_delay_alu instid0(TRANS32_DEP_1) | instskip(SKIP_2) | instid1(VALU_DEP_2)
	v_ldexp_f32 v13, v13, v17
	v_cvt_i32_f32_e32 v17, v100
	v_exp_f32_e32 v6, v6
	v_cndmask_b32_e32 v13, 0, v13, vcc_lo
	v_cmp_ngt_f32_e32 vcc_lo, 0xc2b17218, v99
	s_delay_alu instid0(VALU_DEP_3) | instskip(NEXT) | instid1(VALU_DEP_3)
	v_ldexp_f32 v7, v7, v17
	v_cndmask_b32_e32 v13, 0x7f800000, v13, vcc_lo
	v_cmp_nlt_f32_e32 vcc_lo, 0x42ce8ed0, v12
	s_waitcnt_depctr 0xfff
	v_ldexp_f32 v6, v6, v94
	v_add_f32_e32 v13, 1.0, v13
	v_cndmask_b32_e32 v7, 0, v7, vcc_lo
	v_cmp_ngt_f32_e32 vcc_lo, 0xc2b17218, v12
	s_delay_alu instid0(VALU_DEP_3) | instskip(NEXT) | instid1(VALU_DEP_3)
	v_div_scale_f32 v100, null, v13, v13, v99
	v_cndmask_b32_e32 v7, 0x7f800000, v7, vcc_lo
	s_mov_b32 vcc_lo, s28
	v_cmp_nlt_f32_e64 s28, 0x42ce8ed0, v95
	v_div_fmas_f32 v8, v8, v122, v16
	v_rcp_f32_e32 v16, v100
	v_add_f32_e32 v94, 1.0, v7
	s_delay_alu instid0(VALU_DEP_3) | instskip(SKIP_2) | instid1(VALU_DEP_2)
	v_cndmask_b32_e64 v6, 0, v6, s28
	v_cmp_ngt_f32_e64 s28, 0xc2b17218, v95
	v_div_fixup_f32 v8, v8, v96, v11
	v_cndmask_b32_e64 v6, 0x7f800000, v6, s28
	s_waitcnt_depctr 0xfff
	v_fma_f32 v115, -v100, v16, 1.0
	s_delay_alu instid0(VALU_DEP_1) | instskip(SKIP_1) | instid1(VALU_DEP_1)
	v_dual_add_f32 v11, 1.0, v6 :: v_dual_fmac_f32 v16, v115, v16
	v_div_scale_f32 v115, s28, v99, v13, v99
	v_dual_add_f32 v9, 1.0, v9 :: v_dual_mul_f32 v14, v115, v16
	s_delay_alu instid0(VALU_DEP_1) | instskip(SKIP_1) | instid1(VALU_DEP_3)
	v_div_scale_f32 v98, null, v9, v9, v104
	v_div_scale_f32 v7, vcc_lo, v104, v9, v104
	v_fma_f32 v96, -v100, v14, v115
	s_delay_alu instid0(VALU_DEP_3) | instskip(NEXT) | instid1(VALU_DEP_1)
	v_rcp_f32_e32 v17, v98
	v_fmac_f32_e32 v14, v96, v16
	s_waitcnt_depctr 0xfff
	v_fma_f32 v97, -v98, v17, 1.0
	s_delay_alu instid0(VALU_DEP_1) | instskip(SKIP_1) | instid1(VALU_DEP_2)
	v_fmac_f32_e32 v17, v97, v17
	v_div_scale_f32 v97, null, v94, v94, v12
	v_mul_f32_e32 v101, v7, v17
	s_delay_alu instid0(VALU_DEP_2) | instskip(NEXT) | instid1(VALU_DEP_1)
	v_rcp_f32_e32 v118, v97
	v_fma_f32 v121, -v98, v101, v7
	s_delay_alu instid0(VALU_DEP_1) | instskip(SKIP_3) | instid1(VALU_DEP_2)
	v_fmac_f32_e32 v101, v121, v17
	s_waitcnt_depctr 0xfff
	v_fma_f32 v6, -v97, v118, 1.0
	v_fma_f32 v7, -v98, v101, v7
	v_fmac_f32_e32 v118, v6, v118
	v_div_scale_f32 v98, s29, v12, v94, v12
	v_fma_mixlo_f16 v6, v120, v8, 0
	s_delay_alu instid0(VALU_DEP_4) | instskip(SKIP_1) | instid1(VALU_DEP_4)
	v_div_fmas_f32 v17, v7, v17, v101
	v_fma_f32 v8, -v100, v14, v115
	v_mul_f32_e32 v96, v98, v118
	v_lshrrev_b32_e32 v101, 16, v0
	s_mov_b32 vcc_lo, s28
	v_fma_mixlo_f16 v7, v119, v10, 0
	v_div_fixup_f32 v10, v17, v9, v104
	v_fma_f32 v9, -v97, v96, v98
	v_div_fmas_f32 v8, v8, v16, v14
	v_cvt_f32_f16_e32 v14, v101
	v_lshrrev_b32_e32 v100, 16, v1
	s_mov_b32 vcc_lo, s29
	v_fmac_f32_e32 v96, v9, v118
	v_div_fixup_f32 v13, v8, v13, v99
	v_mul_f32_e32 v8, 0xbfb8aa3b, v14
	v_cvt_f32_f16_e32 v16, v100
	v_cvt_f32_f16_e32 v99, v1
	v_fma_mixhi_f16 v7, v114, v5, 0
	v_fma_mixhi_f16 v6, v113, v4, 0
	v_rndne_f32_e32 v100, v8
	v_fma_mix_f32 v101, v0, s85, -v8 op_sel:[1,0,0] op_sel_hi:[1,0,0]
	s_delay_alu instid0(VALU_DEP_2) | instskip(NEXT) | instid1(VALU_DEP_2)
	v_sub_f32_e32 v8, v8, v100
	v_fma_mix_f32 v101, v0, s86, v101 op_sel:[1,0,0] op_sel_hi:[1,0,0]
	v_cvt_i32_f32_e32 v100, v100
	s_delay_alu instid0(VALU_DEP_2) | instskip(SKIP_2) | instid1(VALU_DEP_3)
	v_add_f32_e32 v8, v8, v101
	v_div_scale_f32 v15, null, v11, v11, v95
	v_div_scale_f32 v9, s28, v95, v11, v95
	v_exp_f32_e32 v8, v8
	s_delay_alu instid0(VALU_DEP_2) | instskip(SKIP_3) | instid1(VALU_DEP_1)
	v_rcp_f32_e32 v121, v15
	s_waitcnt_depctr 0xfff
	v_ldexp_f32 v8, v8, v100
	v_fma_f32 v17, -v15, v121, 1.0
	v_fmac_f32_e32 v121, v17, v121
	v_fma_f32 v17, -v97, v96, v98
	v_mul_f32_e32 v97, 0xbfb8aa3b, v16
	s_delay_alu instid0(VALU_DEP_2) | instskip(NEXT) | instid1(VALU_DEP_2)
	v_div_fmas_f32 v17, v17, v118, v96
	v_rndne_f32_e32 v104, v97
	v_fma_mix_f32 v115, v1, s85, -v97 op_sel:[1,0,0] op_sel_hi:[1,0,0]
	v_cmp_nlt_f32_e32 vcc_lo, 0x42ce8ed0, v14
	s_delay_alu instid0(VALU_DEP_4) | instskip(NEXT) | instid1(VALU_DEP_4)
	v_div_fixup_f32 v12, v17, v94, v12
	v_sub_f32_e32 v97, v97, v104
	s_delay_alu instid0(VALU_DEP_4) | instskip(SKIP_3) | instid1(VALU_DEP_4)
	v_fma_mix_f32 v115, v1, s86, v115 op_sel:[1,0,0] op_sel_hi:[1,0,0]
	v_cndmask_b32_e32 v8, 0, v8, vcc_lo
	v_cvt_i32_f32_e32 v96, v104
	v_cmp_nlt_f32_e32 vcc_lo, 0x42ce8ed0, v16
	v_add_f32_e32 v97, v97, v115
	s_delay_alu instid0(VALU_DEP_1) | instskip(SKIP_2) | instid1(VALU_DEP_1)
	v_exp_f32_e32 v97, v97
	s_waitcnt_depctr 0xfff
	v_ldexp_f32 v96, v97, v96
	v_cndmask_b32_e32 v96, 0, v96, vcc_lo
	v_cmp_ngt_f32_e32 vcc_lo, 0xc2b17218, v14
	v_mul_f32_e32 v98, v9, v121
	v_cndmask_b32_e32 v8, 0x7f800000, v8, vcc_lo
	v_mul_f32_e32 v119, 0xbfb8aa3b, v99
	s_delay_alu instid0(VALU_DEP_3) | instskip(SKIP_1) | instid1(VALU_DEP_4)
	v_fma_f32 v101, -v15, v98, v9
	v_cmp_ngt_f32_e32 vcc_lo, 0xc2b17218, v16
	v_add_f32_e32 v100, 1.0, v8
	s_delay_alu instid0(VALU_DEP_4)
	v_rndne_f32_e32 v120, v119
	v_fma_mix_f32 v122, v1, s85, -v119 op_sel_hi:[1,0,0]
	v_fmac_f32_e32 v98, v101, v121
	v_cndmask_b32_e32 v96, 0x7f800000, v96, vcc_lo
	v_cmp_nlt_f32_e32 vcc_lo, 0x42ce8ed0, v99
	v_sub_f32_e32 v115, v119, v120
	v_fma_mix_f32 v1, v1, s86, v122 op_sel_hi:[1,0,0]
	v_fma_f32 v9, -v15, v98, v9
	v_cvt_f32_f16_e32 v15, v0
	v_cvt_i32_f32_e32 v97, v120
	s_delay_alu instid0(VALU_DEP_4) | instskip(SKIP_1) | instid1(VALU_DEP_4)
	v_dual_add_f32 v96, 1.0, v96 :: v_dual_add_f32 v1, v115, v1
	v_div_scale_f32 v101, null, v100, v100, v14
	v_cmp_nlt_f32_e64 s29, 0x42ce8ed0, v15
	v_cmp_ngt_f32_e64 s30, 0xc2b17218, v15
	s_delay_alu instid0(VALU_DEP_4) | instskip(NEXT) | instid1(VALU_DEP_3)
	v_exp_f32_e32 v1, v1
	v_rcp_f32_e32 v115, v101
	s_waitcnt_depctr 0xfff
	v_ldexp_f32 v1, v1, v97
	v_mul_f32_e32 v97, 0xbfb8aa3b, v15
	s_delay_alu instid0(VALU_DEP_1) | instskip(SKIP_1) | instid1(VALU_DEP_2)
	v_rndne_f32_e32 v8, v97
	v_fma_mix_f32 v104, v0, s85, -v97 op_sel_hi:[1,0,0]
	v_sub_f32_e32 v97, v97, v8
	s_delay_alu instid0(VALU_DEP_2) | instskip(SKIP_3) | instid1(VALU_DEP_4)
	v_fma_mix_f32 v0, v0, s86, v104 op_sel_hi:[1,0,0]
	v_cndmask_b32_e32 v1, 0, v1, vcc_lo
	v_cmp_ngt_f32_e32 vcc_lo, 0xc2b17218, v99
	v_div_scale_f32 v104, null, v96, v96, v16
	v_add_f32_e32 v0, v97, v0
	v_fma_f32 v97, -v101, v115, 1.0
	v_cndmask_b32_e32 v1, 0x7f800000, v1, vcc_lo
	s_mov_b32 vcc_lo, s28
	v_div_scale_f32 v17, s28, v16, v96, v16
	v_div_fmas_f32 v9, v9, v121, v98
	v_exp_f32_e32 v0, v0
	v_rcp_f32_e32 v98, v104
	v_fmac_f32_e32 v115, v97, v115
	v_div_scale_f32 v97, vcc_lo, v14, v100, v14
	v_div_fixup_f32 v9, v9, v11, v95
	v_cvt_i32_f32_e32 v11, v8
	s_delay_alu instid0(VALU_DEP_2)
	v_fma_mixlo_f16 v8, v117, v9, 0
	s_delay_alu instid0(TRANS32_DEP_2) | instid1(VALU_DEP_2)
	v_ldexp_f32 v0, v0, v11
	s_delay_alu instid0(TRANS32_DEP_1) | instskip(SKIP_1) | instid1(VALU_DEP_4)
	v_fma_f32 v119, -v104, v98, 1.0
	v_mul_f32_e32 v11, v97, v115
	v_fma_mixhi_f16 v8, v110, v10, 0
	s_delay_alu instid0(VALU_DEP_4) | instskip(NEXT) | instid1(VALU_DEP_4)
	v_cndmask_b32_e64 v0, 0, v0, s29
	v_fmac_f32_e32 v98, v119, v98
	s_delay_alu instid0(VALU_DEP_4) | instskip(NEXT) | instid1(VALU_DEP_3)
	v_fma_f32 v94, -v101, v11, v97
	v_cndmask_b32_e64 v0, 0x7f800000, v0, s30
	v_add_f32_e32 v1, 1.0, v1
	s_delay_alu instid0(VALU_DEP_4) | instskip(NEXT) | instid1(VALU_DEP_3)
	v_mul_f32_e32 v117, v17, v98
	v_dual_fmac_f32 v11, v94, v115 :: v_dual_add_f32 v0, 1.0, v0
	s_delay_alu instid0(VALU_DEP_3) | instskip(SKIP_1) | instid1(VALU_DEP_4)
	v_div_scale_f32 v118, null, v1, v1, v99
	v_div_scale_f32 v119, s29, v99, v1, v99
	v_fma_f32 v94, -v104, v117, v17
	s_delay_alu instid0(VALU_DEP_3) | instskip(NEXT) | instid1(VALU_DEP_1)
	v_rcp_f32_e32 v95, v118
	v_fmac_f32_e32 v117, v94, v98
	s_delay_alu instid0(VALU_DEP_1) | instskip(SKIP_3) | instid1(VALU_DEP_2)
	v_fma_f32 v17, -v104, v117, v17
	s_waitcnt_depctr 0xfff
	v_fma_f32 v9, -v118, v95, 1.0
	v_lshrrev_b32_e32 v104, 16, v3
	v_fmac_f32_e32 v95, v9, v95
	v_fma_mixlo_f16 v9, v116, v12, 0
	v_fma_f32 v12, -v101, v11, v97
	s_delay_alu instid0(VALU_DEP_4) | instskip(NEXT) | instid1(VALU_DEP_4)
	v_cvt_f32_f16_e32 v104, v104
	v_mul_f32_e32 v120, v119, v95
	s_delay_alu instid0(VALU_DEP_4) | instskip(NEXT) | instid1(VALU_DEP_4)
	v_fma_mixhi_f16 v9, v109, v13, 0
	v_div_fmas_f32 v11, v12, v115, v11
	v_lshrrev_b32_e32 v12, 16, v2
	s_mov_b32 vcc_lo, s28
	v_fma_f32 v94, -v118, v120, v119
	v_div_fmas_f32 v17, v17, v98, v117
	s_mov_b32 vcc_lo, s29
	v_cvt_f32_f16_e32 v12, v12
	v_cvt_f32_f16_e32 v117, v3
	v_fmac_f32_e32 v120, v94, v95
	v_div_scale_f32 v94, null, v0, v0, v15
	s_delay_alu instid0(VALU_DEP_4) | instskip(SKIP_1) | instid1(VALU_DEP_4)
	v_mul_f32_e32 v101, 0xbfb8aa3b, v12
	v_cmp_nlt_f32_e64 s28, 0x42ce8ed0, v12
	v_fma_f32 v98, -v118, v120, v119
	s_delay_alu instid0(VALU_DEP_4)
	v_rcp_f32_e32 v97, v94
	v_mul_f32_e32 v118, 0xbfb8aa3b, v104
	v_fma_mix_f32 v115, v2, s85, -v101 op_sel:[1,0,0] op_sel_hi:[1,0,0]
	v_cvt_f32_f16_e32 v119, v2
	v_div_fmas_f32 v95, v98, v95, v120
	v_rndne_f32_e32 v98, v101
	v_fma_mix_f32 v120, v3, s85, -v118 op_sel:[1,0,0] op_sel_hi:[1,0,0]
	v_fma_mix_f32 v115, v2, s86, v115 op_sel:[1,0,0] op_sel_hi:[1,0,0]
	v_div_scale_f32 v123, vcc_lo, v15, v0, v15
	s_delay_alu instid0(TRANS32_DEP_1)
	v_fma_f32 v116, -v94, v97, 1.0
	v_sub_f32_e32 v101, v101, v98
	v_fma_mix_f32 v120, v3, s86, v120 op_sel:[1,0,0] op_sel_hi:[1,0,0]
	v_cvt_i32_f32_e32 v98, v98
	v_div_fixup_f32 v1, v95, v1, v99
	v_fmac_f32_e32 v97, v116, v97
	v_dual_mul_f32 v116, 0xbfb8aa3b, v117 :: v_dual_add_f32 v101, v101, v115
	v_rndne_f32_e32 v115, v118
	v_div_fixup_f32 v11, v11, v100, v14
	v_div_fixup_f32 v14, v17, v96, v16
	s_delay_alu instid0(VALU_DEP_4)
	v_rndne_f32_e32 v121, v116
	v_fma_mix_f32 v122, v3, s85, -v116 op_sel_hi:[1,0,0]
	v_exp_f32_e32 v101, v101
	v_sub_f32_e32 v118, v118, v115
	v_cvt_i32_f32_e32 v115, v115
	v_sub_f32_e32 v116, v116, v121
	v_fma_mix_f32 v3, v3, s86, v122 op_sel_hi:[1,0,0]
	v_mul_f32_e32 v122, 0xbfb8aa3b, v119
	v_add_f32_e32 v118, v118, v120
	v_fma_mixlo_f16 v1, v108, v1, 0
	s_delay_alu instid0(VALU_DEP_4) | instskip(NEXT) | instid1(VALU_DEP_4)
	v_add_f32_e32 v3, v116, v3
	v_rndne_f32_e32 v116, v122
	v_fma_mix_f32 v120, v2, s85, -v122 op_sel_hi:[1,0,0]
	v_exp_f32_e32 v118, v118
	v_ldexp_f32 v98, v101, v98
	v_exp_f32_e32 v3, v3
	v_sub_f32_e32 v101, v122, v116
	v_fma_mix_f32 v2, v2, s86, v120 op_sel_hi:[1,0,0]
	v_cvt_i32_f32_e32 v120, v121
	v_cndmask_b32_e64 v98, 0, v98, s28
	v_cmp_ngt_f32_e64 s28, 0xc2b17218, v12
	v_fma_mixhi_f16 v1, v103, v14, 0
	v_add_f32_e32 v2, v101, v2
	v_ldexp_f32 v101, v118, v115
	v_cvt_i32_f32_e32 v115, v116
	v_cndmask_b32_e64 v98, 0x7f800000, v98, s28
	v_cmp_nlt_f32_e64 s28, 0x42ce8ed0, v104
	v_ldexp_f32 v3, v3, v120
	v_exp_f32_e32 v2, v2
	s_delay_alu instid0(VALU_DEP_3) | instskip(NEXT) | instid1(VALU_DEP_3)
	v_add_f32_e32 v98, 1.0, v98
	v_cndmask_b32_e64 v101, 0, v101, s28
	v_cmp_nlt_f32_e64 s28, 0x42ce8ed0, v117
	s_delay_alu instid0(VALU_DEP_1)
	v_cndmask_b32_e64 v3, 0, v3, s28
	v_cmp_ngt_f32_e64 s28, 0xc2b17218, v104
	s_waitcnt_depctr 0xfff
	v_ldexp_f32 v2, v2, v115
	v_div_scale_f32 v115, null, v98, v98, v12
	v_cndmask_b32_e64 v101, 0x7f800000, v101, s28
	v_cmp_ngt_f32_e64 s28, 0xc2b17218, v117
	s_delay_alu instid0(VALU_DEP_3) | instskip(NEXT) | instid1(VALU_DEP_2)
	v_rcp_f32_e32 v116, v115
	v_add_f32_e32 v101, 1.0, v101
	s_delay_alu instid0(VALU_DEP_2) | instskip(SKIP_1) | instid1(VALU_DEP_3)
	v_cndmask_b32_e64 v3, 0x7f800000, v3, s28
	v_cmp_nlt_f32_e64 s28, 0x42ce8ed0, v119
	v_div_scale_f32 v118, null, v101, v101, v104
	s_delay_alu instid0(VALU_DEP_2) | instskip(SKIP_1) | instid1(TRANS32_DEP_1)
	v_cndmask_b32_e64 v2, 0, v2, s28
	v_cmp_ngt_f32_e64 s28, 0xc2b17218, v119
	v_fma_f32 v124, -v115, v116, 1.0
	s_delay_alu instid0(VALU_DEP_4) | instskip(NEXT) | instid1(VALU_DEP_2)
	v_rcp_f32_e32 v122, v118
	v_cndmask_b32_e64 v2, 0x7f800000, v2, s28
	s_delay_alu instid0(VALU_DEP_2) | instskip(SKIP_1) | instid1(VALU_DEP_3)
	v_fmac_f32_e32 v116, v124, v116
	v_div_scale_f32 v124, s28, v12, v98, v12
	v_dual_add_f32 v2, 1.0, v2 :: v_dual_mul_f32 v121, v123, v97
	s_waitcnt_depctr 0xfff
	v_fma_f32 v128, -v118, v122, 1.0
	v_mul_f32_e32 v130, v124, v116
	v_div_scale_f32 v127, null, v2, v2, v119
	v_fma_f32 v126, -v94, v121, v123
	s_delay_alu instid0(VALU_DEP_4) | instskip(SKIP_1) | instid1(VALU_DEP_4)
	v_fmac_f32_e32 v122, v128, v122
	v_div_scale_f32 v128, s29, v104, v101, v104
	v_rcp_f32_e32 v129, v127
	s_delay_alu instid0(VALU_DEP_1) | instskip(NEXT) | instid1(VALU_DEP_1)
	v_dual_fmac_f32 v121, v126, v97 :: v_dual_mul_f32 v132, v128, v122
	v_fma_f32 v94, -v94, v121, v123
	v_fma_f32 v123, -v115, v130, v124
	s_waitcnt_depctr 0xfff
	v_fma_f32 v131, -v127, v129, 1.0
	v_div_fmas_f32 v94, v94, v97, v121
	v_fma_f32 v97, -v118, v132, v128
	v_dual_add_f32 v3, 1.0, v3 :: v_dual_fmac_f32 v130, v123, v116
	s_delay_alu instid0(VALU_DEP_4) | instskip(SKIP_1) | instid1(VALU_DEP_4)
	v_fmac_f32_e32 v129, v131, v129
	v_div_scale_f32 v131, s31, v119, v2, v119
	v_fmac_f32_e32 v132, v97, v122
	s_delay_alu instid0(VALU_DEP_4) | instskip(NEXT) | instid1(VALU_DEP_3)
	v_div_scale_f32 v120, null, v3, v3, v117
	v_mul_f32_e32 v123, v131, v129
	v_div_fixup_f32 v0, v94, v0, v15
	v_fma_f32 v15, -v115, v130, v124
	s_delay_alu instid0(VALU_DEP_4)
	v_rcp_f32_e32 v125, v120
	v_fma_f32 v97, -v118, v132, v128
	v_fma_f32 v94, -v127, v123, v131
	s_mov_b32 vcc_lo, s28
	v_fma_mixlo_f16 v0, v111, v0, 0
	v_div_fmas_f32 v15, v15, v116, v130
	s_mov_b32 vcc_lo, s29
	v_fmac_f32_e32 v123, v94, v129
	v_div_fmas_f32 v97, v97, v122, v132
	v_fma_mixhi_f16 v0, v105, v11, 0
	v_fma_f32 v126, -v120, v125, 1.0
	v_div_fixup_f32 v12, v15, v98, v12
	v_fma_f32 v115, -v127, v123, v131
	v_div_fixup_f32 v15, v97, v101, v104
	s_delay_alu instid0(VALU_DEP_4) | instskip(SKIP_1) | instid1(VALU_DEP_1)
	v_fmac_f32_e32 v125, v126, v125
	v_div_scale_f32 v126, s30, v117, v3, v117
	s_mov_b32 vcc_lo, s30
	s_delay_alu instid0(VALU_DEP_1) | instskip(NEXT) | instid1(VALU_DEP_1)
	v_mul_f32_e32 v133, v126, v125
	v_fma_f32 v121, -v120, v133, v126
	s_delay_alu instid0(VALU_DEP_1) | instskip(NEXT) | instid1(VALU_DEP_1)
	v_fmac_f32_e32 v133, v121, v125
	v_fma_f32 v94, -v120, v133, v126
	s_delay_alu instid0(VALU_DEP_1) | instskip(SKIP_2) | instid1(VALU_DEP_2)
	v_div_fmas_f32 v94, v94, v125, v133
	s_mov_b32 vcc_lo, s31
	v_div_fmas_f32 v115, v115, v129, v123
	v_div_fixup_f32 v3, v94, v3, v117
	s_delay_alu instid0(VALU_DEP_2) | instskip(NEXT) | instid1(VALU_DEP_2)
	v_div_fixup_f32 v2, v115, v2, v119
	v_fma_mixlo_f16 v3, v106, v3, 0
	s_delay_alu instid0(VALU_DEP_2) | instskip(NEXT) | instid1(VALU_DEP_2)
	v_fma_mixlo_f16 v2, v107, v2, 0
	v_fma_mixhi_f16 v3, v112, v15, 0
	s_delay_alu instid0(VALU_DEP_2)
	v_fma_mixhi_f16 v2, v102, v12, 0
	ds_store_b128 v52, v[6:9]
	ds_store_b128 v52, v[0:3] offset:16
	; wave barrier
	ds_load_u16 v16, v37 offset:64
	ds_load_u16 v15, v38 offset:128
	;; [unrolled: 1-line block ×15, first 2 shown]
	v_add_co_u32 v0, vcc_lo, v76, s34
	v_add_co_ci_u32_e32 v1, vcc_lo, s35, v77, vcc_lo
	s_and_saveexec_b32 s28, s12
	s_cbranch_execnz .LBB112_284
; %bb.252:                              ;   in Loop: Header=BB112_12 Depth=1
	s_or_b32 exec_lo, exec_lo, s28
	s_and_saveexec_b32 s12, s13
	s_cbranch_execnz .LBB112_285
.LBB112_253:                            ;   in Loop: Header=BB112_12 Depth=1
	s_or_b32 exec_lo, exec_lo, s12
	s_and_saveexec_b32 s12, s14
	s_cbranch_execnz .LBB112_286
.LBB112_254:                            ;   in Loop: Header=BB112_12 Depth=1
	s_or_b32 exec_lo, exec_lo, s12
	s_and_saveexec_b32 s12, s15
	s_cbranch_execnz .LBB112_287
.LBB112_255:                            ;   in Loop: Header=BB112_12 Depth=1
	s_or_b32 exec_lo, exec_lo, s12
	s_and_saveexec_b32 s12, s16
	s_cbranch_execnz .LBB112_288
.LBB112_256:                            ;   in Loop: Header=BB112_12 Depth=1
	s_or_b32 exec_lo, exec_lo, s12
	s_and_saveexec_b32 s12, s17
	s_cbranch_execnz .LBB112_289
.LBB112_257:                            ;   in Loop: Header=BB112_12 Depth=1
	s_or_b32 exec_lo, exec_lo, s12
	s_and_saveexec_b32 s12, s18
	s_cbranch_execnz .LBB112_290
.LBB112_258:                            ;   in Loop: Header=BB112_12 Depth=1
	s_or_b32 exec_lo, exec_lo, s12
	s_and_saveexec_b32 s12, s19
	s_cbranch_execnz .LBB112_291
.LBB112_259:                            ;   in Loop: Header=BB112_12 Depth=1
	s_or_b32 exec_lo, exec_lo, s12
	s_and_saveexec_b32 s12, s20
	s_cbranch_execnz .LBB112_292
.LBB112_260:                            ;   in Loop: Header=BB112_12 Depth=1
	s_or_b32 exec_lo, exec_lo, s12
	s_and_saveexec_b32 s12, s21
	s_cbranch_execnz .LBB112_293
.LBB112_261:                            ;   in Loop: Header=BB112_12 Depth=1
	s_or_b32 exec_lo, exec_lo, s12
	s_and_saveexec_b32 s12, s22
	s_cbranch_execnz .LBB112_294
.LBB112_262:                            ;   in Loop: Header=BB112_12 Depth=1
	s_or_b32 exec_lo, exec_lo, s12
	s_and_saveexec_b32 s12, s23
	s_cbranch_execnz .LBB112_295
.LBB112_263:                            ;   in Loop: Header=BB112_12 Depth=1
	s_or_b32 exec_lo, exec_lo, s12
	s_and_saveexec_b32 s12, s24
	s_cbranch_execnz .LBB112_296
.LBB112_264:                            ;   in Loop: Header=BB112_12 Depth=1
	s_or_b32 exec_lo, exec_lo, s12
	s_and_saveexec_b32 s12, s25
	s_cbranch_execnz .LBB112_297
.LBB112_265:                            ;   in Loop: Header=BB112_12 Depth=1
	s_or_b32 exec_lo, exec_lo, s12
	s_and_saveexec_b32 s12, s26
	s_cbranch_execnz .LBB112_298
.LBB112_266:                            ;   in Loop: Header=BB112_12 Depth=1
	s_or_b32 exec_lo, exec_lo, s12
	s_and_saveexec_b32 s12, s27
	s_cbranch_execz .LBB112_11
	s_branch .LBB112_299
.LBB112_267:                            ;   in Loop: Header=BB112_12 Depth=1
	global_load_u16 v101, v[8:9], off offset:832
	s_or_b32 exec_lo, exec_lo, s28
	s_and_saveexec_b32 s28, s26
	s_cbranch_execz .LBB112_72
.LBB112_268:                            ;   in Loop: Header=BB112_12 Depth=1
	global_load_u16 v100, v[8:9], off offset:896
	s_or_b32 exec_lo, exec_lo, s28
	v_mov_b32_e32 v102, 0
	s_and_saveexec_b32 s28, s27
	s_cbranch_execnz .LBB112_73
	s_branch .LBB112_74
.LBB112_269:                            ;   in Loop: Header=BB112_12 Depth=1
	ds_load_u16 v17, v37
	s_waitcnt lgkmcnt(0)
	global_store_b16 v[0:1], v17, off
	s_or_b32 exec_lo, exec_lo, s28
	s_and_saveexec_b32 s28, s13
	s_cbranch_execz .LBB112_204
.LBB112_270:                            ;   in Loop: Header=BB112_12 Depth=1
	s_waitcnt lgkmcnt(14)
	global_store_b16 v[0:1], v16, off offset:64
	s_or_b32 exec_lo, exec_lo, s28
	s_and_saveexec_b32 s28, s14
	s_cbranch_execz .LBB112_205
.LBB112_271:                            ;   in Loop: Header=BB112_12 Depth=1
	s_waitcnt lgkmcnt(13)
	global_store_b16 v[0:1], v15, off offset:128
	s_or_b32 exec_lo, exec_lo, s28
	s_and_saveexec_b32 s28, s15
	s_cbranch_execz .LBB112_206
.LBB112_272:                            ;   in Loop: Header=BB112_12 Depth=1
	s_waitcnt lgkmcnt(12)
	global_store_b16 v[0:1], v14, off offset:192
	s_or_b32 exec_lo, exec_lo, s28
	s_and_saveexec_b32 s28, s16
	s_cbranch_execz .LBB112_207
.LBB112_273:                            ;   in Loop: Header=BB112_12 Depth=1
	s_waitcnt lgkmcnt(11)
	global_store_b16 v[0:1], v13, off offset:256
	s_or_b32 exec_lo, exec_lo, s28
	s_and_saveexec_b32 s28, s17
	s_cbranch_execz .LBB112_208
.LBB112_274:                            ;   in Loop: Header=BB112_12 Depth=1
	s_waitcnt lgkmcnt(10)
	global_store_b16 v[0:1], v12, off offset:320
	s_or_b32 exec_lo, exec_lo, s28
	s_and_saveexec_b32 s28, s18
	s_cbranch_execz .LBB112_209
.LBB112_275:                            ;   in Loop: Header=BB112_12 Depth=1
	s_waitcnt lgkmcnt(9)
	global_store_b16 v[0:1], v11, off offset:384
	s_or_b32 exec_lo, exec_lo, s28
	s_and_saveexec_b32 s28, s19
	s_cbranch_execz .LBB112_210
.LBB112_276:                            ;   in Loop: Header=BB112_12 Depth=1
	s_waitcnt lgkmcnt(8)
	global_store_b16 v[0:1], v10, off offset:448
	s_or_b32 exec_lo, exec_lo, s28
	s_and_saveexec_b32 s28, s20
	s_cbranch_execz .LBB112_211
.LBB112_277:                            ;   in Loop: Header=BB112_12 Depth=1
	s_waitcnt lgkmcnt(7)
	global_store_b16 v[0:1], v9, off offset:512
	s_or_b32 exec_lo, exec_lo, s28
	s_and_saveexec_b32 s28, s21
	s_cbranch_execz .LBB112_212
.LBB112_278:                            ;   in Loop: Header=BB112_12 Depth=1
	s_waitcnt lgkmcnt(6)
	global_store_b16 v[0:1], v8, off offset:576
	s_or_b32 exec_lo, exec_lo, s28
	s_and_saveexec_b32 s28, s22
	s_cbranch_execz .LBB112_213
.LBB112_279:                            ;   in Loop: Header=BB112_12 Depth=1
	s_waitcnt lgkmcnt(5)
	global_store_b16 v[0:1], v7, off offset:640
	s_or_b32 exec_lo, exec_lo, s28
	s_and_saveexec_b32 s28, s23
	s_cbranch_execz .LBB112_214
.LBB112_280:                            ;   in Loop: Header=BB112_12 Depth=1
	s_waitcnt lgkmcnt(4)
	global_store_b16 v[0:1], v6, off offset:704
	s_or_b32 exec_lo, exec_lo, s28
	s_and_saveexec_b32 s28, s24
	s_cbranch_execz .LBB112_215
.LBB112_281:                            ;   in Loop: Header=BB112_12 Depth=1
	s_waitcnt lgkmcnt(3)
	global_store_b16 v[0:1], v5, off offset:768
	s_or_b32 exec_lo, exec_lo, s28
	s_and_saveexec_b32 s28, s25
	s_cbranch_execz .LBB112_216
.LBB112_282:                            ;   in Loop: Header=BB112_12 Depth=1
	s_waitcnt lgkmcnt(2)
	global_store_b16 v[0:1], v4, off offset:832
	s_or_b32 exec_lo, exec_lo, s28
	s_and_saveexec_b32 s28, s26
	s_cbranch_execz .LBB112_217
.LBB112_283:                            ;   in Loop: Header=BB112_12 Depth=1
	s_waitcnt lgkmcnt(1)
	global_store_b16 v[0:1], v3, off offset:896
	s_or_b32 exec_lo, exec_lo, s28
	s_and_saveexec_b32 s28, s27
	s_cbranch_execnz .LBB112_218
	s_branch .LBB112_219
.LBB112_284:                            ;   in Loop: Header=BB112_12 Depth=1
	ds_load_u16 v17, v37
	s_waitcnt lgkmcnt(0)
	global_store_b16 v[0:1], v17, off
	s_or_b32 exec_lo, exec_lo, s28
	s_and_saveexec_b32 s12, s13
	s_cbranch_execz .LBB112_253
.LBB112_285:                            ;   in Loop: Header=BB112_12 Depth=1
	s_waitcnt lgkmcnt(14)
	global_store_b16 v[0:1], v16, off offset:64
	s_or_b32 exec_lo, exec_lo, s12
	s_and_saveexec_b32 s12, s14
	s_cbranch_execz .LBB112_254
.LBB112_286:                            ;   in Loop: Header=BB112_12 Depth=1
	s_waitcnt lgkmcnt(13)
	global_store_b16 v[0:1], v15, off offset:128
	s_or_b32 exec_lo, exec_lo, s12
	s_and_saveexec_b32 s12, s15
	s_cbranch_execz .LBB112_255
.LBB112_287:                            ;   in Loop: Header=BB112_12 Depth=1
	s_waitcnt lgkmcnt(12)
	global_store_b16 v[0:1], v14, off offset:192
	s_or_b32 exec_lo, exec_lo, s12
	s_and_saveexec_b32 s12, s16
	s_cbranch_execz .LBB112_256
.LBB112_288:                            ;   in Loop: Header=BB112_12 Depth=1
	s_waitcnt lgkmcnt(11)
	global_store_b16 v[0:1], v13, off offset:256
	s_or_b32 exec_lo, exec_lo, s12
	s_and_saveexec_b32 s12, s17
	s_cbranch_execz .LBB112_257
.LBB112_289:                            ;   in Loop: Header=BB112_12 Depth=1
	s_waitcnt lgkmcnt(10)
	global_store_b16 v[0:1], v12, off offset:320
	s_or_b32 exec_lo, exec_lo, s12
	s_and_saveexec_b32 s12, s18
	s_cbranch_execz .LBB112_258
.LBB112_290:                            ;   in Loop: Header=BB112_12 Depth=1
	s_waitcnt lgkmcnt(9)
	global_store_b16 v[0:1], v11, off offset:384
	s_or_b32 exec_lo, exec_lo, s12
	s_and_saveexec_b32 s12, s19
	s_cbranch_execz .LBB112_259
.LBB112_291:                            ;   in Loop: Header=BB112_12 Depth=1
	s_waitcnt lgkmcnt(8)
	global_store_b16 v[0:1], v10, off offset:448
	s_or_b32 exec_lo, exec_lo, s12
	s_and_saveexec_b32 s12, s20
	s_cbranch_execz .LBB112_260
.LBB112_292:                            ;   in Loop: Header=BB112_12 Depth=1
	s_waitcnt lgkmcnt(7)
	global_store_b16 v[0:1], v9, off offset:512
	s_or_b32 exec_lo, exec_lo, s12
	s_and_saveexec_b32 s12, s21
	s_cbranch_execz .LBB112_261
.LBB112_293:                            ;   in Loop: Header=BB112_12 Depth=1
	s_waitcnt lgkmcnt(6)
	global_store_b16 v[0:1], v8, off offset:576
	s_or_b32 exec_lo, exec_lo, s12
	s_and_saveexec_b32 s12, s22
	s_cbranch_execz .LBB112_262
.LBB112_294:                            ;   in Loop: Header=BB112_12 Depth=1
	s_waitcnt lgkmcnt(5)
	global_store_b16 v[0:1], v7, off offset:640
	s_or_b32 exec_lo, exec_lo, s12
	s_and_saveexec_b32 s12, s23
	s_cbranch_execz .LBB112_263
.LBB112_295:                            ;   in Loop: Header=BB112_12 Depth=1
	s_waitcnt lgkmcnt(4)
	global_store_b16 v[0:1], v6, off offset:704
	s_or_b32 exec_lo, exec_lo, s12
	s_and_saveexec_b32 s12, s24
	s_cbranch_execz .LBB112_264
.LBB112_296:                            ;   in Loop: Header=BB112_12 Depth=1
	s_waitcnt lgkmcnt(3)
	global_store_b16 v[0:1], v5, off offset:768
	s_or_b32 exec_lo, exec_lo, s12
	s_and_saveexec_b32 s12, s25
	s_cbranch_execz .LBB112_265
.LBB112_297:                            ;   in Loop: Header=BB112_12 Depth=1
	s_waitcnt lgkmcnt(2)
	global_store_b16 v[0:1], v4, off offset:832
	s_or_b32 exec_lo, exec_lo, s12
	s_and_saveexec_b32 s12, s26
	s_cbranch_execz .LBB112_266
.LBB112_298:                            ;   in Loop: Header=BB112_12 Depth=1
	s_waitcnt lgkmcnt(1)
	global_store_b16 v[0:1], v3, off offset:896
	s_or_b32 exec_lo, exec_lo, s12
	s_and_saveexec_b32 s12, s27
	s_cbranch_execz .LBB112_11
.LBB112_299:                            ;   in Loop: Header=BB112_12 Depth=1
	s_waitcnt lgkmcnt(0)
	global_store_b16 v[0:1], v2, off offset:960
	s_branch .LBB112_11
.LBB112_300:
	s_nop 0
	s_sendmsg sendmsg(MSG_DEALLOC_VGPRS)
	s_endpgm
	.section	.rodata,"a",@progbits
	.p2align	6, 0x0
	.amdhsa_kernel _Z25selective_scan_fwd_kernelI32Selective_Scan_fwd_kernel_traitsILi64ELi16ELi1ELb1ELb1ELb1ELb1ELb1EN3c104HalfEffEEv13SSMParamsBase
		.amdhsa_group_segment_fixed_size 0
		.amdhsa_private_segment_fixed_size 0
		.amdhsa_kernarg_size 248
		.amdhsa_user_sgpr_count 14
		.amdhsa_user_sgpr_dispatch_ptr 0
		.amdhsa_user_sgpr_queue_ptr 0
		.amdhsa_user_sgpr_kernarg_segment_ptr 1
		.amdhsa_user_sgpr_dispatch_id 0
		.amdhsa_user_sgpr_private_segment_size 0
		.amdhsa_wavefront_size32 1
		.amdhsa_uses_dynamic_stack 0
		.amdhsa_enable_private_segment 0
		.amdhsa_system_sgpr_workgroup_id_x 1
		.amdhsa_system_sgpr_workgroup_id_y 1
		.amdhsa_system_sgpr_workgroup_id_z 0
		.amdhsa_system_sgpr_workgroup_info 0
		.amdhsa_system_vgpr_workitem_id 0
		.amdhsa_next_free_vgpr 176
		.amdhsa_next_free_sgpr 94
		.amdhsa_reserve_vcc 1
		.amdhsa_float_round_mode_32 0
		.amdhsa_float_round_mode_16_64 0
		.amdhsa_float_denorm_mode_32 3
		.amdhsa_float_denorm_mode_16_64 3
		.amdhsa_dx10_clamp 1
		.amdhsa_ieee_mode 1
		.amdhsa_fp16_overflow 0
		.amdhsa_workgroup_processor_mode 1
		.amdhsa_memory_ordered 1
		.amdhsa_forward_progress 0
		.amdhsa_shared_vgpr_count 0
		.amdhsa_exception_fp_ieee_invalid_op 0
		.amdhsa_exception_fp_denorm_src 0
		.amdhsa_exception_fp_ieee_div_zero 0
		.amdhsa_exception_fp_ieee_overflow 0
		.amdhsa_exception_fp_ieee_underflow 0
		.amdhsa_exception_fp_ieee_inexact 0
		.amdhsa_exception_int_div_zero 0
	.end_amdhsa_kernel
	.section	.text._Z25selective_scan_fwd_kernelI32Selective_Scan_fwd_kernel_traitsILi64ELi16ELi1ELb1ELb1ELb1ELb1ELb1EN3c104HalfEffEEv13SSMParamsBase,"axG",@progbits,_Z25selective_scan_fwd_kernelI32Selective_Scan_fwd_kernel_traitsILi64ELi16ELi1ELb1ELb1ELb1ELb1ELb1EN3c104HalfEffEEv13SSMParamsBase,comdat
.Lfunc_end112:
	.size	_Z25selective_scan_fwd_kernelI32Selective_Scan_fwd_kernel_traitsILi64ELi16ELi1ELb1ELb1ELb1ELb1ELb1EN3c104HalfEffEEv13SSMParamsBase, .Lfunc_end112-_Z25selective_scan_fwd_kernelI32Selective_Scan_fwd_kernel_traitsILi64ELi16ELi1ELb1ELb1ELb1ELb1ELb1EN3c104HalfEffEEv13SSMParamsBase
                                        ; -- End function
	.section	.AMDGPU.csdata,"",@progbits
; Kernel info:
; codeLenInByte = 26060
; NumSgprs: 96
; NumVgprs: 176
; ScratchSize: 0
; MemoryBound: 0
; FloatMode: 240
; IeeeMode: 1
; LDSByteSize: 0 bytes/workgroup (compile time only)
; SGPRBlocks: 11
; VGPRBlocks: 21
; NumSGPRsForWavesPerEU: 96
; NumVGPRsForWavesPerEU: 176
; Occupancy: 8
; WaveLimiterHint : 1
; COMPUTE_PGM_RSRC2:SCRATCH_EN: 0
; COMPUTE_PGM_RSRC2:USER_SGPR: 14
; COMPUTE_PGM_RSRC2:TRAP_HANDLER: 0
; COMPUTE_PGM_RSRC2:TGID_X_EN: 1
; COMPUTE_PGM_RSRC2:TGID_Y_EN: 1
; COMPUTE_PGM_RSRC2:TGID_Z_EN: 0
; COMPUTE_PGM_RSRC2:TIDIG_COMP_CNT: 0
	.section	.text._Z25selective_scan_fwd_kernelI32Selective_Scan_fwd_kernel_traitsILi64ELi16ELi1ELb1ELb1ELb1ELb1ELb0EN3c104HalfEffEEv13SSMParamsBase,"axG",@progbits,_Z25selective_scan_fwd_kernelI32Selective_Scan_fwd_kernel_traitsILi64ELi16ELi1ELb1ELb1ELb1ELb1ELb0EN3c104HalfEffEEv13SSMParamsBase,comdat
	.protected	_Z25selective_scan_fwd_kernelI32Selective_Scan_fwd_kernel_traitsILi64ELi16ELi1ELb1ELb1ELb1ELb1ELb0EN3c104HalfEffEEv13SSMParamsBase ; -- Begin function _Z25selective_scan_fwd_kernelI32Selective_Scan_fwd_kernel_traitsILi64ELi16ELi1ELb1ELb1ELb1ELb1ELb0EN3c104HalfEffEEv13SSMParamsBase
	.globl	_Z25selective_scan_fwd_kernelI32Selective_Scan_fwd_kernel_traitsILi64ELi16ELi1ELb1ELb1ELb1ELb1ELb0EN3c104HalfEffEEv13SSMParamsBase
	.p2align	8
	.type	_Z25selective_scan_fwd_kernelI32Selective_Scan_fwd_kernel_traitsILi64ELi16ELi1ELb1ELb1ELb1ELb1ELb0EN3c104HalfEffEEv13SSMParamsBase,@function
_Z25selective_scan_fwd_kernelI32Selective_Scan_fwd_kernel_traitsILi64ELi16ELi1ELb1ELb1ELb1ELb1ELb0EN3c104HalfEffEEv13SSMParamsBase: ; @_Z25selective_scan_fwd_kernelI32Selective_Scan_fwd_kernel_traitsILi64ELi16ELi1ELb1ELb1ELb1ELb1ELb0EN3c104HalfEffEEv13SSMParamsBase
; %bb.0:
	s_clause 0x1
	s_load_b32 s9, s[0:1], 0x18
	s_load_b128 s[4:7], s[0:1], 0xe8
	s_mov_b32 s54, s15
	s_mov_b32 s33, 0
	s_waitcnt lgkmcnt(0)
	s_abs_i32 s8, s9
	s_cmp_eq_u64 s[6:7], 0
	v_cvt_f32_u32_e32 v1, s8
	s_delay_alu instid0(VALU_DEP_1) | instskip(SKIP_2) | instid1(VALU_DEP_1)
	v_rcp_iflag_f32_e32 v1, v1
	s_waitcnt_depctr 0xfff
	v_mul_f32_e32 v1, 0x4f7ffffe, v1
	v_cvt_u32_f32_e32 v1, v1
	s_delay_alu instid0(VALU_DEP_1)
	v_readfirstlane_b32 s10, v1
	s_cbranch_scc1 .LBB113_2
; %bb.1:
	v_mov_b32_e32 v1, 0
	s_ashr_i32 s3, s14, 31
	s_add_u32 s2, s6, s14
	s_addc_u32 s3, s7, s3
	global_load_u8 v1, v1, s[2:3]
	s_waitcnt vmcnt(0)
	v_and_b32_e32 v1, 1, v1
	s_delay_alu instid0(VALU_DEP_1)
	v_cmp_eq_u32_e64 s33, 1, v1
.LBB113_2:
	s_load_b64 s[6:7], s[0:1], 0x20
	s_cmp_eq_u64 s[4:5], 0
	s_cbranch_scc1 .LBB113_4
; %bb.3:
	s_ashr_i32 s15, s14, 31
	s_delay_alu instid0(SALU_CYCLE_1) | instskip(NEXT) | instid1(SALU_CYCLE_1)
	s_lshl_b64 s[2:3], s[14:15], 2
	s_add_u32 s2, s4, s2
	s_addc_u32 s3, s5, s3
	s_load_b32 s2, s[2:3], 0x0
	s_waitcnt lgkmcnt(0)
	s_ashr_i32 s3, s2, 31
	s_delay_alu instid0(SALU_CYCLE_1)
	s_cmp_eq_u64 s[6:7], s[2:3]
	s_cbranch_scc0 .LBB113_5
	s_branch .LBB113_88
.LBB113_4:
	s_mov_b32 s2, s14
	s_delay_alu instid0(SALU_CYCLE_1)
	s_ashr_i32 s3, s2, 31
	s_waitcnt lgkmcnt(0)
	s_cmp_eq_u64 s[6:7], s[2:3]
	s_cbranch_scc1 .LBB113_88
.LBB113_5:
	s_clause 0x1
	s_load_b512 s[16:31], s[0:1], 0x88
	s_load_b64 s[34:35], s[0:1], 0x8
	s_mov_b32 s56, 0
	s_mov_b32 s57, 0
	s_waitcnt lgkmcnt(0)
	s_cmp_eq_u64 s[22:23], 0
	s_cbranch_scc1 .LBB113_7
; %bb.6:
	s_ashr_i32 s55, s54, 31
	s_delay_alu instid0(SALU_CYCLE_1) | instskip(NEXT) | instid1(SALU_CYCLE_1)
	s_lshl_b64 s[4:5], s[54:55], 2
	s_add_u32 s4, s22, s4
	s_addc_u32 s5, s23, s5
	s_load_b32 s57, s[4:5], 0x0
.LBB113_7:
	s_cmp_eq_u64 s[28:29], 0
	s_cbranch_scc1 .LBB113_9
; %bb.8:
	s_ashr_i32 s55, s54, 31
	s_delay_alu instid0(SALU_CYCLE_1) | instskip(NEXT) | instid1(SALU_CYCLE_1)
	s_lshl_b64 s[4:5], s[54:55], 2
	s_add_u32 s4, s28, s4
	s_addc_u32 s5, s29, s5
	s_load_b32 s56, s[4:5], 0x0
.LBB113_9:
	s_cmp_lt_i32 s34, 1
	s_cbranch_scc1 .LBB113_88
; %bb.10:
	s_sub_i32 s3, 0, s8
	s_load_b256 s[36:43], s[0:1], 0x4c
	s_mul_i32 s3, s3, s10
	s_abs_i32 s4, s54
	s_mul_hi_u32 s3, s10, s3
	s_ashr_i32 s6, s9, 31
	s_add_i32 s10, s10, s3
	s_ashr_i32 s3, s54, 31
	s_mul_hi_u32 s5, s4, s10
	s_xor_b32 s3, s3, s6
	s_mul_i32 s7, s5, s8
	s_add_i32 s6, s5, 1
	s_sub_i32 s4, s4, s7
	s_load_b256 s[44:51], s[0:1], 0x2c
	s_sub_i32 s7, s4, s8
	s_cmp_ge_u32 s4, s8
	s_mov_b32 s53, 0
	s_cselect_b32 s5, s6, s5
	s_cselect_b32 s4, s7, s4
	s_add_i32 s6, s5, 1
	s_cmp_ge_u32 s4, s8
	s_waitcnt lgkmcnt(0)
	s_mul_i32 s52, s38, s14
	s_cselect_b32 s6, s6, s5
	s_lshl_b64 s[4:5], s[52:53], 1
	s_xor_b32 s6, s6, s3
	s_mul_i32 s52, s39, s54
	s_sub_i32 s3, s6, s3
	s_add_u32 s6, s24, s4
	s_addc_u32 s7, s25, s5
	s_lshl_b64 s[4:5], s[52:53], 1
	s_mul_i32 s52, s40, s14
	s_add_u32 s51, s6, s4
	s_addc_u32 s55, s7, s5
	s_lshl_b64 s[4:5], s[52:53], 1
	s_mul_i32 s52, s41, s54
	;; [unrolled: 4-line block ×3, first 2 shown]
	s_add_u32 s58, s6, s4
	s_addc_u32 s44, s7, s5
	s_clause 0x1
	s_load_b64 s[6:7], s[0:1], 0x7c
	s_load_b32 s62, s[0:1], 0x84
	s_lshl_b64 s[4:5], s[52:53], 2
	s_mul_i32 s52, s46, s14
	s_add_u32 s59, s16, s4
	s_addc_u32 s60, s17, s5
	s_lshl_b64 s[4:5], s[52:53], 1
	s_mul_i32 s52, s3, s49
	s_load_b128 s[24:27], s[0:1], 0xc8
	s_add_u32 s8, s18, s4
	s_addc_u32 s9, s19, s5
	s_lshl_b64 s[4:5], s[52:53], 1
	s_mul_i32 s52, s50, s14
	s_add_u32 s49, s8, s4
	v_dual_mov_b32 v42, 0 :: v_dual_lshlrev_b32 v1, 1, v0
	s_addc_u32 s50, s9, s5
	s_lshl_b64 s[4:5], s[52:53], 1
	s_mul_i32 s52, s3, s37
	s_add_u32 s8, s20, s4
	s_addc_u32 s3, s21, s5
	s_lshl_b64 s[4:5], s[52:53], 1
	s_load_b128 s[16:19], s[0:1], 0x6c
	s_waitcnt lgkmcnt(0)
	s_mul_i32 s52, s2, s6
	s_load_b32 s6, s[0:1], 0x28
	v_mbcnt_lo_u32_b32 v2, -1, 0
	v_and_b32_e32 v1, 64, v1
	s_add_u32 s37, s8, s4
	s_addc_u32 s61, s3, s5
	s_lshl_b64 s[2:3], s[52:53], 2
	v_and_b32_e32 v4, 32, v0
	v_or_b32_e32 v3, v2, v1
	s_mul_i32 s52, s7, s54
	s_load_b64 s[20:21], s[0:1], 0xd8
	s_add_u32 s4, s24, s2
	s_addc_u32 s5, s25, s3
	v_or_b32_e32 v6, 32, v3
	s_lshl_b64 s[2:3], s[52:53], 2
	v_lshrrev_b32_e32 v5, 5, v1
	s_add_u32 s63, s4, s2
	v_or_b32_e32 v7, v2, v4
	v_lshrrev_b32_e32 v8, 5, v6
	s_addc_u32 s64, s5, s3
	s_add_i32 s2, s34, 0x7ff
	v_cmp_gt_u32_e64 s0, 0x80, v3
	s_lshr_b32 s65, s2, 11
	s_waitcnt lgkmcnt(0)
	s_bitcmp1_b32 s6, 0
	v_add_nc_u32_e32 v5, v5, v3
	v_lshlrev_b32_e32 v9, 1, v7
	v_bfe_u32 v7, v7, 4, 27
	v_add_lshl_u32 v3, v8, v3, 4
	s_cselect_b32 s66, -1, 0
	s_cmp_gt_i32 s35, 0
	v_lshl_add_u32 v43, v5, 4, 0
	s_cselect_b32 s67, -1, 0
	s_add_i32 s2, 0, 0x840
	v_add_lshl_u32 v5, v7, v9, 4
	v_add_nc_u32_e32 v44, 0, v3
	v_add_nc_u32_e32 v46, s2, v3
	v_and_b32_e32 v3, 15, v2
	s_and_b32 s3, s34, 0x3ff
	v_add_nc_u32_e32 v47, s2, v5
	s_cmp_eq_u32 s3, 0
	s_mul_i32 s52, s16, s14
	v_cmp_ne_u32_e64 s2, 0, v3
	v_cmp_lt_u32_e64 s3, 1, v3
	v_cmp_lt_u32_e64 s4, 3, v3
	;; [unrolled: 1-line block ×3, first 2 shown]
	v_add_nc_u32_e32 v3, -1, v2
	s_cselect_b32 s68, -1, 0
	s_lshl_b64 s[22:23], s[52:53], 1
	v_add_nc_u32_e32 v45, 0, v5
	v_lshrrev_b32_e32 v5, 2, v0
	v_cmp_gt_i32_e32 vcc_lo, 0, v3
	s_add_i32 s69, s65, -1
	s_mul_i32 s52, s17, s54
	s_add_u32 s15, s30, s22
	s_addc_u32 s22, s31, s23
	v_cndmask_b32_e32 v3, v3, v2, vcc_lo
	v_or_b32_e32 v4, 31, v4
	s_lshl_b64 s[16:17], s[52:53], 1
	s_mul_i32 s52, s42, s14
	v_lshlrev_b32_e32 v48, 4, v0
	v_cmp_gt_u32_e64 s8, 2, v0
	v_cmp_eq_u32_e64 s7, v4, v0
	v_lshl_add_u32 v50, v0, 3, 0
	v_cmp_gt_u32_e64 s10, 32, v0
	v_cmp_lt_u32_e64 s11, 31, v0
	v_cmp_eq_u32_e64 s12, 0, v0
	s_add_u32 s15, s15, s16
	v_lshlrev_b32_e32 v0, 4, v2
	v_and_b32_e32 v5, 8, v5
	s_addc_u32 s22, s22, s17
	s_lshl_b64 s[16:17], s[52:53], 1
	v_and_b32_e32 v4, 1, v2
	s_mul_i32 s52, s43, s54
	s_add_u32 s23, s26, s16
	s_addc_u32 s24, s27, s17
	s_lshl_b64 s[16:17], s[52:53], 1
	v_lshlrev_b32_e32 v51, 2, v3
	v_add_co_u32 v3, s15, s15, v0
	s_mul_i32 s52, s18, s14
	v_add_nc_u32_e32 v49, 0, v5
	s_add_u32 s16, s23, s16
	v_lshlrev_b32_e32 v5, 4, v1
	v_cmp_eq_u32_e64 s9, 0, v4
	v_add_co_ci_u32_e64 v4, null, s22, 0, s15
	s_addc_u32 s17, s24, s17
	s_lshl_b64 s[14:15], s[52:53], 1
	s_mul_i32 s52, s19, s54
	s_add_u32 s18, s20, s14
	s_addc_u32 s19, s21, s15
	s_lshl_b64 s[14:15], s[52:53], 1
	v_cmp_gt_u32_e64 s1, 0x80, v6
	v_and_b32_e32 v6, 16, v2
	v_add_co_u32 v52, vcc_lo, v3, v5
	v_add_co_u32 v3, s16, s16, v0
	s_add_u32 s14, s18, s14
	v_add_co_ci_u32_e32 v53, vcc_lo, 0, v4, vcc_lo
	v_add_co_ci_u32_e64 v4, null, s17, 0, s16
	s_addc_u32 s15, s19, s15
	v_add_co_u32 v0, s14, s14, v0
	v_cmp_ne_u32_e64 s6, 0, v6
	v_add_co_ci_u32_e64 v6, null, s15, 0, s14
	v_add_co_u32 v54, vcc_lo, v3, v5
	v_add_co_ci_u32_e32 v55, vcc_lo, 0, v4, vcc_lo
	v_add_co_u32 v56, vcc_lo, v0, v5
	v_cmp_eq_u32_e64 s13, 0, v2
	v_add_co_ci_u32_e32 v57, vcc_lo, 0, v6, vcc_lo
	v_or_b32_e32 v58, 1, v48
	v_or_b32_e32 v59, 2, v48
	;; [unrolled: 1-line block ×15, first 2 shown]
	v_lshlrev_b32_e32 v73, 4, v2
	v_lshlrev_b32_e32 v74, 4, v1
	s_mov_b32 s54, 0x3e9b6dac
	s_add_i32 s70, 0, 0x1090
	s_mov_b32 s71, 0xbfb8aa3b
	s_mov_b32 s72, 0xb2a5705f
	;; [unrolled: 1-line block ×3, first 2 shown]
                                        ; implicit-def: $vgpr0
                                        ; implicit-def: $vgpr4
                                        ; implicit-def: $vgpr12
                                        ; implicit-def: $vgpr8
                                        ; implicit-def: $vgpr20
                                        ; implicit-def: $vgpr16
	s_branch .LBB113_12
.LBB113_11:                             ;   in Loop: Header=BB113_12 Depth=1
	s_or_b32 exec_lo, exec_lo, s14
	s_waitcnt vmcnt(0)
	ds_store_2addr_b32 v43, v0, v1 offset1:1
	ds_store_2addr_b32 v43, v2, v3 offset0:2 offset1:3
	ds_store_b128 v44, v[4:7] offset:512
	; wave barrier
	ds_load_b128 v[0:3], v45
	ds_load_b128 v[4:7], v45 offset:16
	s_waitcnt lgkmcnt(0)
	s_barrier
	buffer_gl0_inv
	s_add_u32 s58, s58, 0x800
	s_addc_u32 s44, s44, 0
	s_add_u32 s51, s51, 0x800
	s_addc_u32 s55, s55, 0
	;; [unrolled: 2-line block ×4, first 2 shown]
	s_add_i32 s73, s73, 1
	s_delay_alu instid0(SALU_CYCLE_1)
	s_cmp_eq_u32 s73, s65
	v_cvt_f32_f16_e32 v25, v0
	v_lshrrev_b32_e32 v28, 16, v2
	v_cvt_f32_f16_e32 v30, v2
	v_lshrrev_b32_e32 v26, 16, v1
	v_cvt_f32_f16_e32 v27, v1
	v_mul_f32_e32 v29, 0xbfb8aa3b, v25
	v_cvt_f32_f16_e32 v32, v28
	v_mul_f32_e32 v28, 0xbfb8aa3b, v30
	v_lshrrev_b32_e32 v24, 16, v0
	v_cvt_f32_f16_e32 v26, v26
	v_mul_f32_e32 v31, 0xbfb8aa3b, v27
	v_rndne_f32_e32 v34, v29
	v_rndne_f32_e32 v40, v28
	v_fma_mix_f32 v41, v2, s71, -v28 op_sel_hi:[1,0,0]
	v_mul_f32_e32 v36, 0xbfb8aa3b, v26
	v_cvt_f32_f16_e32 v24, v24
	v_fma_mix_f32 v35, v0, s71, -v29 op_sel_hi:[1,0,0]
	v_rndne_f32_e32 v37, v31
	v_fma_mix_f32 v38, v1, s71, -v31 op_sel_hi:[1,0,0]
	v_dual_sub_f32 v29, v29, v34 :: v_dual_sub_f32 v28, v28, v40
	v_fma_mix_f32 v41, v2, s72, v41 op_sel_hi:[1,0,0]
	v_mul_f32_e32 v39, 0xbfb8aa3b, v32
	v_sub_f32_e32 v31, v31, v37
	v_fma_mix_f32 v38, v1, s72, v38 op_sel_hi:[1,0,0]
	v_fma_mix_f32 v35, v0, s72, v35 op_sel_hi:[1,0,0]
	v_add_f32_e32 v28, v28, v41
	v_rndne_f32_e32 v79, v39
	v_mul_f32_e32 v33, 0xbfb8aa3b, v24
	v_add_f32_e32 v31, v31, v38
	v_cmp_nlt_f32_e32 vcc_lo, 0x42ce8ed0, v24
	v_rndne_f32_e32 v77, v36
	v_sub_f32_e32 v38, v39, v79
	v_rndne_f32_e32 v75, v33
	v_fma_mix_f32 v76, v0, s71, -v33 op_sel:[1,0,0] op_sel_hi:[1,0,0]
	v_fma_mix_f32 v78, v1, s71, -v36 op_sel:[1,0,0] op_sel_hi:[1,0,0]
	v_cvt_i32_f32_e32 v34, v34
	v_fma_mix_f32 v80, v2, s71, -v39 op_sel:[1,0,0] op_sel_hi:[1,0,0]
	v_sub_f32_e32 v33, v33, v75
	v_fma_mix_f32 v76, v0, s72, v76 op_sel:[1,0,0] op_sel_hi:[1,0,0]
	v_cvt_i32_f32_e32 v75, v75
	v_exp_f32_e32 v31, v31
	v_fma_mix_f32 v39, v2, s72, v80 op_sel:[1,0,0] op_sel_hi:[1,0,0]
	v_cvt_i32_f32_e32 v37, v37
	v_add_f32_e32 v33, v33, v76
	v_cvt_i32_f32_e32 v76, v77
	v_cmp_nlt_f32_e64 s16, 0x42ce8ed0, v32
	v_add_f32_e32 v38, v38, v39
	s_delay_alu instid0(VALU_DEP_4) | instskip(NEXT) | instid1(TRANS32_DEP_2)
	v_exp_f32_e32 v33, v33
	v_ldexp_f32 v31, v31, v37
	s_waitcnt_depctr 0xfff
	v_ldexp_f32 v33, v33, v75
	s_delay_alu instid0(VALU_DEP_1) | instskip(SKIP_4) | instid1(VALU_DEP_3)
	v_cndmask_b32_e32 v33, 0, v33, vcc_lo
	v_cmp_ngt_f32_e32 vcc_lo, 0xc2b17218, v24
	v_add_f32_e32 v29, v29, v35
	v_sub_f32_e32 v35, v36, v77
	v_fma_mix_f32 v36, v1, s72, v78 op_sel:[1,0,0] op_sel_hi:[1,0,0]
	v_exp_f32_e32 v29, v29
	s_delay_alu instid0(VALU_DEP_1) | instskip(SKIP_1) | instid1(VALU_DEP_2)
	v_add_f32_e32 v35, v35, v36
	v_cvt_i32_f32_e32 v36, v79
	v_exp_f32_e32 v35, v35
	s_waitcnt_depctr 0xfff
	v_ldexp_f32 v29, v29, v34
	v_exp_f32_e32 v34, v28
	v_cndmask_b32_e32 v28, 0x7f800000, v33, vcc_lo
	v_cmp_nlt_f32_e32 vcc_lo, 0x42ce8ed0, v25
	v_exp_f32_e32 v33, v38
	s_delay_alu instid0(VALU_DEP_2) | instskip(SKIP_2) | instid1(VALU_DEP_3)
	v_dual_add_f32 v28, 1.0, v28 :: v_dual_cndmask_b32 v29, 0, v29
	v_cmp_ngt_f32_e32 vcc_lo, 0xc2b17218, v25
	v_ldexp_f32 v35, v35, v76
	v_div_scale_f32 v38, null, v28, v28, v24
	s_delay_alu instid0(VALU_DEP_4) | instskip(SKIP_1) | instid1(TRANS32_DEP_1)
	v_cndmask_b32_e32 v29, 0x7f800000, v29, vcc_lo
	v_cmp_nlt_f32_e32 vcc_lo, 0x42ce8ed0, v26
	v_ldexp_f32 v33, v33, v36
	s_delay_alu instid0(VALU_DEP_4) | instskip(NEXT) | instid1(VALU_DEP_3)
	v_rcp_f32_e32 v37, v38
	v_add_f32_e32 v29, 1.0, v29
	v_cndmask_b32_e32 v35, 0, v35, vcc_lo
	v_cmp_ngt_f32_e32 vcc_lo, 0xc2b17218, v26
	v_cndmask_b32_e64 v33, 0, v33, s16
	s_delay_alu instid0(VALU_DEP_4) | instskip(NEXT) | instid1(VALU_DEP_4)
	v_div_scale_f32 v39, null, v29, v29, v25
	v_cndmask_b32_e32 v35, 0x7f800000, v35, vcc_lo
	v_cmp_nlt_f32_e32 vcc_lo, 0x42ce8ed0, v27
	s_delay_alu instid0(TRANS32_DEP_1) | instskip(NEXT) | instid1(VALU_DEP_4)
	v_fma_f32 v75, -v38, v37, 1.0
	v_rcp_f32_e32 v36, v39
	v_div_scale_f32 v78, s14, v25, v29, v25
	v_add_f32_e32 v35, 1.0, v35
	v_cndmask_b32_e32 v31, 0, v31, vcc_lo
	v_cmp_ngt_f32_e32 vcc_lo, 0xc2b17218, v27
	v_fmac_f32_e32 v37, v75, v37
	s_delay_alu instid0(VALU_DEP_4) | instskip(NEXT) | instid1(VALU_DEP_4)
	v_div_scale_f32 v41, null, v35, v35, v26
	v_cndmask_b32_e32 v31, 0x7f800000, v31, vcc_lo
	v_div_scale_f32 v76, vcc_lo, v24, v28, v24
	s_delay_alu instid0(VALU_DEP_3) | instskip(SKIP_1) | instid1(VALU_DEP_3)
	v_rcp_f32_e32 v77, v41
	v_fma_f32 v75, -v39, v36, 1.0
	v_add_f32_e32 v31, 1.0, v31
	s_delay_alu instid0(VALU_DEP_3) | instskip(SKIP_1) | instid1(VALU_DEP_4)
	v_mul_f32_e32 v79, v76, v37
	v_div_scale_f32 v83, s15, v26, v35, v26
	v_fmac_f32_e32 v36, v75, v36
	s_delay_alu instid0(VALU_DEP_4) | instskip(NEXT) | instid1(VALU_DEP_4)
	v_div_scale_f32 v75, null, v31, v31, v27
	v_fma_f32 v81, -v38, v79, v76
	s_delay_alu instid0(TRANS32_DEP_1) | instskip(NEXT) | instid1(VALU_DEP_4)
	v_fma_f32 v80, -v41, v77, 1.0
	v_mul_f32_e32 v82, v78, v36
	s_delay_alu instid0(VALU_DEP_4) | instskip(NEXT) | instid1(VALU_DEP_3)
	v_rcp_f32_e32 v84, v75
	v_fmac_f32_e32 v79, v81, v37
	s_delay_alu instid0(VALU_DEP_3) | instskip(NEXT) | instid1(VALU_DEP_3)
	v_fmac_f32_e32 v77, v80, v77
	v_fma_f32 v80, -v39, v82, v78
	s_delay_alu instid0(VALU_DEP_3) | instskip(NEXT) | instid1(VALU_DEP_3)
	v_fma_f32 v38, -v38, v79, v76
	v_mul_f32_e32 v76, v83, v77
	s_delay_alu instid0(VALU_DEP_3) | instskip(NEXT) | instid1(VALU_DEP_3)
	v_fmac_f32_e32 v82, v80, v36
	v_div_fmas_f32 v37, v38, v37, v79
	v_cmp_ngt_f32_e32 vcc_lo, 0xc2b17218, v32
	s_delay_alu instid0(VALU_DEP_3)
	v_fma_f32 v39, -v39, v82, v78
	v_fma_f32 v78, -v41, v76, v83
	v_fma_f32 v38, -v75, v84, 1.0
	v_div_fixup_f32 v28, v37, v28, v24
	v_cndmask_b32_e32 v33, 0x7f800000, v33, vcc_lo
	s_mov_b32 vcc_lo, s14
	v_fmac_f32_e32 v76, v78, v77
	v_div_fmas_f32 v24, v39, v36, v82
	v_cvt_i32_f32_e32 v36, v40
	v_cmp_nlt_f32_e32 vcc_lo, 0x42ce8ed0, v30
	v_dual_add_f32 v33, 1.0, v33 :: v_dual_fmac_f32 v84, v38, v84
	v_div_scale_f32 v37, s14, v27, v31, v27
	s_delay_alu instid0(VALU_DEP_4) | instskip(SKIP_1) | instid1(VALU_DEP_4)
	v_ldexp_f32 v34, v34, v36
	v_lshrrev_b32_e32 v36, 16, v3
	v_div_scale_f32 v38, null, v33, v33, v32
	s_delay_alu instid0(VALU_DEP_3) | instskip(NEXT) | instid1(VALU_DEP_3)
	v_dual_mul_f32 v39, v37, v84 :: v_dual_cndmask_b32 v34, 0, v34
	v_cvt_f32_f16_e32 v36, v36
	v_cmp_ngt_f32_e32 vcc_lo, 0xc2b17218, v30
	s_delay_alu instid0(VALU_DEP_4) | instskip(NEXT) | instid1(VALU_DEP_2)
	v_rcp_f32_e32 v40, v38
	v_mul_f32_e32 v78, 0xbfb8aa3b, v36
	v_cndmask_b32_e32 v34, 0x7f800000, v34, vcc_lo
	v_div_fixup_f32 v24, v24, v29, v25
	v_fma_f32 v25, -v41, v76, v83
	s_mov_b32 vcc_lo, s15
	v_rndne_f32_e32 v41, v78
	v_fma_mix_f32 v79, v3, s71, -v78 op_sel:[1,0,0] op_sel_hi:[1,0,0]
	v_add_f32_e32 v34, 1.0, v34
	v_fma_f32 v29, -v75, v39, v37
	v_div_fmas_f32 v25, v25, v77, v76
	v_sub_f32_e32 v78, v78, v41
	v_fma_mix_f32 v79, v3, s72, v79 op_sel:[1,0,0] op_sel_hi:[1,0,0]
	v_div_scale_f32 v81, null, v34, v34, v30
	v_fma_f32 v80, -v38, v40, 1.0
	v_fmac_f32_e32 v39, v29, v84
	s_delay_alu instid0(VALU_DEP_4) | instskip(NEXT) | instid1(VALU_DEP_4)
	v_add_f32_e32 v77, v78, v79
	v_rcp_f32_e32 v76, v81
	v_div_fixup_f32 v29, v25, v35, v26
	v_fmac_f32_e32 v40, v80, v40
	v_div_scale_f32 v78, s15, v32, v33, v32
	v_exp_f32_e32 v26, v77
	v_fma_f32 v25, -v75, v39, v37
	v_cvt_i32_f32_e32 v41, v41
	s_mov_b32 vcc_lo, s14
	v_mul_f32_e32 v35, v78, v40
	s_delay_alu instid0(TRANS32_DEP_2)
	v_fma_f32 v37, -v81, v76, 1.0
	v_div_fmas_f32 v25, v25, v84, v39
	v_cvt_f32_f16_e32 v75, v3
	v_cmp_nlt_f32_e32 vcc_lo, 0x42ce8ed0, v36
	v_fma_f32 v39, -v38, v35, v78
	v_ldexp_f32 v26, v26, v41
	v_fmac_f32_e32 v76, v37, v76
	v_div_scale_f32 v37, s14, v30, v34, v30
	s_delay_alu instid0(VALU_DEP_3) | instskip(SKIP_2) | instid1(VALU_DEP_4)
	v_dual_mul_f32 v41, 0xbfb8aa3b, v75 :: v_dual_cndmask_b32 v26, 0, v26
	v_cmp_ngt_f32_e32 vcc_lo, 0xc2b17218, v36
	v_fmac_f32_e32 v35, v39, v40
	v_mul_f32_e32 v39, v37, v76
	s_delay_alu instid0(VALU_DEP_4)
	v_rndne_f32_e32 v77, v41
	v_fma_mix_f32 v79, v3, s71, -v41 op_sel_hi:[1,0,0]
	v_cndmask_b32_e32 v26, 0x7f800000, v26, vcc_lo
	v_div_fixup_f32 v25, v25, v31, v27
	v_fma_f32 v80, -v81, v39, v37
	v_sub_f32_e32 v41, v41, v77
	v_fma_mix_f32 v79, v3, s72, v79 op_sel_hi:[1,0,0]
	v_add_f32_e32 v27, 1.0, v26
	v_fma_f32 v26, -v38, v35, v78
	v_fmac_f32_e32 v39, v80, v76
	s_mov_b32 vcc_lo, s15
	v_add_f32_e32 v31, v41, v79
	v_div_scale_f32 v38, null, v27, v27, v36
	v_lshrrev_b32_e32 v41, 16, v4
	v_div_fmas_f32 v26, v26, v40, v35
	v_fma_f32 v35, -v81, v39, v37
	v_exp_f32_e32 v31, v31
	v_rcp_f32_e32 v37, v38
	v_cvt_f32_f16_e32 v40, v41
	s_mov_b32 vcc_lo, s14
	v_cmp_ngt_f32_e64 s14, 0xc2b17218, v75
	v_div_fmas_f32 v35, v35, v76, v39
	v_cvt_i32_f32_e32 v39, v77
	v_mul_f32_e32 v41, 0xbfb8aa3b, v40
	v_div_fixup_f32 v76, v26, v33, v32
	v_cmp_nlt_f32_e32 vcc_lo, 0x42ce8ed0, v75
	v_div_fixup_f32 v26, v35, v34, v30
	v_ldexp_f32 v30, v31, v39
	v_fma_f32 v31, -v38, v37, 1.0
	v_rndne_f32_e32 v32, v41
	v_fma_mix_f32 v33, v4, s71, -v41 op_sel:[1,0,0] op_sel_hi:[1,0,0]
	v_lshrrev_b32_e32 v80, 16, v5
	s_delay_alu instid0(VALU_DEP_4) | instskip(NEXT) | instid1(VALU_DEP_4)
	v_dual_cndmask_b32 v30, 0, v30 :: v_dual_fmac_f32 v37, v31, v37
	v_sub_f32_e32 v31, v41, v32
	s_delay_alu instid0(VALU_DEP_4) | instskip(SKIP_1) | instid1(VALU_DEP_4)
	v_fma_mix_f32 v33, v4, s72, v33 op_sel:[1,0,0] op_sel_hi:[1,0,0]
	v_div_scale_f32 v34, vcc_lo, v36, v27, v36
	v_cndmask_b32_e64 v30, 0x7f800000, v30, s14
	v_cvt_i32_f32_e32 v32, v32
	s_delay_alu instid0(VALU_DEP_4) | instskip(SKIP_1) | instid1(VALU_DEP_4)
	v_add_f32_e32 v31, v31, v33
	v_cvt_f32_f16_e32 v33, v4
	v_dual_mul_f32 v35, v34, v37 :: v_dual_add_f32 v30, 1.0, v30
	v_cmp_nlt_f32_e64 s14, 0x42ce8ed0, v40
	s_delay_alu instid0(VALU_DEP_4) | instskip(NEXT) | instid1(VALU_DEP_3)
	v_exp_f32_e32 v31, v31
	v_mul_f32_e32 v39, 0xbfb8aa3b, v33
	s_delay_alu instid0(VALU_DEP_3) | instskip(SKIP_2) | instid1(VALU_DEP_4)
	v_fma_f32 v41, -v38, v35, v34
	v_div_scale_f32 v77, null, v30, v30, v75
	v_cmp_nlt_f32_e64 s15, 0x42ce8ed0, v33
	v_rndne_f32_e32 v78, v39
	v_fma_mix_f32 v79, v4, s71, -v39 op_sel_hi:[1,0,0]
	s_delay_alu instid0(VALU_DEP_4) | instskip(SKIP_1) | instid1(TRANS32_DEP_2)
	v_rcp_f32_e32 v81, v77
	v_fmac_f32_e32 v35, v41, v37
	v_ldexp_f32 v31, v31, v32
	v_sub_f32_e32 v32, v39, v78
	v_fma_mix_f32 v39, v4, s72, v79 op_sel_hi:[1,0,0]
	v_cvt_f32_f16_e32 v79, v80
	v_fma_f32 v34, -v38, v35, v34
	v_cndmask_b32_e64 v31, 0, v31, s14
	v_cmp_ngt_f32_e64 s14, 0xc2b17218, v40
	v_add_f32_e32 v32, v32, v39
	v_mul_f32_e32 v39, 0xbfb8aa3b, v79
	v_fma_f32 v41, -v77, v81, 1.0
	v_fma_mixlo_f16 v26, v100, v26, 0
	v_cndmask_b32_e64 v31, 0x7f800000, v31, s14
	v_exp_f32_e32 v32, v32
	v_rndne_f32_e32 v80, v39
	v_fma_mix_f32 v82, v5, s71, -v39 op_sel:[1,0,0] op_sel_hi:[1,0,0]
	v_fmac_f32_e32 v81, v41, v81
	v_cvt_i32_f32_e32 v41, v78
	v_add_f32_e32 v31, 1.0, v31
	v_sub_f32_e32 v39, v39, v80
	v_fma_mix_f32 v78, v5, s72, v82 op_sel:[1,0,0] op_sel_hi:[1,0,0]
	v_cvt_i32_f32_e32 v38, v80
	v_cvt_f32_f16_e32 v80, v5
	v_ldexp_f32 v32, v32, v41
	v_div_scale_f32 v82, s14, v75, v30, v75
	v_add_f32_e32 v39, v39, v78
	v_div_scale_f32 v41, null, v31, v31, v40
	s_delay_alu instid0(VALU_DEP_4) | instskip(SKIP_1) | instid1(VALU_DEP_4)
	v_cndmask_b32_e64 v32, 0, v32, s15
	v_cmp_ngt_f32_e64 s15, 0xc2b17218, v33
	v_exp_f32_e32 v39, v39
	v_mul_f32_e32 v78, v82, v81
	v_fma_mixlo_f16 v25, v101, v25, 0
	v_rcp_f32_e32 v83, v41
	v_cndmask_b32_e64 v32, 0x7f800000, v32, s15
	v_cmp_nlt_f32_e64 s15, 0x42ce8ed0, v79
	v_fma_f32 v84, -v77, v78, v82
	v_div_fmas_f32 v34, v34, v37, v35
	s_mov_b32 vcc_lo, s14
	v_add_f32_e32 v32, 1.0, v32
	v_ldexp_f32 v38, v39, v38
	v_dual_mul_f32 v39, 0xbfb8aa3b, v80 :: v_dual_fmac_f32 v78, v84, v81
	s_delay_alu instid0(TRANS32_DEP_1) | instskip(NEXT) | instid1(VALU_DEP_4)
	v_fma_f32 v84, -v41, v83, 1.0
	v_div_scale_f32 v97, null, v32, v32, v33
	s_delay_alu instid0(VALU_DEP_3) | instskip(SKIP_2) | instid1(VALU_DEP_4)
	v_rndne_f32_e32 v99, v39
	v_fma_mix_f32 v100, v5, s71, -v39 op_sel_hi:[1,0,0]
	v_cndmask_b32_e64 v38, 0, v38, s15
	v_rcp_f32_e32 v101, v97
	v_cmp_ngt_f32_e64 s15, 0xc2b17218, v79
	v_sub_f32_e32 v39, v39, v99
	v_fma_mix_f32 v100, v5, s72, v100 op_sel_hi:[1,0,0]
	v_fma_f32 v35, -v77, v78, v82
	v_fmac_f32_e32 v83, v84, v83
	v_cndmask_b32_e64 v38, 0x7f800000, v38, s15
	v_div_scale_f32 v84, s14, v33, v32, v33
	v_add_f32_e32 v37, v39, v100
	s_delay_alu instid0(TRANS32_DEP_1) | instskip(NEXT) | instid1(VALU_DEP_4)
	v_fma_f32 v77, -v97, v101, 1.0
	v_add_f32_e32 v38, 1.0, v38
	v_div_scale_f32 v39, s15, v40, v31, v40
	s_delay_alu instid0(VALU_DEP_4) | instskip(NEXT) | instid1(VALU_DEP_3)
	v_exp_f32_e32 v37, v37
	v_fmac_f32_e32 v101, v77, v101
	s_delay_alu instid0(VALU_DEP_3) | instskip(SKIP_3) | instid1(VALU_DEP_4)
	v_div_scale_f32 v82, null, v38, v38, v79
	v_cvt_i32_f32_e32 v77, v99
	v_div_fmas_f32 v35, v35, v81, v78
	v_mul_f32_e32 v78, v39, v83
	v_rcp_f32_e32 v81, v82
	v_div_fixup_f32 v34, v34, v27, v36
	v_cmp_nlt_f32_e32 vcc_lo, 0x42ce8ed0, v80
	s_delay_alu instid0(TRANS32_DEP_2)
	v_ldexp_f32 v27, v37, v77
	v_div_fixup_f32 v30, v35, v30, v75
	v_fma_f32 v35, -v41, v78, v39
	v_mul_f32_e32 v36, v84, v101
	v_fma_mixlo_f16 v24, v103, v24, 0
	v_cndmask_b32_e32 v27, 0, v27, vcc_lo
	v_cmp_ngt_f32_e32 vcc_lo, 0xc2b17218, v80
	v_fma_f32 v37, -v82, v81, 1.0
	v_fmac_f32_e32 v78, v35, v83
	v_fma_f32 v35, -v97, v36, v84
	v_fma_mixhi_f16 v26, v92, v76, 0
	v_cndmask_b32_e32 v75, 0x7f800000, v27, vcc_lo
	v_fmac_f32_e32 v81, v37, v81
	v_div_scale_f32 v37, s16, v79, v38, v79
	v_fma_mixlo_f16 v27, v98, v30, 0
	s_delay_alu instid0(VALU_DEP_4)
	v_add_f32_e32 v30, 1.0, v75
	v_fma_f32 v39, -v41, v78, v39
	v_fmac_f32_e32 v36, v35, v101
	v_lshrrev_b32_e32 v75, 16, v6
	s_mov_b32 vcc_lo, s15
	v_mul_f32_e32 v35, v37, v81
	v_div_fmas_f32 v39, v39, v83, v78
	v_fma_f32 v77, -v97, v36, v84
	v_cvt_f32_f16_e32 v75, v75
	s_mov_b32 vcc_lo, s14
	v_fma_f32 v78, -v82, v35, v37
	v_div_fixup_f32 v39, v39, v31, v40
	v_div_fmas_f32 v36, v77, v101, v36
	v_cvt_f32_f16_e32 v77, v6
	v_mul_f32_e32 v31, 0xbfb8aa3b, v75
	v_div_scale_f32 v41, null, v30, v30, v80
	v_fmac_f32_e32 v35, v78, v81
	v_div_fixup_f32 v32, v36, v32, v33
	v_mul_f32_e32 v33, 0xbfb8aa3b, v77
	v_rndne_f32_e32 v40, v31
	v_fma_mix_f32 v78, v6, s71, -v31 op_sel:[1,0,0] op_sel_hi:[1,0,0]
	v_rcp_f32_e32 v83, v41
	v_fma_f32 v36, -v82, v35, v37
	v_rndne_f32_e32 v82, v33
	v_lshrrev_b32_e32 v84, 16, v7
	v_fma_mix_f32 v97, v6, s71, -v33 op_sel_hi:[1,0,0]
	v_sub_f32_e32 v31, v31, v40
	v_fma_mix_f32 v78, v6, s72, v78 op_sel:[1,0,0] op_sel_hi:[1,0,0]
	v_sub_f32_e32 v33, v33, v82
	v_cvt_f32_f16_e32 v84, v84
	v_fma_mix_f32 v97, v6, s72, v97 op_sel_hi:[1,0,0]
	s_mov_b32 vcc_lo, s16
	v_add_f32_e32 v31, v31, v78
	v_fma_f32 v37, -v41, v83, 1.0
	v_div_fmas_f32 v35, v36, v81, v35
	v_dual_mul_f32 v36, 0xbfb8aa3b, v84 :: v_dual_add_f32 v33, v33, v97
	s_delay_alu instid0(VALU_DEP_4) | instskip(NEXT) | instid1(VALU_DEP_3)
	v_exp_f32_e32 v31, v31
	v_fmac_f32_e32 v83, v37, v83
	v_cvt_f32_f16_e32 v37, v7
	s_delay_alu instid0(VALU_DEP_3) | instskip(SKIP_3) | instid1(VALU_DEP_3)
	v_rndne_f32_e32 v78, v36
	v_fma_mix_f32 v81, v7, s71, -v36 op_sel:[1,0,0] op_sel_hi:[1,0,0]
	v_exp_f32_e32 v33, v33
	v_cvt_i32_f32_e32 v40, v40
	v_dual_mul_f32 v97, 0xbfb8aa3b, v37 :: v_dual_sub_f32 v36, v36, v78
	s_delay_alu instid0(VALU_DEP_3) | instskip(SKIP_1) | instid1(VALU_DEP_4)
	v_fma_mix_f32 v81, v7, s72, v81 op_sel:[1,0,0] op_sel_hi:[1,0,0]
	v_cvt_i32_f32_e32 v82, v82
	v_ldexp_f32 v31, v31, v40
	v_cmp_nlt_f32_e32 vcc_lo, 0x42ce8ed0, v75
	v_rndne_f32_e32 v98, v97
	v_fma_mix_f32 v99, v7, s71, -v97 op_sel_hi:[1,0,0]
	v_add_f32_e32 v36, v36, v81
	v_ldexp_f32 v33, v33, v82
	v_cndmask_b32_e32 v31, 0, v31, vcc_lo
	v_cmp_nlt_f32_e32 vcc_lo, 0x42ce8ed0, v77
	v_sub_f32_e32 v40, v97, v98
	v_fma_mix_f32 v81, v7, s72, v99 op_sel_hi:[1,0,0]
	v_exp_f32_e32 v36, v36
	v_cvt_i32_f32_e32 v78, v78
	v_cndmask_b32_e32 v33, 0, v33, vcc_lo
	v_cmp_ngt_f32_e32 vcc_lo, 0xc2b17218, v75
	v_add_f32_e32 v40, v40, v81
	v_div_fixup_f32 v35, v35, v38, v79
	v_fma_mixhi_f16 v27, v91, v34, 0
	v_fma_mixhi_f16 v25, v96, v29, 0
	v_cndmask_b32_e32 v31, 0x7f800000, v31, vcc_lo
	v_cmp_ngt_f32_e32 vcc_lo, 0xc2b17218, v77
	v_exp_f32_e32 v40, v40
	v_ldexp_f32 v36, v36, v78
	v_fma_mixhi_f16 v24, v95, v28, 0
	v_dual_add_f32 v78, 1.0, v31 :: v_dual_cndmask_b32 v33, 0x7f800000, v33
	v_cmp_nlt_f32_e32 vcc_lo, 0x42ce8ed0, v84
	v_cvt_i32_f32_e32 v31, v98
	s_delay_alu instid0(VALU_DEP_3)
	v_div_scale_f32 v81, null, v78, v78, v75
	v_cndmask_b32_e32 v36, 0, v36, vcc_lo
	v_cmp_ngt_f32_e32 vcc_lo, 0xc2b17218, v84
	s_delay_alu instid0(TRANS32_DEP_1) | instid1(VALU_DEP_4)
	v_ldexp_f32 v31, v40, v31
	v_add_f32_e32 v33, 1.0, v33
	v_rcp_f32_e32 v40, v81
	v_cndmask_b32_e32 v36, 0x7f800000, v36, vcc_lo
	v_cmp_nlt_f32_e32 vcc_lo, 0x42ce8ed0, v37
	s_delay_alu instid0(VALU_DEP_3) | instskip(NEXT) | instid1(VALU_DEP_3)
	v_div_scale_f32 v82, null, v33, v33, v77
	v_dual_add_f32 v36, 1.0, v36 :: v_dual_cndmask_b32 v31, 0, v31
	v_cmp_ngt_f32_e32 vcc_lo, 0xc2b17218, v37
	s_delay_alu instid0(VALU_DEP_3) | instskip(NEXT) | instid1(TRANS32_DEP_2)
	v_rcp_f32_e32 v99, v82
	v_fma_f32 v100, -v81, v40, 1.0
	s_delay_alu instid0(VALU_DEP_3) | instskip(SKIP_2) | instid1(VALU_DEP_3)
	v_div_scale_f32 v97, null, v36, v36, v84
	v_cndmask_b32_e32 v31, 0x7f800000, v31, vcc_lo
	v_div_scale_f32 v98, vcc_lo, v80, v30, v80
	v_rcp_f32_e32 v101, v97
	s_delay_alu instid0(VALU_DEP_2) | instskip(NEXT) | instid1(VALU_DEP_2)
	v_dual_fmac_f32 v40, v100, v40 :: v_dual_add_f32 v31, 1.0, v31
	v_mul_f32_e32 v102, v98, v83
	v_div_scale_f32 v100, s14, v75, v78, v75
	s_delay_alu instid0(TRANS32_DEP_2) | instskip(NEXT) | instid1(VALU_DEP_4)
	v_fma_f32 v104, -v82, v99, 1.0
	v_div_scale_f32 v103, null, v31, v31, v37
	s_delay_alu instid0(VALU_DEP_4) | instskip(NEXT) | instid1(TRANS32_DEP_1)
	v_fma_f32 v106, -v41, v102, v98
	v_fma_f32 v107, -v97, v101, 1.0
	v_mul_f32_e32 v108, v100, v40
	s_delay_alu instid0(VALU_DEP_4)
	v_rcp_f32_e32 v105, v103
	v_fmac_f32_e32 v99, v104, v99
	v_div_scale_f32 v104, s15, v77, v33, v77
	v_fmac_f32_e32 v101, v107, v101
	v_div_scale_f32 v107, s16, v84, v36, v84
	v_fmac_f32_e32 v102, v106, v83
	v_fma_f32 v106, -v81, v108, v100
	v_mul_f32_e32 v110, v104, v99
	s_delay_alu instid0(TRANS32_DEP_1)
	v_fma_f32 v109, -v103, v105, 1.0
	v_mul_f32_e32 v111, v107, v101
	v_fma_f32 v41, -v41, v102, v98
	v_fmac_f32_e32 v108, v106, v40
	v_fma_f32 v98, -v82, v110, v104
	v_fmac_f32_e32 v105, v109, v105
	v_div_scale_f32 v109, s17, v37, v31, v37
	v_fma_f32 v106, -v97, v111, v107
	v_div_fmas_f32 v41, v41, v83, v102
	v_fma_f32 v81, -v81, v108, v100
	s_delay_alu instid0(VALU_DEP_4)
	v_mul_f32_e32 v112, v109, v105
	v_fmac_f32_e32 v110, v98, v99
	v_fmac_f32_e32 v111, v106, v101
	s_mov_b32 vcc_lo, s14
	v_div_fixup_f32 v41, v41, v30, v80
	v_fma_f32 v83, -v103, v112, v109
	v_div_fmas_f32 v40, v81, v40, v108
	v_fma_f32 v81, -v82, v110, v104
	v_fma_f32 v82, -v97, v111, v107
	s_mov_b32 vcc_lo, s15
	v_fmac_f32_e32 v112, v83, v105
	v_fma_mixlo_f16 v30, v93, v32, 0
	v_div_fmas_f32 v81, v81, v99, v110
	s_mov_b32 vcc_lo, s16
	s_delay_alu instid0(VALU_DEP_3)
	v_fma_f32 v83, -v103, v112, v109
	v_div_fmas_f32 v82, v82, v101, v111
	s_mov_b32 vcc_lo, s17
	v_div_fixup_f32 v32, v81, v33, v77
	v_fma_mixhi_f16 v30, v88, v39, 0
	v_div_fmas_f32 v83, v83, v105, v112
	v_div_fixup_f32 v36, v82, v36, v84
	s_delay_alu instid0(VALU_DEP_4) | instskip(NEXT) | instid1(VALU_DEP_3)
	v_fma_mixlo_f16 v32, v89, v32, 0
	v_div_fixup_f32 v33, v83, v31, v37
	v_fma_mixlo_f16 v31, v90, v41, 0
	v_div_fixup_f32 v37, v40, v78, v75
	s_delay_alu instid0(VALU_DEP_3) | instskip(NEXT) | instid1(VALU_DEP_3)
	v_fma_mixlo_f16 v33, v87, v33, 0
	v_fma_mixhi_f16 v31, v86, v35, 0
	s_delay_alu instid0(VALU_DEP_3) | instskip(NEXT) | instid1(VALU_DEP_3)
	v_fma_mixhi_f16 v32, v85, v37, 0
	v_fma_mixhi_f16 v33, v94, v36, 0
	ds_store_b128 v45, v[24:27]
	ds_store_b128 v45, v[30:33] offset:16
	; wave barrier
	ds_load_b128 v[24:27], v43
	ds_load_b128 v[28:31], v44 offset:512
	v_add_co_u32 v32, vcc_lo, v56, s18
	v_add_co_ci_u32_e32 v33, vcc_lo, s19, v57, vcc_lo
	s_waitcnt lgkmcnt(1)
	v_lshrrev_b32_e32 v36, 16, v27
	v_alignbit_b32 v35, v26, v25, 16
	v_alignbit_b32 v34, v25, v24, 16
	v_alignbit_b32 v25, v27, v26, 16
	s_clause 0x3
	global_store_b16 v[32:33], v24, off
	global_store_b16 v[32:33], v36, off offset:14
	global_store_b32 v[32:33], v25, off offset:10
	global_store_b64 v[32:33], v[34:35], off offset:2
	s_waitcnt lgkmcnt(0)
	global_store_b128 v[32:33], v[28:31], off offset:512
	s_cbranch_scc1 .LBB113_88
.LBB113_12:                             ; =>This Loop Header: Depth=1
                                        ;     Child Loop BB113_55 Depth 2
	v_add_co_u32 v24, s14, s51, v73
	s_delay_alu instid0(VALU_DEP_1) | instskip(NEXT) | instid1(VALU_DEP_2)
	v_add_co_ci_u32_e64 v25, null, s55, 0, s14
	v_add_co_u32 v24, vcc_lo, v24, v74
	s_delay_alu instid0(VALU_DEP_2)
	v_add_co_ci_u32_e32 v25, vcc_lo, 0, v25, vcc_lo
	s_waitcnt_vscnt null, 0x0
	s_barrier
	buffer_gl0_inv
	s_and_saveexec_b32 s14, s0
	s_cbranch_execz .LBB113_14
; %bb.13:                               ;   in Loop: Header=BB113_12 Depth=1
	global_load_b128 v[20:23], v[24:25], off
.LBB113_14:                             ;   in Loop: Header=BB113_12 Depth=1
	s_or_b32 exec_lo, exec_lo, s14
	s_and_saveexec_b32 s14, s1
	s_cbranch_execz .LBB113_16
; %bb.15:                               ;   in Loop: Header=BB113_12 Depth=1
	global_load_b128 v[16:19], v[24:25], off offset:512
.LBB113_16:                             ;   in Loop: Header=BB113_12 Depth=1
	s_or_b32 exec_lo, exec_lo, s14
	s_waitcnt vmcnt(0)
	ds_store_b128 v43, v[20:23]
	ds_store_b128 v44, v[16:19] offset:512
	; wave barrier
	ds_load_b128 v[20:23], v45
	ds_load_b128 v[16:19], v45 offset:16
	v_add_co_u32 v24, s14, s58, v73
	s_delay_alu instid0(VALU_DEP_1) | instskip(SKIP_1) | instid1(VALU_DEP_2)
	v_add_co_ci_u32_e64 v25, null, s44, 0, s14
	s_waitcnt lgkmcnt(0)
	v_add_co_u32 v24, vcc_lo, v24, v74
	s_delay_alu instid0(VALU_DEP_2)
	v_add_co_ci_u32_e32 v25, vcc_lo, 0, v25, vcc_lo
	s_barrier
	buffer_gl0_inv
	s_and_saveexec_b32 s14, s0
	s_cbranch_execz .LBB113_18
; %bb.17:                               ;   in Loop: Header=BB113_12 Depth=1
	global_load_b128 v[12:15], v[24:25], off
.LBB113_18:                             ;   in Loop: Header=BB113_12 Depth=1
	s_or_b32 exec_lo, exec_lo, s14
	s_and_saveexec_b32 s14, s1
	s_cbranch_execz .LBB113_20
; %bb.19:                               ;   in Loop: Header=BB113_12 Depth=1
	global_load_b128 v[8:11], v[24:25], off offset:512
.LBB113_20:                             ;   in Loop: Header=BB113_12 Depth=1
	s_or_b32 exec_lo, exec_lo, s14
	s_waitcnt vmcnt(0)
	ds_store_b128 v43, v[12:15]
	ds_store_b128 v44, v[8:11] offset:512
	; wave barrier
	ds_load_b128 v[12:15], v45
	ds_load_b128 v[8:11], v45 offset:16
	s_waitcnt lgkmcnt(1)
	v_cvt_f32_f16_e32 v24, v12
	s_delay_alu instid0(VALU_DEP_1) | instskip(NEXT) | instid1(VALU_DEP_1)
	v_add_f32_e32 v75, s56, v24
	v_cmp_ge_f32_e32 vcc_lo, 0x41a00000, v75
	s_and_b32 s14, s66, vcc_lo
	s_delay_alu instid0(SALU_CYCLE_1)
	s_and_saveexec_b32 s15, s14
	s_cbranch_execz .LBB113_22
; %bb.21:                               ;   in Loop: Header=BB113_12 Depth=1
	v_mul_f32_e32 v24, 0x3fb8aa3b, v75
	v_cmp_ngt_f32_e32 vcc_lo, 0xc2ce8ed0, v75
	s_delay_alu instid0(VALU_DEP_2) | instskip(SKIP_1) | instid1(VALU_DEP_2)
	v_rndne_f32_e32 v25, v24
	v_fma_f32 v26, 0x3fb8aa3b, v75, -v24
	v_sub_f32_e32 v24, v24, v25
	s_delay_alu instid0(VALU_DEP_2) | instskip(SKIP_1) | instid1(VALU_DEP_2)
	v_fmac_f32_e32 v26, 0x32a5705f, v75
	v_cvt_i32_f32_e32 v25, v25
	v_add_f32_e32 v24, v24, v26
	s_delay_alu instid0(VALU_DEP_1) | instskip(SKIP_2) | instid1(VALU_DEP_1)
	v_exp_f32_e32 v24, v24
	s_waitcnt_depctr 0xfff
	v_ldexp_f32 v24, v24, v25
	v_cndmask_b32_e32 v24, 0, v24, vcc_lo
	v_cmp_nlt_f32_e32 vcc_lo, 0x42b17218, v75
	s_delay_alu instid0(VALU_DEP_2) | instskip(NEXT) | instid1(VALU_DEP_1)
	v_cndmask_b32_e32 v26, 0x7f800000, v24, vcc_lo
	v_add_f32_e32 v27, 1.0, v26
	s_delay_alu instid0(VALU_DEP_1) | instskip(NEXT) | instid1(VALU_DEP_1)
	v_cvt_f64_f32_e32 v[24:25], v27
	v_frexp_exp_i32_f64_e32 v24, v[24:25]
	v_frexp_mant_f32_e32 v25, v27
	s_delay_alu instid0(VALU_DEP_1) | instskip(SKIP_1) | instid1(VALU_DEP_1)
	v_cmp_gt_f32_e32 vcc_lo, 0x3f2aaaab, v25
	v_add_f32_e32 v25, -1.0, v27
	v_sub_f32_e32 v29, v25, v27
	v_sub_f32_e32 v25, v26, v25
	s_delay_alu instid0(VALU_DEP_2) | instskip(NEXT) | instid1(VALU_DEP_1)
	v_add_f32_e32 v29, 1.0, v29
	v_add_f32_e32 v25, v25, v29
	v_cmp_gt_f32_e64 s14, 0x33800000, v26
	v_subrev_co_ci_u32_e32 v24, vcc_lo, 0, v24, vcc_lo
	v_cmp_eq_f32_e32 vcc_lo, 0x7f800000, v26
	s_delay_alu instid0(VALU_DEP_2) | instskip(SKIP_2) | instid1(VALU_DEP_2)
	v_sub_nc_u32_e32 v28, 0, v24
	v_cvt_f32_i32_e32 v24, v24
	s_or_b32 vcc_lo, s14, vcc_lo
	v_ldexp_f32 v27, v27, v28
	v_ldexp_f32 v25, v25, v28
	s_delay_alu instid0(VALU_DEP_2) | instskip(NEXT) | instid1(VALU_DEP_1)
	v_add_f32_e32 v30, 1.0, v27
	v_dual_add_f32 v28, -1.0, v27 :: v_dual_add_f32 v29, -1.0, v30
	s_delay_alu instid0(VALU_DEP_1) | instskip(NEXT) | instid1(VALU_DEP_2)
	v_add_f32_e32 v31, 1.0, v28
	v_sub_f32_e32 v29, v27, v29
	s_delay_alu instid0(VALU_DEP_2) | instskip(NEXT) | instid1(VALU_DEP_2)
	v_sub_f32_e32 v27, v27, v31
	v_add_f32_e32 v29, v25, v29
	s_delay_alu instid0(VALU_DEP_2) | instskip(NEXT) | instid1(VALU_DEP_1)
	v_add_f32_e32 v25, v25, v27
	v_add_f32_e32 v32, v28, v25
	s_delay_alu instid0(VALU_DEP_1) | instskip(NEXT) | instid1(VALU_DEP_1)
	v_dual_add_f32 v31, v30, v29 :: v_dual_sub_f32 v28, v28, v32
	v_rcp_f32_e32 v27, v31
	v_sub_f32_e32 v30, v30, v31
	s_delay_alu instid0(VALU_DEP_1) | instskip(SKIP_2) | instid1(VALU_DEP_1)
	v_add_f32_e32 v29, v29, v30
	s_waitcnt_depctr 0xfff
	v_mul_f32_e32 v33, v32, v27
	v_mul_f32_e32 v34, v31, v33
	s_delay_alu instid0(VALU_DEP_1) | instskip(NEXT) | instid1(VALU_DEP_1)
	v_fma_f32 v30, v33, v31, -v34
	v_fmac_f32_e32 v30, v33, v29
	s_delay_alu instid0(VALU_DEP_1) | instskip(NEXT) | instid1(VALU_DEP_1)
	v_add_f32_e32 v35, v34, v30
	v_sub_f32_e32 v36, v32, v35
	s_delay_alu instid0(VALU_DEP_1) | instskip(SKIP_1) | instid1(VALU_DEP_2)
	v_sub_f32_e32 v32, v32, v36
	v_dual_add_f32 v25, v25, v28 :: v_dual_sub_f32 v28, v35, v34
	v_sub_f32_e32 v32, v32, v35
	s_delay_alu instid0(VALU_DEP_1) | instskip(NEXT) | instid1(VALU_DEP_1)
	v_dual_sub_f32 v28, v28, v30 :: v_dual_add_f32 v25, v25, v32
	v_add_f32_e32 v25, v28, v25
	s_delay_alu instid0(VALU_DEP_1) | instskip(NEXT) | instid1(VALU_DEP_1)
	v_add_f32_e32 v28, v36, v25
	v_mul_f32_e32 v30, v27, v28
	s_delay_alu instid0(VALU_DEP_1) | instskip(NEXT) | instid1(VALU_DEP_1)
	v_dual_sub_f32 v35, v36, v28 :: v_dual_mul_f32 v32, v31, v30
	v_add_f32_e32 v25, v25, v35
	s_delay_alu instid0(VALU_DEP_2) | instskip(NEXT) | instid1(VALU_DEP_1)
	v_fma_f32 v31, v30, v31, -v32
	v_fmac_f32_e32 v31, v30, v29
	s_delay_alu instid0(VALU_DEP_1) | instskip(NEXT) | instid1(VALU_DEP_1)
	v_add_f32_e32 v29, v32, v31
	v_sub_f32_e32 v34, v28, v29
	s_delay_alu instid0(VALU_DEP_1) | instskip(NEXT) | instid1(VALU_DEP_1)
	v_sub_f32_e32 v28, v28, v34
	v_sub_f32_e32 v28, v28, v29
	s_delay_alu instid0(VALU_DEP_1) | instskip(SKIP_2) | instid1(VALU_DEP_1)
	v_add_f32_e32 v25, v25, v28
	v_add_f32_e32 v28, v33, v30
	v_sub_f32_e32 v32, v29, v32
	v_sub_f32_e32 v29, v32, v31
	s_delay_alu instid0(VALU_DEP_1) | instskip(NEXT) | instid1(VALU_DEP_4)
	v_add_f32_e32 v25, v29, v25
	v_sub_f32_e32 v29, v28, v33
	s_delay_alu instid0(VALU_DEP_2) | instskip(NEXT) | instid1(VALU_DEP_2)
	v_add_f32_e32 v25, v34, v25
	v_sub_f32_e32 v29, v30, v29
	s_delay_alu instid0(VALU_DEP_2) | instskip(NEXT) | instid1(VALU_DEP_1)
	v_mul_f32_e32 v25, v27, v25
	v_add_f32_e32 v25, v29, v25
	s_delay_alu instid0(VALU_DEP_1) | instskip(NEXT) | instid1(VALU_DEP_1)
	v_add_f32_e32 v27, v28, v25
	v_mul_f32_e32 v29, v27, v27
	s_delay_alu instid0(VALU_DEP_1) | instskip(SKIP_1) | instid1(VALU_DEP_2)
	v_fmaak_f32 v30, s54, v29, 0x3ecc95a3
	v_mul_f32_e32 v31, v27, v29
	v_fmaak_f32 v29, v29, v30, 0x3f2aaada
	v_ldexp_f32 v30, v27, 1
	s_delay_alu instid0(VALU_DEP_2) | instskip(SKIP_1) | instid1(VALU_DEP_2)
	v_mul_f32_e32 v29, v31, v29
	v_sub_f32_e32 v27, v27, v28
	v_dual_mul_f32 v31, 0x3f317218, v24 :: v_dual_add_f32 v28, v30, v29
	s_delay_alu instid0(VALU_DEP_2) | instskip(NEXT) | instid1(VALU_DEP_2)
	v_sub_f32_e32 v25, v25, v27
	v_sub_f32_e32 v27, v28, v30
	s_delay_alu instid0(VALU_DEP_3) | instskip(NEXT) | instid1(VALU_DEP_3)
	v_fma_f32 v30, 0x3f317218, v24, -v31
	v_ldexp_f32 v25, v25, 1
	s_delay_alu instid0(VALU_DEP_2) | instskip(NEXT) | instid1(VALU_DEP_1)
	v_dual_sub_f32 v27, v29, v27 :: v_dual_fmac_f32 v30, 0xb102e308, v24
	v_dual_add_f32 v24, v25, v27 :: v_dual_add_f32 v25, v31, v30
	s_delay_alu instid0(VALU_DEP_1) | instskip(NEXT) | instid1(VALU_DEP_1)
	v_add_f32_e32 v27, v28, v24
	v_dual_add_f32 v29, v25, v27 :: v_dual_sub_f32 v28, v27, v28
	s_delay_alu instid0(VALU_DEP_1) | instskip(NEXT) | instid1(VALU_DEP_2)
	v_sub_f32_e32 v32, v29, v25
	v_dual_sub_f32 v31, v25, v31 :: v_dual_sub_f32 v24, v24, v28
	s_delay_alu instid0(VALU_DEP_1) | instskip(SKIP_1) | instid1(VALU_DEP_2)
	v_dual_sub_f32 v33, v29, v32 :: v_dual_sub_f32 v30, v30, v31
	v_sub_f32_e32 v27, v27, v32
	v_dual_sub_f32 v25, v25, v33 :: v_dual_add_f32 v28, v30, v24
	s_delay_alu instid0(VALU_DEP_1) | instskip(NEXT) | instid1(VALU_DEP_2)
	v_add_f32_e32 v25, v27, v25
	v_sub_f32_e32 v27, v28, v30
	s_delay_alu instid0(VALU_DEP_2) | instskip(NEXT) | instid1(VALU_DEP_2)
	v_add_f32_e32 v25, v28, v25
	v_sub_f32_e32 v28, v28, v27
	s_delay_alu instid0(VALU_DEP_2) | instskip(NEXT) | instid1(VALU_DEP_1)
	v_dual_sub_f32 v24, v24, v27 :: v_dual_add_f32 v31, v29, v25
	v_dual_sub_f32 v28, v30, v28 :: v_dual_sub_f32 v27, v31, v29
	s_delay_alu instid0(VALU_DEP_1) | instskip(NEXT) | instid1(VALU_DEP_1)
	v_dual_add_f32 v24, v24, v28 :: v_dual_sub_f32 v25, v25, v27
	v_add_f32_e32 v24, v24, v25
	s_delay_alu instid0(VALU_DEP_1) | instskip(NEXT) | instid1(VALU_DEP_1)
	v_add_f32_e32 v24, v31, v24
	v_cndmask_b32_e32 v75, v24, v26, vcc_lo
.LBB113_22:                             ;   in Loop: Header=BB113_12 Depth=1
	s_or_b32 exec_lo, exec_lo, s15
	v_lshrrev_b32_e32 v24, 16, v12
	s_delay_alu instid0(VALU_DEP_1) | instskip(NEXT) | instid1(VALU_DEP_1)
	v_cvt_f32_f16_e32 v24, v24
	v_add_f32_e32 v76, s56, v24
	s_delay_alu instid0(VALU_DEP_1) | instskip(SKIP_1) | instid1(SALU_CYCLE_1)
	v_cmp_ge_f32_e32 vcc_lo, 0x41a00000, v76
	s_and_b32 s14, s66, vcc_lo
	s_and_saveexec_b32 s15, s14
	s_cbranch_execz .LBB113_24
; %bb.23:                               ;   in Loop: Header=BB113_12 Depth=1
	v_mul_f32_e32 v24, 0x3fb8aa3b, v76
	v_cmp_ngt_f32_e32 vcc_lo, 0xc2ce8ed0, v76
	s_delay_alu instid0(VALU_DEP_2) | instskip(SKIP_1) | instid1(VALU_DEP_2)
	v_rndne_f32_e32 v25, v24
	v_fma_f32 v26, 0x3fb8aa3b, v76, -v24
	v_sub_f32_e32 v24, v24, v25
	s_delay_alu instid0(VALU_DEP_2) | instskip(SKIP_1) | instid1(VALU_DEP_2)
	v_fmac_f32_e32 v26, 0x32a5705f, v76
	v_cvt_i32_f32_e32 v25, v25
	v_add_f32_e32 v24, v24, v26
	s_delay_alu instid0(VALU_DEP_1) | instskip(SKIP_2) | instid1(VALU_DEP_1)
	v_exp_f32_e32 v24, v24
	s_waitcnt_depctr 0xfff
	v_ldexp_f32 v24, v24, v25
	v_cndmask_b32_e32 v24, 0, v24, vcc_lo
	v_cmp_nlt_f32_e32 vcc_lo, 0x42b17218, v76
	s_delay_alu instid0(VALU_DEP_2) | instskip(NEXT) | instid1(VALU_DEP_1)
	v_cndmask_b32_e32 v26, 0x7f800000, v24, vcc_lo
	v_add_f32_e32 v27, 1.0, v26
	s_delay_alu instid0(VALU_DEP_1) | instskip(NEXT) | instid1(VALU_DEP_1)
	v_cvt_f64_f32_e32 v[24:25], v27
	v_frexp_exp_i32_f64_e32 v24, v[24:25]
	v_frexp_mant_f32_e32 v25, v27
	s_delay_alu instid0(VALU_DEP_1) | instskip(SKIP_1) | instid1(VALU_DEP_1)
	v_cmp_gt_f32_e32 vcc_lo, 0x3f2aaaab, v25
	v_add_f32_e32 v25, -1.0, v27
	v_sub_f32_e32 v29, v25, v27
	v_sub_f32_e32 v25, v26, v25
	s_delay_alu instid0(VALU_DEP_2) | instskip(NEXT) | instid1(VALU_DEP_1)
	v_add_f32_e32 v29, 1.0, v29
	v_add_f32_e32 v25, v25, v29
	v_cmp_gt_f32_e64 s14, 0x33800000, v26
	v_subrev_co_ci_u32_e32 v24, vcc_lo, 0, v24, vcc_lo
	v_cmp_eq_f32_e32 vcc_lo, 0x7f800000, v26
	s_delay_alu instid0(VALU_DEP_2) | instskip(SKIP_2) | instid1(VALU_DEP_2)
	v_sub_nc_u32_e32 v28, 0, v24
	v_cvt_f32_i32_e32 v24, v24
	s_or_b32 vcc_lo, s14, vcc_lo
	v_ldexp_f32 v27, v27, v28
	v_ldexp_f32 v25, v25, v28
	s_delay_alu instid0(VALU_DEP_2) | instskip(NEXT) | instid1(VALU_DEP_1)
	v_add_f32_e32 v30, 1.0, v27
	v_dual_add_f32 v28, -1.0, v27 :: v_dual_add_f32 v29, -1.0, v30
	s_delay_alu instid0(VALU_DEP_1) | instskip(NEXT) | instid1(VALU_DEP_2)
	v_add_f32_e32 v31, 1.0, v28
	v_sub_f32_e32 v29, v27, v29
	s_delay_alu instid0(VALU_DEP_2) | instskip(NEXT) | instid1(VALU_DEP_2)
	v_sub_f32_e32 v27, v27, v31
	v_add_f32_e32 v29, v25, v29
	s_delay_alu instid0(VALU_DEP_2) | instskip(NEXT) | instid1(VALU_DEP_1)
	v_add_f32_e32 v25, v25, v27
	v_add_f32_e32 v32, v28, v25
	s_delay_alu instid0(VALU_DEP_1) | instskip(NEXT) | instid1(VALU_DEP_1)
	v_dual_add_f32 v31, v30, v29 :: v_dual_sub_f32 v28, v28, v32
	v_rcp_f32_e32 v27, v31
	v_sub_f32_e32 v30, v30, v31
	s_delay_alu instid0(VALU_DEP_1) | instskip(SKIP_2) | instid1(VALU_DEP_1)
	v_add_f32_e32 v29, v29, v30
	s_waitcnt_depctr 0xfff
	v_mul_f32_e32 v33, v32, v27
	v_mul_f32_e32 v34, v31, v33
	s_delay_alu instid0(VALU_DEP_1) | instskip(NEXT) | instid1(VALU_DEP_1)
	v_fma_f32 v30, v33, v31, -v34
	v_fmac_f32_e32 v30, v33, v29
	s_delay_alu instid0(VALU_DEP_1) | instskip(NEXT) | instid1(VALU_DEP_1)
	v_add_f32_e32 v35, v34, v30
	v_sub_f32_e32 v36, v32, v35
	s_delay_alu instid0(VALU_DEP_1) | instskip(SKIP_1) | instid1(VALU_DEP_2)
	v_sub_f32_e32 v32, v32, v36
	v_dual_add_f32 v25, v25, v28 :: v_dual_sub_f32 v28, v35, v34
	v_sub_f32_e32 v32, v32, v35
	s_delay_alu instid0(VALU_DEP_1) | instskip(NEXT) | instid1(VALU_DEP_1)
	v_dual_sub_f32 v28, v28, v30 :: v_dual_add_f32 v25, v25, v32
	v_add_f32_e32 v25, v28, v25
	s_delay_alu instid0(VALU_DEP_1) | instskip(NEXT) | instid1(VALU_DEP_1)
	v_add_f32_e32 v28, v36, v25
	v_mul_f32_e32 v30, v27, v28
	s_delay_alu instid0(VALU_DEP_1) | instskip(NEXT) | instid1(VALU_DEP_1)
	v_dual_sub_f32 v35, v36, v28 :: v_dual_mul_f32 v32, v31, v30
	v_add_f32_e32 v25, v25, v35
	s_delay_alu instid0(VALU_DEP_2) | instskip(NEXT) | instid1(VALU_DEP_1)
	v_fma_f32 v31, v30, v31, -v32
	v_fmac_f32_e32 v31, v30, v29
	s_delay_alu instid0(VALU_DEP_1) | instskip(NEXT) | instid1(VALU_DEP_1)
	v_add_f32_e32 v29, v32, v31
	v_sub_f32_e32 v34, v28, v29
	s_delay_alu instid0(VALU_DEP_1) | instskip(NEXT) | instid1(VALU_DEP_1)
	v_sub_f32_e32 v28, v28, v34
	v_sub_f32_e32 v28, v28, v29
	s_delay_alu instid0(VALU_DEP_1) | instskip(SKIP_2) | instid1(VALU_DEP_1)
	v_add_f32_e32 v25, v25, v28
	v_add_f32_e32 v28, v33, v30
	v_sub_f32_e32 v32, v29, v32
	v_sub_f32_e32 v29, v32, v31
	s_delay_alu instid0(VALU_DEP_1) | instskip(NEXT) | instid1(VALU_DEP_4)
	v_add_f32_e32 v25, v29, v25
	v_sub_f32_e32 v29, v28, v33
	s_delay_alu instid0(VALU_DEP_2) | instskip(NEXT) | instid1(VALU_DEP_2)
	v_add_f32_e32 v25, v34, v25
	v_sub_f32_e32 v29, v30, v29
	s_delay_alu instid0(VALU_DEP_2) | instskip(NEXT) | instid1(VALU_DEP_1)
	v_mul_f32_e32 v25, v27, v25
	v_add_f32_e32 v25, v29, v25
	s_delay_alu instid0(VALU_DEP_1) | instskip(NEXT) | instid1(VALU_DEP_1)
	v_add_f32_e32 v27, v28, v25
	v_mul_f32_e32 v29, v27, v27
	s_delay_alu instid0(VALU_DEP_1) | instskip(SKIP_1) | instid1(VALU_DEP_2)
	v_fmaak_f32 v30, s54, v29, 0x3ecc95a3
	v_mul_f32_e32 v31, v27, v29
	v_fmaak_f32 v29, v29, v30, 0x3f2aaada
	v_ldexp_f32 v30, v27, 1
	s_delay_alu instid0(VALU_DEP_2) | instskip(SKIP_1) | instid1(VALU_DEP_2)
	v_mul_f32_e32 v29, v31, v29
	v_sub_f32_e32 v27, v27, v28
	v_dual_mul_f32 v31, 0x3f317218, v24 :: v_dual_add_f32 v28, v30, v29
	s_delay_alu instid0(VALU_DEP_2) | instskip(NEXT) | instid1(VALU_DEP_2)
	v_sub_f32_e32 v25, v25, v27
	v_sub_f32_e32 v27, v28, v30
	s_delay_alu instid0(VALU_DEP_3) | instskip(NEXT) | instid1(VALU_DEP_3)
	v_fma_f32 v30, 0x3f317218, v24, -v31
	v_ldexp_f32 v25, v25, 1
	s_delay_alu instid0(VALU_DEP_2) | instskip(NEXT) | instid1(VALU_DEP_1)
	v_dual_sub_f32 v27, v29, v27 :: v_dual_fmac_f32 v30, 0xb102e308, v24
	v_dual_add_f32 v24, v25, v27 :: v_dual_add_f32 v25, v31, v30
	s_delay_alu instid0(VALU_DEP_1) | instskip(NEXT) | instid1(VALU_DEP_1)
	v_add_f32_e32 v27, v28, v24
	v_dual_add_f32 v29, v25, v27 :: v_dual_sub_f32 v28, v27, v28
	s_delay_alu instid0(VALU_DEP_1) | instskip(NEXT) | instid1(VALU_DEP_2)
	v_sub_f32_e32 v32, v29, v25
	v_dual_sub_f32 v31, v25, v31 :: v_dual_sub_f32 v24, v24, v28
	s_delay_alu instid0(VALU_DEP_1) | instskip(SKIP_1) | instid1(VALU_DEP_2)
	v_dual_sub_f32 v33, v29, v32 :: v_dual_sub_f32 v30, v30, v31
	v_sub_f32_e32 v27, v27, v32
	v_dual_sub_f32 v25, v25, v33 :: v_dual_add_f32 v28, v30, v24
	s_delay_alu instid0(VALU_DEP_1) | instskip(NEXT) | instid1(VALU_DEP_2)
	v_add_f32_e32 v25, v27, v25
	v_sub_f32_e32 v27, v28, v30
	s_delay_alu instid0(VALU_DEP_2) | instskip(NEXT) | instid1(VALU_DEP_2)
	v_add_f32_e32 v25, v28, v25
	v_sub_f32_e32 v28, v28, v27
	s_delay_alu instid0(VALU_DEP_2) | instskip(NEXT) | instid1(VALU_DEP_1)
	v_dual_sub_f32 v24, v24, v27 :: v_dual_add_f32 v31, v29, v25
	v_dual_sub_f32 v28, v30, v28 :: v_dual_sub_f32 v27, v31, v29
	s_delay_alu instid0(VALU_DEP_1) | instskip(NEXT) | instid1(VALU_DEP_1)
	v_dual_add_f32 v24, v24, v28 :: v_dual_sub_f32 v25, v25, v27
	v_add_f32_e32 v24, v24, v25
	s_delay_alu instid0(VALU_DEP_1) | instskip(NEXT) | instid1(VALU_DEP_1)
	v_add_f32_e32 v24, v31, v24
	v_cndmask_b32_e32 v76, v24, v26, vcc_lo
.LBB113_24:                             ;   in Loop: Header=BB113_12 Depth=1
	s_or_b32 exec_lo, exec_lo, s15
	v_cvt_f32_f16_e32 v24, v13
	s_delay_alu instid0(VALU_DEP_1) | instskip(NEXT) | instid1(VALU_DEP_1)
	v_add_f32_e32 v77, s56, v24
	v_cmp_ge_f32_e32 vcc_lo, 0x41a00000, v77
	s_and_b32 s14, s66, vcc_lo
	s_delay_alu instid0(SALU_CYCLE_1)
	s_and_saveexec_b32 s15, s14
	s_cbranch_execz .LBB113_26
; %bb.25:                               ;   in Loop: Header=BB113_12 Depth=1
	v_mul_f32_e32 v24, 0x3fb8aa3b, v77
	v_cmp_ngt_f32_e32 vcc_lo, 0xc2ce8ed0, v77
	s_delay_alu instid0(VALU_DEP_2) | instskip(SKIP_1) | instid1(VALU_DEP_2)
	v_rndne_f32_e32 v25, v24
	v_fma_f32 v26, 0x3fb8aa3b, v77, -v24
	v_sub_f32_e32 v24, v24, v25
	s_delay_alu instid0(VALU_DEP_2) | instskip(SKIP_1) | instid1(VALU_DEP_2)
	v_fmac_f32_e32 v26, 0x32a5705f, v77
	v_cvt_i32_f32_e32 v25, v25
	v_add_f32_e32 v24, v24, v26
	s_delay_alu instid0(VALU_DEP_1) | instskip(SKIP_2) | instid1(VALU_DEP_1)
	v_exp_f32_e32 v24, v24
	s_waitcnt_depctr 0xfff
	v_ldexp_f32 v24, v24, v25
	v_cndmask_b32_e32 v24, 0, v24, vcc_lo
	v_cmp_nlt_f32_e32 vcc_lo, 0x42b17218, v77
	s_delay_alu instid0(VALU_DEP_2) | instskip(NEXT) | instid1(VALU_DEP_1)
	v_cndmask_b32_e32 v26, 0x7f800000, v24, vcc_lo
	v_add_f32_e32 v27, 1.0, v26
	s_delay_alu instid0(VALU_DEP_1) | instskip(NEXT) | instid1(VALU_DEP_1)
	v_cvt_f64_f32_e32 v[24:25], v27
	v_frexp_exp_i32_f64_e32 v24, v[24:25]
	v_frexp_mant_f32_e32 v25, v27
	s_delay_alu instid0(VALU_DEP_1) | instskip(SKIP_1) | instid1(VALU_DEP_1)
	v_cmp_gt_f32_e32 vcc_lo, 0x3f2aaaab, v25
	v_add_f32_e32 v25, -1.0, v27
	v_sub_f32_e32 v29, v25, v27
	v_sub_f32_e32 v25, v26, v25
	s_delay_alu instid0(VALU_DEP_2) | instskip(NEXT) | instid1(VALU_DEP_1)
	v_add_f32_e32 v29, 1.0, v29
	v_add_f32_e32 v25, v25, v29
	v_cmp_gt_f32_e64 s14, 0x33800000, v26
	v_subrev_co_ci_u32_e32 v24, vcc_lo, 0, v24, vcc_lo
	v_cmp_eq_f32_e32 vcc_lo, 0x7f800000, v26
	s_delay_alu instid0(VALU_DEP_2) | instskip(SKIP_2) | instid1(VALU_DEP_2)
	v_sub_nc_u32_e32 v28, 0, v24
	v_cvt_f32_i32_e32 v24, v24
	s_or_b32 vcc_lo, s14, vcc_lo
	v_ldexp_f32 v27, v27, v28
	v_ldexp_f32 v25, v25, v28
	s_delay_alu instid0(VALU_DEP_2) | instskip(NEXT) | instid1(VALU_DEP_1)
	v_add_f32_e32 v30, 1.0, v27
	v_dual_add_f32 v28, -1.0, v27 :: v_dual_add_f32 v29, -1.0, v30
	s_delay_alu instid0(VALU_DEP_1) | instskip(NEXT) | instid1(VALU_DEP_2)
	v_add_f32_e32 v31, 1.0, v28
	v_sub_f32_e32 v29, v27, v29
	s_delay_alu instid0(VALU_DEP_2) | instskip(NEXT) | instid1(VALU_DEP_2)
	v_sub_f32_e32 v27, v27, v31
	v_add_f32_e32 v29, v25, v29
	s_delay_alu instid0(VALU_DEP_2) | instskip(NEXT) | instid1(VALU_DEP_1)
	v_add_f32_e32 v25, v25, v27
	v_add_f32_e32 v32, v28, v25
	s_delay_alu instid0(VALU_DEP_1) | instskip(NEXT) | instid1(VALU_DEP_1)
	v_dual_add_f32 v31, v30, v29 :: v_dual_sub_f32 v28, v28, v32
	v_rcp_f32_e32 v27, v31
	v_sub_f32_e32 v30, v30, v31
	s_delay_alu instid0(VALU_DEP_1) | instskip(SKIP_2) | instid1(VALU_DEP_1)
	v_add_f32_e32 v29, v29, v30
	s_waitcnt_depctr 0xfff
	v_mul_f32_e32 v33, v32, v27
	v_mul_f32_e32 v34, v31, v33
	s_delay_alu instid0(VALU_DEP_1) | instskip(NEXT) | instid1(VALU_DEP_1)
	v_fma_f32 v30, v33, v31, -v34
	v_fmac_f32_e32 v30, v33, v29
	s_delay_alu instid0(VALU_DEP_1) | instskip(NEXT) | instid1(VALU_DEP_1)
	v_add_f32_e32 v35, v34, v30
	v_sub_f32_e32 v36, v32, v35
	s_delay_alu instid0(VALU_DEP_1) | instskip(SKIP_1) | instid1(VALU_DEP_2)
	v_sub_f32_e32 v32, v32, v36
	v_dual_add_f32 v25, v25, v28 :: v_dual_sub_f32 v28, v35, v34
	v_sub_f32_e32 v32, v32, v35
	s_delay_alu instid0(VALU_DEP_1) | instskip(NEXT) | instid1(VALU_DEP_1)
	v_dual_sub_f32 v28, v28, v30 :: v_dual_add_f32 v25, v25, v32
	v_add_f32_e32 v25, v28, v25
	s_delay_alu instid0(VALU_DEP_1) | instskip(NEXT) | instid1(VALU_DEP_1)
	v_add_f32_e32 v28, v36, v25
	v_mul_f32_e32 v30, v27, v28
	s_delay_alu instid0(VALU_DEP_1) | instskip(NEXT) | instid1(VALU_DEP_1)
	v_dual_sub_f32 v35, v36, v28 :: v_dual_mul_f32 v32, v31, v30
	v_add_f32_e32 v25, v25, v35
	s_delay_alu instid0(VALU_DEP_2) | instskip(NEXT) | instid1(VALU_DEP_1)
	v_fma_f32 v31, v30, v31, -v32
	v_fmac_f32_e32 v31, v30, v29
	s_delay_alu instid0(VALU_DEP_1) | instskip(NEXT) | instid1(VALU_DEP_1)
	v_add_f32_e32 v29, v32, v31
	v_sub_f32_e32 v34, v28, v29
	s_delay_alu instid0(VALU_DEP_1) | instskip(NEXT) | instid1(VALU_DEP_1)
	v_sub_f32_e32 v28, v28, v34
	v_sub_f32_e32 v28, v28, v29
	s_delay_alu instid0(VALU_DEP_1) | instskip(SKIP_2) | instid1(VALU_DEP_1)
	v_add_f32_e32 v25, v25, v28
	v_add_f32_e32 v28, v33, v30
	v_sub_f32_e32 v32, v29, v32
	v_sub_f32_e32 v29, v32, v31
	s_delay_alu instid0(VALU_DEP_1) | instskip(NEXT) | instid1(VALU_DEP_4)
	v_add_f32_e32 v25, v29, v25
	v_sub_f32_e32 v29, v28, v33
	s_delay_alu instid0(VALU_DEP_2) | instskip(NEXT) | instid1(VALU_DEP_2)
	v_add_f32_e32 v25, v34, v25
	v_sub_f32_e32 v29, v30, v29
	s_delay_alu instid0(VALU_DEP_2) | instskip(NEXT) | instid1(VALU_DEP_1)
	v_mul_f32_e32 v25, v27, v25
	v_add_f32_e32 v25, v29, v25
	s_delay_alu instid0(VALU_DEP_1) | instskip(NEXT) | instid1(VALU_DEP_1)
	v_add_f32_e32 v27, v28, v25
	v_mul_f32_e32 v29, v27, v27
	s_delay_alu instid0(VALU_DEP_1) | instskip(SKIP_1) | instid1(VALU_DEP_2)
	v_fmaak_f32 v30, s54, v29, 0x3ecc95a3
	v_mul_f32_e32 v31, v27, v29
	v_fmaak_f32 v29, v29, v30, 0x3f2aaada
	v_ldexp_f32 v30, v27, 1
	s_delay_alu instid0(VALU_DEP_2) | instskip(SKIP_1) | instid1(VALU_DEP_2)
	v_mul_f32_e32 v29, v31, v29
	v_sub_f32_e32 v27, v27, v28
	v_dual_mul_f32 v31, 0x3f317218, v24 :: v_dual_add_f32 v28, v30, v29
	s_delay_alu instid0(VALU_DEP_2) | instskip(NEXT) | instid1(VALU_DEP_2)
	v_sub_f32_e32 v25, v25, v27
	v_sub_f32_e32 v27, v28, v30
	s_delay_alu instid0(VALU_DEP_3) | instskip(NEXT) | instid1(VALU_DEP_3)
	v_fma_f32 v30, 0x3f317218, v24, -v31
	v_ldexp_f32 v25, v25, 1
	s_delay_alu instid0(VALU_DEP_2) | instskip(NEXT) | instid1(VALU_DEP_1)
	v_dual_sub_f32 v27, v29, v27 :: v_dual_fmac_f32 v30, 0xb102e308, v24
	v_dual_add_f32 v24, v25, v27 :: v_dual_add_f32 v25, v31, v30
	s_delay_alu instid0(VALU_DEP_1) | instskip(NEXT) | instid1(VALU_DEP_1)
	v_add_f32_e32 v27, v28, v24
	v_dual_add_f32 v29, v25, v27 :: v_dual_sub_f32 v28, v27, v28
	s_delay_alu instid0(VALU_DEP_1) | instskip(NEXT) | instid1(VALU_DEP_2)
	v_sub_f32_e32 v32, v29, v25
	v_dual_sub_f32 v31, v25, v31 :: v_dual_sub_f32 v24, v24, v28
	s_delay_alu instid0(VALU_DEP_1) | instskip(SKIP_1) | instid1(VALU_DEP_2)
	v_dual_sub_f32 v33, v29, v32 :: v_dual_sub_f32 v30, v30, v31
	v_sub_f32_e32 v27, v27, v32
	v_dual_sub_f32 v25, v25, v33 :: v_dual_add_f32 v28, v30, v24
	s_delay_alu instid0(VALU_DEP_1) | instskip(NEXT) | instid1(VALU_DEP_2)
	v_add_f32_e32 v25, v27, v25
	v_sub_f32_e32 v27, v28, v30
	s_delay_alu instid0(VALU_DEP_2) | instskip(NEXT) | instid1(VALU_DEP_2)
	v_add_f32_e32 v25, v28, v25
	v_sub_f32_e32 v28, v28, v27
	s_delay_alu instid0(VALU_DEP_2) | instskip(NEXT) | instid1(VALU_DEP_1)
	v_dual_sub_f32 v24, v24, v27 :: v_dual_add_f32 v31, v29, v25
	v_dual_sub_f32 v28, v30, v28 :: v_dual_sub_f32 v27, v31, v29
	s_delay_alu instid0(VALU_DEP_1) | instskip(NEXT) | instid1(VALU_DEP_1)
	v_dual_add_f32 v24, v24, v28 :: v_dual_sub_f32 v25, v25, v27
	v_add_f32_e32 v24, v24, v25
	s_delay_alu instid0(VALU_DEP_1) | instskip(NEXT) | instid1(VALU_DEP_1)
	v_add_f32_e32 v24, v31, v24
	v_cndmask_b32_e32 v77, v24, v26, vcc_lo
.LBB113_26:                             ;   in Loop: Header=BB113_12 Depth=1
	s_or_b32 exec_lo, exec_lo, s15
	v_lshrrev_b32_e32 v24, 16, v13
	s_delay_alu instid0(VALU_DEP_1) | instskip(NEXT) | instid1(VALU_DEP_1)
	v_cvt_f32_f16_e32 v24, v24
	v_add_f32_e32 v78, s56, v24
	s_delay_alu instid0(VALU_DEP_1) | instskip(SKIP_1) | instid1(SALU_CYCLE_1)
	v_cmp_ge_f32_e32 vcc_lo, 0x41a00000, v78
	s_and_b32 s14, s66, vcc_lo
	s_and_saveexec_b32 s15, s14
	s_cbranch_execz .LBB113_28
; %bb.27:                               ;   in Loop: Header=BB113_12 Depth=1
	v_mul_f32_e32 v24, 0x3fb8aa3b, v78
	v_cmp_ngt_f32_e32 vcc_lo, 0xc2ce8ed0, v78
	s_delay_alu instid0(VALU_DEP_2) | instskip(SKIP_1) | instid1(VALU_DEP_2)
	v_rndne_f32_e32 v25, v24
	v_fma_f32 v26, 0x3fb8aa3b, v78, -v24
	v_sub_f32_e32 v24, v24, v25
	s_delay_alu instid0(VALU_DEP_2) | instskip(SKIP_1) | instid1(VALU_DEP_2)
	v_fmac_f32_e32 v26, 0x32a5705f, v78
	v_cvt_i32_f32_e32 v25, v25
	v_add_f32_e32 v24, v24, v26
	s_delay_alu instid0(VALU_DEP_1) | instskip(SKIP_2) | instid1(VALU_DEP_1)
	v_exp_f32_e32 v24, v24
	s_waitcnt_depctr 0xfff
	v_ldexp_f32 v24, v24, v25
	v_cndmask_b32_e32 v24, 0, v24, vcc_lo
	v_cmp_nlt_f32_e32 vcc_lo, 0x42b17218, v78
	s_delay_alu instid0(VALU_DEP_2) | instskip(NEXT) | instid1(VALU_DEP_1)
	v_cndmask_b32_e32 v26, 0x7f800000, v24, vcc_lo
	v_add_f32_e32 v27, 1.0, v26
	s_delay_alu instid0(VALU_DEP_1) | instskip(NEXT) | instid1(VALU_DEP_1)
	v_cvt_f64_f32_e32 v[24:25], v27
	v_frexp_exp_i32_f64_e32 v24, v[24:25]
	v_frexp_mant_f32_e32 v25, v27
	s_delay_alu instid0(VALU_DEP_1) | instskip(SKIP_1) | instid1(VALU_DEP_1)
	v_cmp_gt_f32_e32 vcc_lo, 0x3f2aaaab, v25
	v_add_f32_e32 v25, -1.0, v27
	v_sub_f32_e32 v29, v25, v27
	v_sub_f32_e32 v25, v26, v25
	s_delay_alu instid0(VALU_DEP_2) | instskip(NEXT) | instid1(VALU_DEP_1)
	v_add_f32_e32 v29, 1.0, v29
	v_add_f32_e32 v25, v25, v29
	v_cmp_gt_f32_e64 s14, 0x33800000, v26
	v_subrev_co_ci_u32_e32 v24, vcc_lo, 0, v24, vcc_lo
	v_cmp_eq_f32_e32 vcc_lo, 0x7f800000, v26
	s_delay_alu instid0(VALU_DEP_2) | instskip(SKIP_2) | instid1(VALU_DEP_2)
	v_sub_nc_u32_e32 v28, 0, v24
	v_cvt_f32_i32_e32 v24, v24
	s_or_b32 vcc_lo, s14, vcc_lo
	v_ldexp_f32 v27, v27, v28
	v_ldexp_f32 v25, v25, v28
	s_delay_alu instid0(VALU_DEP_2) | instskip(NEXT) | instid1(VALU_DEP_1)
	v_add_f32_e32 v30, 1.0, v27
	v_dual_add_f32 v28, -1.0, v27 :: v_dual_add_f32 v29, -1.0, v30
	s_delay_alu instid0(VALU_DEP_1) | instskip(NEXT) | instid1(VALU_DEP_2)
	v_add_f32_e32 v31, 1.0, v28
	v_sub_f32_e32 v29, v27, v29
	s_delay_alu instid0(VALU_DEP_2) | instskip(NEXT) | instid1(VALU_DEP_2)
	v_sub_f32_e32 v27, v27, v31
	v_add_f32_e32 v29, v25, v29
	s_delay_alu instid0(VALU_DEP_2) | instskip(NEXT) | instid1(VALU_DEP_1)
	v_add_f32_e32 v25, v25, v27
	v_add_f32_e32 v32, v28, v25
	s_delay_alu instid0(VALU_DEP_1) | instskip(NEXT) | instid1(VALU_DEP_1)
	v_dual_add_f32 v31, v30, v29 :: v_dual_sub_f32 v28, v28, v32
	v_rcp_f32_e32 v27, v31
	v_sub_f32_e32 v30, v30, v31
	s_delay_alu instid0(VALU_DEP_1) | instskip(SKIP_2) | instid1(VALU_DEP_1)
	v_add_f32_e32 v29, v29, v30
	s_waitcnt_depctr 0xfff
	v_mul_f32_e32 v33, v32, v27
	v_mul_f32_e32 v34, v31, v33
	s_delay_alu instid0(VALU_DEP_1) | instskip(NEXT) | instid1(VALU_DEP_1)
	v_fma_f32 v30, v33, v31, -v34
	v_fmac_f32_e32 v30, v33, v29
	s_delay_alu instid0(VALU_DEP_1) | instskip(NEXT) | instid1(VALU_DEP_1)
	v_add_f32_e32 v35, v34, v30
	v_sub_f32_e32 v36, v32, v35
	s_delay_alu instid0(VALU_DEP_1) | instskip(SKIP_1) | instid1(VALU_DEP_2)
	v_sub_f32_e32 v32, v32, v36
	v_dual_add_f32 v25, v25, v28 :: v_dual_sub_f32 v28, v35, v34
	v_sub_f32_e32 v32, v32, v35
	s_delay_alu instid0(VALU_DEP_1) | instskip(NEXT) | instid1(VALU_DEP_1)
	v_dual_sub_f32 v28, v28, v30 :: v_dual_add_f32 v25, v25, v32
	v_add_f32_e32 v25, v28, v25
	s_delay_alu instid0(VALU_DEP_1) | instskip(NEXT) | instid1(VALU_DEP_1)
	v_add_f32_e32 v28, v36, v25
	v_mul_f32_e32 v30, v27, v28
	s_delay_alu instid0(VALU_DEP_1) | instskip(NEXT) | instid1(VALU_DEP_1)
	v_dual_sub_f32 v35, v36, v28 :: v_dual_mul_f32 v32, v31, v30
	v_add_f32_e32 v25, v25, v35
	s_delay_alu instid0(VALU_DEP_2) | instskip(NEXT) | instid1(VALU_DEP_1)
	v_fma_f32 v31, v30, v31, -v32
	v_fmac_f32_e32 v31, v30, v29
	s_delay_alu instid0(VALU_DEP_1) | instskip(NEXT) | instid1(VALU_DEP_1)
	v_add_f32_e32 v29, v32, v31
	v_sub_f32_e32 v34, v28, v29
	s_delay_alu instid0(VALU_DEP_1) | instskip(NEXT) | instid1(VALU_DEP_1)
	v_sub_f32_e32 v28, v28, v34
	v_sub_f32_e32 v28, v28, v29
	s_delay_alu instid0(VALU_DEP_1) | instskip(SKIP_2) | instid1(VALU_DEP_1)
	v_add_f32_e32 v25, v25, v28
	v_add_f32_e32 v28, v33, v30
	v_sub_f32_e32 v32, v29, v32
	v_sub_f32_e32 v29, v32, v31
	s_delay_alu instid0(VALU_DEP_1) | instskip(NEXT) | instid1(VALU_DEP_4)
	v_add_f32_e32 v25, v29, v25
	v_sub_f32_e32 v29, v28, v33
	s_delay_alu instid0(VALU_DEP_2) | instskip(NEXT) | instid1(VALU_DEP_2)
	v_add_f32_e32 v25, v34, v25
	v_sub_f32_e32 v29, v30, v29
	s_delay_alu instid0(VALU_DEP_2) | instskip(NEXT) | instid1(VALU_DEP_1)
	v_mul_f32_e32 v25, v27, v25
	v_add_f32_e32 v25, v29, v25
	s_delay_alu instid0(VALU_DEP_1) | instskip(NEXT) | instid1(VALU_DEP_1)
	v_add_f32_e32 v27, v28, v25
	v_mul_f32_e32 v29, v27, v27
	s_delay_alu instid0(VALU_DEP_1) | instskip(SKIP_1) | instid1(VALU_DEP_2)
	v_fmaak_f32 v30, s54, v29, 0x3ecc95a3
	v_mul_f32_e32 v31, v27, v29
	v_fmaak_f32 v29, v29, v30, 0x3f2aaada
	v_ldexp_f32 v30, v27, 1
	s_delay_alu instid0(VALU_DEP_2) | instskip(SKIP_1) | instid1(VALU_DEP_2)
	v_mul_f32_e32 v29, v31, v29
	v_sub_f32_e32 v27, v27, v28
	v_dual_mul_f32 v31, 0x3f317218, v24 :: v_dual_add_f32 v28, v30, v29
	s_delay_alu instid0(VALU_DEP_2) | instskip(NEXT) | instid1(VALU_DEP_2)
	v_sub_f32_e32 v25, v25, v27
	v_sub_f32_e32 v27, v28, v30
	s_delay_alu instid0(VALU_DEP_3) | instskip(NEXT) | instid1(VALU_DEP_3)
	v_fma_f32 v30, 0x3f317218, v24, -v31
	v_ldexp_f32 v25, v25, 1
	s_delay_alu instid0(VALU_DEP_2) | instskip(NEXT) | instid1(VALU_DEP_1)
	v_dual_sub_f32 v27, v29, v27 :: v_dual_fmac_f32 v30, 0xb102e308, v24
	v_dual_add_f32 v24, v25, v27 :: v_dual_add_f32 v25, v31, v30
	s_delay_alu instid0(VALU_DEP_1) | instskip(NEXT) | instid1(VALU_DEP_1)
	v_add_f32_e32 v27, v28, v24
	v_dual_add_f32 v29, v25, v27 :: v_dual_sub_f32 v28, v27, v28
	s_delay_alu instid0(VALU_DEP_1) | instskip(NEXT) | instid1(VALU_DEP_2)
	v_sub_f32_e32 v32, v29, v25
	v_dual_sub_f32 v31, v25, v31 :: v_dual_sub_f32 v24, v24, v28
	s_delay_alu instid0(VALU_DEP_1) | instskip(SKIP_1) | instid1(VALU_DEP_2)
	v_dual_sub_f32 v33, v29, v32 :: v_dual_sub_f32 v30, v30, v31
	v_sub_f32_e32 v27, v27, v32
	v_dual_sub_f32 v25, v25, v33 :: v_dual_add_f32 v28, v30, v24
	s_delay_alu instid0(VALU_DEP_1) | instskip(NEXT) | instid1(VALU_DEP_2)
	v_add_f32_e32 v25, v27, v25
	v_sub_f32_e32 v27, v28, v30
	s_delay_alu instid0(VALU_DEP_2) | instskip(NEXT) | instid1(VALU_DEP_2)
	v_add_f32_e32 v25, v28, v25
	v_sub_f32_e32 v28, v28, v27
	s_delay_alu instid0(VALU_DEP_2) | instskip(NEXT) | instid1(VALU_DEP_1)
	v_dual_sub_f32 v24, v24, v27 :: v_dual_add_f32 v31, v29, v25
	v_dual_sub_f32 v28, v30, v28 :: v_dual_sub_f32 v27, v31, v29
	s_delay_alu instid0(VALU_DEP_1) | instskip(NEXT) | instid1(VALU_DEP_1)
	v_dual_add_f32 v24, v24, v28 :: v_dual_sub_f32 v25, v25, v27
	v_add_f32_e32 v24, v24, v25
	s_delay_alu instid0(VALU_DEP_1) | instskip(NEXT) | instid1(VALU_DEP_1)
	v_add_f32_e32 v24, v31, v24
	v_cndmask_b32_e32 v78, v24, v26, vcc_lo
.LBB113_28:                             ;   in Loop: Header=BB113_12 Depth=1
	s_or_b32 exec_lo, exec_lo, s15
	v_cvt_f32_f16_e32 v24, v14
	s_delay_alu instid0(VALU_DEP_1) | instskip(NEXT) | instid1(VALU_DEP_1)
	v_add_f32_e32 v79, s56, v24
	v_cmp_ge_f32_e32 vcc_lo, 0x41a00000, v79
	s_and_b32 s14, s66, vcc_lo
	s_delay_alu instid0(SALU_CYCLE_1)
	s_and_saveexec_b32 s15, s14
	s_cbranch_execz .LBB113_30
; %bb.29:                               ;   in Loop: Header=BB113_12 Depth=1
	v_mul_f32_e32 v24, 0x3fb8aa3b, v79
	v_cmp_ngt_f32_e32 vcc_lo, 0xc2ce8ed0, v79
	s_delay_alu instid0(VALU_DEP_2) | instskip(SKIP_1) | instid1(VALU_DEP_2)
	v_rndne_f32_e32 v25, v24
	v_fma_f32 v26, 0x3fb8aa3b, v79, -v24
	v_sub_f32_e32 v24, v24, v25
	s_delay_alu instid0(VALU_DEP_2) | instskip(SKIP_1) | instid1(VALU_DEP_2)
	v_fmac_f32_e32 v26, 0x32a5705f, v79
	v_cvt_i32_f32_e32 v25, v25
	v_add_f32_e32 v24, v24, v26
	s_delay_alu instid0(VALU_DEP_1) | instskip(SKIP_2) | instid1(VALU_DEP_1)
	v_exp_f32_e32 v24, v24
	s_waitcnt_depctr 0xfff
	v_ldexp_f32 v24, v24, v25
	v_cndmask_b32_e32 v24, 0, v24, vcc_lo
	v_cmp_nlt_f32_e32 vcc_lo, 0x42b17218, v79
	s_delay_alu instid0(VALU_DEP_2) | instskip(NEXT) | instid1(VALU_DEP_1)
	v_cndmask_b32_e32 v26, 0x7f800000, v24, vcc_lo
	v_add_f32_e32 v27, 1.0, v26
	s_delay_alu instid0(VALU_DEP_1) | instskip(NEXT) | instid1(VALU_DEP_1)
	v_cvt_f64_f32_e32 v[24:25], v27
	v_frexp_exp_i32_f64_e32 v24, v[24:25]
	v_frexp_mant_f32_e32 v25, v27
	s_delay_alu instid0(VALU_DEP_1) | instskip(SKIP_1) | instid1(VALU_DEP_1)
	v_cmp_gt_f32_e32 vcc_lo, 0x3f2aaaab, v25
	v_add_f32_e32 v25, -1.0, v27
	v_sub_f32_e32 v29, v25, v27
	v_sub_f32_e32 v25, v26, v25
	s_delay_alu instid0(VALU_DEP_2) | instskip(NEXT) | instid1(VALU_DEP_1)
	v_add_f32_e32 v29, 1.0, v29
	v_add_f32_e32 v25, v25, v29
	v_cmp_gt_f32_e64 s14, 0x33800000, v26
	v_subrev_co_ci_u32_e32 v24, vcc_lo, 0, v24, vcc_lo
	v_cmp_eq_f32_e32 vcc_lo, 0x7f800000, v26
	s_delay_alu instid0(VALU_DEP_2) | instskip(SKIP_2) | instid1(VALU_DEP_2)
	v_sub_nc_u32_e32 v28, 0, v24
	v_cvt_f32_i32_e32 v24, v24
	s_or_b32 vcc_lo, s14, vcc_lo
	v_ldexp_f32 v27, v27, v28
	v_ldexp_f32 v25, v25, v28
	s_delay_alu instid0(VALU_DEP_2) | instskip(NEXT) | instid1(VALU_DEP_1)
	v_add_f32_e32 v30, 1.0, v27
	v_dual_add_f32 v28, -1.0, v27 :: v_dual_add_f32 v29, -1.0, v30
	s_delay_alu instid0(VALU_DEP_1) | instskip(NEXT) | instid1(VALU_DEP_2)
	v_add_f32_e32 v31, 1.0, v28
	v_sub_f32_e32 v29, v27, v29
	s_delay_alu instid0(VALU_DEP_2) | instskip(NEXT) | instid1(VALU_DEP_2)
	v_sub_f32_e32 v27, v27, v31
	v_add_f32_e32 v29, v25, v29
	s_delay_alu instid0(VALU_DEP_2) | instskip(NEXT) | instid1(VALU_DEP_1)
	v_add_f32_e32 v25, v25, v27
	v_add_f32_e32 v32, v28, v25
	s_delay_alu instid0(VALU_DEP_1) | instskip(NEXT) | instid1(VALU_DEP_1)
	v_dual_add_f32 v31, v30, v29 :: v_dual_sub_f32 v28, v28, v32
	v_rcp_f32_e32 v27, v31
	v_sub_f32_e32 v30, v30, v31
	s_delay_alu instid0(VALU_DEP_1) | instskip(SKIP_2) | instid1(VALU_DEP_1)
	v_add_f32_e32 v29, v29, v30
	s_waitcnt_depctr 0xfff
	v_mul_f32_e32 v33, v32, v27
	v_mul_f32_e32 v34, v31, v33
	s_delay_alu instid0(VALU_DEP_1) | instskip(NEXT) | instid1(VALU_DEP_1)
	v_fma_f32 v30, v33, v31, -v34
	v_fmac_f32_e32 v30, v33, v29
	s_delay_alu instid0(VALU_DEP_1) | instskip(NEXT) | instid1(VALU_DEP_1)
	v_add_f32_e32 v35, v34, v30
	v_sub_f32_e32 v36, v32, v35
	s_delay_alu instid0(VALU_DEP_1) | instskip(SKIP_1) | instid1(VALU_DEP_2)
	v_sub_f32_e32 v32, v32, v36
	v_dual_add_f32 v25, v25, v28 :: v_dual_sub_f32 v28, v35, v34
	v_sub_f32_e32 v32, v32, v35
	s_delay_alu instid0(VALU_DEP_1) | instskip(NEXT) | instid1(VALU_DEP_1)
	v_dual_sub_f32 v28, v28, v30 :: v_dual_add_f32 v25, v25, v32
	v_add_f32_e32 v25, v28, v25
	s_delay_alu instid0(VALU_DEP_1) | instskip(NEXT) | instid1(VALU_DEP_1)
	v_add_f32_e32 v28, v36, v25
	v_mul_f32_e32 v30, v27, v28
	s_delay_alu instid0(VALU_DEP_1) | instskip(NEXT) | instid1(VALU_DEP_1)
	v_dual_sub_f32 v35, v36, v28 :: v_dual_mul_f32 v32, v31, v30
	v_add_f32_e32 v25, v25, v35
	s_delay_alu instid0(VALU_DEP_2) | instskip(NEXT) | instid1(VALU_DEP_1)
	v_fma_f32 v31, v30, v31, -v32
	v_fmac_f32_e32 v31, v30, v29
	s_delay_alu instid0(VALU_DEP_1) | instskip(NEXT) | instid1(VALU_DEP_1)
	v_add_f32_e32 v29, v32, v31
	v_sub_f32_e32 v34, v28, v29
	s_delay_alu instid0(VALU_DEP_1) | instskip(NEXT) | instid1(VALU_DEP_1)
	v_sub_f32_e32 v28, v28, v34
	v_sub_f32_e32 v28, v28, v29
	s_delay_alu instid0(VALU_DEP_1) | instskip(SKIP_2) | instid1(VALU_DEP_1)
	v_add_f32_e32 v25, v25, v28
	v_add_f32_e32 v28, v33, v30
	v_sub_f32_e32 v32, v29, v32
	v_sub_f32_e32 v29, v32, v31
	s_delay_alu instid0(VALU_DEP_1) | instskip(NEXT) | instid1(VALU_DEP_4)
	v_add_f32_e32 v25, v29, v25
	v_sub_f32_e32 v29, v28, v33
	s_delay_alu instid0(VALU_DEP_2) | instskip(NEXT) | instid1(VALU_DEP_2)
	v_add_f32_e32 v25, v34, v25
	v_sub_f32_e32 v29, v30, v29
	s_delay_alu instid0(VALU_DEP_2) | instskip(NEXT) | instid1(VALU_DEP_1)
	v_mul_f32_e32 v25, v27, v25
	v_add_f32_e32 v25, v29, v25
	s_delay_alu instid0(VALU_DEP_1) | instskip(NEXT) | instid1(VALU_DEP_1)
	v_add_f32_e32 v27, v28, v25
	v_mul_f32_e32 v29, v27, v27
	s_delay_alu instid0(VALU_DEP_1) | instskip(SKIP_1) | instid1(VALU_DEP_2)
	v_fmaak_f32 v30, s54, v29, 0x3ecc95a3
	v_mul_f32_e32 v31, v27, v29
	v_fmaak_f32 v29, v29, v30, 0x3f2aaada
	v_ldexp_f32 v30, v27, 1
	s_delay_alu instid0(VALU_DEP_2) | instskip(SKIP_1) | instid1(VALU_DEP_2)
	v_mul_f32_e32 v29, v31, v29
	v_sub_f32_e32 v27, v27, v28
	v_dual_mul_f32 v31, 0x3f317218, v24 :: v_dual_add_f32 v28, v30, v29
	s_delay_alu instid0(VALU_DEP_2) | instskip(NEXT) | instid1(VALU_DEP_2)
	v_sub_f32_e32 v25, v25, v27
	v_sub_f32_e32 v27, v28, v30
	s_delay_alu instid0(VALU_DEP_3) | instskip(NEXT) | instid1(VALU_DEP_3)
	v_fma_f32 v30, 0x3f317218, v24, -v31
	v_ldexp_f32 v25, v25, 1
	s_delay_alu instid0(VALU_DEP_2) | instskip(NEXT) | instid1(VALU_DEP_1)
	v_dual_sub_f32 v27, v29, v27 :: v_dual_fmac_f32 v30, 0xb102e308, v24
	v_dual_add_f32 v24, v25, v27 :: v_dual_add_f32 v25, v31, v30
	s_delay_alu instid0(VALU_DEP_1) | instskip(NEXT) | instid1(VALU_DEP_1)
	v_add_f32_e32 v27, v28, v24
	v_dual_add_f32 v29, v25, v27 :: v_dual_sub_f32 v28, v27, v28
	s_delay_alu instid0(VALU_DEP_1) | instskip(NEXT) | instid1(VALU_DEP_2)
	v_sub_f32_e32 v32, v29, v25
	v_dual_sub_f32 v31, v25, v31 :: v_dual_sub_f32 v24, v24, v28
	s_delay_alu instid0(VALU_DEP_1) | instskip(SKIP_1) | instid1(VALU_DEP_2)
	v_dual_sub_f32 v33, v29, v32 :: v_dual_sub_f32 v30, v30, v31
	v_sub_f32_e32 v27, v27, v32
	v_dual_sub_f32 v25, v25, v33 :: v_dual_add_f32 v28, v30, v24
	s_delay_alu instid0(VALU_DEP_1) | instskip(NEXT) | instid1(VALU_DEP_2)
	v_add_f32_e32 v25, v27, v25
	v_sub_f32_e32 v27, v28, v30
	s_delay_alu instid0(VALU_DEP_2) | instskip(NEXT) | instid1(VALU_DEP_2)
	v_add_f32_e32 v25, v28, v25
	v_sub_f32_e32 v28, v28, v27
	s_delay_alu instid0(VALU_DEP_2) | instskip(NEXT) | instid1(VALU_DEP_1)
	v_dual_sub_f32 v24, v24, v27 :: v_dual_add_f32 v31, v29, v25
	v_dual_sub_f32 v28, v30, v28 :: v_dual_sub_f32 v27, v31, v29
	s_delay_alu instid0(VALU_DEP_1) | instskip(NEXT) | instid1(VALU_DEP_1)
	v_dual_add_f32 v24, v24, v28 :: v_dual_sub_f32 v25, v25, v27
	v_add_f32_e32 v24, v24, v25
	s_delay_alu instid0(VALU_DEP_1) | instskip(NEXT) | instid1(VALU_DEP_1)
	v_add_f32_e32 v24, v31, v24
	v_cndmask_b32_e32 v79, v24, v26, vcc_lo
.LBB113_30:                             ;   in Loop: Header=BB113_12 Depth=1
	s_or_b32 exec_lo, exec_lo, s15
	v_lshrrev_b32_e32 v24, 16, v14
	s_delay_alu instid0(VALU_DEP_1) | instskip(NEXT) | instid1(VALU_DEP_1)
	v_cvt_f32_f16_e32 v24, v24
	v_add_f32_e32 v80, s56, v24
	s_delay_alu instid0(VALU_DEP_1) | instskip(SKIP_1) | instid1(SALU_CYCLE_1)
	v_cmp_ge_f32_e32 vcc_lo, 0x41a00000, v80
	s_and_b32 s14, s66, vcc_lo
	s_and_saveexec_b32 s15, s14
	s_cbranch_execz .LBB113_32
; %bb.31:                               ;   in Loop: Header=BB113_12 Depth=1
	v_mul_f32_e32 v24, 0x3fb8aa3b, v80
	v_cmp_ngt_f32_e32 vcc_lo, 0xc2ce8ed0, v80
	s_delay_alu instid0(VALU_DEP_2) | instskip(SKIP_1) | instid1(VALU_DEP_2)
	v_rndne_f32_e32 v25, v24
	v_fma_f32 v26, 0x3fb8aa3b, v80, -v24
	v_sub_f32_e32 v24, v24, v25
	s_delay_alu instid0(VALU_DEP_2) | instskip(SKIP_1) | instid1(VALU_DEP_2)
	v_fmac_f32_e32 v26, 0x32a5705f, v80
	v_cvt_i32_f32_e32 v25, v25
	v_add_f32_e32 v24, v24, v26
	s_delay_alu instid0(VALU_DEP_1) | instskip(SKIP_2) | instid1(VALU_DEP_1)
	v_exp_f32_e32 v24, v24
	s_waitcnt_depctr 0xfff
	v_ldexp_f32 v24, v24, v25
	v_cndmask_b32_e32 v24, 0, v24, vcc_lo
	v_cmp_nlt_f32_e32 vcc_lo, 0x42b17218, v80
	s_delay_alu instid0(VALU_DEP_2) | instskip(NEXT) | instid1(VALU_DEP_1)
	v_cndmask_b32_e32 v26, 0x7f800000, v24, vcc_lo
	v_add_f32_e32 v27, 1.0, v26
	s_delay_alu instid0(VALU_DEP_1) | instskip(NEXT) | instid1(VALU_DEP_1)
	v_cvt_f64_f32_e32 v[24:25], v27
	v_frexp_exp_i32_f64_e32 v24, v[24:25]
	v_frexp_mant_f32_e32 v25, v27
	s_delay_alu instid0(VALU_DEP_1) | instskip(SKIP_1) | instid1(VALU_DEP_1)
	v_cmp_gt_f32_e32 vcc_lo, 0x3f2aaaab, v25
	v_add_f32_e32 v25, -1.0, v27
	v_sub_f32_e32 v29, v25, v27
	v_sub_f32_e32 v25, v26, v25
	s_delay_alu instid0(VALU_DEP_2) | instskip(NEXT) | instid1(VALU_DEP_1)
	v_add_f32_e32 v29, 1.0, v29
	v_add_f32_e32 v25, v25, v29
	v_cmp_gt_f32_e64 s14, 0x33800000, v26
	v_subrev_co_ci_u32_e32 v24, vcc_lo, 0, v24, vcc_lo
	v_cmp_eq_f32_e32 vcc_lo, 0x7f800000, v26
	s_delay_alu instid0(VALU_DEP_2) | instskip(SKIP_2) | instid1(VALU_DEP_2)
	v_sub_nc_u32_e32 v28, 0, v24
	v_cvt_f32_i32_e32 v24, v24
	s_or_b32 vcc_lo, s14, vcc_lo
	v_ldexp_f32 v27, v27, v28
	v_ldexp_f32 v25, v25, v28
	s_delay_alu instid0(VALU_DEP_2) | instskip(NEXT) | instid1(VALU_DEP_1)
	v_add_f32_e32 v30, 1.0, v27
	v_dual_add_f32 v28, -1.0, v27 :: v_dual_add_f32 v29, -1.0, v30
	s_delay_alu instid0(VALU_DEP_1) | instskip(NEXT) | instid1(VALU_DEP_2)
	v_add_f32_e32 v31, 1.0, v28
	v_sub_f32_e32 v29, v27, v29
	s_delay_alu instid0(VALU_DEP_2) | instskip(NEXT) | instid1(VALU_DEP_2)
	v_sub_f32_e32 v27, v27, v31
	v_add_f32_e32 v29, v25, v29
	s_delay_alu instid0(VALU_DEP_2) | instskip(NEXT) | instid1(VALU_DEP_1)
	v_add_f32_e32 v25, v25, v27
	v_add_f32_e32 v32, v28, v25
	s_delay_alu instid0(VALU_DEP_1) | instskip(NEXT) | instid1(VALU_DEP_1)
	v_dual_add_f32 v31, v30, v29 :: v_dual_sub_f32 v28, v28, v32
	v_rcp_f32_e32 v27, v31
	v_sub_f32_e32 v30, v30, v31
	s_delay_alu instid0(VALU_DEP_1) | instskip(SKIP_2) | instid1(VALU_DEP_1)
	v_add_f32_e32 v29, v29, v30
	s_waitcnt_depctr 0xfff
	v_mul_f32_e32 v33, v32, v27
	v_mul_f32_e32 v34, v31, v33
	s_delay_alu instid0(VALU_DEP_1) | instskip(NEXT) | instid1(VALU_DEP_1)
	v_fma_f32 v30, v33, v31, -v34
	v_fmac_f32_e32 v30, v33, v29
	s_delay_alu instid0(VALU_DEP_1) | instskip(NEXT) | instid1(VALU_DEP_1)
	v_add_f32_e32 v35, v34, v30
	v_sub_f32_e32 v36, v32, v35
	s_delay_alu instid0(VALU_DEP_1) | instskip(SKIP_1) | instid1(VALU_DEP_2)
	v_sub_f32_e32 v32, v32, v36
	v_dual_add_f32 v25, v25, v28 :: v_dual_sub_f32 v28, v35, v34
	v_sub_f32_e32 v32, v32, v35
	s_delay_alu instid0(VALU_DEP_1) | instskip(NEXT) | instid1(VALU_DEP_1)
	v_dual_sub_f32 v28, v28, v30 :: v_dual_add_f32 v25, v25, v32
	v_add_f32_e32 v25, v28, v25
	s_delay_alu instid0(VALU_DEP_1) | instskip(NEXT) | instid1(VALU_DEP_1)
	v_add_f32_e32 v28, v36, v25
	v_mul_f32_e32 v30, v27, v28
	s_delay_alu instid0(VALU_DEP_1) | instskip(NEXT) | instid1(VALU_DEP_1)
	v_dual_sub_f32 v35, v36, v28 :: v_dual_mul_f32 v32, v31, v30
	v_add_f32_e32 v25, v25, v35
	s_delay_alu instid0(VALU_DEP_2) | instskip(NEXT) | instid1(VALU_DEP_1)
	v_fma_f32 v31, v30, v31, -v32
	v_fmac_f32_e32 v31, v30, v29
	s_delay_alu instid0(VALU_DEP_1) | instskip(NEXT) | instid1(VALU_DEP_1)
	v_add_f32_e32 v29, v32, v31
	v_sub_f32_e32 v34, v28, v29
	s_delay_alu instid0(VALU_DEP_1) | instskip(NEXT) | instid1(VALU_DEP_1)
	v_sub_f32_e32 v28, v28, v34
	v_sub_f32_e32 v28, v28, v29
	s_delay_alu instid0(VALU_DEP_1) | instskip(SKIP_2) | instid1(VALU_DEP_1)
	v_add_f32_e32 v25, v25, v28
	v_add_f32_e32 v28, v33, v30
	v_sub_f32_e32 v32, v29, v32
	v_sub_f32_e32 v29, v32, v31
	s_delay_alu instid0(VALU_DEP_1) | instskip(NEXT) | instid1(VALU_DEP_4)
	v_add_f32_e32 v25, v29, v25
	v_sub_f32_e32 v29, v28, v33
	s_delay_alu instid0(VALU_DEP_2) | instskip(NEXT) | instid1(VALU_DEP_2)
	v_add_f32_e32 v25, v34, v25
	v_sub_f32_e32 v29, v30, v29
	s_delay_alu instid0(VALU_DEP_2) | instskip(NEXT) | instid1(VALU_DEP_1)
	v_mul_f32_e32 v25, v27, v25
	v_add_f32_e32 v25, v29, v25
	s_delay_alu instid0(VALU_DEP_1) | instskip(NEXT) | instid1(VALU_DEP_1)
	v_add_f32_e32 v27, v28, v25
	v_mul_f32_e32 v29, v27, v27
	s_delay_alu instid0(VALU_DEP_1) | instskip(SKIP_1) | instid1(VALU_DEP_2)
	v_fmaak_f32 v30, s54, v29, 0x3ecc95a3
	v_mul_f32_e32 v31, v27, v29
	v_fmaak_f32 v29, v29, v30, 0x3f2aaada
	v_ldexp_f32 v30, v27, 1
	s_delay_alu instid0(VALU_DEP_2) | instskip(SKIP_1) | instid1(VALU_DEP_2)
	v_mul_f32_e32 v29, v31, v29
	v_sub_f32_e32 v27, v27, v28
	v_dual_mul_f32 v31, 0x3f317218, v24 :: v_dual_add_f32 v28, v30, v29
	s_delay_alu instid0(VALU_DEP_2) | instskip(NEXT) | instid1(VALU_DEP_2)
	v_sub_f32_e32 v25, v25, v27
	v_sub_f32_e32 v27, v28, v30
	s_delay_alu instid0(VALU_DEP_3) | instskip(NEXT) | instid1(VALU_DEP_3)
	v_fma_f32 v30, 0x3f317218, v24, -v31
	v_ldexp_f32 v25, v25, 1
	s_delay_alu instid0(VALU_DEP_2) | instskip(NEXT) | instid1(VALU_DEP_1)
	v_dual_sub_f32 v27, v29, v27 :: v_dual_fmac_f32 v30, 0xb102e308, v24
	v_dual_add_f32 v24, v25, v27 :: v_dual_add_f32 v25, v31, v30
	s_delay_alu instid0(VALU_DEP_1) | instskip(NEXT) | instid1(VALU_DEP_1)
	v_add_f32_e32 v27, v28, v24
	v_dual_add_f32 v29, v25, v27 :: v_dual_sub_f32 v28, v27, v28
	s_delay_alu instid0(VALU_DEP_1) | instskip(NEXT) | instid1(VALU_DEP_2)
	v_sub_f32_e32 v32, v29, v25
	v_dual_sub_f32 v31, v25, v31 :: v_dual_sub_f32 v24, v24, v28
	s_delay_alu instid0(VALU_DEP_1) | instskip(SKIP_1) | instid1(VALU_DEP_2)
	v_dual_sub_f32 v33, v29, v32 :: v_dual_sub_f32 v30, v30, v31
	v_sub_f32_e32 v27, v27, v32
	v_dual_sub_f32 v25, v25, v33 :: v_dual_add_f32 v28, v30, v24
	s_delay_alu instid0(VALU_DEP_1) | instskip(NEXT) | instid1(VALU_DEP_2)
	v_add_f32_e32 v25, v27, v25
	v_sub_f32_e32 v27, v28, v30
	s_delay_alu instid0(VALU_DEP_2) | instskip(NEXT) | instid1(VALU_DEP_2)
	v_add_f32_e32 v25, v28, v25
	v_sub_f32_e32 v28, v28, v27
	s_delay_alu instid0(VALU_DEP_2) | instskip(NEXT) | instid1(VALU_DEP_1)
	v_dual_sub_f32 v24, v24, v27 :: v_dual_add_f32 v31, v29, v25
	v_dual_sub_f32 v28, v30, v28 :: v_dual_sub_f32 v27, v31, v29
	s_delay_alu instid0(VALU_DEP_1) | instskip(NEXT) | instid1(VALU_DEP_1)
	v_dual_add_f32 v24, v24, v28 :: v_dual_sub_f32 v25, v25, v27
	v_add_f32_e32 v24, v24, v25
	s_delay_alu instid0(VALU_DEP_1) | instskip(NEXT) | instid1(VALU_DEP_1)
	v_add_f32_e32 v24, v31, v24
	v_cndmask_b32_e32 v80, v24, v26, vcc_lo
.LBB113_32:                             ;   in Loop: Header=BB113_12 Depth=1
	s_or_b32 exec_lo, exec_lo, s15
	v_cvt_f32_f16_e32 v24, v15
	s_delay_alu instid0(VALU_DEP_1) | instskip(NEXT) | instid1(VALU_DEP_1)
	v_add_f32_e32 v81, s56, v24
	v_cmp_ge_f32_e32 vcc_lo, 0x41a00000, v81
	s_and_b32 s14, s66, vcc_lo
	s_delay_alu instid0(SALU_CYCLE_1)
	s_and_saveexec_b32 s15, s14
	s_cbranch_execz .LBB113_34
; %bb.33:                               ;   in Loop: Header=BB113_12 Depth=1
	v_mul_f32_e32 v24, 0x3fb8aa3b, v81
	v_cmp_ngt_f32_e32 vcc_lo, 0xc2ce8ed0, v81
	s_delay_alu instid0(VALU_DEP_2) | instskip(SKIP_1) | instid1(VALU_DEP_2)
	v_rndne_f32_e32 v25, v24
	v_fma_f32 v26, 0x3fb8aa3b, v81, -v24
	v_sub_f32_e32 v24, v24, v25
	s_delay_alu instid0(VALU_DEP_2) | instskip(SKIP_1) | instid1(VALU_DEP_2)
	v_fmac_f32_e32 v26, 0x32a5705f, v81
	v_cvt_i32_f32_e32 v25, v25
	v_add_f32_e32 v24, v24, v26
	s_delay_alu instid0(VALU_DEP_1) | instskip(SKIP_2) | instid1(VALU_DEP_1)
	v_exp_f32_e32 v24, v24
	s_waitcnt_depctr 0xfff
	v_ldexp_f32 v24, v24, v25
	v_cndmask_b32_e32 v24, 0, v24, vcc_lo
	v_cmp_nlt_f32_e32 vcc_lo, 0x42b17218, v81
	s_delay_alu instid0(VALU_DEP_2) | instskip(NEXT) | instid1(VALU_DEP_1)
	v_cndmask_b32_e32 v26, 0x7f800000, v24, vcc_lo
	v_add_f32_e32 v27, 1.0, v26
	s_delay_alu instid0(VALU_DEP_1) | instskip(NEXT) | instid1(VALU_DEP_1)
	v_cvt_f64_f32_e32 v[24:25], v27
	v_frexp_exp_i32_f64_e32 v24, v[24:25]
	v_frexp_mant_f32_e32 v25, v27
	s_delay_alu instid0(VALU_DEP_1) | instskip(SKIP_1) | instid1(VALU_DEP_1)
	v_cmp_gt_f32_e32 vcc_lo, 0x3f2aaaab, v25
	v_add_f32_e32 v25, -1.0, v27
	v_sub_f32_e32 v29, v25, v27
	v_sub_f32_e32 v25, v26, v25
	s_delay_alu instid0(VALU_DEP_2) | instskip(NEXT) | instid1(VALU_DEP_1)
	v_add_f32_e32 v29, 1.0, v29
	v_add_f32_e32 v25, v25, v29
	v_cmp_gt_f32_e64 s14, 0x33800000, v26
	v_subrev_co_ci_u32_e32 v24, vcc_lo, 0, v24, vcc_lo
	v_cmp_eq_f32_e32 vcc_lo, 0x7f800000, v26
	s_delay_alu instid0(VALU_DEP_2) | instskip(SKIP_2) | instid1(VALU_DEP_2)
	v_sub_nc_u32_e32 v28, 0, v24
	v_cvt_f32_i32_e32 v24, v24
	s_or_b32 vcc_lo, s14, vcc_lo
	v_ldexp_f32 v27, v27, v28
	v_ldexp_f32 v25, v25, v28
	s_delay_alu instid0(VALU_DEP_2) | instskip(NEXT) | instid1(VALU_DEP_1)
	v_add_f32_e32 v30, 1.0, v27
	v_dual_add_f32 v28, -1.0, v27 :: v_dual_add_f32 v29, -1.0, v30
	s_delay_alu instid0(VALU_DEP_1) | instskip(NEXT) | instid1(VALU_DEP_2)
	v_add_f32_e32 v31, 1.0, v28
	v_sub_f32_e32 v29, v27, v29
	s_delay_alu instid0(VALU_DEP_2) | instskip(NEXT) | instid1(VALU_DEP_2)
	v_sub_f32_e32 v27, v27, v31
	v_add_f32_e32 v29, v25, v29
	s_delay_alu instid0(VALU_DEP_2) | instskip(NEXT) | instid1(VALU_DEP_1)
	v_add_f32_e32 v25, v25, v27
	v_add_f32_e32 v32, v28, v25
	s_delay_alu instid0(VALU_DEP_1) | instskip(NEXT) | instid1(VALU_DEP_1)
	v_dual_add_f32 v31, v30, v29 :: v_dual_sub_f32 v28, v28, v32
	v_rcp_f32_e32 v27, v31
	v_sub_f32_e32 v30, v30, v31
	s_delay_alu instid0(VALU_DEP_1) | instskip(SKIP_2) | instid1(VALU_DEP_1)
	v_add_f32_e32 v29, v29, v30
	s_waitcnt_depctr 0xfff
	v_mul_f32_e32 v33, v32, v27
	v_mul_f32_e32 v34, v31, v33
	s_delay_alu instid0(VALU_DEP_1) | instskip(NEXT) | instid1(VALU_DEP_1)
	v_fma_f32 v30, v33, v31, -v34
	v_fmac_f32_e32 v30, v33, v29
	s_delay_alu instid0(VALU_DEP_1) | instskip(NEXT) | instid1(VALU_DEP_1)
	v_add_f32_e32 v35, v34, v30
	v_sub_f32_e32 v36, v32, v35
	s_delay_alu instid0(VALU_DEP_1) | instskip(SKIP_1) | instid1(VALU_DEP_2)
	v_sub_f32_e32 v32, v32, v36
	v_dual_add_f32 v25, v25, v28 :: v_dual_sub_f32 v28, v35, v34
	v_sub_f32_e32 v32, v32, v35
	s_delay_alu instid0(VALU_DEP_1) | instskip(NEXT) | instid1(VALU_DEP_1)
	v_dual_sub_f32 v28, v28, v30 :: v_dual_add_f32 v25, v25, v32
	v_add_f32_e32 v25, v28, v25
	s_delay_alu instid0(VALU_DEP_1) | instskip(NEXT) | instid1(VALU_DEP_1)
	v_add_f32_e32 v28, v36, v25
	v_mul_f32_e32 v30, v27, v28
	s_delay_alu instid0(VALU_DEP_1) | instskip(NEXT) | instid1(VALU_DEP_1)
	v_dual_sub_f32 v35, v36, v28 :: v_dual_mul_f32 v32, v31, v30
	v_add_f32_e32 v25, v25, v35
	s_delay_alu instid0(VALU_DEP_2) | instskip(NEXT) | instid1(VALU_DEP_1)
	v_fma_f32 v31, v30, v31, -v32
	v_fmac_f32_e32 v31, v30, v29
	s_delay_alu instid0(VALU_DEP_1) | instskip(NEXT) | instid1(VALU_DEP_1)
	v_add_f32_e32 v29, v32, v31
	v_sub_f32_e32 v34, v28, v29
	s_delay_alu instid0(VALU_DEP_1) | instskip(NEXT) | instid1(VALU_DEP_1)
	v_sub_f32_e32 v28, v28, v34
	v_sub_f32_e32 v28, v28, v29
	s_delay_alu instid0(VALU_DEP_1) | instskip(SKIP_2) | instid1(VALU_DEP_1)
	v_add_f32_e32 v25, v25, v28
	v_add_f32_e32 v28, v33, v30
	v_sub_f32_e32 v32, v29, v32
	v_sub_f32_e32 v29, v32, v31
	s_delay_alu instid0(VALU_DEP_1) | instskip(NEXT) | instid1(VALU_DEP_4)
	v_add_f32_e32 v25, v29, v25
	v_sub_f32_e32 v29, v28, v33
	s_delay_alu instid0(VALU_DEP_2) | instskip(NEXT) | instid1(VALU_DEP_2)
	v_add_f32_e32 v25, v34, v25
	v_sub_f32_e32 v29, v30, v29
	s_delay_alu instid0(VALU_DEP_2) | instskip(NEXT) | instid1(VALU_DEP_1)
	v_mul_f32_e32 v25, v27, v25
	v_add_f32_e32 v25, v29, v25
	s_delay_alu instid0(VALU_DEP_1) | instskip(NEXT) | instid1(VALU_DEP_1)
	v_add_f32_e32 v27, v28, v25
	v_mul_f32_e32 v29, v27, v27
	s_delay_alu instid0(VALU_DEP_1) | instskip(SKIP_1) | instid1(VALU_DEP_2)
	v_fmaak_f32 v30, s54, v29, 0x3ecc95a3
	v_mul_f32_e32 v31, v27, v29
	v_fmaak_f32 v29, v29, v30, 0x3f2aaada
	v_ldexp_f32 v30, v27, 1
	s_delay_alu instid0(VALU_DEP_2) | instskip(SKIP_1) | instid1(VALU_DEP_2)
	v_mul_f32_e32 v29, v31, v29
	v_sub_f32_e32 v27, v27, v28
	v_dual_mul_f32 v31, 0x3f317218, v24 :: v_dual_add_f32 v28, v30, v29
	s_delay_alu instid0(VALU_DEP_2) | instskip(NEXT) | instid1(VALU_DEP_2)
	v_sub_f32_e32 v25, v25, v27
	v_sub_f32_e32 v27, v28, v30
	s_delay_alu instid0(VALU_DEP_3) | instskip(NEXT) | instid1(VALU_DEP_3)
	v_fma_f32 v30, 0x3f317218, v24, -v31
	v_ldexp_f32 v25, v25, 1
	s_delay_alu instid0(VALU_DEP_2) | instskip(NEXT) | instid1(VALU_DEP_1)
	v_dual_sub_f32 v27, v29, v27 :: v_dual_fmac_f32 v30, 0xb102e308, v24
	v_dual_add_f32 v24, v25, v27 :: v_dual_add_f32 v25, v31, v30
	s_delay_alu instid0(VALU_DEP_1) | instskip(NEXT) | instid1(VALU_DEP_1)
	v_add_f32_e32 v27, v28, v24
	v_dual_add_f32 v29, v25, v27 :: v_dual_sub_f32 v28, v27, v28
	s_delay_alu instid0(VALU_DEP_1) | instskip(NEXT) | instid1(VALU_DEP_2)
	v_sub_f32_e32 v32, v29, v25
	v_dual_sub_f32 v31, v25, v31 :: v_dual_sub_f32 v24, v24, v28
	s_delay_alu instid0(VALU_DEP_1) | instskip(SKIP_1) | instid1(VALU_DEP_2)
	v_dual_sub_f32 v33, v29, v32 :: v_dual_sub_f32 v30, v30, v31
	v_sub_f32_e32 v27, v27, v32
	v_dual_sub_f32 v25, v25, v33 :: v_dual_add_f32 v28, v30, v24
	s_delay_alu instid0(VALU_DEP_1) | instskip(NEXT) | instid1(VALU_DEP_2)
	v_add_f32_e32 v25, v27, v25
	v_sub_f32_e32 v27, v28, v30
	s_delay_alu instid0(VALU_DEP_2) | instskip(NEXT) | instid1(VALU_DEP_2)
	v_add_f32_e32 v25, v28, v25
	v_sub_f32_e32 v28, v28, v27
	s_delay_alu instid0(VALU_DEP_2) | instskip(NEXT) | instid1(VALU_DEP_1)
	v_dual_sub_f32 v24, v24, v27 :: v_dual_add_f32 v31, v29, v25
	v_dual_sub_f32 v28, v30, v28 :: v_dual_sub_f32 v27, v31, v29
	s_delay_alu instid0(VALU_DEP_1) | instskip(NEXT) | instid1(VALU_DEP_1)
	v_dual_add_f32 v24, v24, v28 :: v_dual_sub_f32 v25, v25, v27
	v_add_f32_e32 v24, v24, v25
	s_delay_alu instid0(VALU_DEP_1) | instskip(NEXT) | instid1(VALU_DEP_1)
	v_add_f32_e32 v24, v31, v24
	v_cndmask_b32_e32 v81, v24, v26, vcc_lo
.LBB113_34:                             ;   in Loop: Header=BB113_12 Depth=1
	s_or_b32 exec_lo, exec_lo, s15
	v_lshrrev_b32_e32 v24, 16, v15
	s_delay_alu instid0(VALU_DEP_1) | instskip(NEXT) | instid1(VALU_DEP_1)
	v_cvt_f32_f16_e32 v24, v24
	v_add_f32_e32 v82, s56, v24
	s_delay_alu instid0(VALU_DEP_1) | instskip(SKIP_1) | instid1(SALU_CYCLE_1)
	v_cmp_ge_f32_e32 vcc_lo, 0x41a00000, v82
	s_and_b32 s14, s66, vcc_lo
	s_and_saveexec_b32 s15, s14
	s_cbranch_execz .LBB113_36
; %bb.35:                               ;   in Loop: Header=BB113_12 Depth=1
	v_mul_f32_e32 v24, 0x3fb8aa3b, v82
	v_cmp_ngt_f32_e32 vcc_lo, 0xc2ce8ed0, v82
	s_delay_alu instid0(VALU_DEP_2) | instskip(SKIP_1) | instid1(VALU_DEP_2)
	v_rndne_f32_e32 v25, v24
	v_fma_f32 v26, 0x3fb8aa3b, v82, -v24
	v_sub_f32_e32 v24, v24, v25
	s_delay_alu instid0(VALU_DEP_2) | instskip(SKIP_1) | instid1(VALU_DEP_2)
	v_fmac_f32_e32 v26, 0x32a5705f, v82
	v_cvt_i32_f32_e32 v25, v25
	v_add_f32_e32 v24, v24, v26
	s_delay_alu instid0(VALU_DEP_1) | instskip(SKIP_2) | instid1(VALU_DEP_1)
	v_exp_f32_e32 v24, v24
	s_waitcnt_depctr 0xfff
	v_ldexp_f32 v24, v24, v25
	v_cndmask_b32_e32 v24, 0, v24, vcc_lo
	v_cmp_nlt_f32_e32 vcc_lo, 0x42b17218, v82
	s_delay_alu instid0(VALU_DEP_2) | instskip(NEXT) | instid1(VALU_DEP_1)
	v_cndmask_b32_e32 v26, 0x7f800000, v24, vcc_lo
	v_add_f32_e32 v27, 1.0, v26
	s_delay_alu instid0(VALU_DEP_1) | instskip(NEXT) | instid1(VALU_DEP_1)
	v_cvt_f64_f32_e32 v[24:25], v27
	v_frexp_exp_i32_f64_e32 v24, v[24:25]
	v_frexp_mant_f32_e32 v25, v27
	s_delay_alu instid0(VALU_DEP_1) | instskip(SKIP_1) | instid1(VALU_DEP_1)
	v_cmp_gt_f32_e32 vcc_lo, 0x3f2aaaab, v25
	v_add_f32_e32 v25, -1.0, v27
	v_sub_f32_e32 v29, v25, v27
	v_sub_f32_e32 v25, v26, v25
	s_delay_alu instid0(VALU_DEP_2) | instskip(NEXT) | instid1(VALU_DEP_1)
	v_add_f32_e32 v29, 1.0, v29
	v_add_f32_e32 v25, v25, v29
	v_cmp_gt_f32_e64 s14, 0x33800000, v26
	v_subrev_co_ci_u32_e32 v24, vcc_lo, 0, v24, vcc_lo
	v_cmp_eq_f32_e32 vcc_lo, 0x7f800000, v26
	s_delay_alu instid0(VALU_DEP_2) | instskip(SKIP_2) | instid1(VALU_DEP_2)
	v_sub_nc_u32_e32 v28, 0, v24
	v_cvt_f32_i32_e32 v24, v24
	s_or_b32 vcc_lo, s14, vcc_lo
	v_ldexp_f32 v27, v27, v28
	v_ldexp_f32 v25, v25, v28
	s_delay_alu instid0(VALU_DEP_2) | instskip(NEXT) | instid1(VALU_DEP_1)
	v_add_f32_e32 v30, 1.0, v27
	v_dual_add_f32 v28, -1.0, v27 :: v_dual_add_f32 v29, -1.0, v30
	s_delay_alu instid0(VALU_DEP_1) | instskip(NEXT) | instid1(VALU_DEP_2)
	v_add_f32_e32 v31, 1.0, v28
	v_sub_f32_e32 v29, v27, v29
	s_delay_alu instid0(VALU_DEP_2) | instskip(NEXT) | instid1(VALU_DEP_2)
	v_sub_f32_e32 v27, v27, v31
	v_add_f32_e32 v29, v25, v29
	s_delay_alu instid0(VALU_DEP_2) | instskip(NEXT) | instid1(VALU_DEP_1)
	v_add_f32_e32 v25, v25, v27
	v_add_f32_e32 v32, v28, v25
	s_delay_alu instid0(VALU_DEP_1) | instskip(NEXT) | instid1(VALU_DEP_1)
	v_dual_add_f32 v31, v30, v29 :: v_dual_sub_f32 v28, v28, v32
	v_rcp_f32_e32 v27, v31
	v_sub_f32_e32 v30, v30, v31
	s_delay_alu instid0(VALU_DEP_1) | instskip(SKIP_2) | instid1(VALU_DEP_1)
	v_add_f32_e32 v29, v29, v30
	s_waitcnt_depctr 0xfff
	v_mul_f32_e32 v33, v32, v27
	v_mul_f32_e32 v34, v31, v33
	s_delay_alu instid0(VALU_DEP_1) | instskip(NEXT) | instid1(VALU_DEP_1)
	v_fma_f32 v30, v33, v31, -v34
	v_fmac_f32_e32 v30, v33, v29
	s_delay_alu instid0(VALU_DEP_1) | instskip(NEXT) | instid1(VALU_DEP_1)
	v_add_f32_e32 v35, v34, v30
	v_sub_f32_e32 v36, v32, v35
	s_delay_alu instid0(VALU_DEP_1) | instskip(SKIP_1) | instid1(VALU_DEP_2)
	v_sub_f32_e32 v32, v32, v36
	v_dual_add_f32 v25, v25, v28 :: v_dual_sub_f32 v28, v35, v34
	v_sub_f32_e32 v32, v32, v35
	s_delay_alu instid0(VALU_DEP_1) | instskip(NEXT) | instid1(VALU_DEP_1)
	v_dual_sub_f32 v28, v28, v30 :: v_dual_add_f32 v25, v25, v32
	v_add_f32_e32 v25, v28, v25
	s_delay_alu instid0(VALU_DEP_1) | instskip(NEXT) | instid1(VALU_DEP_1)
	v_add_f32_e32 v28, v36, v25
	v_mul_f32_e32 v30, v27, v28
	s_delay_alu instid0(VALU_DEP_1) | instskip(NEXT) | instid1(VALU_DEP_1)
	v_dual_sub_f32 v35, v36, v28 :: v_dual_mul_f32 v32, v31, v30
	v_add_f32_e32 v25, v25, v35
	s_delay_alu instid0(VALU_DEP_2) | instskip(NEXT) | instid1(VALU_DEP_1)
	v_fma_f32 v31, v30, v31, -v32
	v_fmac_f32_e32 v31, v30, v29
	s_delay_alu instid0(VALU_DEP_1) | instskip(NEXT) | instid1(VALU_DEP_1)
	v_add_f32_e32 v29, v32, v31
	v_sub_f32_e32 v34, v28, v29
	s_delay_alu instid0(VALU_DEP_1) | instskip(NEXT) | instid1(VALU_DEP_1)
	v_sub_f32_e32 v28, v28, v34
	v_sub_f32_e32 v28, v28, v29
	s_delay_alu instid0(VALU_DEP_1) | instskip(SKIP_2) | instid1(VALU_DEP_1)
	v_add_f32_e32 v25, v25, v28
	v_add_f32_e32 v28, v33, v30
	v_sub_f32_e32 v32, v29, v32
	v_sub_f32_e32 v29, v32, v31
	s_delay_alu instid0(VALU_DEP_1) | instskip(NEXT) | instid1(VALU_DEP_4)
	v_add_f32_e32 v25, v29, v25
	v_sub_f32_e32 v29, v28, v33
	s_delay_alu instid0(VALU_DEP_2) | instskip(NEXT) | instid1(VALU_DEP_2)
	v_add_f32_e32 v25, v34, v25
	v_sub_f32_e32 v29, v30, v29
	s_delay_alu instid0(VALU_DEP_2) | instskip(NEXT) | instid1(VALU_DEP_1)
	v_mul_f32_e32 v25, v27, v25
	v_add_f32_e32 v25, v29, v25
	s_delay_alu instid0(VALU_DEP_1) | instskip(NEXT) | instid1(VALU_DEP_1)
	v_add_f32_e32 v27, v28, v25
	v_mul_f32_e32 v29, v27, v27
	s_delay_alu instid0(VALU_DEP_1) | instskip(SKIP_1) | instid1(VALU_DEP_2)
	v_fmaak_f32 v30, s54, v29, 0x3ecc95a3
	v_mul_f32_e32 v31, v27, v29
	v_fmaak_f32 v29, v29, v30, 0x3f2aaada
	v_ldexp_f32 v30, v27, 1
	s_delay_alu instid0(VALU_DEP_2) | instskip(SKIP_1) | instid1(VALU_DEP_2)
	v_mul_f32_e32 v29, v31, v29
	v_sub_f32_e32 v27, v27, v28
	v_dual_mul_f32 v31, 0x3f317218, v24 :: v_dual_add_f32 v28, v30, v29
	s_delay_alu instid0(VALU_DEP_2) | instskip(NEXT) | instid1(VALU_DEP_2)
	v_sub_f32_e32 v25, v25, v27
	v_sub_f32_e32 v27, v28, v30
	s_delay_alu instid0(VALU_DEP_3) | instskip(NEXT) | instid1(VALU_DEP_3)
	v_fma_f32 v30, 0x3f317218, v24, -v31
	v_ldexp_f32 v25, v25, 1
	s_delay_alu instid0(VALU_DEP_2) | instskip(NEXT) | instid1(VALU_DEP_1)
	v_dual_sub_f32 v27, v29, v27 :: v_dual_fmac_f32 v30, 0xb102e308, v24
	v_dual_add_f32 v24, v25, v27 :: v_dual_add_f32 v25, v31, v30
	s_delay_alu instid0(VALU_DEP_1) | instskip(NEXT) | instid1(VALU_DEP_1)
	v_add_f32_e32 v27, v28, v24
	v_dual_add_f32 v29, v25, v27 :: v_dual_sub_f32 v28, v27, v28
	s_delay_alu instid0(VALU_DEP_1) | instskip(NEXT) | instid1(VALU_DEP_2)
	v_sub_f32_e32 v32, v29, v25
	v_dual_sub_f32 v31, v25, v31 :: v_dual_sub_f32 v24, v24, v28
	s_delay_alu instid0(VALU_DEP_1) | instskip(SKIP_1) | instid1(VALU_DEP_2)
	v_dual_sub_f32 v33, v29, v32 :: v_dual_sub_f32 v30, v30, v31
	v_sub_f32_e32 v27, v27, v32
	v_dual_sub_f32 v25, v25, v33 :: v_dual_add_f32 v28, v30, v24
	s_delay_alu instid0(VALU_DEP_1) | instskip(NEXT) | instid1(VALU_DEP_2)
	v_add_f32_e32 v25, v27, v25
	v_sub_f32_e32 v27, v28, v30
	s_delay_alu instid0(VALU_DEP_2) | instskip(NEXT) | instid1(VALU_DEP_2)
	v_add_f32_e32 v25, v28, v25
	v_sub_f32_e32 v28, v28, v27
	s_delay_alu instid0(VALU_DEP_2) | instskip(NEXT) | instid1(VALU_DEP_1)
	v_dual_sub_f32 v24, v24, v27 :: v_dual_add_f32 v31, v29, v25
	v_dual_sub_f32 v28, v30, v28 :: v_dual_sub_f32 v27, v31, v29
	s_delay_alu instid0(VALU_DEP_1) | instskip(NEXT) | instid1(VALU_DEP_1)
	v_dual_add_f32 v24, v24, v28 :: v_dual_sub_f32 v25, v25, v27
	v_add_f32_e32 v24, v24, v25
	s_delay_alu instid0(VALU_DEP_1) | instskip(NEXT) | instid1(VALU_DEP_1)
	v_add_f32_e32 v24, v31, v24
	v_cndmask_b32_e32 v82, v24, v26, vcc_lo
.LBB113_36:                             ;   in Loop: Header=BB113_12 Depth=1
	s_or_b32 exec_lo, exec_lo, s15
	s_waitcnt lgkmcnt(0)
	v_cvt_f32_f16_e32 v24, v8
	s_delay_alu instid0(VALU_DEP_1) | instskip(NEXT) | instid1(VALU_DEP_1)
	v_add_f32_e32 v83, s56, v24
	v_cmp_ge_f32_e32 vcc_lo, 0x41a00000, v83
	s_and_b32 s14, s66, vcc_lo
	s_delay_alu instid0(SALU_CYCLE_1)
	s_and_saveexec_b32 s15, s14
	s_cbranch_execz .LBB113_38
; %bb.37:                               ;   in Loop: Header=BB113_12 Depth=1
	v_mul_f32_e32 v24, 0x3fb8aa3b, v83
	v_cmp_ngt_f32_e32 vcc_lo, 0xc2ce8ed0, v83
	s_delay_alu instid0(VALU_DEP_2) | instskip(SKIP_1) | instid1(VALU_DEP_2)
	v_rndne_f32_e32 v25, v24
	v_fma_f32 v26, 0x3fb8aa3b, v83, -v24
	v_sub_f32_e32 v24, v24, v25
	s_delay_alu instid0(VALU_DEP_2) | instskip(SKIP_1) | instid1(VALU_DEP_2)
	v_fmac_f32_e32 v26, 0x32a5705f, v83
	v_cvt_i32_f32_e32 v25, v25
	v_add_f32_e32 v24, v24, v26
	s_delay_alu instid0(VALU_DEP_1) | instskip(SKIP_2) | instid1(VALU_DEP_1)
	v_exp_f32_e32 v24, v24
	s_waitcnt_depctr 0xfff
	v_ldexp_f32 v24, v24, v25
	v_cndmask_b32_e32 v24, 0, v24, vcc_lo
	v_cmp_nlt_f32_e32 vcc_lo, 0x42b17218, v83
	s_delay_alu instid0(VALU_DEP_2) | instskip(NEXT) | instid1(VALU_DEP_1)
	v_cndmask_b32_e32 v26, 0x7f800000, v24, vcc_lo
	v_add_f32_e32 v27, 1.0, v26
	s_delay_alu instid0(VALU_DEP_1) | instskip(NEXT) | instid1(VALU_DEP_1)
	v_cvt_f64_f32_e32 v[24:25], v27
	v_frexp_exp_i32_f64_e32 v24, v[24:25]
	v_frexp_mant_f32_e32 v25, v27
	s_delay_alu instid0(VALU_DEP_1) | instskip(SKIP_1) | instid1(VALU_DEP_1)
	v_cmp_gt_f32_e32 vcc_lo, 0x3f2aaaab, v25
	v_add_f32_e32 v25, -1.0, v27
	v_sub_f32_e32 v29, v25, v27
	v_sub_f32_e32 v25, v26, v25
	s_delay_alu instid0(VALU_DEP_2) | instskip(NEXT) | instid1(VALU_DEP_1)
	v_add_f32_e32 v29, 1.0, v29
	v_add_f32_e32 v25, v25, v29
	v_cmp_gt_f32_e64 s14, 0x33800000, v26
	v_subrev_co_ci_u32_e32 v24, vcc_lo, 0, v24, vcc_lo
	v_cmp_eq_f32_e32 vcc_lo, 0x7f800000, v26
	s_delay_alu instid0(VALU_DEP_2) | instskip(SKIP_2) | instid1(VALU_DEP_2)
	v_sub_nc_u32_e32 v28, 0, v24
	v_cvt_f32_i32_e32 v24, v24
	s_or_b32 vcc_lo, s14, vcc_lo
	v_ldexp_f32 v27, v27, v28
	v_ldexp_f32 v25, v25, v28
	s_delay_alu instid0(VALU_DEP_2) | instskip(NEXT) | instid1(VALU_DEP_1)
	v_add_f32_e32 v30, 1.0, v27
	v_dual_add_f32 v28, -1.0, v27 :: v_dual_add_f32 v29, -1.0, v30
	s_delay_alu instid0(VALU_DEP_1) | instskip(NEXT) | instid1(VALU_DEP_2)
	v_add_f32_e32 v31, 1.0, v28
	v_sub_f32_e32 v29, v27, v29
	s_delay_alu instid0(VALU_DEP_2) | instskip(NEXT) | instid1(VALU_DEP_2)
	v_sub_f32_e32 v27, v27, v31
	v_add_f32_e32 v29, v25, v29
	s_delay_alu instid0(VALU_DEP_2) | instskip(NEXT) | instid1(VALU_DEP_1)
	v_add_f32_e32 v25, v25, v27
	v_add_f32_e32 v32, v28, v25
	s_delay_alu instid0(VALU_DEP_1) | instskip(NEXT) | instid1(VALU_DEP_1)
	v_dual_add_f32 v31, v30, v29 :: v_dual_sub_f32 v28, v28, v32
	v_rcp_f32_e32 v27, v31
	v_sub_f32_e32 v30, v30, v31
	s_delay_alu instid0(VALU_DEP_1) | instskip(SKIP_2) | instid1(VALU_DEP_1)
	v_add_f32_e32 v29, v29, v30
	s_waitcnt_depctr 0xfff
	v_mul_f32_e32 v33, v32, v27
	v_mul_f32_e32 v34, v31, v33
	s_delay_alu instid0(VALU_DEP_1) | instskip(NEXT) | instid1(VALU_DEP_1)
	v_fma_f32 v30, v33, v31, -v34
	v_fmac_f32_e32 v30, v33, v29
	s_delay_alu instid0(VALU_DEP_1) | instskip(NEXT) | instid1(VALU_DEP_1)
	v_add_f32_e32 v35, v34, v30
	v_sub_f32_e32 v36, v32, v35
	s_delay_alu instid0(VALU_DEP_1) | instskip(SKIP_1) | instid1(VALU_DEP_2)
	v_sub_f32_e32 v32, v32, v36
	v_dual_add_f32 v25, v25, v28 :: v_dual_sub_f32 v28, v35, v34
	v_sub_f32_e32 v32, v32, v35
	s_delay_alu instid0(VALU_DEP_1) | instskip(NEXT) | instid1(VALU_DEP_1)
	v_dual_sub_f32 v28, v28, v30 :: v_dual_add_f32 v25, v25, v32
	v_add_f32_e32 v25, v28, v25
	s_delay_alu instid0(VALU_DEP_1) | instskip(NEXT) | instid1(VALU_DEP_1)
	v_add_f32_e32 v28, v36, v25
	v_mul_f32_e32 v30, v27, v28
	s_delay_alu instid0(VALU_DEP_1) | instskip(NEXT) | instid1(VALU_DEP_1)
	v_dual_sub_f32 v35, v36, v28 :: v_dual_mul_f32 v32, v31, v30
	v_add_f32_e32 v25, v25, v35
	s_delay_alu instid0(VALU_DEP_2) | instskip(NEXT) | instid1(VALU_DEP_1)
	v_fma_f32 v31, v30, v31, -v32
	v_fmac_f32_e32 v31, v30, v29
	s_delay_alu instid0(VALU_DEP_1) | instskip(NEXT) | instid1(VALU_DEP_1)
	v_add_f32_e32 v29, v32, v31
	v_sub_f32_e32 v34, v28, v29
	s_delay_alu instid0(VALU_DEP_1) | instskip(NEXT) | instid1(VALU_DEP_1)
	v_sub_f32_e32 v28, v28, v34
	v_sub_f32_e32 v28, v28, v29
	s_delay_alu instid0(VALU_DEP_1) | instskip(SKIP_2) | instid1(VALU_DEP_1)
	v_add_f32_e32 v25, v25, v28
	v_add_f32_e32 v28, v33, v30
	v_sub_f32_e32 v32, v29, v32
	v_sub_f32_e32 v29, v32, v31
	s_delay_alu instid0(VALU_DEP_1) | instskip(NEXT) | instid1(VALU_DEP_4)
	v_add_f32_e32 v25, v29, v25
	v_sub_f32_e32 v29, v28, v33
	s_delay_alu instid0(VALU_DEP_2) | instskip(NEXT) | instid1(VALU_DEP_2)
	v_add_f32_e32 v25, v34, v25
	v_sub_f32_e32 v29, v30, v29
	s_delay_alu instid0(VALU_DEP_2) | instskip(NEXT) | instid1(VALU_DEP_1)
	v_mul_f32_e32 v25, v27, v25
	v_add_f32_e32 v25, v29, v25
	s_delay_alu instid0(VALU_DEP_1) | instskip(NEXT) | instid1(VALU_DEP_1)
	v_add_f32_e32 v27, v28, v25
	v_mul_f32_e32 v29, v27, v27
	s_delay_alu instid0(VALU_DEP_1) | instskip(SKIP_1) | instid1(VALU_DEP_2)
	v_fmaak_f32 v30, s54, v29, 0x3ecc95a3
	v_mul_f32_e32 v31, v27, v29
	v_fmaak_f32 v29, v29, v30, 0x3f2aaada
	v_ldexp_f32 v30, v27, 1
	s_delay_alu instid0(VALU_DEP_2) | instskip(SKIP_1) | instid1(VALU_DEP_2)
	v_mul_f32_e32 v29, v31, v29
	v_sub_f32_e32 v27, v27, v28
	v_dual_mul_f32 v31, 0x3f317218, v24 :: v_dual_add_f32 v28, v30, v29
	s_delay_alu instid0(VALU_DEP_2) | instskip(NEXT) | instid1(VALU_DEP_2)
	v_sub_f32_e32 v25, v25, v27
	v_sub_f32_e32 v27, v28, v30
	s_delay_alu instid0(VALU_DEP_3) | instskip(NEXT) | instid1(VALU_DEP_3)
	v_fma_f32 v30, 0x3f317218, v24, -v31
	v_ldexp_f32 v25, v25, 1
	s_delay_alu instid0(VALU_DEP_2) | instskip(NEXT) | instid1(VALU_DEP_1)
	v_dual_sub_f32 v27, v29, v27 :: v_dual_fmac_f32 v30, 0xb102e308, v24
	v_dual_add_f32 v24, v25, v27 :: v_dual_add_f32 v25, v31, v30
	s_delay_alu instid0(VALU_DEP_1) | instskip(NEXT) | instid1(VALU_DEP_1)
	v_add_f32_e32 v27, v28, v24
	v_dual_add_f32 v29, v25, v27 :: v_dual_sub_f32 v28, v27, v28
	s_delay_alu instid0(VALU_DEP_1) | instskip(NEXT) | instid1(VALU_DEP_2)
	v_sub_f32_e32 v32, v29, v25
	v_dual_sub_f32 v31, v25, v31 :: v_dual_sub_f32 v24, v24, v28
	s_delay_alu instid0(VALU_DEP_1) | instskip(SKIP_1) | instid1(VALU_DEP_2)
	v_dual_sub_f32 v33, v29, v32 :: v_dual_sub_f32 v30, v30, v31
	v_sub_f32_e32 v27, v27, v32
	v_dual_sub_f32 v25, v25, v33 :: v_dual_add_f32 v28, v30, v24
	s_delay_alu instid0(VALU_DEP_1) | instskip(NEXT) | instid1(VALU_DEP_2)
	v_add_f32_e32 v25, v27, v25
	v_sub_f32_e32 v27, v28, v30
	s_delay_alu instid0(VALU_DEP_2) | instskip(NEXT) | instid1(VALU_DEP_2)
	v_add_f32_e32 v25, v28, v25
	v_sub_f32_e32 v28, v28, v27
	s_delay_alu instid0(VALU_DEP_2) | instskip(NEXT) | instid1(VALU_DEP_1)
	v_dual_sub_f32 v24, v24, v27 :: v_dual_add_f32 v31, v29, v25
	v_dual_sub_f32 v28, v30, v28 :: v_dual_sub_f32 v27, v31, v29
	s_delay_alu instid0(VALU_DEP_1) | instskip(NEXT) | instid1(VALU_DEP_1)
	v_dual_add_f32 v24, v24, v28 :: v_dual_sub_f32 v25, v25, v27
	v_add_f32_e32 v24, v24, v25
	s_delay_alu instid0(VALU_DEP_1) | instskip(NEXT) | instid1(VALU_DEP_1)
	v_add_f32_e32 v24, v31, v24
	v_cndmask_b32_e32 v83, v24, v26, vcc_lo
.LBB113_38:                             ;   in Loop: Header=BB113_12 Depth=1
	s_or_b32 exec_lo, exec_lo, s15
	v_lshrrev_b32_e32 v24, 16, v8
	s_delay_alu instid0(VALU_DEP_1) | instskip(NEXT) | instid1(VALU_DEP_1)
	v_cvt_f32_f16_e32 v24, v24
	v_add_f32_e32 v84, s56, v24
	s_delay_alu instid0(VALU_DEP_1) | instskip(SKIP_1) | instid1(SALU_CYCLE_1)
	v_cmp_ge_f32_e32 vcc_lo, 0x41a00000, v84
	s_and_b32 s14, s66, vcc_lo
	s_and_saveexec_b32 s15, s14
	s_cbranch_execz .LBB113_40
; %bb.39:                               ;   in Loop: Header=BB113_12 Depth=1
	v_mul_f32_e32 v24, 0x3fb8aa3b, v84
	v_cmp_ngt_f32_e32 vcc_lo, 0xc2ce8ed0, v84
	s_delay_alu instid0(VALU_DEP_2) | instskip(SKIP_1) | instid1(VALU_DEP_2)
	v_rndne_f32_e32 v25, v24
	v_fma_f32 v26, 0x3fb8aa3b, v84, -v24
	v_sub_f32_e32 v24, v24, v25
	s_delay_alu instid0(VALU_DEP_2) | instskip(SKIP_1) | instid1(VALU_DEP_2)
	v_fmac_f32_e32 v26, 0x32a5705f, v84
	v_cvt_i32_f32_e32 v25, v25
	v_add_f32_e32 v24, v24, v26
	s_delay_alu instid0(VALU_DEP_1) | instskip(SKIP_2) | instid1(VALU_DEP_1)
	v_exp_f32_e32 v24, v24
	s_waitcnt_depctr 0xfff
	v_ldexp_f32 v24, v24, v25
	v_cndmask_b32_e32 v24, 0, v24, vcc_lo
	v_cmp_nlt_f32_e32 vcc_lo, 0x42b17218, v84
	s_delay_alu instid0(VALU_DEP_2) | instskip(NEXT) | instid1(VALU_DEP_1)
	v_cndmask_b32_e32 v26, 0x7f800000, v24, vcc_lo
	v_add_f32_e32 v27, 1.0, v26
	s_delay_alu instid0(VALU_DEP_1) | instskip(NEXT) | instid1(VALU_DEP_1)
	v_cvt_f64_f32_e32 v[24:25], v27
	v_frexp_exp_i32_f64_e32 v24, v[24:25]
	v_frexp_mant_f32_e32 v25, v27
	s_delay_alu instid0(VALU_DEP_1) | instskip(SKIP_1) | instid1(VALU_DEP_1)
	v_cmp_gt_f32_e32 vcc_lo, 0x3f2aaaab, v25
	v_add_f32_e32 v25, -1.0, v27
	v_sub_f32_e32 v29, v25, v27
	v_sub_f32_e32 v25, v26, v25
	s_delay_alu instid0(VALU_DEP_2) | instskip(NEXT) | instid1(VALU_DEP_1)
	v_add_f32_e32 v29, 1.0, v29
	v_add_f32_e32 v25, v25, v29
	v_cmp_gt_f32_e64 s14, 0x33800000, v26
	v_subrev_co_ci_u32_e32 v24, vcc_lo, 0, v24, vcc_lo
	v_cmp_eq_f32_e32 vcc_lo, 0x7f800000, v26
	s_delay_alu instid0(VALU_DEP_2) | instskip(SKIP_2) | instid1(VALU_DEP_2)
	v_sub_nc_u32_e32 v28, 0, v24
	v_cvt_f32_i32_e32 v24, v24
	s_or_b32 vcc_lo, s14, vcc_lo
	v_ldexp_f32 v27, v27, v28
	v_ldexp_f32 v25, v25, v28
	s_delay_alu instid0(VALU_DEP_2) | instskip(NEXT) | instid1(VALU_DEP_1)
	v_add_f32_e32 v30, 1.0, v27
	v_dual_add_f32 v28, -1.0, v27 :: v_dual_add_f32 v29, -1.0, v30
	s_delay_alu instid0(VALU_DEP_1) | instskip(NEXT) | instid1(VALU_DEP_2)
	v_add_f32_e32 v31, 1.0, v28
	v_sub_f32_e32 v29, v27, v29
	s_delay_alu instid0(VALU_DEP_2) | instskip(NEXT) | instid1(VALU_DEP_2)
	v_sub_f32_e32 v27, v27, v31
	v_add_f32_e32 v29, v25, v29
	s_delay_alu instid0(VALU_DEP_2) | instskip(NEXT) | instid1(VALU_DEP_1)
	v_add_f32_e32 v25, v25, v27
	v_add_f32_e32 v32, v28, v25
	s_delay_alu instid0(VALU_DEP_1) | instskip(NEXT) | instid1(VALU_DEP_1)
	v_dual_add_f32 v31, v30, v29 :: v_dual_sub_f32 v28, v28, v32
	v_rcp_f32_e32 v27, v31
	v_sub_f32_e32 v30, v30, v31
	s_delay_alu instid0(VALU_DEP_1) | instskip(SKIP_2) | instid1(VALU_DEP_1)
	v_add_f32_e32 v29, v29, v30
	s_waitcnt_depctr 0xfff
	v_mul_f32_e32 v33, v32, v27
	v_mul_f32_e32 v34, v31, v33
	s_delay_alu instid0(VALU_DEP_1) | instskip(NEXT) | instid1(VALU_DEP_1)
	v_fma_f32 v30, v33, v31, -v34
	v_fmac_f32_e32 v30, v33, v29
	s_delay_alu instid0(VALU_DEP_1) | instskip(NEXT) | instid1(VALU_DEP_1)
	v_add_f32_e32 v35, v34, v30
	v_sub_f32_e32 v36, v32, v35
	s_delay_alu instid0(VALU_DEP_1) | instskip(SKIP_1) | instid1(VALU_DEP_2)
	v_sub_f32_e32 v32, v32, v36
	v_dual_add_f32 v25, v25, v28 :: v_dual_sub_f32 v28, v35, v34
	v_sub_f32_e32 v32, v32, v35
	s_delay_alu instid0(VALU_DEP_1) | instskip(NEXT) | instid1(VALU_DEP_1)
	v_dual_sub_f32 v28, v28, v30 :: v_dual_add_f32 v25, v25, v32
	v_add_f32_e32 v25, v28, v25
	s_delay_alu instid0(VALU_DEP_1) | instskip(NEXT) | instid1(VALU_DEP_1)
	v_add_f32_e32 v28, v36, v25
	v_mul_f32_e32 v30, v27, v28
	s_delay_alu instid0(VALU_DEP_1) | instskip(NEXT) | instid1(VALU_DEP_1)
	v_dual_sub_f32 v35, v36, v28 :: v_dual_mul_f32 v32, v31, v30
	v_add_f32_e32 v25, v25, v35
	s_delay_alu instid0(VALU_DEP_2) | instskip(NEXT) | instid1(VALU_DEP_1)
	v_fma_f32 v31, v30, v31, -v32
	v_fmac_f32_e32 v31, v30, v29
	s_delay_alu instid0(VALU_DEP_1) | instskip(NEXT) | instid1(VALU_DEP_1)
	v_add_f32_e32 v29, v32, v31
	v_sub_f32_e32 v34, v28, v29
	s_delay_alu instid0(VALU_DEP_1) | instskip(NEXT) | instid1(VALU_DEP_1)
	v_sub_f32_e32 v28, v28, v34
	v_sub_f32_e32 v28, v28, v29
	s_delay_alu instid0(VALU_DEP_1) | instskip(SKIP_2) | instid1(VALU_DEP_1)
	v_add_f32_e32 v25, v25, v28
	v_add_f32_e32 v28, v33, v30
	v_sub_f32_e32 v32, v29, v32
	v_sub_f32_e32 v29, v32, v31
	s_delay_alu instid0(VALU_DEP_1) | instskip(NEXT) | instid1(VALU_DEP_4)
	v_add_f32_e32 v25, v29, v25
	v_sub_f32_e32 v29, v28, v33
	s_delay_alu instid0(VALU_DEP_2) | instskip(NEXT) | instid1(VALU_DEP_2)
	v_add_f32_e32 v25, v34, v25
	v_sub_f32_e32 v29, v30, v29
	s_delay_alu instid0(VALU_DEP_2) | instskip(NEXT) | instid1(VALU_DEP_1)
	v_mul_f32_e32 v25, v27, v25
	v_add_f32_e32 v25, v29, v25
	s_delay_alu instid0(VALU_DEP_1) | instskip(NEXT) | instid1(VALU_DEP_1)
	v_add_f32_e32 v27, v28, v25
	v_mul_f32_e32 v29, v27, v27
	s_delay_alu instid0(VALU_DEP_1) | instskip(SKIP_1) | instid1(VALU_DEP_2)
	v_fmaak_f32 v30, s54, v29, 0x3ecc95a3
	v_mul_f32_e32 v31, v27, v29
	v_fmaak_f32 v29, v29, v30, 0x3f2aaada
	v_ldexp_f32 v30, v27, 1
	s_delay_alu instid0(VALU_DEP_2) | instskip(SKIP_1) | instid1(VALU_DEP_2)
	v_mul_f32_e32 v29, v31, v29
	v_sub_f32_e32 v27, v27, v28
	v_dual_mul_f32 v31, 0x3f317218, v24 :: v_dual_add_f32 v28, v30, v29
	s_delay_alu instid0(VALU_DEP_2) | instskip(NEXT) | instid1(VALU_DEP_2)
	v_sub_f32_e32 v25, v25, v27
	v_sub_f32_e32 v27, v28, v30
	s_delay_alu instid0(VALU_DEP_3) | instskip(NEXT) | instid1(VALU_DEP_3)
	v_fma_f32 v30, 0x3f317218, v24, -v31
	v_ldexp_f32 v25, v25, 1
	s_delay_alu instid0(VALU_DEP_2) | instskip(NEXT) | instid1(VALU_DEP_1)
	v_dual_sub_f32 v27, v29, v27 :: v_dual_fmac_f32 v30, 0xb102e308, v24
	v_dual_add_f32 v24, v25, v27 :: v_dual_add_f32 v25, v31, v30
	s_delay_alu instid0(VALU_DEP_1) | instskip(NEXT) | instid1(VALU_DEP_1)
	v_add_f32_e32 v27, v28, v24
	v_dual_add_f32 v29, v25, v27 :: v_dual_sub_f32 v28, v27, v28
	s_delay_alu instid0(VALU_DEP_1) | instskip(NEXT) | instid1(VALU_DEP_2)
	v_sub_f32_e32 v32, v29, v25
	v_dual_sub_f32 v31, v25, v31 :: v_dual_sub_f32 v24, v24, v28
	s_delay_alu instid0(VALU_DEP_1) | instskip(SKIP_1) | instid1(VALU_DEP_2)
	v_dual_sub_f32 v33, v29, v32 :: v_dual_sub_f32 v30, v30, v31
	v_sub_f32_e32 v27, v27, v32
	v_dual_sub_f32 v25, v25, v33 :: v_dual_add_f32 v28, v30, v24
	s_delay_alu instid0(VALU_DEP_1) | instskip(NEXT) | instid1(VALU_DEP_2)
	v_add_f32_e32 v25, v27, v25
	v_sub_f32_e32 v27, v28, v30
	s_delay_alu instid0(VALU_DEP_2) | instskip(NEXT) | instid1(VALU_DEP_2)
	v_add_f32_e32 v25, v28, v25
	v_sub_f32_e32 v28, v28, v27
	s_delay_alu instid0(VALU_DEP_2) | instskip(NEXT) | instid1(VALU_DEP_1)
	v_dual_sub_f32 v24, v24, v27 :: v_dual_add_f32 v31, v29, v25
	v_dual_sub_f32 v28, v30, v28 :: v_dual_sub_f32 v27, v31, v29
	s_delay_alu instid0(VALU_DEP_1) | instskip(NEXT) | instid1(VALU_DEP_1)
	v_dual_add_f32 v24, v24, v28 :: v_dual_sub_f32 v25, v25, v27
	v_add_f32_e32 v24, v24, v25
	s_delay_alu instid0(VALU_DEP_1) | instskip(NEXT) | instid1(VALU_DEP_1)
	v_add_f32_e32 v24, v31, v24
	v_cndmask_b32_e32 v84, v24, v26, vcc_lo
.LBB113_40:                             ;   in Loop: Header=BB113_12 Depth=1
	s_or_b32 exec_lo, exec_lo, s15
	v_cvt_f32_f16_e32 v24, v9
	s_delay_alu instid0(VALU_DEP_1) | instskip(NEXT) | instid1(VALU_DEP_1)
	v_add_f32_e32 v97, s56, v24
	v_cmp_ge_f32_e32 vcc_lo, 0x41a00000, v97
	s_and_b32 s14, s66, vcc_lo
	s_delay_alu instid0(SALU_CYCLE_1)
	s_and_saveexec_b32 s15, s14
	s_cbranch_execz .LBB113_42
; %bb.41:                               ;   in Loop: Header=BB113_12 Depth=1
	v_mul_f32_e32 v24, 0x3fb8aa3b, v97
	v_cmp_ngt_f32_e32 vcc_lo, 0xc2ce8ed0, v97
	s_delay_alu instid0(VALU_DEP_2) | instskip(SKIP_1) | instid1(VALU_DEP_2)
	v_rndne_f32_e32 v25, v24
	v_fma_f32 v26, 0x3fb8aa3b, v97, -v24
	v_sub_f32_e32 v24, v24, v25
	s_delay_alu instid0(VALU_DEP_2) | instskip(SKIP_1) | instid1(VALU_DEP_2)
	v_fmac_f32_e32 v26, 0x32a5705f, v97
	v_cvt_i32_f32_e32 v25, v25
	v_add_f32_e32 v24, v24, v26
	s_delay_alu instid0(VALU_DEP_1) | instskip(SKIP_2) | instid1(VALU_DEP_1)
	v_exp_f32_e32 v24, v24
	s_waitcnt_depctr 0xfff
	v_ldexp_f32 v24, v24, v25
	v_cndmask_b32_e32 v24, 0, v24, vcc_lo
	v_cmp_nlt_f32_e32 vcc_lo, 0x42b17218, v97
	s_delay_alu instid0(VALU_DEP_2) | instskip(NEXT) | instid1(VALU_DEP_1)
	v_cndmask_b32_e32 v26, 0x7f800000, v24, vcc_lo
	v_add_f32_e32 v27, 1.0, v26
	s_delay_alu instid0(VALU_DEP_1) | instskip(NEXT) | instid1(VALU_DEP_1)
	v_cvt_f64_f32_e32 v[24:25], v27
	v_frexp_exp_i32_f64_e32 v24, v[24:25]
	v_frexp_mant_f32_e32 v25, v27
	s_delay_alu instid0(VALU_DEP_1) | instskip(SKIP_1) | instid1(VALU_DEP_1)
	v_cmp_gt_f32_e32 vcc_lo, 0x3f2aaaab, v25
	v_add_f32_e32 v25, -1.0, v27
	v_sub_f32_e32 v29, v25, v27
	v_sub_f32_e32 v25, v26, v25
	s_delay_alu instid0(VALU_DEP_2) | instskip(NEXT) | instid1(VALU_DEP_1)
	v_add_f32_e32 v29, 1.0, v29
	v_add_f32_e32 v25, v25, v29
	v_cmp_gt_f32_e64 s14, 0x33800000, v26
	v_subrev_co_ci_u32_e32 v24, vcc_lo, 0, v24, vcc_lo
	v_cmp_eq_f32_e32 vcc_lo, 0x7f800000, v26
	s_delay_alu instid0(VALU_DEP_2) | instskip(SKIP_2) | instid1(VALU_DEP_2)
	v_sub_nc_u32_e32 v28, 0, v24
	v_cvt_f32_i32_e32 v24, v24
	s_or_b32 vcc_lo, s14, vcc_lo
	v_ldexp_f32 v27, v27, v28
	v_ldexp_f32 v25, v25, v28
	s_delay_alu instid0(VALU_DEP_2) | instskip(NEXT) | instid1(VALU_DEP_1)
	v_add_f32_e32 v30, 1.0, v27
	v_dual_add_f32 v28, -1.0, v27 :: v_dual_add_f32 v29, -1.0, v30
	s_delay_alu instid0(VALU_DEP_1) | instskip(NEXT) | instid1(VALU_DEP_2)
	v_add_f32_e32 v31, 1.0, v28
	v_sub_f32_e32 v29, v27, v29
	s_delay_alu instid0(VALU_DEP_2) | instskip(NEXT) | instid1(VALU_DEP_2)
	v_sub_f32_e32 v27, v27, v31
	v_add_f32_e32 v29, v25, v29
	s_delay_alu instid0(VALU_DEP_2) | instskip(NEXT) | instid1(VALU_DEP_1)
	v_add_f32_e32 v25, v25, v27
	v_add_f32_e32 v32, v28, v25
	s_delay_alu instid0(VALU_DEP_1) | instskip(NEXT) | instid1(VALU_DEP_1)
	v_dual_add_f32 v31, v30, v29 :: v_dual_sub_f32 v28, v28, v32
	v_rcp_f32_e32 v27, v31
	v_sub_f32_e32 v30, v30, v31
	s_delay_alu instid0(VALU_DEP_1) | instskip(SKIP_2) | instid1(VALU_DEP_1)
	v_add_f32_e32 v29, v29, v30
	s_waitcnt_depctr 0xfff
	v_mul_f32_e32 v33, v32, v27
	v_mul_f32_e32 v34, v31, v33
	s_delay_alu instid0(VALU_DEP_1) | instskip(NEXT) | instid1(VALU_DEP_1)
	v_fma_f32 v30, v33, v31, -v34
	v_fmac_f32_e32 v30, v33, v29
	s_delay_alu instid0(VALU_DEP_1) | instskip(NEXT) | instid1(VALU_DEP_1)
	v_add_f32_e32 v35, v34, v30
	v_sub_f32_e32 v36, v32, v35
	s_delay_alu instid0(VALU_DEP_1) | instskip(SKIP_1) | instid1(VALU_DEP_2)
	v_sub_f32_e32 v32, v32, v36
	v_dual_add_f32 v25, v25, v28 :: v_dual_sub_f32 v28, v35, v34
	v_sub_f32_e32 v32, v32, v35
	s_delay_alu instid0(VALU_DEP_1) | instskip(NEXT) | instid1(VALU_DEP_1)
	v_dual_sub_f32 v28, v28, v30 :: v_dual_add_f32 v25, v25, v32
	v_add_f32_e32 v25, v28, v25
	s_delay_alu instid0(VALU_DEP_1) | instskip(NEXT) | instid1(VALU_DEP_1)
	v_add_f32_e32 v28, v36, v25
	v_mul_f32_e32 v30, v27, v28
	s_delay_alu instid0(VALU_DEP_1) | instskip(NEXT) | instid1(VALU_DEP_1)
	v_dual_sub_f32 v35, v36, v28 :: v_dual_mul_f32 v32, v31, v30
	v_add_f32_e32 v25, v25, v35
	s_delay_alu instid0(VALU_DEP_2) | instskip(NEXT) | instid1(VALU_DEP_1)
	v_fma_f32 v31, v30, v31, -v32
	v_fmac_f32_e32 v31, v30, v29
	s_delay_alu instid0(VALU_DEP_1) | instskip(NEXT) | instid1(VALU_DEP_1)
	v_add_f32_e32 v29, v32, v31
	v_sub_f32_e32 v34, v28, v29
	s_delay_alu instid0(VALU_DEP_1) | instskip(NEXT) | instid1(VALU_DEP_1)
	v_sub_f32_e32 v28, v28, v34
	v_sub_f32_e32 v28, v28, v29
	s_delay_alu instid0(VALU_DEP_1) | instskip(SKIP_2) | instid1(VALU_DEP_1)
	v_add_f32_e32 v25, v25, v28
	v_add_f32_e32 v28, v33, v30
	v_sub_f32_e32 v32, v29, v32
	v_sub_f32_e32 v29, v32, v31
	s_delay_alu instid0(VALU_DEP_1) | instskip(NEXT) | instid1(VALU_DEP_4)
	v_add_f32_e32 v25, v29, v25
	v_sub_f32_e32 v29, v28, v33
	s_delay_alu instid0(VALU_DEP_2) | instskip(NEXT) | instid1(VALU_DEP_2)
	v_add_f32_e32 v25, v34, v25
	v_sub_f32_e32 v29, v30, v29
	s_delay_alu instid0(VALU_DEP_2) | instskip(NEXT) | instid1(VALU_DEP_1)
	v_mul_f32_e32 v25, v27, v25
	v_add_f32_e32 v25, v29, v25
	s_delay_alu instid0(VALU_DEP_1) | instskip(NEXT) | instid1(VALU_DEP_1)
	v_add_f32_e32 v27, v28, v25
	v_mul_f32_e32 v29, v27, v27
	s_delay_alu instid0(VALU_DEP_1) | instskip(SKIP_1) | instid1(VALU_DEP_2)
	v_fmaak_f32 v30, s54, v29, 0x3ecc95a3
	v_mul_f32_e32 v31, v27, v29
	v_fmaak_f32 v29, v29, v30, 0x3f2aaada
	v_ldexp_f32 v30, v27, 1
	s_delay_alu instid0(VALU_DEP_2) | instskip(SKIP_1) | instid1(VALU_DEP_2)
	v_mul_f32_e32 v29, v31, v29
	v_sub_f32_e32 v27, v27, v28
	v_dual_mul_f32 v31, 0x3f317218, v24 :: v_dual_add_f32 v28, v30, v29
	s_delay_alu instid0(VALU_DEP_2) | instskip(NEXT) | instid1(VALU_DEP_2)
	v_sub_f32_e32 v25, v25, v27
	v_sub_f32_e32 v27, v28, v30
	s_delay_alu instid0(VALU_DEP_3) | instskip(NEXT) | instid1(VALU_DEP_3)
	v_fma_f32 v30, 0x3f317218, v24, -v31
	v_ldexp_f32 v25, v25, 1
	s_delay_alu instid0(VALU_DEP_2) | instskip(NEXT) | instid1(VALU_DEP_1)
	v_dual_sub_f32 v27, v29, v27 :: v_dual_fmac_f32 v30, 0xb102e308, v24
	v_dual_add_f32 v24, v25, v27 :: v_dual_add_f32 v25, v31, v30
	s_delay_alu instid0(VALU_DEP_1) | instskip(NEXT) | instid1(VALU_DEP_1)
	v_add_f32_e32 v27, v28, v24
	v_dual_add_f32 v29, v25, v27 :: v_dual_sub_f32 v28, v27, v28
	s_delay_alu instid0(VALU_DEP_1) | instskip(NEXT) | instid1(VALU_DEP_2)
	v_sub_f32_e32 v32, v29, v25
	v_dual_sub_f32 v31, v25, v31 :: v_dual_sub_f32 v24, v24, v28
	s_delay_alu instid0(VALU_DEP_1) | instskip(SKIP_1) | instid1(VALU_DEP_2)
	v_dual_sub_f32 v33, v29, v32 :: v_dual_sub_f32 v30, v30, v31
	v_sub_f32_e32 v27, v27, v32
	v_dual_sub_f32 v25, v25, v33 :: v_dual_add_f32 v28, v30, v24
	s_delay_alu instid0(VALU_DEP_1) | instskip(NEXT) | instid1(VALU_DEP_2)
	v_add_f32_e32 v25, v27, v25
	v_sub_f32_e32 v27, v28, v30
	s_delay_alu instid0(VALU_DEP_2) | instskip(NEXT) | instid1(VALU_DEP_2)
	v_add_f32_e32 v25, v28, v25
	v_sub_f32_e32 v28, v28, v27
	s_delay_alu instid0(VALU_DEP_2) | instskip(NEXT) | instid1(VALU_DEP_1)
	v_dual_sub_f32 v24, v24, v27 :: v_dual_add_f32 v31, v29, v25
	v_dual_sub_f32 v28, v30, v28 :: v_dual_sub_f32 v27, v31, v29
	s_delay_alu instid0(VALU_DEP_1) | instskip(NEXT) | instid1(VALU_DEP_1)
	v_dual_add_f32 v24, v24, v28 :: v_dual_sub_f32 v25, v25, v27
	v_add_f32_e32 v24, v24, v25
	s_delay_alu instid0(VALU_DEP_1) | instskip(NEXT) | instid1(VALU_DEP_1)
	v_add_f32_e32 v24, v31, v24
	v_cndmask_b32_e32 v97, v24, v26, vcc_lo
.LBB113_42:                             ;   in Loop: Header=BB113_12 Depth=1
	s_or_b32 exec_lo, exec_lo, s15
	v_lshrrev_b32_e32 v24, 16, v9
	s_delay_alu instid0(VALU_DEP_1) | instskip(NEXT) | instid1(VALU_DEP_1)
	v_cvt_f32_f16_e32 v24, v24
	v_add_f32_e32 v99, s56, v24
	s_delay_alu instid0(VALU_DEP_1) | instskip(SKIP_1) | instid1(SALU_CYCLE_1)
	v_cmp_ge_f32_e32 vcc_lo, 0x41a00000, v99
	s_and_b32 s14, s66, vcc_lo
	s_and_saveexec_b32 s15, s14
	s_cbranch_execz .LBB113_44
; %bb.43:                               ;   in Loop: Header=BB113_12 Depth=1
	v_mul_f32_e32 v24, 0x3fb8aa3b, v99
	v_cmp_ngt_f32_e32 vcc_lo, 0xc2ce8ed0, v99
	s_delay_alu instid0(VALU_DEP_2) | instskip(SKIP_1) | instid1(VALU_DEP_2)
	v_rndne_f32_e32 v25, v24
	v_fma_f32 v26, 0x3fb8aa3b, v99, -v24
	v_sub_f32_e32 v24, v24, v25
	s_delay_alu instid0(VALU_DEP_2) | instskip(SKIP_1) | instid1(VALU_DEP_2)
	v_fmac_f32_e32 v26, 0x32a5705f, v99
	v_cvt_i32_f32_e32 v25, v25
	v_add_f32_e32 v24, v24, v26
	s_delay_alu instid0(VALU_DEP_1) | instskip(SKIP_2) | instid1(VALU_DEP_1)
	v_exp_f32_e32 v24, v24
	s_waitcnt_depctr 0xfff
	v_ldexp_f32 v24, v24, v25
	v_cndmask_b32_e32 v24, 0, v24, vcc_lo
	v_cmp_nlt_f32_e32 vcc_lo, 0x42b17218, v99
	s_delay_alu instid0(VALU_DEP_2) | instskip(NEXT) | instid1(VALU_DEP_1)
	v_cndmask_b32_e32 v26, 0x7f800000, v24, vcc_lo
	v_add_f32_e32 v27, 1.0, v26
	s_delay_alu instid0(VALU_DEP_1) | instskip(NEXT) | instid1(VALU_DEP_1)
	v_cvt_f64_f32_e32 v[24:25], v27
	v_frexp_exp_i32_f64_e32 v24, v[24:25]
	v_frexp_mant_f32_e32 v25, v27
	s_delay_alu instid0(VALU_DEP_1) | instskip(SKIP_1) | instid1(VALU_DEP_1)
	v_cmp_gt_f32_e32 vcc_lo, 0x3f2aaaab, v25
	v_add_f32_e32 v25, -1.0, v27
	v_sub_f32_e32 v29, v25, v27
	v_sub_f32_e32 v25, v26, v25
	s_delay_alu instid0(VALU_DEP_2) | instskip(NEXT) | instid1(VALU_DEP_1)
	v_add_f32_e32 v29, 1.0, v29
	v_add_f32_e32 v25, v25, v29
	v_cmp_gt_f32_e64 s14, 0x33800000, v26
	v_subrev_co_ci_u32_e32 v24, vcc_lo, 0, v24, vcc_lo
	v_cmp_eq_f32_e32 vcc_lo, 0x7f800000, v26
	s_delay_alu instid0(VALU_DEP_2) | instskip(SKIP_2) | instid1(VALU_DEP_2)
	v_sub_nc_u32_e32 v28, 0, v24
	v_cvt_f32_i32_e32 v24, v24
	s_or_b32 vcc_lo, s14, vcc_lo
	v_ldexp_f32 v27, v27, v28
	v_ldexp_f32 v25, v25, v28
	s_delay_alu instid0(VALU_DEP_2) | instskip(NEXT) | instid1(VALU_DEP_1)
	v_add_f32_e32 v30, 1.0, v27
	v_dual_add_f32 v28, -1.0, v27 :: v_dual_add_f32 v29, -1.0, v30
	s_delay_alu instid0(VALU_DEP_1) | instskip(NEXT) | instid1(VALU_DEP_2)
	v_add_f32_e32 v31, 1.0, v28
	v_sub_f32_e32 v29, v27, v29
	s_delay_alu instid0(VALU_DEP_2) | instskip(NEXT) | instid1(VALU_DEP_2)
	v_sub_f32_e32 v27, v27, v31
	v_add_f32_e32 v29, v25, v29
	s_delay_alu instid0(VALU_DEP_2) | instskip(NEXT) | instid1(VALU_DEP_1)
	v_add_f32_e32 v25, v25, v27
	v_add_f32_e32 v32, v28, v25
	s_delay_alu instid0(VALU_DEP_1) | instskip(NEXT) | instid1(VALU_DEP_1)
	v_dual_add_f32 v31, v30, v29 :: v_dual_sub_f32 v28, v28, v32
	v_rcp_f32_e32 v27, v31
	v_sub_f32_e32 v30, v30, v31
	s_delay_alu instid0(VALU_DEP_1) | instskip(SKIP_2) | instid1(VALU_DEP_1)
	v_add_f32_e32 v29, v29, v30
	s_waitcnt_depctr 0xfff
	v_mul_f32_e32 v33, v32, v27
	v_mul_f32_e32 v34, v31, v33
	s_delay_alu instid0(VALU_DEP_1) | instskip(NEXT) | instid1(VALU_DEP_1)
	v_fma_f32 v30, v33, v31, -v34
	v_fmac_f32_e32 v30, v33, v29
	s_delay_alu instid0(VALU_DEP_1) | instskip(NEXT) | instid1(VALU_DEP_1)
	v_add_f32_e32 v35, v34, v30
	v_sub_f32_e32 v36, v32, v35
	s_delay_alu instid0(VALU_DEP_1) | instskip(SKIP_1) | instid1(VALU_DEP_2)
	v_sub_f32_e32 v32, v32, v36
	v_dual_add_f32 v25, v25, v28 :: v_dual_sub_f32 v28, v35, v34
	v_sub_f32_e32 v32, v32, v35
	s_delay_alu instid0(VALU_DEP_1) | instskip(NEXT) | instid1(VALU_DEP_1)
	v_dual_sub_f32 v28, v28, v30 :: v_dual_add_f32 v25, v25, v32
	v_add_f32_e32 v25, v28, v25
	s_delay_alu instid0(VALU_DEP_1) | instskip(NEXT) | instid1(VALU_DEP_1)
	v_add_f32_e32 v28, v36, v25
	v_mul_f32_e32 v30, v27, v28
	s_delay_alu instid0(VALU_DEP_1) | instskip(NEXT) | instid1(VALU_DEP_1)
	v_dual_sub_f32 v35, v36, v28 :: v_dual_mul_f32 v32, v31, v30
	v_add_f32_e32 v25, v25, v35
	s_delay_alu instid0(VALU_DEP_2) | instskip(NEXT) | instid1(VALU_DEP_1)
	v_fma_f32 v31, v30, v31, -v32
	v_fmac_f32_e32 v31, v30, v29
	s_delay_alu instid0(VALU_DEP_1) | instskip(NEXT) | instid1(VALU_DEP_1)
	v_add_f32_e32 v29, v32, v31
	v_sub_f32_e32 v34, v28, v29
	s_delay_alu instid0(VALU_DEP_1) | instskip(NEXT) | instid1(VALU_DEP_1)
	v_sub_f32_e32 v28, v28, v34
	v_sub_f32_e32 v28, v28, v29
	s_delay_alu instid0(VALU_DEP_1) | instskip(SKIP_2) | instid1(VALU_DEP_1)
	v_add_f32_e32 v25, v25, v28
	v_add_f32_e32 v28, v33, v30
	v_sub_f32_e32 v32, v29, v32
	v_sub_f32_e32 v29, v32, v31
	s_delay_alu instid0(VALU_DEP_1) | instskip(NEXT) | instid1(VALU_DEP_4)
	v_add_f32_e32 v25, v29, v25
	v_sub_f32_e32 v29, v28, v33
	s_delay_alu instid0(VALU_DEP_2) | instskip(NEXT) | instid1(VALU_DEP_2)
	v_add_f32_e32 v25, v34, v25
	v_sub_f32_e32 v29, v30, v29
	s_delay_alu instid0(VALU_DEP_2) | instskip(NEXT) | instid1(VALU_DEP_1)
	v_mul_f32_e32 v25, v27, v25
	v_add_f32_e32 v25, v29, v25
	s_delay_alu instid0(VALU_DEP_1) | instskip(NEXT) | instid1(VALU_DEP_1)
	v_add_f32_e32 v27, v28, v25
	v_mul_f32_e32 v29, v27, v27
	s_delay_alu instid0(VALU_DEP_1) | instskip(SKIP_1) | instid1(VALU_DEP_2)
	v_fmaak_f32 v30, s54, v29, 0x3ecc95a3
	v_mul_f32_e32 v31, v27, v29
	v_fmaak_f32 v29, v29, v30, 0x3f2aaada
	v_ldexp_f32 v30, v27, 1
	s_delay_alu instid0(VALU_DEP_2) | instskip(SKIP_1) | instid1(VALU_DEP_2)
	v_mul_f32_e32 v29, v31, v29
	v_sub_f32_e32 v27, v27, v28
	v_dual_mul_f32 v31, 0x3f317218, v24 :: v_dual_add_f32 v28, v30, v29
	s_delay_alu instid0(VALU_DEP_2) | instskip(NEXT) | instid1(VALU_DEP_2)
	v_sub_f32_e32 v25, v25, v27
	v_sub_f32_e32 v27, v28, v30
	s_delay_alu instid0(VALU_DEP_3) | instskip(NEXT) | instid1(VALU_DEP_3)
	v_fma_f32 v30, 0x3f317218, v24, -v31
	v_ldexp_f32 v25, v25, 1
	s_delay_alu instid0(VALU_DEP_2) | instskip(NEXT) | instid1(VALU_DEP_1)
	v_dual_sub_f32 v27, v29, v27 :: v_dual_fmac_f32 v30, 0xb102e308, v24
	v_dual_add_f32 v24, v25, v27 :: v_dual_add_f32 v25, v31, v30
	s_delay_alu instid0(VALU_DEP_1) | instskip(NEXT) | instid1(VALU_DEP_1)
	v_add_f32_e32 v27, v28, v24
	v_dual_add_f32 v29, v25, v27 :: v_dual_sub_f32 v28, v27, v28
	s_delay_alu instid0(VALU_DEP_1) | instskip(NEXT) | instid1(VALU_DEP_2)
	v_sub_f32_e32 v32, v29, v25
	v_dual_sub_f32 v31, v25, v31 :: v_dual_sub_f32 v24, v24, v28
	s_delay_alu instid0(VALU_DEP_1) | instskip(SKIP_1) | instid1(VALU_DEP_2)
	v_dual_sub_f32 v33, v29, v32 :: v_dual_sub_f32 v30, v30, v31
	v_sub_f32_e32 v27, v27, v32
	v_dual_sub_f32 v25, v25, v33 :: v_dual_add_f32 v28, v30, v24
	s_delay_alu instid0(VALU_DEP_1) | instskip(NEXT) | instid1(VALU_DEP_2)
	v_add_f32_e32 v25, v27, v25
	v_sub_f32_e32 v27, v28, v30
	s_delay_alu instid0(VALU_DEP_2) | instskip(NEXT) | instid1(VALU_DEP_2)
	v_add_f32_e32 v25, v28, v25
	v_sub_f32_e32 v28, v28, v27
	s_delay_alu instid0(VALU_DEP_2) | instskip(NEXT) | instid1(VALU_DEP_1)
	v_dual_sub_f32 v24, v24, v27 :: v_dual_add_f32 v31, v29, v25
	v_dual_sub_f32 v28, v30, v28 :: v_dual_sub_f32 v27, v31, v29
	s_delay_alu instid0(VALU_DEP_1) | instskip(NEXT) | instid1(VALU_DEP_1)
	v_dual_add_f32 v24, v24, v28 :: v_dual_sub_f32 v25, v25, v27
	v_add_f32_e32 v24, v24, v25
	s_delay_alu instid0(VALU_DEP_1) | instskip(NEXT) | instid1(VALU_DEP_1)
	v_add_f32_e32 v24, v31, v24
	v_cndmask_b32_e32 v99, v24, v26, vcc_lo
.LBB113_44:                             ;   in Loop: Header=BB113_12 Depth=1
	s_or_b32 exec_lo, exec_lo, s15
	v_cvt_f32_f16_e32 v24, v10
	s_delay_alu instid0(VALU_DEP_1) | instskip(NEXT) | instid1(VALU_DEP_1)
	v_add_f32_e32 v102, s56, v24
	v_cmp_ge_f32_e32 vcc_lo, 0x41a00000, v102
	s_and_b32 s14, s66, vcc_lo
	s_delay_alu instid0(SALU_CYCLE_1)
	s_and_saveexec_b32 s15, s14
	s_cbranch_execz .LBB113_46
; %bb.45:                               ;   in Loop: Header=BB113_12 Depth=1
	v_mul_f32_e32 v24, 0x3fb8aa3b, v102
	v_cmp_ngt_f32_e32 vcc_lo, 0xc2ce8ed0, v102
	s_delay_alu instid0(VALU_DEP_2) | instskip(SKIP_1) | instid1(VALU_DEP_2)
	v_rndne_f32_e32 v25, v24
	v_fma_f32 v26, 0x3fb8aa3b, v102, -v24
	v_sub_f32_e32 v24, v24, v25
	s_delay_alu instid0(VALU_DEP_2) | instskip(SKIP_1) | instid1(VALU_DEP_2)
	v_fmac_f32_e32 v26, 0x32a5705f, v102
	v_cvt_i32_f32_e32 v25, v25
	v_add_f32_e32 v24, v24, v26
	s_delay_alu instid0(VALU_DEP_1) | instskip(SKIP_2) | instid1(VALU_DEP_1)
	v_exp_f32_e32 v24, v24
	s_waitcnt_depctr 0xfff
	v_ldexp_f32 v24, v24, v25
	v_cndmask_b32_e32 v24, 0, v24, vcc_lo
	v_cmp_nlt_f32_e32 vcc_lo, 0x42b17218, v102
	s_delay_alu instid0(VALU_DEP_2) | instskip(NEXT) | instid1(VALU_DEP_1)
	v_cndmask_b32_e32 v26, 0x7f800000, v24, vcc_lo
	v_add_f32_e32 v27, 1.0, v26
	s_delay_alu instid0(VALU_DEP_1) | instskip(NEXT) | instid1(VALU_DEP_1)
	v_cvt_f64_f32_e32 v[24:25], v27
	v_frexp_exp_i32_f64_e32 v24, v[24:25]
	v_frexp_mant_f32_e32 v25, v27
	s_delay_alu instid0(VALU_DEP_1) | instskip(SKIP_1) | instid1(VALU_DEP_1)
	v_cmp_gt_f32_e32 vcc_lo, 0x3f2aaaab, v25
	v_add_f32_e32 v25, -1.0, v27
	v_sub_f32_e32 v29, v25, v27
	v_sub_f32_e32 v25, v26, v25
	s_delay_alu instid0(VALU_DEP_2) | instskip(NEXT) | instid1(VALU_DEP_1)
	v_add_f32_e32 v29, 1.0, v29
	v_add_f32_e32 v25, v25, v29
	v_cmp_gt_f32_e64 s14, 0x33800000, v26
	v_subrev_co_ci_u32_e32 v24, vcc_lo, 0, v24, vcc_lo
	v_cmp_eq_f32_e32 vcc_lo, 0x7f800000, v26
	s_delay_alu instid0(VALU_DEP_2) | instskip(SKIP_2) | instid1(VALU_DEP_2)
	v_sub_nc_u32_e32 v28, 0, v24
	v_cvt_f32_i32_e32 v24, v24
	s_or_b32 vcc_lo, s14, vcc_lo
	v_ldexp_f32 v27, v27, v28
	v_ldexp_f32 v25, v25, v28
	s_delay_alu instid0(VALU_DEP_2) | instskip(NEXT) | instid1(VALU_DEP_1)
	v_add_f32_e32 v30, 1.0, v27
	v_dual_add_f32 v28, -1.0, v27 :: v_dual_add_f32 v29, -1.0, v30
	s_delay_alu instid0(VALU_DEP_1) | instskip(NEXT) | instid1(VALU_DEP_2)
	v_add_f32_e32 v31, 1.0, v28
	v_sub_f32_e32 v29, v27, v29
	s_delay_alu instid0(VALU_DEP_2) | instskip(NEXT) | instid1(VALU_DEP_2)
	v_sub_f32_e32 v27, v27, v31
	v_add_f32_e32 v29, v25, v29
	s_delay_alu instid0(VALU_DEP_2) | instskip(NEXT) | instid1(VALU_DEP_1)
	v_add_f32_e32 v25, v25, v27
	v_add_f32_e32 v32, v28, v25
	s_delay_alu instid0(VALU_DEP_1) | instskip(NEXT) | instid1(VALU_DEP_1)
	v_dual_add_f32 v31, v30, v29 :: v_dual_sub_f32 v28, v28, v32
	v_rcp_f32_e32 v27, v31
	v_sub_f32_e32 v30, v30, v31
	s_delay_alu instid0(VALU_DEP_1) | instskip(SKIP_2) | instid1(VALU_DEP_1)
	v_add_f32_e32 v29, v29, v30
	s_waitcnt_depctr 0xfff
	v_mul_f32_e32 v33, v32, v27
	v_mul_f32_e32 v34, v31, v33
	s_delay_alu instid0(VALU_DEP_1) | instskip(NEXT) | instid1(VALU_DEP_1)
	v_fma_f32 v30, v33, v31, -v34
	v_fmac_f32_e32 v30, v33, v29
	s_delay_alu instid0(VALU_DEP_1) | instskip(NEXT) | instid1(VALU_DEP_1)
	v_add_f32_e32 v35, v34, v30
	v_sub_f32_e32 v36, v32, v35
	s_delay_alu instid0(VALU_DEP_1) | instskip(SKIP_1) | instid1(VALU_DEP_2)
	v_sub_f32_e32 v32, v32, v36
	v_dual_add_f32 v25, v25, v28 :: v_dual_sub_f32 v28, v35, v34
	v_sub_f32_e32 v32, v32, v35
	s_delay_alu instid0(VALU_DEP_1) | instskip(NEXT) | instid1(VALU_DEP_1)
	v_dual_sub_f32 v28, v28, v30 :: v_dual_add_f32 v25, v25, v32
	v_add_f32_e32 v25, v28, v25
	s_delay_alu instid0(VALU_DEP_1) | instskip(NEXT) | instid1(VALU_DEP_1)
	v_add_f32_e32 v28, v36, v25
	v_mul_f32_e32 v30, v27, v28
	s_delay_alu instid0(VALU_DEP_1) | instskip(NEXT) | instid1(VALU_DEP_1)
	v_dual_sub_f32 v35, v36, v28 :: v_dual_mul_f32 v32, v31, v30
	v_add_f32_e32 v25, v25, v35
	s_delay_alu instid0(VALU_DEP_2) | instskip(NEXT) | instid1(VALU_DEP_1)
	v_fma_f32 v31, v30, v31, -v32
	v_fmac_f32_e32 v31, v30, v29
	s_delay_alu instid0(VALU_DEP_1) | instskip(NEXT) | instid1(VALU_DEP_1)
	v_add_f32_e32 v29, v32, v31
	v_sub_f32_e32 v34, v28, v29
	s_delay_alu instid0(VALU_DEP_1) | instskip(NEXT) | instid1(VALU_DEP_1)
	v_sub_f32_e32 v28, v28, v34
	v_sub_f32_e32 v28, v28, v29
	s_delay_alu instid0(VALU_DEP_1) | instskip(SKIP_2) | instid1(VALU_DEP_1)
	v_add_f32_e32 v25, v25, v28
	v_add_f32_e32 v28, v33, v30
	v_sub_f32_e32 v32, v29, v32
	v_sub_f32_e32 v29, v32, v31
	s_delay_alu instid0(VALU_DEP_1) | instskip(NEXT) | instid1(VALU_DEP_4)
	v_add_f32_e32 v25, v29, v25
	v_sub_f32_e32 v29, v28, v33
	s_delay_alu instid0(VALU_DEP_2) | instskip(NEXT) | instid1(VALU_DEP_2)
	v_add_f32_e32 v25, v34, v25
	v_sub_f32_e32 v29, v30, v29
	s_delay_alu instid0(VALU_DEP_2) | instskip(NEXT) | instid1(VALU_DEP_1)
	v_mul_f32_e32 v25, v27, v25
	v_add_f32_e32 v25, v29, v25
	s_delay_alu instid0(VALU_DEP_1) | instskip(NEXT) | instid1(VALU_DEP_1)
	v_add_f32_e32 v27, v28, v25
	v_mul_f32_e32 v29, v27, v27
	s_delay_alu instid0(VALU_DEP_1) | instskip(SKIP_1) | instid1(VALU_DEP_2)
	v_fmaak_f32 v30, s54, v29, 0x3ecc95a3
	v_mul_f32_e32 v31, v27, v29
	v_fmaak_f32 v29, v29, v30, 0x3f2aaada
	v_ldexp_f32 v30, v27, 1
	s_delay_alu instid0(VALU_DEP_2) | instskip(SKIP_1) | instid1(VALU_DEP_2)
	v_mul_f32_e32 v29, v31, v29
	v_sub_f32_e32 v27, v27, v28
	v_dual_mul_f32 v31, 0x3f317218, v24 :: v_dual_add_f32 v28, v30, v29
	s_delay_alu instid0(VALU_DEP_2) | instskip(NEXT) | instid1(VALU_DEP_2)
	v_sub_f32_e32 v25, v25, v27
	v_sub_f32_e32 v27, v28, v30
	s_delay_alu instid0(VALU_DEP_3) | instskip(NEXT) | instid1(VALU_DEP_3)
	v_fma_f32 v30, 0x3f317218, v24, -v31
	v_ldexp_f32 v25, v25, 1
	s_delay_alu instid0(VALU_DEP_2) | instskip(NEXT) | instid1(VALU_DEP_1)
	v_dual_sub_f32 v27, v29, v27 :: v_dual_fmac_f32 v30, 0xb102e308, v24
	v_dual_add_f32 v24, v25, v27 :: v_dual_add_f32 v25, v31, v30
	s_delay_alu instid0(VALU_DEP_1) | instskip(NEXT) | instid1(VALU_DEP_1)
	v_add_f32_e32 v27, v28, v24
	v_dual_add_f32 v29, v25, v27 :: v_dual_sub_f32 v28, v27, v28
	s_delay_alu instid0(VALU_DEP_1) | instskip(NEXT) | instid1(VALU_DEP_2)
	v_sub_f32_e32 v32, v29, v25
	v_dual_sub_f32 v31, v25, v31 :: v_dual_sub_f32 v24, v24, v28
	s_delay_alu instid0(VALU_DEP_1) | instskip(SKIP_1) | instid1(VALU_DEP_2)
	v_dual_sub_f32 v33, v29, v32 :: v_dual_sub_f32 v30, v30, v31
	v_sub_f32_e32 v27, v27, v32
	v_dual_sub_f32 v25, v25, v33 :: v_dual_add_f32 v28, v30, v24
	s_delay_alu instid0(VALU_DEP_1) | instskip(NEXT) | instid1(VALU_DEP_2)
	v_add_f32_e32 v25, v27, v25
	v_sub_f32_e32 v27, v28, v30
	s_delay_alu instid0(VALU_DEP_2) | instskip(NEXT) | instid1(VALU_DEP_2)
	v_add_f32_e32 v25, v28, v25
	v_sub_f32_e32 v28, v28, v27
	s_delay_alu instid0(VALU_DEP_2) | instskip(NEXT) | instid1(VALU_DEP_1)
	v_dual_sub_f32 v24, v24, v27 :: v_dual_add_f32 v31, v29, v25
	v_dual_sub_f32 v28, v30, v28 :: v_dual_sub_f32 v27, v31, v29
	s_delay_alu instid0(VALU_DEP_1) | instskip(NEXT) | instid1(VALU_DEP_1)
	v_dual_add_f32 v24, v24, v28 :: v_dual_sub_f32 v25, v25, v27
	v_add_f32_e32 v24, v24, v25
	s_delay_alu instid0(VALU_DEP_1) | instskip(NEXT) | instid1(VALU_DEP_1)
	v_add_f32_e32 v24, v31, v24
	v_cndmask_b32_e32 v102, v24, v26, vcc_lo
.LBB113_46:                             ;   in Loop: Header=BB113_12 Depth=1
	s_or_b32 exec_lo, exec_lo, s15
	v_lshrrev_b32_e32 v24, 16, v10
	s_delay_alu instid0(VALU_DEP_1) | instskip(NEXT) | instid1(VALU_DEP_1)
	v_cvt_f32_f16_e32 v24, v24
	v_add_f32_e32 v104, s56, v24
	s_delay_alu instid0(VALU_DEP_1) | instskip(SKIP_1) | instid1(SALU_CYCLE_1)
	v_cmp_ge_f32_e32 vcc_lo, 0x41a00000, v104
	s_and_b32 s14, s66, vcc_lo
	s_and_saveexec_b32 s15, s14
	s_cbranch_execz .LBB113_48
; %bb.47:                               ;   in Loop: Header=BB113_12 Depth=1
	v_mul_f32_e32 v24, 0x3fb8aa3b, v104
	v_cmp_ngt_f32_e32 vcc_lo, 0xc2ce8ed0, v104
	s_delay_alu instid0(VALU_DEP_2) | instskip(SKIP_1) | instid1(VALU_DEP_2)
	v_rndne_f32_e32 v25, v24
	v_fma_f32 v26, 0x3fb8aa3b, v104, -v24
	v_sub_f32_e32 v24, v24, v25
	s_delay_alu instid0(VALU_DEP_2) | instskip(SKIP_1) | instid1(VALU_DEP_2)
	v_fmac_f32_e32 v26, 0x32a5705f, v104
	v_cvt_i32_f32_e32 v25, v25
	v_add_f32_e32 v24, v24, v26
	s_delay_alu instid0(VALU_DEP_1) | instskip(SKIP_2) | instid1(VALU_DEP_1)
	v_exp_f32_e32 v24, v24
	s_waitcnt_depctr 0xfff
	v_ldexp_f32 v24, v24, v25
	v_cndmask_b32_e32 v24, 0, v24, vcc_lo
	v_cmp_nlt_f32_e32 vcc_lo, 0x42b17218, v104
	s_delay_alu instid0(VALU_DEP_2) | instskip(NEXT) | instid1(VALU_DEP_1)
	v_cndmask_b32_e32 v26, 0x7f800000, v24, vcc_lo
	v_add_f32_e32 v27, 1.0, v26
	s_delay_alu instid0(VALU_DEP_1) | instskip(NEXT) | instid1(VALU_DEP_1)
	v_cvt_f64_f32_e32 v[24:25], v27
	v_frexp_exp_i32_f64_e32 v24, v[24:25]
	v_frexp_mant_f32_e32 v25, v27
	s_delay_alu instid0(VALU_DEP_1) | instskip(SKIP_1) | instid1(VALU_DEP_1)
	v_cmp_gt_f32_e32 vcc_lo, 0x3f2aaaab, v25
	v_add_f32_e32 v25, -1.0, v27
	v_sub_f32_e32 v29, v25, v27
	v_sub_f32_e32 v25, v26, v25
	s_delay_alu instid0(VALU_DEP_2) | instskip(NEXT) | instid1(VALU_DEP_1)
	v_add_f32_e32 v29, 1.0, v29
	v_add_f32_e32 v25, v25, v29
	v_cmp_gt_f32_e64 s14, 0x33800000, v26
	v_subrev_co_ci_u32_e32 v24, vcc_lo, 0, v24, vcc_lo
	v_cmp_eq_f32_e32 vcc_lo, 0x7f800000, v26
	s_delay_alu instid0(VALU_DEP_2) | instskip(SKIP_2) | instid1(VALU_DEP_2)
	v_sub_nc_u32_e32 v28, 0, v24
	v_cvt_f32_i32_e32 v24, v24
	s_or_b32 vcc_lo, s14, vcc_lo
	v_ldexp_f32 v27, v27, v28
	v_ldexp_f32 v25, v25, v28
	s_delay_alu instid0(VALU_DEP_2) | instskip(NEXT) | instid1(VALU_DEP_1)
	v_add_f32_e32 v30, 1.0, v27
	v_dual_add_f32 v28, -1.0, v27 :: v_dual_add_f32 v29, -1.0, v30
	s_delay_alu instid0(VALU_DEP_1) | instskip(NEXT) | instid1(VALU_DEP_2)
	v_add_f32_e32 v31, 1.0, v28
	v_sub_f32_e32 v29, v27, v29
	s_delay_alu instid0(VALU_DEP_2) | instskip(NEXT) | instid1(VALU_DEP_2)
	v_sub_f32_e32 v27, v27, v31
	v_add_f32_e32 v29, v25, v29
	s_delay_alu instid0(VALU_DEP_2) | instskip(NEXT) | instid1(VALU_DEP_1)
	v_add_f32_e32 v25, v25, v27
	v_add_f32_e32 v32, v28, v25
	s_delay_alu instid0(VALU_DEP_1) | instskip(NEXT) | instid1(VALU_DEP_1)
	v_dual_add_f32 v31, v30, v29 :: v_dual_sub_f32 v28, v28, v32
	v_rcp_f32_e32 v27, v31
	v_sub_f32_e32 v30, v30, v31
	s_delay_alu instid0(VALU_DEP_1) | instskip(SKIP_2) | instid1(VALU_DEP_1)
	v_add_f32_e32 v29, v29, v30
	s_waitcnt_depctr 0xfff
	v_mul_f32_e32 v33, v32, v27
	v_mul_f32_e32 v34, v31, v33
	s_delay_alu instid0(VALU_DEP_1) | instskip(NEXT) | instid1(VALU_DEP_1)
	v_fma_f32 v30, v33, v31, -v34
	v_fmac_f32_e32 v30, v33, v29
	s_delay_alu instid0(VALU_DEP_1) | instskip(NEXT) | instid1(VALU_DEP_1)
	v_add_f32_e32 v35, v34, v30
	v_sub_f32_e32 v36, v32, v35
	s_delay_alu instid0(VALU_DEP_1) | instskip(SKIP_1) | instid1(VALU_DEP_2)
	v_sub_f32_e32 v32, v32, v36
	v_dual_add_f32 v25, v25, v28 :: v_dual_sub_f32 v28, v35, v34
	v_sub_f32_e32 v32, v32, v35
	s_delay_alu instid0(VALU_DEP_1) | instskip(NEXT) | instid1(VALU_DEP_1)
	v_dual_sub_f32 v28, v28, v30 :: v_dual_add_f32 v25, v25, v32
	v_add_f32_e32 v25, v28, v25
	s_delay_alu instid0(VALU_DEP_1) | instskip(NEXT) | instid1(VALU_DEP_1)
	v_add_f32_e32 v28, v36, v25
	v_mul_f32_e32 v30, v27, v28
	s_delay_alu instid0(VALU_DEP_1) | instskip(NEXT) | instid1(VALU_DEP_1)
	v_dual_sub_f32 v35, v36, v28 :: v_dual_mul_f32 v32, v31, v30
	v_add_f32_e32 v25, v25, v35
	s_delay_alu instid0(VALU_DEP_2) | instskip(NEXT) | instid1(VALU_DEP_1)
	v_fma_f32 v31, v30, v31, -v32
	v_fmac_f32_e32 v31, v30, v29
	s_delay_alu instid0(VALU_DEP_1) | instskip(NEXT) | instid1(VALU_DEP_1)
	v_add_f32_e32 v29, v32, v31
	v_sub_f32_e32 v34, v28, v29
	s_delay_alu instid0(VALU_DEP_1) | instskip(NEXT) | instid1(VALU_DEP_1)
	v_sub_f32_e32 v28, v28, v34
	v_sub_f32_e32 v28, v28, v29
	s_delay_alu instid0(VALU_DEP_1) | instskip(SKIP_2) | instid1(VALU_DEP_1)
	v_add_f32_e32 v25, v25, v28
	v_add_f32_e32 v28, v33, v30
	v_sub_f32_e32 v32, v29, v32
	v_sub_f32_e32 v29, v32, v31
	s_delay_alu instid0(VALU_DEP_1) | instskip(NEXT) | instid1(VALU_DEP_4)
	v_add_f32_e32 v25, v29, v25
	v_sub_f32_e32 v29, v28, v33
	s_delay_alu instid0(VALU_DEP_2) | instskip(NEXT) | instid1(VALU_DEP_2)
	v_add_f32_e32 v25, v34, v25
	v_sub_f32_e32 v29, v30, v29
	s_delay_alu instid0(VALU_DEP_2) | instskip(NEXT) | instid1(VALU_DEP_1)
	v_mul_f32_e32 v25, v27, v25
	v_add_f32_e32 v25, v29, v25
	s_delay_alu instid0(VALU_DEP_1) | instskip(NEXT) | instid1(VALU_DEP_1)
	v_add_f32_e32 v27, v28, v25
	v_mul_f32_e32 v29, v27, v27
	s_delay_alu instid0(VALU_DEP_1) | instskip(SKIP_1) | instid1(VALU_DEP_2)
	v_fmaak_f32 v30, s54, v29, 0x3ecc95a3
	v_mul_f32_e32 v31, v27, v29
	v_fmaak_f32 v29, v29, v30, 0x3f2aaada
	v_ldexp_f32 v30, v27, 1
	s_delay_alu instid0(VALU_DEP_2) | instskip(SKIP_1) | instid1(VALU_DEP_2)
	v_mul_f32_e32 v29, v31, v29
	v_sub_f32_e32 v27, v27, v28
	v_dual_mul_f32 v31, 0x3f317218, v24 :: v_dual_add_f32 v28, v30, v29
	s_delay_alu instid0(VALU_DEP_2) | instskip(NEXT) | instid1(VALU_DEP_2)
	v_sub_f32_e32 v25, v25, v27
	v_sub_f32_e32 v27, v28, v30
	s_delay_alu instid0(VALU_DEP_3) | instskip(NEXT) | instid1(VALU_DEP_3)
	v_fma_f32 v30, 0x3f317218, v24, -v31
	v_ldexp_f32 v25, v25, 1
	s_delay_alu instid0(VALU_DEP_2) | instskip(NEXT) | instid1(VALU_DEP_1)
	v_dual_sub_f32 v27, v29, v27 :: v_dual_fmac_f32 v30, 0xb102e308, v24
	v_dual_add_f32 v24, v25, v27 :: v_dual_add_f32 v25, v31, v30
	s_delay_alu instid0(VALU_DEP_1) | instskip(NEXT) | instid1(VALU_DEP_1)
	v_add_f32_e32 v27, v28, v24
	v_dual_add_f32 v29, v25, v27 :: v_dual_sub_f32 v28, v27, v28
	s_delay_alu instid0(VALU_DEP_1) | instskip(NEXT) | instid1(VALU_DEP_2)
	v_sub_f32_e32 v32, v29, v25
	v_dual_sub_f32 v31, v25, v31 :: v_dual_sub_f32 v24, v24, v28
	s_delay_alu instid0(VALU_DEP_1) | instskip(SKIP_1) | instid1(VALU_DEP_2)
	v_dual_sub_f32 v33, v29, v32 :: v_dual_sub_f32 v30, v30, v31
	v_sub_f32_e32 v27, v27, v32
	v_dual_sub_f32 v25, v25, v33 :: v_dual_add_f32 v28, v30, v24
	s_delay_alu instid0(VALU_DEP_1) | instskip(NEXT) | instid1(VALU_DEP_2)
	v_add_f32_e32 v25, v27, v25
	v_sub_f32_e32 v27, v28, v30
	s_delay_alu instid0(VALU_DEP_2) | instskip(NEXT) | instid1(VALU_DEP_2)
	v_add_f32_e32 v25, v28, v25
	v_sub_f32_e32 v28, v28, v27
	s_delay_alu instid0(VALU_DEP_2) | instskip(NEXT) | instid1(VALU_DEP_1)
	v_dual_sub_f32 v24, v24, v27 :: v_dual_add_f32 v31, v29, v25
	v_dual_sub_f32 v28, v30, v28 :: v_dual_sub_f32 v27, v31, v29
	s_delay_alu instid0(VALU_DEP_1) | instskip(NEXT) | instid1(VALU_DEP_1)
	v_dual_add_f32 v24, v24, v28 :: v_dual_sub_f32 v25, v25, v27
	v_add_f32_e32 v24, v24, v25
	s_delay_alu instid0(VALU_DEP_1) | instskip(NEXT) | instid1(VALU_DEP_1)
	v_add_f32_e32 v24, v31, v24
	v_cndmask_b32_e32 v104, v24, v26, vcc_lo
.LBB113_48:                             ;   in Loop: Header=BB113_12 Depth=1
	s_or_b32 exec_lo, exec_lo, s15
	v_cvt_f32_f16_e32 v24, v11
	s_delay_alu instid0(VALU_DEP_1) | instskip(NEXT) | instid1(VALU_DEP_1)
	v_add_f32_e32 v105, s56, v24
	v_cmp_ge_f32_e32 vcc_lo, 0x41a00000, v105
	s_and_b32 s14, s66, vcc_lo
	s_delay_alu instid0(SALU_CYCLE_1)
	s_and_saveexec_b32 s15, s14
	s_cbranch_execz .LBB113_50
; %bb.49:                               ;   in Loop: Header=BB113_12 Depth=1
	v_mul_f32_e32 v24, 0x3fb8aa3b, v105
	v_cmp_ngt_f32_e32 vcc_lo, 0xc2ce8ed0, v105
	s_delay_alu instid0(VALU_DEP_2) | instskip(SKIP_1) | instid1(VALU_DEP_2)
	v_rndne_f32_e32 v25, v24
	v_fma_f32 v26, 0x3fb8aa3b, v105, -v24
	v_sub_f32_e32 v24, v24, v25
	s_delay_alu instid0(VALU_DEP_2) | instskip(SKIP_1) | instid1(VALU_DEP_2)
	v_fmac_f32_e32 v26, 0x32a5705f, v105
	v_cvt_i32_f32_e32 v25, v25
	v_add_f32_e32 v24, v24, v26
	s_delay_alu instid0(VALU_DEP_1) | instskip(SKIP_2) | instid1(VALU_DEP_1)
	v_exp_f32_e32 v24, v24
	s_waitcnt_depctr 0xfff
	v_ldexp_f32 v24, v24, v25
	v_cndmask_b32_e32 v24, 0, v24, vcc_lo
	v_cmp_nlt_f32_e32 vcc_lo, 0x42b17218, v105
	s_delay_alu instid0(VALU_DEP_2) | instskip(NEXT) | instid1(VALU_DEP_1)
	v_cndmask_b32_e32 v26, 0x7f800000, v24, vcc_lo
	v_add_f32_e32 v27, 1.0, v26
	s_delay_alu instid0(VALU_DEP_1) | instskip(NEXT) | instid1(VALU_DEP_1)
	v_cvt_f64_f32_e32 v[24:25], v27
	v_frexp_exp_i32_f64_e32 v24, v[24:25]
	v_frexp_mant_f32_e32 v25, v27
	s_delay_alu instid0(VALU_DEP_1) | instskip(SKIP_1) | instid1(VALU_DEP_1)
	v_cmp_gt_f32_e32 vcc_lo, 0x3f2aaaab, v25
	v_add_f32_e32 v25, -1.0, v27
	v_sub_f32_e32 v29, v25, v27
	v_sub_f32_e32 v25, v26, v25
	s_delay_alu instid0(VALU_DEP_2) | instskip(NEXT) | instid1(VALU_DEP_1)
	v_add_f32_e32 v29, 1.0, v29
	v_add_f32_e32 v25, v25, v29
	v_cmp_gt_f32_e64 s14, 0x33800000, v26
	v_subrev_co_ci_u32_e32 v24, vcc_lo, 0, v24, vcc_lo
	v_cmp_eq_f32_e32 vcc_lo, 0x7f800000, v26
	s_delay_alu instid0(VALU_DEP_2) | instskip(SKIP_2) | instid1(VALU_DEP_2)
	v_sub_nc_u32_e32 v28, 0, v24
	v_cvt_f32_i32_e32 v24, v24
	s_or_b32 vcc_lo, s14, vcc_lo
	v_ldexp_f32 v27, v27, v28
	v_ldexp_f32 v25, v25, v28
	s_delay_alu instid0(VALU_DEP_2) | instskip(NEXT) | instid1(VALU_DEP_1)
	v_add_f32_e32 v30, 1.0, v27
	v_dual_add_f32 v28, -1.0, v27 :: v_dual_add_f32 v29, -1.0, v30
	s_delay_alu instid0(VALU_DEP_1) | instskip(NEXT) | instid1(VALU_DEP_2)
	v_add_f32_e32 v31, 1.0, v28
	v_sub_f32_e32 v29, v27, v29
	s_delay_alu instid0(VALU_DEP_2) | instskip(NEXT) | instid1(VALU_DEP_2)
	v_sub_f32_e32 v27, v27, v31
	v_add_f32_e32 v29, v25, v29
	s_delay_alu instid0(VALU_DEP_2) | instskip(NEXT) | instid1(VALU_DEP_1)
	v_add_f32_e32 v25, v25, v27
	v_add_f32_e32 v32, v28, v25
	s_delay_alu instid0(VALU_DEP_1) | instskip(NEXT) | instid1(VALU_DEP_1)
	v_dual_add_f32 v31, v30, v29 :: v_dual_sub_f32 v28, v28, v32
	v_rcp_f32_e32 v27, v31
	v_sub_f32_e32 v30, v30, v31
	s_delay_alu instid0(VALU_DEP_1) | instskip(SKIP_2) | instid1(VALU_DEP_1)
	v_add_f32_e32 v29, v29, v30
	s_waitcnt_depctr 0xfff
	v_mul_f32_e32 v33, v32, v27
	v_mul_f32_e32 v34, v31, v33
	s_delay_alu instid0(VALU_DEP_1) | instskip(NEXT) | instid1(VALU_DEP_1)
	v_fma_f32 v30, v33, v31, -v34
	v_fmac_f32_e32 v30, v33, v29
	s_delay_alu instid0(VALU_DEP_1) | instskip(NEXT) | instid1(VALU_DEP_1)
	v_add_f32_e32 v35, v34, v30
	v_sub_f32_e32 v36, v32, v35
	s_delay_alu instid0(VALU_DEP_1) | instskip(SKIP_1) | instid1(VALU_DEP_2)
	v_sub_f32_e32 v32, v32, v36
	v_dual_add_f32 v25, v25, v28 :: v_dual_sub_f32 v28, v35, v34
	v_sub_f32_e32 v32, v32, v35
	s_delay_alu instid0(VALU_DEP_1) | instskip(NEXT) | instid1(VALU_DEP_1)
	v_dual_sub_f32 v28, v28, v30 :: v_dual_add_f32 v25, v25, v32
	v_add_f32_e32 v25, v28, v25
	s_delay_alu instid0(VALU_DEP_1) | instskip(NEXT) | instid1(VALU_DEP_1)
	v_add_f32_e32 v28, v36, v25
	v_mul_f32_e32 v30, v27, v28
	s_delay_alu instid0(VALU_DEP_1) | instskip(NEXT) | instid1(VALU_DEP_1)
	v_dual_sub_f32 v35, v36, v28 :: v_dual_mul_f32 v32, v31, v30
	v_add_f32_e32 v25, v25, v35
	s_delay_alu instid0(VALU_DEP_2) | instskip(NEXT) | instid1(VALU_DEP_1)
	v_fma_f32 v31, v30, v31, -v32
	v_fmac_f32_e32 v31, v30, v29
	s_delay_alu instid0(VALU_DEP_1) | instskip(NEXT) | instid1(VALU_DEP_1)
	v_add_f32_e32 v29, v32, v31
	v_sub_f32_e32 v34, v28, v29
	s_delay_alu instid0(VALU_DEP_1) | instskip(NEXT) | instid1(VALU_DEP_1)
	v_sub_f32_e32 v28, v28, v34
	v_sub_f32_e32 v28, v28, v29
	s_delay_alu instid0(VALU_DEP_1) | instskip(SKIP_2) | instid1(VALU_DEP_1)
	v_add_f32_e32 v25, v25, v28
	v_add_f32_e32 v28, v33, v30
	v_sub_f32_e32 v32, v29, v32
	v_sub_f32_e32 v29, v32, v31
	s_delay_alu instid0(VALU_DEP_1) | instskip(NEXT) | instid1(VALU_DEP_4)
	v_add_f32_e32 v25, v29, v25
	v_sub_f32_e32 v29, v28, v33
	s_delay_alu instid0(VALU_DEP_2) | instskip(NEXT) | instid1(VALU_DEP_2)
	v_add_f32_e32 v25, v34, v25
	v_sub_f32_e32 v29, v30, v29
	s_delay_alu instid0(VALU_DEP_2) | instskip(NEXT) | instid1(VALU_DEP_1)
	v_mul_f32_e32 v25, v27, v25
	v_add_f32_e32 v25, v29, v25
	s_delay_alu instid0(VALU_DEP_1) | instskip(NEXT) | instid1(VALU_DEP_1)
	v_add_f32_e32 v27, v28, v25
	v_mul_f32_e32 v29, v27, v27
	s_delay_alu instid0(VALU_DEP_1) | instskip(SKIP_1) | instid1(VALU_DEP_2)
	v_fmaak_f32 v30, s54, v29, 0x3ecc95a3
	v_mul_f32_e32 v31, v27, v29
	v_fmaak_f32 v29, v29, v30, 0x3f2aaada
	v_ldexp_f32 v30, v27, 1
	s_delay_alu instid0(VALU_DEP_2) | instskip(SKIP_1) | instid1(VALU_DEP_2)
	v_mul_f32_e32 v29, v31, v29
	v_sub_f32_e32 v27, v27, v28
	v_dual_mul_f32 v31, 0x3f317218, v24 :: v_dual_add_f32 v28, v30, v29
	s_delay_alu instid0(VALU_DEP_2) | instskip(NEXT) | instid1(VALU_DEP_2)
	v_sub_f32_e32 v25, v25, v27
	v_sub_f32_e32 v27, v28, v30
	s_delay_alu instid0(VALU_DEP_3) | instskip(NEXT) | instid1(VALU_DEP_3)
	v_fma_f32 v30, 0x3f317218, v24, -v31
	v_ldexp_f32 v25, v25, 1
	s_delay_alu instid0(VALU_DEP_2) | instskip(NEXT) | instid1(VALU_DEP_1)
	v_dual_sub_f32 v27, v29, v27 :: v_dual_fmac_f32 v30, 0xb102e308, v24
	v_dual_add_f32 v24, v25, v27 :: v_dual_add_f32 v25, v31, v30
	s_delay_alu instid0(VALU_DEP_1) | instskip(NEXT) | instid1(VALU_DEP_1)
	v_add_f32_e32 v27, v28, v24
	v_dual_add_f32 v29, v25, v27 :: v_dual_sub_f32 v28, v27, v28
	s_delay_alu instid0(VALU_DEP_1) | instskip(NEXT) | instid1(VALU_DEP_2)
	v_sub_f32_e32 v32, v29, v25
	v_dual_sub_f32 v31, v25, v31 :: v_dual_sub_f32 v24, v24, v28
	s_delay_alu instid0(VALU_DEP_1) | instskip(SKIP_1) | instid1(VALU_DEP_2)
	v_dual_sub_f32 v33, v29, v32 :: v_dual_sub_f32 v30, v30, v31
	v_sub_f32_e32 v27, v27, v32
	v_dual_sub_f32 v25, v25, v33 :: v_dual_add_f32 v28, v30, v24
	s_delay_alu instid0(VALU_DEP_1) | instskip(NEXT) | instid1(VALU_DEP_2)
	v_add_f32_e32 v25, v27, v25
	v_sub_f32_e32 v27, v28, v30
	s_delay_alu instid0(VALU_DEP_2) | instskip(NEXT) | instid1(VALU_DEP_2)
	v_add_f32_e32 v25, v28, v25
	v_sub_f32_e32 v28, v28, v27
	s_delay_alu instid0(VALU_DEP_2) | instskip(NEXT) | instid1(VALU_DEP_1)
	v_dual_sub_f32 v24, v24, v27 :: v_dual_add_f32 v31, v29, v25
	v_dual_sub_f32 v28, v30, v28 :: v_dual_sub_f32 v27, v31, v29
	s_delay_alu instid0(VALU_DEP_1) | instskip(NEXT) | instid1(VALU_DEP_1)
	v_dual_add_f32 v24, v24, v28 :: v_dual_sub_f32 v25, v25, v27
	v_add_f32_e32 v24, v24, v25
	s_delay_alu instid0(VALU_DEP_1) | instskip(NEXT) | instid1(VALU_DEP_1)
	v_add_f32_e32 v24, v31, v24
	v_cndmask_b32_e32 v105, v24, v26, vcc_lo
.LBB113_50:                             ;   in Loop: Header=BB113_12 Depth=1
	s_or_b32 exec_lo, exec_lo, s15
	v_lshrrev_b32_e32 v24, 16, v11
	s_delay_alu instid0(VALU_DEP_1) | instskip(NEXT) | instid1(VALU_DEP_1)
	v_cvt_f32_f16_e32 v24, v24
	v_add_f32_e32 v106, s56, v24
	s_delay_alu instid0(VALU_DEP_1) | instskip(SKIP_1) | instid1(SALU_CYCLE_1)
	v_cmp_ge_f32_e32 vcc_lo, 0x41a00000, v106
	s_and_b32 s14, s66, vcc_lo
	s_and_saveexec_b32 s15, s14
	s_cbranch_execz .LBB113_52
; %bb.51:                               ;   in Loop: Header=BB113_12 Depth=1
	v_mul_f32_e32 v24, 0x3fb8aa3b, v106
	v_cmp_ngt_f32_e32 vcc_lo, 0xc2ce8ed0, v106
	s_delay_alu instid0(VALU_DEP_2) | instskip(SKIP_1) | instid1(VALU_DEP_2)
	v_rndne_f32_e32 v25, v24
	v_fma_f32 v26, 0x3fb8aa3b, v106, -v24
	v_sub_f32_e32 v24, v24, v25
	s_delay_alu instid0(VALU_DEP_2) | instskip(SKIP_1) | instid1(VALU_DEP_2)
	v_fmac_f32_e32 v26, 0x32a5705f, v106
	v_cvt_i32_f32_e32 v25, v25
	v_add_f32_e32 v24, v24, v26
	s_delay_alu instid0(VALU_DEP_1) | instskip(SKIP_2) | instid1(VALU_DEP_1)
	v_exp_f32_e32 v24, v24
	s_waitcnt_depctr 0xfff
	v_ldexp_f32 v24, v24, v25
	v_cndmask_b32_e32 v24, 0, v24, vcc_lo
	v_cmp_nlt_f32_e32 vcc_lo, 0x42b17218, v106
	s_delay_alu instid0(VALU_DEP_2) | instskip(NEXT) | instid1(VALU_DEP_1)
	v_cndmask_b32_e32 v26, 0x7f800000, v24, vcc_lo
	v_add_f32_e32 v27, 1.0, v26
	s_delay_alu instid0(VALU_DEP_1) | instskip(NEXT) | instid1(VALU_DEP_1)
	v_cvt_f64_f32_e32 v[24:25], v27
	v_frexp_exp_i32_f64_e32 v24, v[24:25]
	v_frexp_mant_f32_e32 v25, v27
	s_delay_alu instid0(VALU_DEP_1) | instskip(SKIP_1) | instid1(VALU_DEP_1)
	v_cmp_gt_f32_e32 vcc_lo, 0x3f2aaaab, v25
	v_add_f32_e32 v25, -1.0, v27
	v_sub_f32_e32 v29, v25, v27
	v_sub_f32_e32 v25, v26, v25
	s_delay_alu instid0(VALU_DEP_2) | instskip(NEXT) | instid1(VALU_DEP_1)
	v_add_f32_e32 v29, 1.0, v29
	v_add_f32_e32 v25, v25, v29
	v_cmp_gt_f32_e64 s14, 0x33800000, v26
	v_subrev_co_ci_u32_e32 v24, vcc_lo, 0, v24, vcc_lo
	v_cmp_eq_f32_e32 vcc_lo, 0x7f800000, v26
	s_delay_alu instid0(VALU_DEP_2) | instskip(SKIP_2) | instid1(VALU_DEP_2)
	v_sub_nc_u32_e32 v28, 0, v24
	v_cvt_f32_i32_e32 v24, v24
	s_or_b32 vcc_lo, s14, vcc_lo
	v_ldexp_f32 v27, v27, v28
	v_ldexp_f32 v25, v25, v28
	s_delay_alu instid0(VALU_DEP_2) | instskip(NEXT) | instid1(VALU_DEP_1)
	v_add_f32_e32 v30, 1.0, v27
	v_dual_add_f32 v28, -1.0, v27 :: v_dual_add_f32 v29, -1.0, v30
	s_delay_alu instid0(VALU_DEP_1) | instskip(NEXT) | instid1(VALU_DEP_2)
	v_add_f32_e32 v31, 1.0, v28
	v_sub_f32_e32 v29, v27, v29
	s_delay_alu instid0(VALU_DEP_2) | instskip(NEXT) | instid1(VALU_DEP_2)
	v_sub_f32_e32 v27, v27, v31
	v_add_f32_e32 v29, v25, v29
	s_delay_alu instid0(VALU_DEP_2) | instskip(NEXT) | instid1(VALU_DEP_1)
	v_add_f32_e32 v25, v25, v27
	v_add_f32_e32 v32, v28, v25
	s_delay_alu instid0(VALU_DEP_1) | instskip(NEXT) | instid1(VALU_DEP_1)
	v_dual_add_f32 v31, v30, v29 :: v_dual_sub_f32 v28, v28, v32
	v_rcp_f32_e32 v27, v31
	v_sub_f32_e32 v30, v30, v31
	s_delay_alu instid0(VALU_DEP_1) | instskip(SKIP_2) | instid1(VALU_DEP_1)
	v_add_f32_e32 v29, v29, v30
	s_waitcnt_depctr 0xfff
	v_mul_f32_e32 v33, v32, v27
	v_mul_f32_e32 v34, v31, v33
	s_delay_alu instid0(VALU_DEP_1) | instskip(NEXT) | instid1(VALU_DEP_1)
	v_fma_f32 v30, v33, v31, -v34
	v_fmac_f32_e32 v30, v33, v29
	s_delay_alu instid0(VALU_DEP_1) | instskip(NEXT) | instid1(VALU_DEP_1)
	v_add_f32_e32 v35, v34, v30
	v_sub_f32_e32 v36, v32, v35
	s_delay_alu instid0(VALU_DEP_1) | instskip(SKIP_1) | instid1(VALU_DEP_2)
	v_sub_f32_e32 v32, v32, v36
	v_dual_add_f32 v25, v25, v28 :: v_dual_sub_f32 v28, v35, v34
	v_sub_f32_e32 v32, v32, v35
	s_delay_alu instid0(VALU_DEP_1) | instskip(NEXT) | instid1(VALU_DEP_1)
	v_dual_sub_f32 v28, v28, v30 :: v_dual_add_f32 v25, v25, v32
	v_add_f32_e32 v25, v28, v25
	s_delay_alu instid0(VALU_DEP_1) | instskip(NEXT) | instid1(VALU_DEP_1)
	v_add_f32_e32 v28, v36, v25
	v_mul_f32_e32 v30, v27, v28
	s_delay_alu instid0(VALU_DEP_1) | instskip(NEXT) | instid1(VALU_DEP_1)
	v_dual_sub_f32 v35, v36, v28 :: v_dual_mul_f32 v32, v31, v30
	v_add_f32_e32 v25, v25, v35
	s_delay_alu instid0(VALU_DEP_2) | instskip(NEXT) | instid1(VALU_DEP_1)
	v_fma_f32 v31, v30, v31, -v32
	v_fmac_f32_e32 v31, v30, v29
	s_delay_alu instid0(VALU_DEP_1) | instskip(NEXT) | instid1(VALU_DEP_1)
	v_add_f32_e32 v29, v32, v31
	v_sub_f32_e32 v34, v28, v29
	s_delay_alu instid0(VALU_DEP_1) | instskip(NEXT) | instid1(VALU_DEP_1)
	v_sub_f32_e32 v28, v28, v34
	v_sub_f32_e32 v28, v28, v29
	s_delay_alu instid0(VALU_DEP_1) | instskip(SKIP_2) | instid1(VALU_DEP_1)
	v_add_f32_e32 v25, v25, v28
	v_add_f32_e32 v28, v33, v30
	v_sub_f32_e32 v32, v29, v32
	v_sub_f32_e32 v29, v32, v31
	s_delay_alu instid0(VALU_DEP_1) | instskip(NEXT) | instid1(VALU_DEP_4)
	v_add_f32_e32 v25, v29, v25
	v_sub_f32_e32 v29, v28, v33
	s_delay_alu instid0(VALU_DEP_2) | instskip(NEXT) | instid1(VALU_DEP_2)
	v_add_f32_e32 v25, v34, v25
	v_sub_f32_e32 v29, v30, v29
	s_delay_alu instid0(VALU_DEP_2) | instskip(NEXT) | instid1(VALU_DEP_1)
	v_mul_f32_e32 v25, v27, v25
	v_add_f32_e32 v25, v29, v25
	s_delay_alu instid0(VALU_DEP_1) | instskip(NEXT) | instid1(VALU_DEP_1)
	v_add_f32_e32 v27, v28, v25
	v_mul_f32_e32 v29, v27, v27
	s_delay_alu instid0(VALU_DEP_1) | instskip(SKIP_1) | instid1(VALU_DEP_2)
	v_fmaak_f32 v30, s54, v29, 0x3ecc95a3
	v_mul_f32_e32 v31, v27, v29
	v_fmaak_f32 v29, v29, v30, 0x3f2aaada
	v_ldexp_f32 v30, v27, 1
	s_delay_alu instid0(VALU_DEP_2) | instskip(SKIP_1) | instid1(VALU_DEP_2)
	v_mul_f32_e32 v29, v31, v29
	v_sub_f32_e32 v27, v27, v28
	v_dual_mul_f32 v31, 0x3f317218, v24 :: v_dual_add_f32 v28, v30, v29
	s_delay_alu instid0(VALU_DEP_2) | instskip(NEXT) | instid1(VALU_DEP_2)
	v_sub_f32_e32 v25, v25, v27
	v_sub_f32_e32 v27, v28, v30
	s_delay_alu instid0(VALU_DEP_3) | instskip(NEXT) | instid1(VALU_DEP_3)
	v_fma_f32 v30, 0x3f317218, v24, -v31
	v_ldexp_f32 v25, v25, 1
	s_delay_alu instid0(VALU_DEP_2) | instskip(NEXT) | instid1(VALU_DEP_1)
	v_dual_sub_f32 v27, v29, v27 :: v_dual_fmac_f32 v30, 0xb102e308, v24
	v_dual_add_f32 v24, v25, v27 :: v_dual_add_f32 v25, v31, v30
	s_delay_alu instid0(VALU_DEP_1) | instskip(NEXT) | instid1(VALU_DEP_1)
	v_add_f32_e32 v27, v28, v24
	v_dual_add_f32 v29, v25, v27 :: v_dual_sub_f32 v28, v27, v28
	s_delay_alu instid0(VALU_DEP_1) | instskip(NEXT) | instid1(VALU_DEP_2)
	v_sub_f32_e32 v32, v29, v25
	v_dual_sub_f32 v31, v25, v31 :: v_dual_sub_f32 v24, v24, v28
	s_delay_alu instid0(VALU_DEP_1) | instskip(SKIP_1) | instid1(VALU_DEP_2)
	v_dual_sub_f32 v33, v29, v32 :: v_dual_sub_f32 v30, v30, v31
	v_sub_f32_e32 v27, v27, v32
	v_dual_sub_f32 v25, v25, v33 :: v_dual_add_f32 v28, v30, v24
	s_delay_alu instid0(VALU_DEP_1) | instskip(NEXT) | instid1(VALU_DEP_2)
	v_add_f32_e32 v25, v27, v25
	v_sub_f32_e32 v27, v28, v30
	s_delay_alu instid0(VALU_DEP_2) | instskip(NEXT) | instid1(VALU_DEP_2)
	v_add_f32_e32 v25, v28, v25
	v_sub_f32_e32 v28, v28, v27
	s_delay_alu instid0(VALU_DEP_2) | instskip(NEXT) | instid1(VALU_DEP_1)
	v_dual_sub_f32 v24, v24, v27 :: v_dual_add_f32 v31, v29, v25
	v_dual_sub_f32 v28, v30, v28 :: v_dual_sub_f32 v27, v31, v29
	s_delay_alu instid0(VALU_DEP_1) | instskip(NEXT) | instid1(VALU_DEP_1)
	v_dual_add_f32 v24, v24, v28 :: v_dual_sub_f32 v25, v25, v27
	v_add_f32_e32 v24, v24, v25
	s_delay_alu instid0(VALU_DEP_1) | instskip(NEXT) | instid1(VALU_DEP_1)
	v_add_f32_e32 v24, v31, v24
	v_cndmask_b32_e32 v106, v24, v26, vcc_lo
.LBB113_52:                             ;   in Loop: Header=BB113_12 Depth=1
	s_or_b32 exec_lo, exec_lo, s15
	v_lshrrev_b32_e32 v26, 16, v18
	v_lshrrev_b32_e32 v28, 16, v19
	;; [unrolled: 1-line block ×8, first 2 shown]
	v_cvt_f32_f16_e32 v24, v19
	v_cvt_f32_f16_e32 v25, v18
	;; [unrolled: 1-line block ×16, first 2 shown]
	v_dual_mul_f32 v87, s57, v24 :: v_dual_mul_f32 v86, s57, v27
	v_dual_mul_f32 v85, s57, v26 :: v_dual_mul_f32 v90, s57, v28
	;; [unrolled: 1-line block ×7, first 2 shown]
	v_mul_f32_e32 v103, s57, v39
	v_mul_f32_e32 v94, s57, v31
	s_lshl_b32 s38, s73, 10
	s_and_b32 vcc_lo, exec_lo, s67
	s_barrier
	buffer_gl0_inv
	s_cbranch_vccz .LBB113_84
; %bb.53:                               ;   in Loop: Header=BB113_12 Depth=1
	v_dual_mul_f32 v107, v106, v31 :: v_dual_mul_f32 v112, v105, v24
	v_add_co_u32 v31, s14, s49, v73
	s_delay_alu instid0(VALU_DEP_1) | instskip(SKIP_1) | instid1(VALU_DEP_1)
	v_add_co_ci_u32_e64 v40, null, s50, 0, s14
	v_add_co_u32 v41, s14, s37, v73
	v_add_co_ci_u32_e64 v111, null, s61, 0, s14
	s_delay_alu instid0(VALU_DEP_4) | instskip(NEXT) | instid1(VALU_DEP_4)
	v_add_co_u32 v108, vcc_lo, v31, v74
	v_add_co_ci_u32_e32 v109, vcc_lo, 0, v40, vcc_lo
	s_delay_alu instid0(VALU_DEP_4)
	v_add_co_u32 v110, vcc_lo, v41, v74
	s_sub_i32 s25, s34, s38
	v_add_co_ci_u32_e32 v111, vcc_lo, 0, v111, vcc_lo
	v_cmp_gt_u32_e32 vcc_lo, s25, v48
	s_cmp_lg_u32 s73, 0
	v_cmp_gt_u32_e64 s16, s25, v59
	s_cselect_b32 s39, -1, 0
	s_cmp_eq_u32 s73, s69
	v_cmp_gt_u32_e64 s17, s25, v60
	s_cselect_b32 s74, -1, 0
	s_or_b32 s14, s68, vcc_lo
	v_cmp_gt_u32_e32 vcc_lo, s25, v58
	v_cmp_gt_u32_e64 s18, s25, v61
	v_cmp_gt_u32_e64 s19, s25, v62
	;; [unrolled: 1-line block ×4, first 2 shown]
	s_or_b32 s15, s68, vcc_lo
	v_cmp_gt_u32_e32 vcc_lo, s25, v63
	v_cmp_gt_u32_e64 s23, s25, v66
	v_cmp_gt_u32_e64 s24, s25, v67
	;; [unrolled: 1-line block ×4, first 2 shown]
	s_or_b32 s20, s68, vcc_lo
	v_cmp_gt_u32_e32 vcc_lo, s25, v68
	v_cmp_gt_u32_e64 s28, s25, v71
	v_cmp_gt_u32_e64 s29, s25, v72
	v_dual_mul_f32 v113, v104, v26 :: v_dual_mul_f32 v114, v102, v25
	v_dual_mul_f32 v115, v99, v27 :: v_dual_mul_f32 v116, v97, v28
	;; [unrolled: 1-line block ×7, first 2 shown]
	s_mov_b32 s52, 0
	s_or_b32 s16, s68, s16
	s_or_b32 s17, s68, s17
	;; [unrolled: 1-line block ×8, first 2 shown]
	s_or_b32 s25, s68, vcc_lo
	s_or_b32 s26, s68, s26
	s_or_b32 s27, s68, s27
	;; [unrolled: 1-line block ×4, first 2 shown]
	s_mov_b32 s40, s52
	s_mov_b32 s42, s52
	;; [unrolled: 1-line block ×5, first 2 shown]
	s_branch .LBB113_55
.LBB113_54:                             ;   in Loop: Header=BB113_55 Depth=2
	s_or_b32 exec_lo, exec_lo, s30
	v_cndmask_b32_e64 v33, v156, v35, s13
	v_cndmask_b32_e64 v34, v155, v34, s13
	s_add_i32 s75, s75, -1
	s_add_i32 s76, s76, 8
	s_add_i32 s46, s46, s62
	v_fma_f32 v33, v33, v127, v39
	v_mul_f32_e32 v34, v34, v127
	s_add_i32 s42, s42, s36
	s_add_i32 s40, s40, s48
	;; [unrolled: 1-line block ×3, first 2 shown]
	v_cndmask_b32_e64 v33, v33, v39, s12
	v_cndmask_b32_e64 v34, v34, v127, s12
	s_cmp_eq_u32 s75, 0
	s_waitcnt lgkmcnt(0)
	s_delay_alu instid0(VALU_DEP_1) | instskip(NEXT) | instid1(VALU_DEP_1)
	v_fmac_f32_e32 v33, v32, v34
	v_fmac_f32_e32 v36, v33, v129
	s_delay_alu instid0(VALU_DEP_1) | instskip(NEXT) | instid1(VALU_DEP_1)
	v_fmac_f32_e32 v37, v36, v131
	v_fmac_f32_e32 v38, v37, v133
	v_fma_mix_f32 v103, v33, v28, v103 op_sel_hi:[0,1,0]
	s_delay_alu instid0(VALU_DEP_2) | instskip(SKIP_1) | instid1(VALU_DEP_2)
	v_fmac_f32_e32 v128, v38, v135
	v_fma_mix_f32 v96, v38, v29, v96 op_sel:[0,1,0] op_sel_hi:[0,1,0]
	v_fmac_f32_e32 v130, v128, v136
	v_fma_mix_f32 v100, v128, v30, v100 op_sel_hi:[0,1,0]
	s_delay_alu instid0(VALU_DEP_2) | instskip(SKIP_1) | instid1(VALU_DEP_2)
	v_fmac_f32_e32 v132, v130, v138
	v_fma_mix_f32 v101, v37, v29, v101 op_sel_hi:[0,1,0]
	v_fmac_f32_e32 v134, v132, v141
	v_fma_mix_f32 v98, v132, v31, v98 op_sel_hi:[0,1,0]
	s_delay_alu instid0(VALU_DEP_2) | instskip(SKIP_1) | instid1(VALU_DEP_2)
	v_fmac_f32_e32 v137, v134, v142
	v_fma_mix_f32 v95, v36, v28, v95 op_sel:[0,1,0] op_sel_hi:[0,1,0]
	v_fmac_f32_e32 v139, v137, v143
	v_fma_mix_f32 v92, v130, v30, v92 op_sel:[0,1,0] op_sel_hi:[0,1,0]
	v_fma_mix_f32 v93, v137, v24, v93 op_sel_hi:[0,1,0]
	s_delay_alu instid0(VALU_DEP_3) | instskip(SKIP_1) | instid1(VALU_DEP_2)
	v_fmac_f32_e32 v140, v139, v144
	v_fma_mix_f32 v88, v139, v24, v88 op_sel:[0,1,0] op_sel_hi:[0,1,0]
	v_fmac_f32_e32 v145, v140, v151
	v_fma_mix_f32 v90, v140, v25, v90 op_sel_hi:[0,1,0]
	s_delay_alu instid0(VALU_DEP_2) | instskip(NEXT) | instid1(VALU_DEP_1)
	v_fmac_f32_e32 v146, v145, v148
	v_fmac_f32_e32 v147, v146, v150
	v_fma_mix_f32 v91, v134, v31, v91 op_sel:[0,1,0] op_sel_hi:[0,1,0]
	v_fma_mix_f32 v89, v146, v26, v89 op_sel_hi:[0,1,0]
	s_delay_alu instid0(VALU_DEP_3) | instskip(SKIP_1) | instid1(VALU_DEP_2)
	v_fmac_f32_e32 v149, v147, v153
	v_fma_mix_f32 v85, v147, v26, v85 op_sel:[0,1,0] op_sel_hi:[0,1,0]
	v_fmac_f32_e32 v152, v149, v154
	v_fma_mix_f32 v86, v145, v25, v86 op_sel:[0,1,0] op_sel_hi:[0,1,0]
	v_fma_mix_f32 v87, v149, v27, v87 op_sel_hi:[0,1,0]
	s_delay_alu instid0(VALU_DEP_3)
	v_fma_mix_f32 v94, v152, v27, v94 op_sel:[0,1,0] op_sel_hi:[0,1,0]
	s_cbranch_scc1 .LBB113_84
.LBB113_55:                             ;   Parent Loop BB113_12 Depth=1
                                        ; =>  This Inner Loop Header: Depth=2
	s_lshl_b64 s[30:31], s[52:53], 2
	s_mov_b32 s41, s53
	s_add_u32 s30, s59, s30
	s_addc_u32 s31, s60, s31
	s_lshl_b64 s[78:79], s[40:41], 1
	s_mov_b32 s43, s53
	v_add_co_u32 v28, vcc_lo, v108, s78
	v_add_co_ci_u32_e32 v29, vcc_lo, s79, v109, vcc_lo
	s_lshl_b64 s[78:79], s[42:43], 1
	s_clause 0x1
	global_load_b128 v[24:27], v[28:29], off
	global_load_b128 v[28:31], v[28:29], off offset:512
	v_add_co_u32 v32, vcc_lo, v110, s78
	v_add_co_ci_u32_e32 v33, vcc_lo, s79, v111, vcc_lo
	global_load_b32 v127, v42, s[30:31]
	s_and_not1_b32 vcc_lo, exec_lo, s39
	s_waitcnt vmcnt(2)
	ds_store_b128 v43, v[24:27]
	s_waitcnt vmcnt(1)
	ds_store_b128 v44, v[28:31] offset:512
	; wave barrier
	s_clause 0x1
	global_load_b128 v[24:27], v[32:33], off
	global_load_b128 v[28:31], v[32:33], off offset:512
	ds_load_b128 v[36:39], v45
	ds_load_b128 v[32:35], v45 offset:16
	s_waitcnt vmcnt(1)
	ds_store_b128 v43, v[24:27] offset:2112
	s_waitcnt vmcnt(0)
	ds_store_b128 v46, v[28:31] offset:512
	; wave barrier
	ds_load_b128 v[28:31], v45 offset:2112
	ds_load_b128 v[24:27], v47 offset:16
	s_cbranch_vccnz .LBB113_57
; %bb.56:                               ;   in Loop: Header=BB113_55 Depth=2
	v_mov_b32_e32 v40, s76
	ds_load_b64 v[40:41], v40
	s_cbranch_execz .LBB113_58
	s_branch .LBB113_61
.LBB113_57:                             ;   in Loop: Header=BB113_55 Depth=2
                                        ; implicit-def: $vgpr40
.LBB113_58:                             ;   in Loop: Header=BB113_55 Depth=2
	s_waitcnt lgkmcnt(0)
	v_mov_b32_e32 v41, 0
	s_and_not1_b32 vcc_lo, exec_lo, s33
	s_cbranch_vccnz .LBB113_60
; %bb.59:                               ;   in Loop: Header=BB113_55 Depth=2
	s_mov_b32 s47, s53
	s_delay_alu instid0(SALU_CYCLE_1) | instskip(NEXT) | instid1(SALU_CYCLE_1)
	s_lshl_b64 s[30:31], s[46:47], 2
	s_add_u32 s30, s63, s30
	s_addc_u32 s31, s64, s31
	global_load_b32 v41, v42, s[30:31]
.LBB113_60:                             ;   in Loop: Header=BB113_55 Depth=2
	v_mov_b32_e32 v40, 1.0
.LBB113_61:                             ;   in Loop: Header=BB113_55 Depth=2
	s_waitcnt lgkmcnt(5)
	v_lshrrev_b32_e32 v128, 16, v36
	v_cvt_f32_f16_e32 v36, v36
	v_mul_f32_e32 v149, 0x3fb8aa3b, v127
	v_lshrrev_b32_e32 v127, 16, v37
	v_lshrrev_b32_e32 v129, 16, v38
	v_cvt_f32_f16_e64 v132, v38
	v_mul_f32_e32 v36, v126, v36
	s_waitcnt lgkmcnt(4)
	v_lshrrev_b32_e32 v38, 16, v32
	v_cvt_f32_f16_e64 v130, v127
	v_lshrrev_b32_e32 v127, 16, v39
	v_cvt_f32_f16_e64 v137, v39
	v_cvt_f32_f16_e64 v134, v129
	;; [unrolled: 1-line block ×3, first 2 shown]
	v_lshrrev_b32_e32 v38, 16, v33
	v_cvt_f32_f16_e64 v138, v127
	v_mul_f32_e32 v127, v149, v76
	v_mul_f32_e32 v129, v149, v77
	v_cvt_f32_f16_e64 v128, v128
	v_cvt_f32_f16_e64 v145, v38
	v_lshrrev_b32_e32 v38, 16, v34
	v_cmp_gt_f32_e64 s30, 0xc2fc0000, v127
	v_cvt_f32_f16_e32 v37, v37
	v_mul_f32_e32 v136, v149, v80
	v_cvt_f32_f16_e32 v33, v33
	v_cvt_f32_f16_e64 v147, v38
	v_cndmask_b32_e64 v127, 0, 0x42800000, s30
	v_lshrrev_b32_e32 v38, 16, v35
	s_delay_alu instid0(VALU_DEP_4) | instskip(SKIP_1) | instid1(VALU_DEP_4)
	v_dual_mul_f32 v140, v149, v82 :: v_dual_mul_f32 v33, v116, v33
	v_cvt_f32_f16_e32 v32, v32
	v_fmac_f32_e32 v127, v149, v76
	s_delay_alu instid0(VALU_DEP_4) | instskip(NEXT) | instid1(VALU_DEP_4)
	v_cvt_f32_f16_e64 v152, v38
	v_cmp_gt_f32_e64 s31, 0xc2fc0000, v140
	v_cvt_f32_f16_e32 v35, v35
	v_mul_f32_e32 v134, v121, v134
	v_exp_f32_e32 v131, v127
	v_mul_f32_e32 v39, v149, v75
	v_mul_f32_e32 v127, v149, v78
	v_cndmask_b32_e64 v140, 0, 0x42800000, s31
	v_mul_f32_e32 v143, v149, v97
	v_cvt_f32_f16_e32 v34, v34
	v_cmp_gt_f32_e32 vcc_lo, 0xc2fc0000, v39
	v_mul_f32_e32 v150, v149, v102
	v_dual_fmac_f32 v140, v149, v82 :: v_dual_mul_f32 v37, v124, v37
	v_mul_f32_e32 v32, v118, v32
	v_cndmask_b32_e64 v39, 0, 0x42800000, vcc_lo
	v_cndmask_b32_e64 v38, 1.0, 0x1f800000, vcc_lo
	v_cmp_gt_f32_e32 vcc_lo, 0xc2fc0000, v129
	v_exp_f32_e32 v140, v140
	v_cndmask_b32_e64 v37, 0, v37, s16
	v_fmac_f32_e32 v39, v149, v75
	v_mul_f32_e32 v35, v112, v35
	v_cndmask_b32_e64 v129, 0, 0x42800000, vcc_lo
	v_mul_f32_e32 v34, v114, v34
	s_delay_alu instid0(VALU_DEP_4)
	v_exp_f32_e32 v39, v39
	s_waitcnt_depctr 0xfff
	v_dual_fmac_f32 v129, v149, v77 :: v_dual_mul_f32 v38, v39, v38
	v_cndmask_b32_e64 v39, 0, v36, s14
	v_cndmask_b32_e64 v36, 1.0, 0x1f800000, s30
	v_cmp_gt_f32_e64 s30, 0xc2fc0000, v127
	s_delay_alu instid0(VALU_DEP_4) | instskip(SKIP_1) | instid1(VALU_DEP_4)
	v_cndmask_b32_e64 v127, 1.0, v38, s14
	v_mul_f32_e32 v38, v125, v128
	v_mul_f32_e32 v128, v131, v36
	v_exp_f32_e32 v131, v129
	v_mul_f32_e32 v129, v149, v79
	v_cndmask_b32_e64 v133, 0, 0x42800000, s30
	v_cndmask_b32_e64 v36, 0, v38, s15
	v_cndmask_b32_e64 v38, 1.0, 0x1f800000, vcc_lo
	s_delay_alu instid0(VALU_DEP_4) | instskip(SKIP_3) | instid1(TRANS32_DEP_1)
	v_cmp_gt_f32_e32 vcc_lo, 0xc2fc0000, v129
	v_cndmask_b32_e64 v129, 1.0, v128, s15
	v_cndmask_b32_e64 v128, 1.0, 0x1f800000, s30
	v_cmp_gt_f32_e64 s30, 0xc2fc0000, v136
	v_mul_f32_e32 v38, v131, v38
	v_cndmask_b32_e64 v135, 0, 0x42800000, vcc_lo
	s_delay_alu instid0(VALU_DEP_3) | instskip(SKIP_1) | instid1(VALU_DEP_3)
	v_cndmask_b32_e64 v141, 1.0, 0x1f800000, s30
	v_fmac_f32_e32 v133, v149, v78
	v_fmac_f32_e32 v135, v149, v79
	v_cndmask_b32_e64 v131, 1.0, v38, s16
	v_mul_f32_e32 v38, v123, v130
	v_mul_f32_e32 v136, v149, v81
	v_exp_f32_e32 v133, v133
	v_exp_f32_e32 v130, v135
	v_cndmask_b32_e64 v135, 0, 0x42800000, s30
	v_cndmask_b32_e64 v38, 0, v38, s17
	s_delay_alu instid0(VALU_DEP_2) | instskip(SKIP_2) | instid1(VALU_DEP_1)
	v_fmac_f32_e32 v135, v149, v80
	s_waitcnt_depctr 0xfff
	v_mul_f32_e32 v128, v133, v128
	v_cndmask_b32_e64 v133, 1.0, v128, s17
	v_cndmask_b32_e64 v128, 1.0, 0x1f800000, vcc_lo
	v_cmp_gt_f32_e32 vcc_lo, 0xc2fc0000, v136
	s_delay_alu instid0(VALU_DEP_2) | instskip(SKIP_3) | instid1(VALU_DEP_3)
	v_mul_f32_e32 v130, v130, v128
	v_cndmask_b32_e64 v136, 0, 0x42800000, vcc_lo
	v_mul_f32_e32 v128, v122, v132
	v_exp_f32_e32 v132, v135
	v_cndmask_b32_e64 v135, 1.0, v130, s18
	s_delay_alu instid0(VALU_DEP_3) | instskip(SKIP_3) | instid1(VALU_DEP_4)
	v_fmac_f32_e32 v136, v149, v81
	v_cndmask_b32_e64 v130, 0, v134, s19
	v_cndmask_b32_e64 v134, 1.0, 0x1f800000, vcc_lo
	v_cndmask_b32_e64 v128, 0, v128, s18
	v_exp_f32_e32 v142, v136
	s_delay_alu instid0(TRANS32_DEP_2) | instskip(NEXT) | instid1(VALU_DEP_1)
	v_dual_mul_f32 v132, v132, v141 :: v_dual_mul_f32 v141, v149, v83
	v_cndmask_b32_e64 v136, 1.0, v132, s19
	v_mul_f32_e32 v132, v120, v137
	v_cndmask_b32_e64 v137, 1.0, 0x1f800000, s31
	s_delay_alu instid0(VALU_DEP_4)
	v_cmp_gt_f32_e32 vcc_lo, 0xc2fc0000, v141
	s_waitcnt_depctr 0xfff
	v_mul_f32_e32 v134, v142, v134
	v_mul_f32_e32 v141, v119, v138
	v_cmp_gt_f32_e64 s31, 0xc2fc0000, v143
	v_mul_f32_e32 v137, v140, v137
	v_cndmask_b32_e64 v142, 0, 0x42800000, vcc_lo
	v_mul_f32_e32 v140, v149, v84
	v_mul_f32_e32 v143, v149, v99
	v_cndmask_b32_e64 v138, 1.0, v134, s20
	v_cndmask_b32_e64 v134, 0, v141, s21
	v_fmac_f32_e32 v142, v149, v83
	v_cmp_gt_f32_e64 s30, 0xc2fc0000, v140
	v_cndmask_b32_e64 v141, 1.0, v137, s21
	v_cndmask_b32_e64 v144, 1.0, 0x1f800000, vcc_lo
	v_cmp_gt_f32_e32 vcc_lo, 0xc2fc0000, v143
	v_exp_f32_e32 v137, v142
	v_cndmask_b32_e64 v140, 0, 0x42800000, s30
	v_cndmask_b32_e64 v142, 0, 0x42800000, s31
	v_cndmask_b32_e64 v146, 1.0, 0x1f800000, s30
	v_cndmask_b32_e64 v143, 0, 0x42800000, vcc_lo
	v_mul_f32_e32 v151, v149, v104
	v_fmac_f32_e32 v140, v149, v84
	v_fmac_f32_e32 v142, v149, v97
	v_cndmask_b32_e64 v132, 0, v132, s20
	v_fmac_f32_e32 v143, v149, v99
	v_mul_f32_e32 v144, v137, v144
	v_exp_f32_e32 v140, v140
	v_cndmask_b32_e64 v137, 0, v32, s22
	v_exp_f32_e32 v32, v142
	v_exp_f32_e32 v148, v143
	v_cndmask_b32_e64 v142, 1.0, v144, s22
	v_cndmask_b32_e64 v144, 1.0, 0x1f800000, s31
	v_cmp_gt_f32_e64 s30, 0xc2fc0000, v151
	s_delay_alu instid0(TRANS32_DEP_3)
	v_mul_f32_e32 v140, v140, v146
	v_cndmask_b32_e64 v146, 1.0, 0x1f800000, vcc_lo
	s_delay_alu instid0(TRANS32_DEP_2) | instid1(VALU_DEP_4)
	v_mul_f32_e32 v32, v32, v144
	v_cmp_gt_f32_e32 vcc_lo, 0xc2fc0000, v150
	v_fma_f32 v150, v129, v39, v36
	v_cndmask_b32_e64 v143, 1.0, v140, s23
	v_cndmask_b32_e64 v140, 0, v33, s24
	v_cndmask_b32_e64 v144, 1.0, v32, s24
	v_dual_mul_f32 v32, v148, v146 :: v_dual_mul_f32 v33, v115, v145
	v_cndmask_b32_e64 v146, 0, 0x42800000, vcc_lo
	v_mul_f32_e32 v148, v129, v127
	s_delay_alu instid0(VALU_DEP_3) | instskip(NEXT) | instid1(VALU_DEP_4)
	v_cndmask_b32_e64 v151, 1.0, v32, s25
	v_cndmask_b32_e64 v145, 0, v33, s25
	s_delay_alu instid0(VALU_DEP_3) | instskip(SKIP_3) | instid1(VALU_DEP_4)
	v_dual_fmac_f32 v146, v149, v102 :: v_dual_mul_f32 v33, v148, v131
	v_fma_f32 v148, v150, v131, v37
	v_cndmask_b32_e64 v32, 1.0, 0x1f800000, vcc_lo
	v_cndmask_b32_e64 v150, 0, 0x42800000, s30
	v_exp_f32_e32 v146, v146
	v_mul_f32_e32 v33, v33, v133
	v_fma_f32 v148, v148, v133, v38
	s_delay_alu instid0(VALU_DEP_3) | instskip(NEXT) | instid1(VALU_DEP_3)
	v_fmac_f32_e32 v150, v149, v104
	v_mul_f32_e32 v33, v33, v135
	s_delay_alu instid0(VALU_DEP_3) | instskip(NEXT) | instid1(VALU_DEP_3)
	v_fma_f32 v148, v148, v135, v128
	v_exp_f32_e32 v150, v150
	s_delay_alu instid0(TRANS32_DEP_2) | instskip(NEXT) | instid1(VALU_DEP_3)
	v_mul_f32_e32 v32, v146, v32
	v_mul_f32_e32 v33, v33, v136
	s_delay_alu instid0(VALU_DEP_3)
	v_fma_f32 v153, v148, v136, v130
	v_cndmask_b32_e64 v146, 0, v34, s26
	v_cndmask_b32_e64 v34, 1.0, 0x1f800000, s30
	v_cndmask_b32_e64 v148, 1.0, v32, s26
	v_mul_f32_e32 v32, v33, v138
	v_fma_f32 v33, v153, v138, v132
	s_delay_alu instid0(TRANS32_DEP_1) | instid1(VALU_DEP_4)
	v_dual_mul_f32 v139, v117, v139 :: v_dual_mul_f32 v34, v150, v34
	s_delay_alu instid0(VALU_DEP_3) | instskip(NEXT) | instid1(VALU_DEP_3)
	v_mul_f32_e32 v32, v32, v141
	v_fma_f32 v33, v33, v141, v134
	s_delay_alu instid0(VALU_DEP_3) | instskip(NEXT) | instid1(VALU_DEP_3)
	v_cndmask_b32_e64 v139, 0, v139, s23
	v_mul_f32_e32 v32, v32, v142
	s_delay_alu instid0(VALU_DEP_3) | instskip(NEXT) | instid1(VALU_DEP_2)
	v_fma_f32 v33, v33, v142, v137
	v_mul_f32_e32 v32, v32, v143
	s_delay_alu instid0(VALU_DEP_2) | instskip(NEXT) | instid1(VALU_DEP_2)
	v_fma_f32 v33, v33, v143, v139
	v_dual_mul_f32 v32, v32, v144 :: v_dual_mul_f32 v153, v149, v105
	s_delay_alu instid0(VALU_DEP_2) | instskip(NEXT) | instid1(VALU_DEP_2)
	v_fma_f32 v33, v33, v144, v140
	v_mul_f32_e32 v32, v32, v151
	s_delay_alu instid0(VALU_DEP_3) | instskip(SKIP_1) | instid1(VALU_DEP_4)
	v_cmp_gt_f32_e32 vcc_lo, 0xc2fc0000, v153
	v_mul_f32_e32 v153, v149, v106
	v_fma_f32 v33, v33, v151, v145
	s_delay_alu instid0(VALU_DEP_4) | instskip(SKIP_1) | instid1(VALU_DEP_4)
	v_mul_f32_e32 v32, v32, v148
	v_cndmask_b32_e64 v150, 0, 0x42800000, vcc_lo
	v_cmp_gt_f32_e64 s30, 0xc2fc0000, v153
	s_delay_alu instid0(VALU_DEP_4) | instskip(NEXT) | instid1(VALU_DEP_3)
	v_fma_f32 v33, v33, v148, v146
	v_fmac_f32_e32 v150, v149, v105
	s_delay_alu instid0(VALU_DEP_3) | instskip(NEXT) | instid1(VALU_DEP_2)
	v_cndmask_b32_e64 v153, 0, 0x42800000, s30
	v_exp_f32_e32 v154, v150
	s_delay_alu instid0(VALU_DEP_1)
	v_fmac_f32_e32 v153, v149, v106
	v_cndmask_b32_e64 v150, 1.0, v34, s27
	v_cndmask_b32_e64 v34, 1.0, 0x1f800000, vcc_lo
	v_mul_f32_e32 v147, v113, v147
	v_cndmask_b32_e64 v149, 0, v35, s28
	v_exp_f32_e32 v155, v153
	v_cndmask_b32_e64 v35, 1.0, 0x1f800000, s30
	v_mul_f32_e32 v32, v32, v150
	s_delay_alu instid0(TRANS32_DEP_2) | instskip(SKIP_1) | instid1(VALU_DEP_2)
	v_mul_f32_e32 v34, v154, v34
	v_cndmask_b32_e64 v147, 0, v147, s27
	v_cndmask_b32_e64 v153, 1.0, v34, s28
	v_mul_f32_e32 v34, v107, v152
	s_delay_alu instid0(TRANS32_DEP_1) | instskip(NEXT) | instid1(VALU_DEP_4)
	v_mul_f32_e32 v35, v155, v35
	v_fma_f32 v33, v33, v150, v147
	s_delay_alu instid0(VALU_DEP_4) | instskip(NEXT) | instid1(VALU_DEP_4)
	v_mul_f32_e32 v32, v32, v153
	v_cndmask_b32_e64 v152, 0, v34, s29
	s_delay_alu instid0(VALU_DEP_4) | instskip(NEXT) | instid1(VALU_DEP_4)
	v_cndmask_b32_e64 v154, 1.0, v35, s29
	v_fma_f32 v33, v33, v153, v149
	s_delay_alu instid0(VALU_DEP_2) | instskip(NEXT) | instid1(VALU_DEP_2)
	v_mul_f32_e32 v32, v32, v154
	v_fma_f32 v33, v33, v154, v152
	s_delay_alu instid0(VALU_DEP_2) | instskip(NEXT) | instid1(VALU_DEP_2)
	v_mov_b32_dpp v35, v32 row_shr:1 row_mask:0xf bank_mask:0xf
	v_mov_b32_dpp v34, v33 row_shr:1 row_mask:0xf bank_mask:0xf
	s_and_saveexec_b32 s30, s2
; %bb.62:                               ;   in Loop: Header=BB113_55 Depth=2
	s_delay_alu instid0(VALU_DEP_2) | instskip(NEXT) | instid1(VALU_DEP_1)
	v_mul_f32_e32 v35, v32, v35
	v_dual_fmac_f32 v33, v32, v34 :: v_dual_mov_b32 v32, v35
; %bb.63:                               ;   in Loop: Header=BB113_55 Depth=2
	s_or_b32 exec_lo, exec_lo, s30
	s_delay_alu instid0(VALU_DEP_1) | instskip(NEXT) | instid1(VALU_DEP_2)
	v_mov_b32_dpp v34, v32 row_shr:2 row_mask:0xf bank_mask:0xf
	v_mov_b32_dpp v35, v33 row_shr:2 row_mask:0xf bank_mask:0xf
	s_and_saveexec_b32 s30, s3
; %bb.64:                               ;   in Loop: Header=BB113_55 Depth=2
	s_delay_alu instid0(VALU_DEP_1) | instskip(NEXT) | instid1(VALU_DEP_3)
	v_fmac_f32_e32 v33, v32, v35
	v_mul_f32_e32 v32, v32, v34
; %bb.65:                               ;   in Loop: Header=BB113_55 Depth=2
	s_or_b32 exec_lo, exec_lo, s30
	s_delay_alu instid0(VALU_DEP_1) | instskip(NEXT) | instid1(VALU_DEP_3)
	v_mov_b32_dpp v34, v32 row_shr:4 row_mask:0xf bank_mask:0xf
	v_mov_b32_dpp v35, v33 row_shr:4 row_mask:0xf bank_mask:0xf
	s_and_saveexec_b32 s30, s4
; %bb.66:                               ;   in Loop: Header=BB113_55 Depth=2
	s_delay_alu instid0(VALU_DEP_1) | instskip(NEXT) | instid1(VALU_DEP_3)
	v_fmac_f32_e32 v33, v32, v35
	v_mul_f32_e32 v32, v32, v34
; %bb.67:                               ;   in Loop: Header=BB113_55 Depth=2
	s_or_b32 exec_lo, exec_lo, s30
	s_delay_alu instid0(VALU_DEP_1) | instskip(NEXT) | instid1(VALU_DEP_3)
	v_mov_b32_dpp v34, v32 row_shr:8 row_mask:0xf bank_mask:0xf
	v_mov_b32_dpp v35, v33 row_shr:8 row_mask:0xf bank_mask:0xf
	s_and_saveexec_b32 s30, s5
; %bb.68:                               ;   in Loop: Header=BB113_55 Depth=2
	s_delay_alu instid0(VALU_DEP_1) | instskip(NEXT) | instid1(VALU_DEP_3)
	v_fmac_f32_e32 v33, v32, v35
	v_mul_f32_e32 v32, v32, v34
; %bb.69:                               ;   in Loop: Header=BB113_55 Depth=2
	s_or_b32 exec_lo, exec_lo, s30
	ds_swizzle_b32 v35, v32 offset:swizzle(BROADCAST,32,15)
	ds_swizzle_b32 v34, v33 offset:swizzle(BROADCAST,32,15)
	s_and_saveexec_b32 s30, s6
	s_cbranch_execz .LBB113_71
; %bb.70:                               ;   in Loop: Header=BB113_55 Depth=2
	s_waitcnt lgkmcnt(1)
	v_mul_f32_e32 v35, v32, v35
	s_waitcnt lgkmcnt(0)
	s_delay_alu instid0(VALU_DEP_1)
	v_dual_fmac_f32 v33, v32, v34 :: v_dual_mov_b32 v32, v35
.LBB113_71:                             ;   in Loop: Header=BB113_55 Depth=2
	s_or_b32 exec_lo, exec_lo, s30
	s_and_saveexec_b32 s30, s7
	s_cbranch_execz .LBB113_73
; %bb.72:                               ;   in Loop: Header=BB113_55 Depth=2
	ds_store_b64 v49, v[32:33] offset:4224
.LBB113_73:                             ;   in Loop: Header=BB113_55 Depth=2
	s_or_b32 exec_lo, exec_lo, s30
	s_waitcnt vmcnt(0) lgkmcnt(0)
	s_waitcnt_vscnt null, 0x0
	s_barrier
	buffer_gl0_inv
	s_and_saveexec_b32 s30, s8
	s_cbranch_execz .LBB113_75
; %bb.74:                               ;   in Loop: Header=BB113_55 Depth=2
	ds_load_b64 v[34:35], v50 offset:4224
	s_waitcnt lgkmcnt(0)
	v_mov_b32_dpp v155, v34 row_shr:1 row_mask:0xf bank_mask:0xf
	v_mov_b32_dpp v156, v35 row_shr:1 row_mask:0xf bank_mask:0xf
	s_delay_alu instid0(VALU_DEP_2) | instskip(NEXT) | instid1(VALU_DEP_2)
	v_mul_f32_e32 v155, v34, v155
	v_fma_f32 v156, v34, v156, v35
	s_delay_alu instid0(VALU_DEP_2) | instskip(NEXT) | instid1(VALU_DEP_2)
	v_cndmask_b32_e64 v34, v155, v34, s9
	v_cndmask_b32_e64 v35, v156, v35, s9
	ds_store_b64 v50, v[34:35] offset:4224
.LBB113_75:                             ;   in Loop: Header=BB113_55 Depth=2
	s_or_b32 exec_lo, exec_lo, s30
	s_waitcnt lgkmcnt(0)
	s_barrier
	buffer_gl0_inv
                                        ; implicit-def: $vgpr35
	s_and_saveexec_b32 s30, s11
	s_cbranch_execz .LBB113_77
; %bb.76:                               ;   in Loop: Header=BB113_55 Depth=2
	ds_load_b64 v[34:35], v49 offset:4216
	s_waitcnt lgkmcnt(0)
	v_mul_f32_e32 v155, v32, v34
	s_delay_alu instid0(VALU_DEP_1)
	v_dual_fmac_f32 v33, v32, v35 :: v_dual_mov_b32 v32, v155
.LBB113_77:                             ;   in Loop: Header=BB113_55 Depth=2
	s_or_b32 exec_lo, exec_lo, s30
	ds_bpermute_b32 v155, v51, v32
	ds_bpermute_b32 v156, v51, v33
	s_and_saveexec_b32 s30, s10
	s_cbranch_execz .LBB113_81
; %bb.78:                               ;   in Loop: Header=BB113_55 Depth=2
	ds_load_b64 v[32:33], v42 offset:4232
	s_and_saveexec_b32 s31, s12
	s_cbranch_execz .LBB113_80
; %bb.79:                               ;   in Loop: Header=BB113_55 Depth=2
	ds_store_b64 v42, v[40:41] offset:4232
.LBB113_80:                             ;   in Loop: Header=BB113_55 Depth=2
	s_or_b32 exec_lo, exec_lo, s31
	s_waitcnt lgkmcnt(0)
	v_fmac_f32_e32 v33, v41, v32
	s_delay_alu instid0(VALU_DEP_1)
	v_dual_mul_f32 v40, v40, v32 :: v_dual_mov_b32 v41, v33
.LBB113_81:                             ;   in Loop: Header=BB113_55 Depth=2
	s_or_b32 exec_lo, exec_lo, s30
	s_waitcnt lgkmcnt(0)
	s_barrier
	buffer_gl0_inv
	ds_load_b32 v32, v42 offset:4236
	s_and_saveexec_b32 s30, s12
	s_cbranch_execz .LBB113_54
; %bb.82:                               ;   in Loop: Header=BB113_55 Depth=2
	v_mov_b32_e32 v33, s76
	s_and_not1_b32 vcc_lo, exec_lo, s74
	ds_store_b64 v33, v[40:41]
	s_cbranch_vccnz .LBB113_54
; %bb.83:                               ;   in Loop: Header=BB113_55 Depth=2
	s_mov_b32 s47, s53
	s_delay_alu instid0(SALU_CYCLE_1) | instskip(NEXT) | instid1(SALU_CYCLE_1)
	s_lshl_b64 s[78:79], s[46:47], 2
	s_add_u32 s78, s63, s78
	s_addc_u32 s79, s64, s79
	global_store_b32 v42, v41, s[78:79]
	s_branch .LBB113_54
.LBB113_84:                             ;   in Loop: Header=BB113_12 Depth=1
	v_cvt_f16_f32_e32 v24, v103
	v_cvt_f16_f32_e32 v28, v95
	;; [unrolled: 1-line block ×16, first 2 shown]
	v_pack_b32_f16 v27, v27, v31
	v_pack_b32_f16 v26, v26, v30
	;; [unrolled: 1-line block ×8, first 2 shown]
	s_waitcnt_vscnt null, 0x0
	s_barrier
	buffer_gl0_inv
	ds_store_b128 v45, v[24:27]
	ds_store_b128 v45, v[28:31] offset:16
	; wave barrier
	ds_load_b128 v[24:27], v43
	ds_load_b128 v[28:31], v44 offset:512
	s_mov_b32 s39, s53
	s_delay_alu instid0(SALU_CYCLE_1) | instskip(NEXT) | instid1(SALU_CYCLE_1)
	s_lshl_b64 s[18:19], s[38:39], 1
	v_add_co_u32 v32, vcc_lo, v52, s18
	v_add_co_ci_u32_e32 v33, vcc_lo, s19, v53, vcc_lo
	s_waitcnt lgkmcnt(1)
	v_lshrrev_b32_e32 v36, 16, v27
	v_alignbit_b32 v35, v26, v25, 16
	v_alignbit_b32 v26, v27, v26, 16
	;; [unrolled: 1-line block ×3, first 2 shown]
	s_clause 0x3
	global_store_b16 v[32:33], v24, off
	global_store_b16 v[32:33], v36, off offset:14
	global_store_b32 v[32:33], v26, off offset:10
	global_store_b64 v[32:33], v[34:35], off offset:2
	v_add_co_u32 v24, vcc_lo, v54, s18
	v_add_co_ci_u32_e32 v25, vcc_lo, s19, v55, vcc_lo
	s_waitcnt lgkmcnt(0)
	global_store_b128 v[32:33], v[28:31], off offset:512
	s_waitcnt_vscnt null, 0x0
	s_barrier
	buffer_gl0_inv
	s_and_saveexec_b32 s14, s0
	s_cbranch_execz .LBB113_86
; %bb.85:                               ;   in Loop: Header=BB113_12 Depth=1
	global_load_b128 v[0:3], v[24:25], off
.LBB113_86:                             ;   in Loop: Header=BB113_12 Depth=1
	s_or_b32 exec_lo, exec_lo, s14
	s_and_saveexec_b32 s14, s1
	s_cbranch_execz .LBB113_11
; %bb.87:                               ;   in Loop: Header=BB113_12 Depth=1
	global_load_b128 v[4:7], v[24:25], off offset:512
	s_branch .LBB113_11
.LBB113_88:
	s_nop 0
	s_sendmsg sendmsg(MSG_DEALLOC_VGPRS)
	s_endpgm
	.section	.rodata,"a",@progbits
	.p2align	6, 0x0
	.amdhsa_kernel _Z25selective_scan_fwd_kernelI32Selective_Scan_fwd_kernel_traitsILi64ELi16ELi1ELb1ELb1ELb1ELb1ELb0EN3c104HalfEffEEv13SSMParamsBase
		.amdhsa_group_segment_fixed_size 0
		.amdhsa_private_segment_fixed_size 0
		.amdhsa_kernarg_size 248
		.amdhsa_user_sgpr_count 14
		.amdhsa_user_sgpr_dispatch_ptr 0
		.amdhsa_user_sgpr_queue_ptr 0
		.amdhsa_user_sgpr_kernarg_segment_ptr 1
		.amdhsa_user_sgpr_dispatch_id 0
		.amdhsa_user_sgpr_private_segment_size 0
		.amdhsa_wavefront_size32 1
		.amdhsa_uses_dynamic_stack 0
		.amdhsa_enable_private_segment 0
		.amdhsa_system_sgpr_workgroup_id_x 1
		.amdhsa_system_sgpr_workgroup_id_y 1
		.amdhsa_system_sgpr_workgroup_id_z 0
		.amdhsa_system_sgpr_workgroup_info 0
		.amdhsa_system_vgpr_workitem_id 0
		.amdhsa_next_free_vgpr 157
		.amdhsa_next_free_sgpr 80
		.amdhsa_reserve_vcc 1
		.amdhsa_float_round_mode_32 0
		.amdhsa_float_round_mode_16_64 0
		.amdhsa_float_denorm_mode_32 3
		.amdhsa_float_denorm_mode_16_64 3
		.amdhsa_dx10_clamp 1
		.amdhsa_ieee_mode 1
		.amdhsa_fp16_overflow 0
		.amdhsa_workgroup_processor_mode 1
		.amdhsa_memory_ordered 1
		.amdhsa_forward_progress 0
		.amdhsa_shared_vgpr_count 0
		.amdhsa_exception_fp_ieee_invalid_op 0
		.amdhsa_exception_fp_denorm_src 0
		.amdhsa_exception_fp_ieee_div_zero 0
		.amdhsa_exception_fp_ieee_overflow 0
		.amdhsa_exception_fp_ieee_underflow 0
		.amdhsa_exception_fp_ieee_inexact 0
		.amdhsa_exception_int_div_zero 0
	.end_amdhsa_kernel
	.section	.text._Z25selective_scan_fwd_kernelI32Selective_Scan_fwd_kernel_traitsILi64ELi16ELi1ELb1ELb1ELb1ELb1ELb0EN3c104HalfEffEEv13SSMParamsBase,"axG",@progbits,_Z25selective_scan_fwd_kernelI32Selective_Scan_fwd_kernel_traitsILi64ELi16ELi1ELb1ELb1ELb1ELb1ELb0EN3c104HalfEffEEv13SSMParamsBase,comdat
.Lfunc_end113:
	.size	_Z25selective_scan_fwd_kernelI32Selective_Scan_fwd_kernel_traitsILi64ELi16ELi1ELb1ELb1ELb1ELb1ELb0EN3c104HalfEffEEv13SSMParamsBase, .Lfunc_end113-_Z25selective_scan_fwd_kernelI32Selective_Scan_fwd_kernel_traitsILi64ELi16ELi1ELb1ELb1ELb1ELb1ELb0EN3c104HalfEffEEv13SSMParamsBase
                                        ; -- End function
	.section	.AMDGPU.csdata,"",@progbits
; Kernel info:
; codeLenInByte = 21220
; NumSgprs: 82
; NumVgprs: 157
; ScratchSize: 0
; MemoryBound: 1
; FloatMode: 240
; IeeeMode: 1
; LDSByteSize: 0 bytes/workgroup (compile time only)
; SGPRBlocks: 10
; VGPRBlocks: 19
; NumSGPRsForWavesPerEU: 82
; NumVGPRsForWavesPerEU: 157
; Occupancy: 9
; WaveLimiterHint : 1
; COMPUTE_PGM_RSRC2:SCRATCH_EN: 0
; COMPUTE_PGM_RSRC2:USER_SGPR: 14
; COMPUTE_PGM_RSRC2:TRAP_HANDLER: 0
; COMPUTE_PGM_RSRC2:TGID_X_EN: 1
; COMPUTE_PGM_RSRC2:TGID_Y_EN: 1
; COMPUTE_PGM_RSRC2:TGID_Z_EN: 0
; COMPUTE_PGM_RSRC2:TIDIG_COMP_CNT: 0
	.section	.text._Z25selective_scan_fwd_kernelI32Selective_Scan_fwd_kernel_traitsILi64ELi16ELi1ELb1ELb1ELb1ELb0ELb1EN3c104HalfEffEEv13SSMParamsBase,"axG",@progbits,_Z25selective_scan_fwd_kernelI32Selective_Scan_fwd_kernel_traitsILi64ELi16ELi1ELb1ELb1ELb1ELb0ELb1EN3c104HalfEffEEv13SSMParamsBase,comdat
	.protected	_Z25selective_scan_fwd_kernelI32Selective_Scan_fwd_kernel_traitsILi64ELi16ELi1ELb1ELb1ELb1ELb0ELb1EN3c104HalfEffEEv13SSMParamsBase ; -- Begin function _Z25selective_scan_fwd_kernelI32Selective_Scan_fwd_kernel_traitsILi64ELi16ELi1ELb1ELb1ELb1ELb0ELb1EN3c104HalfEffEEv13SSMParamsBase
	.globl	_Z25selective_scan_fwd_kernelI32Selective_Scan_fwd_kernel_traitsILi64ELi16ELi1ELb1ELb1ELb1ELb0ELb1EN3c104HalfEffEEv13SSMParamsBase
	.p2align	8
	.type	_Z25selective_scan_fwd_kernelI32Selective_Scan_fwd_kernel_traitsILi64ELi16ELi1ELb1ELb1ELb1ELb0ELb1EN3c104HalfEffEEv13SSMParamsBase,@function
_Z25selective_scan_fwd_kernelI32Selective_Scan_fwd_kernel_traitsILi64ELi16ELi1ELb1ELb1ELb1ELb0ELb1EN3c104HalfEffEEv13SSMParamsBase: ; @_Z25selective_scan_fwd_kernelI32Selective_Scan_fwd_kernel_traitsILi64ELi16ELi1ELb1ELb1ELb1ELb0ELb1EN3c104HalfEffEEv13SSMParamsBase
; %bb.0:
	s_clause 0x2
	s_load_b32 s34, s[0:1], 0x18
	s_load_b128 s[4:7], s[0:1], 0xe0
	s_load_b64 s[10:11], s[0:1], 0xf0
	s_mov_b32 s12, s15
	s_ashr_i32 s15, s14, 31
	s_mov_b32 s47, 0
	s_lshl_b64 s[8:9], s[14:15], 2
	s_waitcnt lgkmcnt(0)
	s_abs_i32 s33, s34
	s_add_u32 s2, s4, s8
	v_cvt_f32_u32_e32 v1, s33
	s_addc_u32 s3, s5, s9
	s_cmp_eq_u64 s[10:11], 0
	s_delay_alu instid0(VALU_DEP_1) | instskip(SKIP_2) | instid1(VALU_DEP_1)
	v_rcp_iflag_f32_e32 v1, v1
	s_waitcnt_depctr 0xfff
	v_mul_f32_e32 v1, 0x4f7ffffe, v1
	v_cvt_u32_f32_e32 v1, v1
	s_delay_alu instid0(VALU_DEP_1)
	v_readfirstlane_b32 s35, v1
	s_cbranch_scc1 .LBB114_2
; %bb.1:
	v_mov_b32_e32 v1, 0
	s_add_u32 s4, s10, s14
	s_addc_u32 s5, s11, s15
	global_load_u8 v1, v1, s[4:5]
	s_waitcnt vmcnt(0)
	v_and_b32_e32 v1, 1, v1
	s_delay_alu instid0(VALU_DEP_1)
	v_cmp_eq_u32_e64 s47, 1, v1
.LBB114_2:
	s_load_b64 s[4:5], s[0:1], 0x20
	s_cmp_eq_u64 s[6:7], 0
	s_cbranch_scc1 .LBB114_4
; %bb.3:
	s_add_u32 s6, s6, s8
	s_addc_u32 s7, s7, s9
	s_load_b32 s14, s[6:7], 0x0
	s_waitcnt lgkmcnt(0)
	s_ashr_i32 s15, s14, 31
.LBB114_4:
	s_waitcnt lgkmcnt(0)
	s_cmp_eq_u64 s[4:5], s[14:15]
	s_cbranch_scc1 .LBB114_236
; %bb.5:
	s_load_b512 s[16:31], s[0:1], 0x88
	s_load_b64 s[10:11], s[2:3], 0x0
	s_mov_b32 s66, 0
	s_mov_b32 s67, 0
	s_waitcnt lgkmcnt(0)
	s_cmp_eq_u64 s[22:23], 0
	s_cbranch_scc1 .LBB114_7
; %bb.6:
	s_ashr_i32 s13, s12, 31
	s_delay_alu instid0(SALU_CYCLE_1) | instskip(NEXT) | instid1(SALU_CYCLE_1)
	s_lshl_b64 s[2:3], s[12:13], 2
	s_add_u32 s2, s22, s2
	s_addc_u32 s3, s23, s3
	s_load_b32 s67, s[2:3], 0x0
.LBB114_7:
	s_cmp_eq_u64 s[28:29], 0
	s_cbranch_scc1 .LBB114_9
; %bb.8:
	s_ashr_i32 s13, s12, 31
	s_delay_alu instid0(SALU_CYCLE_1) | instskip(NEXT) | instid1(SALU_CYCLE_1)
	s_lshl_b64 s[2:3], s[12:13], 2
	s_add_u32 s2, s28, s2
	s_addc_u32 s3, s29, s3
	s_load_b32 s66, s[2:3], 0x0
.LBB114_9:
	s_sub_i32 s68, s11, s10
	s_delay_alu instid0(SALU_CYCLE_1)
	s_cmp_lt_i32 s68, 1
	s_cbranch_scc1 .LBB114_236
; %bb.10:
	s_sub_i32 s2, 0, s33
	s_abs_i32 s5, s12
	s_mul_i32 s4, s2, s35
	s_clause 0x1
	s_load_b64 s[2:3], s[0:1], 0x5c
	s_load_b128 s[56:59], s[0:1], 0x4c
	s_mul_hi_u32 s4, s35, s4
	s_ashr_i32 s7, s34, 31
	s_add_i32 s35, s35, s4
	s_ashr_i32 s4, s12, 31
	s_mul_hi_u32 s6, s5, s35
	s_xor_b32 s7, s4, s7
	s_mul_i32 s8, s6, s33
	s_load_b256 s[48:55], s[0:1], 0x2c
	s_sub_i32 s4, s5, s8
	s_add_i32 s5, s6, 1
	s_sub_i32 s8, s4, s33
	s_cmp_ge_u32 s4, s33
	s_mov_b32 s65, 0
	s_cselect_b32 s5, s5, s6
	s_cselect_b32 s4, s8, s4
	s_add_i32 s6, s5, 1
	s_cmp_ge_u32 s4, s33
	s_load_b128 s[60:63], s[0:1], 0x7c
	s_cselect_b32 s4, s6, s5
	s_waitcnt lgkmcnt(0)
	s_mul_i32 s64, s10, s58
	s_xor_b32 s6, s4, s7
	s_lshl_b64 s[4:5], s[64:65], 1
	s_sub_i32 s6, s6, s7
	s_mul_i32 s64, s59, s12
	s_add_u32 s7, s24, s4
	s_addc_u32 s8, s25, s5
	s_lshl_b64 s[4:5], s[64:65], 1
	s_mul_i32 s64, s10, s2
	s_add_u32 s69, s7, s4
	s_addc_u32 s70, s8, s5
	s_lshl_b64 s[4:5], s[64:65], 1
	;; [unrolled: 4-line block ×3, first 2 shown]
	v_dual_mov_b32 v21, 0 :: v_dual_lshlrev_b32 v18, 4, v0
	s_add_u32 s71, s4, s2
	s_mul_i32 s64, s48, s12
	s_addc_u32 s48, s5, s3
	s_load_b64 s[4:5], s[0:1], 0xc8
	s_lshl_b64 s[2:3], s[64:65], 2
	v_mbcnt_lo_u32_b32 v19, -1, 0
	v_and_b32_e32 v1, 0x200, v18
	s_mul_i32 s64, s10, s50
	s_add_u32 s72, s16, s2
	s_addc_u32 s63, s17, s3
	s_lshl_b64 s[2:3], s[64:65], 1
	s_mul_i32 s64, s6, s53
	s_clause 0x2
	s_load_b64 s[16:17], s[0:1], 0x6c
	s_load_b32 s77, s[0:1], 0xc
	s_load_b32 s0, s[0:1], 0x28
	s_add_u32 s7, s18, s2
	v_or_b32_e32 v20, v19, v1
	s_addc_u32 s8, s19, s3
	s_lshl_b64 s[2:3], s[64:65], 1
	s_mul_i32 s64, s10, s54
	s_add_u32 s53, s7, s2
	s_addc_u32 s73, s8, s3
	s_lshl_b64 s[2:3], s[64:65], 1
	s_mul_i32 s64, s6, s57
	v_or_b32_e32 v24, 0x60, v20
	v_and_b32_e32 v14, 32, v0
	s_add_u32 s7, s20, s2
	s_addc_u32 s6, s21, s3
	s_lshl_b64 s[2:3], s[64:65], 1
	s_mul_i32 s64, s14, s60
	s_add_u32 s57, s7, s2
	s_addc_u32 s74, s6, s3
	s_lshl_b64 s[2:3], s[64:65], 2
	v_or_b32_e32 v26, 0xa0, v20
	v_or_b32_e32 v28, 0xe0, v20
	;; [unrolled: 1-line block ×5, first 2 shown]
	v_lshrrev_b32_e32 v2, 5, v24
	v_or_b32_e32 v36, 0x1e0, v20
	v_or_b32_e32 v16, v19, v14
	s_mul_i32 s64, s61, s12
	s_waitcnt lgkmcnt(0)
	s_add_u32 s4, s4, s2
	s_addc_u32 s5, s5, s3
	s_lshl_b64 s[2:3], s[64:65], 2
	v_or_b32_e32 v23, 64, v20
	s_add_u32 s75, s4, s2
	v_or_b32_e32 v25, 0x80, v20
	v_or_b32_e32 v27, 0xc0, v20
	;; [unrolled: 1-line block ×6, first 2 shown]
	v_and_b32_e32 v2, 18, v2
	v_lshrrev_b32_e32 v5, 5, v26
	v_lshrrev_b32_e32 v8, 5, v28
	;; [unrolled: 1-line block ×6, first 2 shown]
	v_lshrrev_b16 v50, 1, v16
	s_addc_u32 s76, s5, s3
	s_add_i32 s2, s68, 0x7ff
	v_lshrrev_b32_e32 v3, 5, v1
	s_lshr_b32 s78, s2, 11
	s_bitcmp1_b32 s0, 0
	v_lshrrev_b32_e32 v4, 5, v23
	v_lshrrev_b32_e32 v6, 5, v25
	v_add_lshl_u32 v2, v2, v20, 1
	v_and_b32_e32 v5, 20, v5
	v_lshrrev_b32_e32 v7, 5, v27
	v_and_b32_e32 v8, 22, v8
	v_lshrrev_b32_e32 v10, 5, v29
	;; [unrolled: 2-line block ×5, first 2 shown]
	v_and_b32_e32 v51, 30, v49
	v_lshlrev_b32_e32 v16, 4, v16
	v_and_b32_e32 v52, 30, v50
	s_cselect_b32 s79, -1, 0
	s_cmp_gt_i32 s77, 0
	v_add_lshl_u32 v3, v3, v20, 1
	s_cselect_b32 s80, -1, 0
	s_add_i32 s0, 0, 0x840
	v_add_lshl_u32 v4, v4, v20, 1
	v_add_lshl_u32 v6, v6, v20, 1
	v_add_nc_u32_e32 v39, 0, v2
	v_add_lshl_u32 v5, v5, v20, 1
	v_add_lshl_u32 v7, v7, v20, 1
	v_add_lshl_u32 v8, v8, v20, 1
	v_add_lshl_u32 v10, v10, v20, 1
	v_add_lshl_u32 v9, v9, v20, 1
	v_add_lshl_u32 v12, v12, v20, 1
	v_add_lshl_u32 v11, v11, v20, 1
	v_add_lshl_u32 v13, v13, v20, 1
	v_add_lshl_u32 v15, v15, v20, 1
	v_add_lshl_u32 v17, v17, v20, 1
	v_add_lshl_u32 v67, v51, v20, 1
	v_add_lshl_u32 v16, v52, v16, 1
	v_add_nc_u32_e32 v55, s0, v2
	v_and_b32_e32 v2, 15, v19
	s_and_b32 s1, s68, 0x3ff
	v_add_nc_u32_e32 v51, 0, v67
	v_add_nc_u32_e32 v53, s0, v3
	v_add_nc_u32_e32 v54, s0, v4
	v_add_nc_u32_e32 v56, s0, v6
	v_add_nc_u32_e32 v57, s0, v5
	v_add_nc_u32_e32 v58, s0, v7
	v_add_nc_u32_e32 v59, s0, v8
	v_add_nc_u32_e32 v60, s0, v10
	v_add_nc_u32_e32 v61, s0, v9
	v_add_nc_u32_e32 v62, s0, v12
	v_add_nc_u32_e32 v63, s0, v11
	v_add_nc_u32_e32 v64, s0, v13
	v_add_nc_u32_e32 v65, s0, v15
	v_add_nc_u32_e32 v66, s0, v17
	v_add_nc_u32_e32 v67, s0, v67
	s_cmp_eq_u32 s1, 0
	v_add_nc_u32_e32 v68, s0, v16
	v_cmp_ne_u32_e64 s0, 0, v2
	v_cmp_lt_u32_e64 s1, 1, v2
	v_cmp_lt_u32_e64 s2, 3, v2
	;; [unrolled: 1-line block ×3, first 2 shown]
	v_add_nc_u32_e32 v2, -1, v19
	v_add_nc_u32_e32 v37, 0, v3
	v_lshrrev_b32_e32 v3, 2, v0
	v_add_nc_u32_e32 v41, 0, v5
	v_or_b32_e32 v5, 31, v14
	v_cmp_gt_i32_e32 vcc_lo, 0, v2
	s_mul_i32 s64, s10, s16
	v_and_b32_e32 v3, 8, v3
	s_cselect_b32 s81, -1, 0
	s_lshl_b64 s[14:15], s[64:65], 1
	v_cndmask_b32_e32 v2, v2, v19, vcc_lo
	s_add_i32 s82, s78, -1
	s_mul_i32 s64, s17, s12
	v_cmp_eq_u32_e64 s5, v5, v0
	v_cmp_gt_u32_e64 s6, 2, v0
	v_lshl_add_u32 v70, v0, 3, 0
	v_cmp_gt_u32_e64 s8, 32, v0
	v_cmp_lt_u32_e64 s9, 31, v0
	v_cmp_eq_u32_e64 s10, 0, v0
	s_add_u32 s11, s30, s14
	v_lshlrev_b32_e32 v0, 1, v19
	s_addc_u32 s14, s31, s15
	s_lshl_b64 s[12:13], s[64:65], 1
	v_add_nc_u32_e32 v69, 0, v3
	v_and_b32_e32 v3, 1, v19
	s_add_u32 s11, s11, s12
	v_lshlrev_b32_e32 v71, 2, v2
	s_addc_u32 s12, s14, s13
	v_lshlrev_b32_e32 v2, 1, v1
	v_add_co_u32 v0, s11, s11, v0
	v_add_nc_u32_e32 v38, 0, v4
	v_and_b32_e32 v4, 16, v19
	v_cmp_eq_u32_e64 s7, 0, v3
	v_add_co_ci_u32_e64 v3, null, s12, 0, s11
	v_add_co_u32 v72, vcc_lo, v0, v2
	v_or_b32_e32 v22, 32, v20
	v_add_nc_u32_e32 v40, 0, v6
	v_add_nc_u32_e32 v42, 0, v7
	;; [unrolled: 1-line block ×11, first 2 shown]
	v_cmp_ne_u32_e64 s4, 0, v4
	v_cmp_eq_u32_e64 s11, 0, v19
	v_add_co_ci_u32_e32 v73, vcc_lo, 0, v3, vcc_lo
	v_or_b32_e32 v74, 1, v18
	v_or_b32_e32 v75, 2, v18
	;; [unrolled: 1-line block ×15, first 2 shown]
	v_lshlrev_b32_e32 v89, 1, v1
	s_mov_b32 s83, 0x3e9b6dac
	s_add_i32 s84, 0, 0x1090
	s_mov_b32 s85, 0
	s_branch .LBB114_12
.LBB114_11:                             ;   in Loop: Header=BB114_12 Depth=1
	s_or_b32 exec_lo, exec_lo, s12
	s_add_u32 s71, s71, 0x800
	s_addc_u32 s48, s48, 0
	s_add_u32 s69, s69, 0x800
	s_addc_u32 s70, s70, 0
	;; [unrolled: 2-line block ×4, first 2 shown]
	s_add_i32 s85, s85, 1
	s_delay_alu instid0(SALU_CYCLE_1)
	s_cmp_eq_u32 s85, s78
	s_cbranch_scc1 .LBB114_236
.LBB114_12:                             ; =>This Loop Header: Depth=1
                                        ;     Child Loop BB114_109 Depth 2
	s_waitcnt lgkmcnt(14)
	v_lshlrev_b32_e32 v16, 1, v19
	s_lshl_b32 s50, s85, 10
	s_waitcnt lgkmcnt(0)
	v_mov_b32_e32 v2, 0
	s_sub_i32 s40, s68, s50
	v_add_co_u32 v0, s12, s69, v16
	s_delay_alu instid0(VALU_DEP_1) | instskip(SKIP_1) | instid1(VALU_DEP_3)
	v_add_co_ci_u32_e64 v1, null, s70, 0, s12
	v_cmp_gt_u32_e64 s12, s40, v20
	v_add_co_u32 v0, vcc_lo, v0, v89
	s_delay_alu instid0(VALU_DEP_3)
	v_add_co_ci_u32_e32 v1, vcc_lo, 0, v1, vcc_lo
	s_waitcnt_vscnt null, 0x0
	s_barrier
	buffer_gl0_inv
	s_and_saveexec_b32 s13, s12
	s_cbranch_execz .LBB114_14
; %bb.13:                               ;   in Loop: Header=BB114_12 Depth=1
	global_load_u16 v2, v[0:1], off
.LBB114_14:                             ;   in Loop: Header=BB114_12 Depth=1
	s_or_b32 exec_lo, exec_lo, s13
	v_cmp_gt_u32_e64 s13, s40, v22
	v_dual_mov_b32 v3, 0 :: v_dual_mov_b32 v4, 0
	s_delay_alu instid0(VALU_DEP_2)
	s_and_saveexec_b32 s14, s13
	s_cbranch_execz .LBB114_16
; %bb.15:                               ;   in Loop: Header=BB114_12 Depth=1
	global_load_u16 v4, v[0:1], off offset:64
.LBB114_16:                             ;   in Loop: Header=BB114_12 Depth=1
	s_or_b32 exec_lo, exec_lo, s14
	v_cmp_gt_u32_e64 s14, s40, v23
	s_delay_alu instid0(VALU_DEP_1)
	s_and_saveexec_b32 s15, s14
	s_cbranch_execz .LBB114_18
; %bb.17:                               ;   in Loop: Header=BB114_12 Depth=1
	global_load_u16 v3, v[0:1], off offset:128
.LBB114_18:                             ;   in Loop: Header=BB114_12 Depth=1
	s_or_b32 exec_lo, exec_lo, s15
	v_cmp_gt_u32_e64 s15, s40, v24
	v_dual_mov_b32 v5, 0 :: v_dual_mov_b32 v6, 0
	s_delay_alu instid0(VALU_DEP_2)
	s_and_saveexec_b32 s16, s15
	s_cbranch_execz .LBB114_20
; %bb.19:                               ;   in Loop: Header=BB114_12 Depth=1
	global_load_u16 v6, v[0:1], off offset:192
.LBB114_20:                             ;   in Loop: Header=BB114_12 Depth=1
	s_or_b32 exec_lo, exec_lo, s16
	v_cmp_gt_u32_e64 s16, s40, v25
	s_delay_alu instid0(VALU_DEP_1)
	s_and_saveexec_b32 s17, s16
	s_cbranch_execz .LBB114_22
; %bb.21:                               ;   in Loop: Header=BB114_12 Depth=1
	global_load_u16 v5, v[0:1], off offset:256
.LBB114_22:                             ;   in Loop: Header=BB114_12 Depth=1
	;; [unrolled: 17-line block ×3, first 2 shown]
	s_or_b32 exec_lo, exec_lo, s19
	v_cmp_gt_u32_e64 s19, s40, v28
	v_mov_b32_e32 v9, 0
	v_mov_b32_e32 v11, 0
	s_delay_alu instid0(VALU_DEP_3)
	s_and_saveexec_b32 s20, s19
	s_cbranch_execz .LBB114_28
; %bb.27:                               ;   in Loop: Header=BB114_12 Depth=1
	global_load_u16 v11, v[0:1], off offset:448
.LBB114_28:                             ;   in Loop: Header=BB114_12 Depth=1
	s_or_b32 exec_lo, exec_lo, s20
	v_cmp_gt_u32_e64 s20, s40, v29
	s_delay_alu instid0(VALU_DEP_1)
	s_and_saveexec_b32 s21, s20
	s_cbranch_execz .LBB114_30
; %bb.29:                               ;   in Loop: Header=BB114_12 Depth=1
	global_load_u16 v9, v[0:1], off offset:512
.LBB114_30:                             ;   in Loop: Header=BB114_12 Depth=1
	s_or_b32 exec_lo, exec_lo, s21
	v_cmp_gt_u32_e64 s21, s40, v30
	v_dual_mov_b32 v12, 0 :: v_dual_mov_b32 v13, 0
	s_delay_alu instid0(VALU_DEP_2)
	s_and_saveexec_b32 s22, s21
	s_cbranch_execz .LBB114_32
; %bb.31:                               ;   in Loop: Header=BB114_12 Depth=1
	global_load_u16 v13, v[0:1], off offset:576
.LBB114_32:                             ;   in Loop: Header=BB114_12 Depth=1
	s_or_b32 exec_lo, exec_lo, s22
	v_cmp_gt_u32_e64 s22, s40, v31
	s_delay_alu instid0(VALU_DEP_1)
	s_and_saveexec_b32 s23, s22
	s_cbranch_execz .LBB114_34
; %bb.33:                               ;   in Loop: Header=BB114_12 Depth=1
	global_load_u16 v12, v[0:1], off offset:640
.LBB114_34:                             ;   in Loop: Header=BB114_12 Depth=1
	s_or_b32 exec_lo, exec_lo, s23
	v_cmp_gt_u32_e64 s23, s40, v32
	v_dual_mov_b32 v14, 0 :: v_dual_mov_b32 v15, 0
	s_delay_alu instid0(VALU_DEP_2)
	;; [unrolled: 17-line block ×4, first 2 shown]
	s_and_saveexec_b32 s28, s27
	s_cbranch_execz .LBB114_44
; %bb.43:                               ;   in Loop: Header=BB114_12 Depth=1
	global_load_u16 v91, v[0:1], off offset:960
.LBB114_44:                             ;   in Loop: Header=BB114_12 Depth=1
	s_or_b32 exec_lo, exec_lo, s28
	s_waitcnt vmcnt(0)
	ds_store_b16 v37, v2
	ds_store_b16 v37, v4 offset:64
	ds_store_b16 v38, v3 offset:128
	;; [unrolled: 1-line block ×15, first 2 shown]
	; wave barrier
	ds_load_b128 v[0:3], v52
	ds_load_b128 v[4:7], v52 offset:16
	v_add_co_u32 v8, s28, s71, v16
	s_delay_alu instid0(VALU_DEP_1) | instskip(SKIP_1) | instid1(VALU_DEP_2)
	v_add_co_ci_u32_e64 v9, null, s48, 0, s28
	s_waitcnt lgkmcnt(0)
	v_add_co_u32 v8, vcc_lo, v8, v89
	s_delay_alu instid0(VALU_DEP_2)
	v_add_co_ci_u32_e32 v9, vcc_lo, 0, v9, vcc_lo
	s_barrier
	buffer_gl0_inv
	s_and_saveexec_b32 s28, s12
	s_cbranch_execz .LBB114_46
; %bb.45:                               ;   in Loop: Header=BB114_12 Depth=1
	global_load_u16 v10, v[8:9], off
.LBB114_46:                             ;   in Loop: Header=BB114_12 Depth=1
	s_or_b32 exec_lo, exec_lo, s28
	v_dual_mov_b32 v11, 0 :: v_dual_mov_b32 v12, 0
	s_and_saveexec_b32 s28, s13
	s_cbranch_execz .LBB114_48
; %bb.47:                               ;   in Loop: Header=BB114_12 Depth=1
	global_load_u16 v12, v[8:9], off offset:64
.LBB114_48:                             ;   in Loop: Header=BB114_12 Depth=1
	s_or_b32 exec_lo, exec_lo, s28
	s_and_saveexec_b32 s28, s14
	s_cbranch_execz .LBB114_50
; %bb.49:                               ;   in Loop: Header=BB114_12 Depth=1
	global_load_u16 v11, v[8:9], off offset:128
.LBB114_50:                             ;   in Loop: Header=BB114_12 Depth=1
	s_or_b32 exec_lo, exec_lo, s28
	v_dual_mov_b32 v13, 0 :: v_dual_mov_b32 v14, 0
	s_and_saveexec_b32 s28, s15
	s_cbranch_execz .LBB114_52
; %bb.51:                               ;   in Loop: Header=BB114_12 Depth=1
	global_load_u16 v14, v[8:9], off offset:192
.LBB114_52:                             ;   in Loop: Header=BB114_12 Depth=1
	s_or_b32 exec_lo, exec_lo, s28
	s_and_saveexec_b32 s28, s16
	s_cbranch_execz .LBB114_54
; %bb.53:                               ;   in Loop: Header=BB114_12 Depth=1
	global_load_u16 v13, v[8:9], off offset:256
.LBB114_54:                             ;   in Loop: Header=BB114_12 Depth=1
	s_or_b32 exec_lo, exec_lo, s28
	v_mov_b32_e32 v15, 0
	v_mov_b32_e32 v17, 0
	s_and_saveexec_b32 s28, s17
	s_cbranch_execz .LBB114_56
; %bb.55:                               ;   in Loop: Header=BB114_12 Depth=1
	global_load_u16 v17, v[8:9], off offset:320
.LBB114_56:                             ;   in Loop: Header=BB114_12 Depth=1
	s_or_b32 exec_lo, exec_lo, s28
	s_and_saveexec_b32 s28, s18
	s_cbranch_execz .LBB114_58
; %bb.57:                               ;   in Loop: Header=BB114_12 Depth=1
	global_load_u16 v15, v[8:9], off offset:384
.LBB114_58:                             ;   in Loop: Header=BB114_12 Depth=1
	s_or_b32 exec_lo, exec_lo, s28
	v_dual_mov_b32 v90, 0 :: v_dual_mov_b32 v91, 0
	s_and_saveexec_b32 s28, s19
	s_cbranch_execz .LBB114_60
; %bb.59:                               ;   in Loop: Header=BB114_12 Depth=1
	global_load_u16 v91, v[8:9], off offset:448
.LBB114_60:                             ;   in Loop: Header=BB114_12 Depth=1
	s_or_b32 exec_lo, exec_lo, s28
	s_and_saveexec_b32 s28, s20
	s_cbranch_execz .LBB114_62
; %bb.61:                               ;   in Loop: Header=BB114_12 Depth=1
	global_load_u16 v90, v[8:9], off offset:512
.LBB114_62:                             ;   in Loop: Header=BB114_12 Depth=1
	s_or_b32 exec_lo, exec_lo, s28
	v_dual_mov_b32 v92, 0 :: v_dual_mov_b32 v93, 0
	;; [unrolled: 13-line block ×4, first 2 shown]
	s_and_saveexec_b32 s28, s25
	s_cbranch_execnz .LBB114_218
; %bb.71:                               ;   in Loop: Header=BB114_12 Depth=1
	s_or_b32 exec_lo, exec_lo, s28
	s_and_saveexec_b32 s28, s26
	s_cbranch_execnz .LBB114_219
.LBB114_72:                             ;   in Loop: Header=BB114_12 Depth=1
	s_or_b32 exec_lo, exec_lo, s28
	v_mov_b32_e32 v98, 0
	s_and_saveexec_b32 s28, s27
	s_cbranch_execz .LBB114_74
.LBB114_73:                             ;   in Loop: Header=BB114_12 Depth=1
	global_load_u16 v98, v[8:9], off offset:960
.LBB114_74:                             ;   in Loop: Header=BB114_12 Depth=1
	s_or_b32 exec_lo, exec_lo, s28
	s_waitcnt vmcnt(0)
	ds_store_b16 v37, v10
	ds_store_b16 v37, v12 offset:64
	ds_store_b16 v38, v11 offset:128
	;; [unrolled: 1-line block ×15, first 2 shown]
	; wave barrier
	ds_load_b128 v[12:15], v52
	ds_load_b128 v[8:11], v52 offset:16
	s_waitcnt lgkmcnt(1)
	v_cvt_f32_f16_e32 v17, v12
	s_delay_alu instid0(VALU_DEP_1) | instskip(NEXT) | instid1(VALU_DEP_1)
	v_add_f32_e32 v90, s66, v17
	v_cmp_ge_f32_e32 vcc_lo, 0x41a00000, v90
	s_and_b32 s28, s79, vcc_lo
	s_delay_alu instid0(SALU_CYCLE_1)
	s_and_saveexec_b32 s29, s28
	s_cbranch_execz .LBB114_76
; %bb.75:                               ;   in Loop: Header=BB114_12 Depth=1
	v_mul_f32_e32 v17, 0x3fb8aa3b, v90
	v_cmp_ngt_f32_e32 vcc_lo, 0xc2ce8ed0, v90
	s_delay_alu instid0(VALU_DEP_2) | instskip(SKIP_1) | instid1(VALU_DEP_1)
	v_rndne_f32_e32 v91, v17
	v_fma_f32 v92, 0x3fb8aa3b, v90, -v17
	v_dual_sub_f32 v17, v17, v91 :: v_dual_fmac_f32 v92, 0x32a5705f, v90
	v_cvt_i32_f32_e32 v91, v91
	s_delay_alu instid0(VALU_DEP_2) | instskip(NEXT) | instid1(VALU_DEP_1)
	v_add_f32_e32 v17, v17, v92
	v_exp_f32_e32 v17, v17
	s_waitcnt_depctr 0xfff
	v_ldexp_f32 v17, v17, v91
	s_delay_alu instid0(VALU_DEP_1) | instskip(SKIP_1) | instid1(VALU_DEP_2)
	v_cndmask_b32_e32 v17, 0, v17, vcc_lo
	v_cmp_nlt_f32_e32 vcc_lo, 0x42b17218, v90
	v_cndmask_b32_e32 v17, 0x7f800000, v17, vcc_lo
	s_delay_alu instid0(VALU_DEP_1) | instskip(NEXT) | instid1(VALU_DEP_1)
	v_add_f32_e32 v92, 1.0, v17
	v_cvt_f64_f32_e32 v[90:91], v92
	s_delay_alu instid0(VALU_DEP_1) | instskip(SKIP_1) | instid1(VALU_DEP_1)
	v_frexp_exp_i32_f64_e32 v90, v[90:91]
	v_frexp_mant_f32_e32 v91, v92
	v_cmp_gt_f32_e32 vcc_lo, 0x3f2aaaab, v91
	v_add_f32_e32 v91, -1.0, v92
	s_delay_alu instid0(VALU_DEP_1) | instskip(NEXT) | instid1(VALU_DEP_1)
	v_dual_sub_f32 v94, v91, v92 :: v_dual_sub_f32 v91, v17, v91
	v_add_f32_e32 v94, 1.0, v94
	v_subrev_co_ci_u32_e32 v90, vcc_lo, 0, v90, vcc_lo
	s_delay_alu instid0(VALU_DEP_1) | instskip(SKIP_1) | instid1(VALU_DEP_2)
	v_sub_nc_u32_e32 v93, 0, v90
	v_cvt_f32_i32_e32 v90, v90
	v_ldexp_f32 v92, v92, v93
	v_add_f32_e32 v91, v91, v94
	s_delay_alu instid0(VALU_DEP_1) | instskip(NEXT) | instid1(VALU_DEP_3)
	v_ldexp_f32 v91, v91, v93
	v_add_f32_e32 v95, 1.0, v92
	s_delay_alu instid0(VALU_DEP_1) | instskip(NEXT) | instid1(VALU_DEP_1)
	v_add_f32_e32 v94, -1.0, v95
	v_sub_f32_e32 v94, v92, v94
	v_cmp_eq_f32_e32 vcc_lo, 0x7f800000, v17
	v_cmp_gt_f32_e64 s28, 0x33800000, v17
	s_delay_alu instid0(VALU_DEP_3) | instskip(NEXT) | instid1(VALU_DEP_2)
	v_dual_add_f32 v94, v91, v94 :: v_dual_add_f32 v93, -1.0, v92
	s_or_b32 vcc_lo, s28, vcc_lo
	s_delay_alu instid0(VALU_DEP_1) | instskip(NEXT) | instid1(VALU_DEP_1)
	v_add_f32_e32 v96, 1.0, v93
	v_sub_f32_e32 v92, v92, v96
	s_delay_alu instid0(VALU_DEP_3) | instskip(NEXT) | instid1(VALU_DEP_1)
	v_add_f32_e32 v96, v95, v94
	v_sub_f32_e32 v95, v95, v96
	s_delay_alu instid0(VALU_DEP_3) | instskip(SKIP_1) | instid1(VALU_DEP_2)
	v_add_f32_e32 v91, v91, v92
	v_rcp_f32_e32 v92, v96
	v_add_f32_e32 v94, v94, v95
	s_delay_alu instid0(VALU_DEP_2) | instskip(NEXT) | instid1(VALU_DEP_1)
	v_add_f32_e32 v97, v93, v91
	v_sub_f32_e32 v93, v93, v97
	s_waitcnt_depctr 0xfff
	v_dual_mul_f32 v98, v97, v92 :: v_dual_add_f32 v91, v91, v93
	s_delay_alu instid0(VALU_DEP_1) | instskip(NEXT) | instid1(VALU_DEP_1)
	v_mul_f32_e32 v99, v96, v98
	v_fma_f32 v95, v98, v96, -v99
	s_delay_alu instid0(VALU_DEP_1) | instskip(NEXT) | instid1(VALU_DEP_1)
	v_fmac_f32_e32 v95, v98, v94
	v_add_f32_e32 v100, v99, v95
	s_delay_alu instid0(VALU_DEP_1) | instskip(NEXT) | instid1(VALU_DEP_1)
	v_sub_f32_e32 v101, v97, v100
	v_sub_f32_e32 v97, v97, v101
	;; [unrolled: 1-line block ×3, first 2 shown]
	s_delay_alu instid0(VALU_DEP_2) | instskip(NEXT) | instid1(VALU_DEP_2)
	v_sub_f32_e32 v97, v97, v100
	v_sub_f32_e32 v93, v93, v95
	s_delay_alu instid0(VALU_DEP_2) | instskip(NEXT) | instid1(VALU_DEP_1)
	v_add_f32_e32 v91, v91, v97
	v_add_f32_e32 v91, v93, v91
	s_delay_alu instid0(VALU_DEP_1) | instskip(NEXT) | instid1(VALU_DEP_1)
	v_add_f32_e32 v93, v101, v91
	v_mul_f32_e32 v95, v92, v93
	s_delay_alu instid0(VALU_DEP_1) | instskip(NEXT) | instid1(VALU_DEP_1)
	v_dual_sub_f32 v100, v101, v93 :: v_dual_mul_f32 v97, v96, v95
	v_add_f32_e32 v91, v91, v100
	s_delay_alu instid0(VALU_DEP_2) | instskip(NEXT) | instid1(VALU_DEP_1)
	v_fma_f32 v96, v95, v96, -v97
	v_fmac_f32_e32 v96, v95, v94
	s_delay_alu instid0(VALU_DEP_1) | instskip(NEXT) | instid1(VALU_DEP_1)
	v_add_f32_e32 v94, v97, v96
	v_sub_f32_e32 v99, v93, v94
	v_sub_f32_e32 v97, v94, v97
	s_delay_alu instid0(VALU_DEP_2) | instskip(NEXT) | instid1(VALU_DEP_1)
	v_sub_f32_e32 v93, v93, v99
	v_sub_f32_e32 v93, v93, v94
	s_delay_alu instid0(VALU_DEP_1) | instskip(SKIP_1) | instid1(VALU_DEP_1)
	v_dual_sub_f32 v94, v97, v96 :: v_dual_add_f32 v91, v91, v93
	v_add_f32_e32 v93, v98, v95
	v_dual_add_f32 v91, v94, v91 :: v_dual_sub_f32 v94, v93, v98
	s_delay_alu instid0(VALU_DEP_1) | instskip(NEXT) | instid1(VALU_DEP_1)
	v_add_f32_e32 v91, v99, v91
	v_dual_sub_f32 v94, v95, v94 :: v_dual_mul_f32 v91, v92, v91
	s_delay_alu instid0(VALU_DEP_1) | instskip(NEXT) | instid1(VALU_DEP_1)
	v_add_f32_e32 v91, v94, v91
	v_add_f32_e32 v92, v93, v91
	s_delay_alu instid0(VALU_DEP_1) | instskip(NEXT) | instid1(VALU_DEP_1)
	v_mul_f32_e32 v94, v92, v92
	v_fmaak_f32 v95, s83, v94, 0x3ecc95a3
	v_mul_f32_e32 v96, v92, v94
	s_delay_alu instid0(VALU_DEP_2) | instskip(SKIP_2) | instid1(VALU_DEP_3)
	v_fmaak_f32 v94, v94, v95, 0x3f2aaada
	v_ldexp_f32 v95, v92, 1
	v_sub_f32_e32 v92, v92, v93
	v_mul_f32_e32 v94, v96, v94
	s_delay_alu instid0(VALU_DEP_2) | instskip(NEXT) | instid1(VALU_DEP_2)
	v_dual_mul_f32 v96, 0x3f317218, v90 :: v_dual_sub_f32 v91, v91, v92
	v_add_f32_e32 v93, v95, v94
	s_delay_alu instid0(VALU_DEP_2) | instskip(NEXT) | instid1(VALU_DEP_2)
	v_ldexp_f32 v91, v91, 1
	v_sub_f32_e32 v92, v93, v95
	s_delay_alu instid0(VALU_DEP_4) | instskip(NEXT) | instid1(VALU_DEP_1)
	v_fma_f32 v95, 0x3f317218, v90, -v96
	v_dual_sub_f32 v92, v94, v92 :: v_dual_fmac_f32 v95, 0xb102e308, v90
	s_delay_alu instid0(VALU_DEP_1) | instskip(NEXT) | instid1(VALU_DEP_1)
	v_dual_add_f32 v90, v91, v92 :: v_dual_add_f32 v91, v96, v95
	v_add_f32_e32 v92, v93, v90
	s_delay_alu instid0(VALU_DEP_2) | instskip(NEXT) | instid1(VALU_DEP_2)
	v_sub_f32_e32 v96, v91, v96
	v_dual_add_f32 v94, v91, v92 :: v_dual_sub_f32 v93, v92, v93
	s_delay_alu instid0(VALU_DEP_2) | instskip(NEXT) | instid1(VALU_DEP_2)
	v_sub_f32_e32 v95, v95, v96
	v_sub_f32_e32 v97, v94, v91
	s_delay_alu instid0(VALU_DEP_3) | instskip(NEXT) | instid1(VALU_DEP_2)
	v_sub_f32_e32 v90, v90, v93
	v_sub_f32_e32 v98, v94, v97
	s_delay_alu instid0(VALU_DEP_2) | instskip(NEXT) | instid1(VALU_DEP_2)
	v_dual_sub_f32 v92, v92, v97 :: v_dual_add_f32 v93, v95, v90
	v_sub_f32_e32 v91, v91, v98
	s_delay_alu instid0(VALU_DEP_1) | instskip(NEXT) | instid1(VALU_DEP_3)
	v_add_f32_e32 v91, v92, v91
	v_sub_f32_e32 v92, v93, v95
	s_delay_alu instid0(VALU_DEP_2) | instskip(NEXT) | instid1(VALU_DEP_2)
	v_add_f32_e32 v91, v93, v91
	v_sub_f32_e32 v93, v93, v92
	v_sub_f32_e32 v90, v90, v92
	s_delay_alu instid0(VALU_DEP_2) | instskip(NEXT) | instid1(VALU_DEP_1)
	v_dual_add_f32 v96, v94, v91 :: v_dual_sub_f32 v93, v95, v93
	v_sub_f32_e32 v92, v96, v94
	s_delay_alu instid0(VALU_DEP_1) | instskip(NEXT) | instid1(VALU_DEP_1)
	v_dual_add_f32 v90, v90, v93 :: v_dual_sub_f32 v91, v91, v92
	v_add_f32_e32 v90, v90, v91
	s_delay_alu instid0(VALU_DEP_1) | instskip(NEXT) | instid1(VALU_DEP_1)
	v_add_f32_e32 v90, v96, v90
	v_cndmask_b32_e32 v90, v90, v17, vcc_lo
.LBB114_76:                             ;   in Loop: Header=BB114_12 Depth=1
	s_or_b32 exec_lo, exec_lo, s29
	v_lshrrev_b32_e32 v12, 16, v12
	s_delay_alu instid0(VALU_DEP_1) | instskip(NEXT) | instid1(VALU_DEP_1)
	v_cvt_f32_f16_e32 v12, v12
	v_add_f32_e32 v91, s66, v12
	s_delay_alu instid0(VALU_DEP_1) | instskip(SKIP_1) | instid1(SALU_CYCLE_1)
	v_cmp_ge_f32_e32 vcc_lo, 0x41a00000, v91
	s_and_b32 s28, s79, vcc_lo
	s_and_saveexec_b32 s29, s28
	s_cbranch_execz .LBB114_78
; %bb.77:                               ;   in Loop: Header=BB114_12 Depth=1
	v_mul_f32_e32 v12, 0x3fb8aa3b, v91
	v_cmp_ngt_f32_e32 vcc_lo, 0xc2ce8ed0, v91
	s_delay_alu instid0(VALU_DEP_2) | instskip(SKIP_1) | instid1(VALU_DEP_2)
	v_rndne_f32_e32 v17, v12
	v_fma_f32 v92, 0x3fb8aa3b, v91, -v12
	v_sub_f32_e32 v12, v12, v17
	s_delay_alu instid0(VALU_DEP_2) | instskip(SKIP_1) | instid1(VALU_DEP_2)
	v_fmac_f32_e32 v92, 0x32a5705f, v91
	v_cvt_i32_f32_e32 v17, v17
	v_add_f32_e32 v12, v12, v92
	s_delay_alu instid0(VALU_DEP_1) | instskip(SKIP_2) | instid1(VALU_DEP_1)
	v_exp_f32_e32 v12, v12
	s_waitcnt_depctr 0xfff
	v_ldexp_f32 v12, v12, v17
	v_cndmask_b32_e32 v12, 0, v12, vcc_lo
	v_cmp_nlt_f32_e32 vcc_lo, 0x42b17218, v91
	s_delay_alu instid0(VALU_DEP_2) | instskip(NEXT) | instid1(VALU_DEP_1)
	v_cndmask_b32_e32 v12, 0x7f800000, v12, vcc_lo
	v_add_f32_e32 v17, 1.0, v12
	s_delay_alu instid0(VALU_DEP_1) | instskip(NEXT) | instid1(VALU_DEP_1)
	v_cvt_f64_f32_e32 v[91:92], v17
	v_frexp_exp_i32_f64_e32 v91, v[91:92]
	v_frexp_mant_f32_e32 v92, v17
	s_delay_alu instid0(VALU_DEP_1) | instskip(SKIP_1) | instid1(VALU_DEP_1)
	v_cmp_gt_f32_e32 vcc_lo, 0x3f2aaaab, v92
	v_add_f32_e32 v92, -1.0, v17
	v_sub_f32_e32 v94, v92, v17
	v_sub_f32_e32 v92, v12, v92
	s_delay_alu instid0(VALU_DEP_2) | instskip(NEXT) | instid1(VALU_DEP_1)
	v_add_f32_e32 v94, 1.0, v94
	v_add_f32_e32 v92, v92, v94
	v_subrev_co_ci_u32_e32 v91, vcc_lo, 0, v91, vcc_lo
	s_delay_alu instid0(VALU_DEP_1) | instskip(SKIP_1) | instid1(VALU_DEP_2)
	v_sub_nc_u32_e32 v93, 0, v91
	v_cvt_f32_i32_e32 v91, v91
	v_ldexp_f32 v17, v17, v93
	v_ldexp_f32 v92, v92, v93
	s_delay_alu instid0(VALU_DEP_2) | instskip(NEXT) | instid1(VALU_DEP_1)
	v_add_f32_e32 v95, 1.0, v17
	v_dual_add_f32 v93, -1.0, v17 :: v_dual_add_f32 v94, -1.0, v95
	s_delay_alu instid0(VALU_DEP_1) | instskip(NEXT) | instid1(VALU_DEP_2)
	v_add_f32_e32 v96, 1.0, v93
	v_sub_f32_e32 v94, v17, v94
	s_delay_alu instid0(VALU_DEP_2) | instskip(NEXT) | instid1(VALU_DEP_1)
	v_sub_f32_e32 v17, v17, v96
	v_add_f32_e32 v17, v92, v17
	s_delay_alu instid0(VALU_DEP_1) | instskip(SKIP_2) | instid1(VALU_DEP_3)
	v_add_f32_e32 v97, v93, v17
	v_cmp_eq_f32_e32 vcc_lo, 0x7f800000, v12
	v_cmp_gt_f32_e64 s28, 0x33800000, v12
	v_dual_sub_f32 v93, v93, v97 :: v_dual_add_f32 v94, v92, v94
	s_delay_alu instid0(VALU_DEP_2) | instskip(NEXT) | instid1(VALU_DEP_1)
	s_or_b32 vcc_lo, s28, vcc_lo
	v_dual_add_f32 v17, v17, v93 :: v_dual_add_f32 v96, v95, v94
	s_delay_alu instid0(VALU_DEP_1) | instskip(SKIP_1) | instid1(VALU_DEP_1)
	v_rcp_f32_e32 v92, v96
	v_sub_f32_e32 v95, v95, v96
	v_add_f32_e32 v94, v94, v95
	s_waitcnt_depctr 0xfff
	v_mul_f32_e32 v98, v97, v92
	s_delay_alu instid0(VALU_DEP_1) | instskip(NEXT) | instid1(VALU_DEP_1)
	v_mul_f32_e32 v99, v96, v98
	v_fma_f32 v95, v98, v96, -v99
	s_delay_alu instid0(VALU_DEP_1) | instskip(NEXT) | instid1(VALU_DEP_1)
	v_fmac_f32_e32 v95, v98, v94
	v_add_f32_e32 v100, v99, v95
	s_delay_alu instid0(VALU_DEP_1) | instskip(SKIP_1) | instid1(VALU_DEP_2)
	v_sub_f32_e32 v101, v97, v100
	v_sub_f32_e32 v93, v100, v99
	v_sub_f32_e32 v97, v97, v101
	s_delay_alu instid0(VALU_DEP_2) | instskip(NEXT) | instid1(VALU_DEP_2)
	v_sub_f32_e32 v93, v93, v95
	v_sub_f32_e32 v97, v97, v100
	s_delay_alu instid0(VALU_DEP_1) | instskip(NEXT) | instid1(VALU_DEP_1)
	v_add_f32_e32 v17, v17, v97
	v_add_f32_e32 v17, v93, v17
	s_delay_alu instid0(VALU_DEP_1) | instskip(NEXT) | instid1(VALU_DEP_1)
	v_add_f32_e32 v93, v101, v17
	v_mul_f32_e32 v95, v92, v93
	s_delay_alu instid0(VALU_DEP_1) | instskip(NEXT) | instid1(VALU_DEP_1)
	v_mul_f32_e32 v97, v96, v95
	v_fma_f32 v96, v95, v96, -v97
	s_delay_alu instid0(VALU_DEP_1) | instskip(SKIP_1) | instid1(VALU_DEP_2)
	v_fmac_f32_e32 v96, v95, v94
	v_sub_f32_e32 v100, v101, v93
	v_add_f32_e32 v94, v97, v96
	s_delay_alu instid0(VALU_DEP_2) | instskip(NEXT) | instid1(VALU_DEP_2)
	v_add_f32_e32 v17, v17, v100
	v_sub_f32_e32 v99, v93, v94
	s_delay_alu instid0(VALU_DEP_1) | instskip(NEXT) | instid1(VALU_DEP_1)
	v_sub_f32_e32 v93, v93, v99
	v_sub_f32_e32 v93, v93, v94
	s_delay_alu instid0(VALU_DEP_1) | instskip(SKIP_2) | instid1(VALU_DEP_1)
	v_add_f32_e32 v17, v17, v93
	v_add_f32_e32 v93, v98, v95
	v_sub_f32_e32 v97, v94, v97
	v_sub_f32_e32 v94, v97, v96
	s_delay_alu instid0(VALU_DEP_1) | instskip(NEXT) | instid1(VALU_DEP_1)
	v_dual_add_f32 v17, v94, v17 :: v_dual_sub_f32 v94, v93, v98
	v_add_f32_e32 v17, v99, v17
	s_delay_alu instid0(VALU_DEP_1) | instskip(NEXT) | instid1(VALU_DEP_1)
	v_dual_sub_f32 v94, v95, v94 :: v_dual_mul_f32 v17, v92, v17
	v_add_f32_e32 v17, v94, v17
	s_delay_alu instid0(VALU_DEP_1) | instskip(NEXT) | instid1(VALU_DEP_1)
	v_add_f32_e32 v92, v93, v17
	v_mul_f32_e32 v94, v92, v92
	s_delay_alu instid0(VALU_DEP_1) | instskip(SKIP_1) | instid1(VALU_DEP_2)
	v_fmaak_f32 v95, s83, v94, 0x3ecc95a3
	v_mul_f32_e32 v96, v92, v94
	v_fmaak_f32 v94, v94, v95, 0x3f2aaada
	v_ldexp_f32 v95, v92, 1
	s_delay_alu instid0(VALU_DEP_2) | instskip(SKIP_1) | instid1(VALU_DEP_2)
	v_mul_f32_e32 v94, v96, v94
	v_sub_f32_e32 v92, v92, v93
	v_dual_mul_f32 v96, 0x3f317218, v91 :: v_dual_add_f32 v93, v95, v94
	s_delay_alu instid0(VALU_DEP_2) | instskip(NEXT) | instid1(VALU_DEP_2)
	v_sub_f32_e32 v17, v17, v92
	v_sub_f32_e32 v92, v93, v95
	s_delay_alu instid0(VALU_DEP_3) | instskip(NEXT) | instid1(VALU_DEP_3)
	v_fma_f32 v95, 0x3f317218, v91, -v96
	v_ldexp_f32 v17, v17, 1
	s_delay_alu instid0(VALU_DEP_2) | instskip(NEXT) | instid1(VALU_DEP_1)
	v_dual_sub_f32 v92, v94, v92 :: v_dual_fmac_f32 v95, 0xb102e308, v91
	v_add_f32_e32 v17, v17, v92
	s_delay_alu instid0(VALU_DEP_1) | instskip(NEXT) | instid1(VALU_DEP_1)
	v_dual_add_f32 v91, v96, v95 :: v_dual_add_f32 v92, v93, v17
	v_sub_f32_e32 v96, v91, v96
	s_delay_alu instid0(VALU_DEP_2) | instskip(NEXT) | instid1(VALU_DEP_2)
	v_dual_add_f32 v94, v91, v92 :: v_dual_sub_f32 v93, v92, v93
	v_sub_f32_e32 v95, v95, v96
	s_delay_alu instid0(VALU_DEP_2) | instskip(NEXT) | instid1(VALU_DEP_1)
	v_sub_f32_e32 v97, v94, v91
	v_sub_f32_e32 v98, v94, v97
	;; [unrolled: 1-line block ×4, first 2 shown]
	s_delay_alu instid0(VALU_DEP_1) | instskip(NEXT) | instid1(VALU_DEP_4)
	v_add_f32_e32 v93, v95, v17
	v_sub_f32_e32 v91, v91, v98
	s_delay_alu instid0(VALU_DEP_1) | instskip(NEXT) | instid1(VALU_DEP_3)
	v_add_f32_e32 v91, v92, v91
	v_sub_f32_e32 v92, v93, v95
	s_delay_alu instid0(VALU_DEP_2) | instskip(NEXT) | instid1(VALU_DEP_2)
	v_add_f32_e32 v91, v93, v91
	v_sub_f32_e32 v93, v93, v92
	s_delay_alu instid0(VALU_DEP_2) | instskip(NEXT) | instid1(VALU_DEP_1)
	v_dual_sub_f32 v17, v17, v92 :: v_dual_add_f32 v96, v94, v91
	v_dual_sub_f32 v92, v96, v94 :: v_dual_sub_f32 v93, v95, v93
	s_delay_alu instid0(VALU_DEP_1) | instskip(NEXT) | instid1(VALU_DEP_2)
	v_sub_f32_e32 v91, v91, v92
	v_add_f32_e32 v17, v17, v93
	s_delay_alu instid0(VALU_DEP_1) | instskip(NEXT) | instid1(VALU_DEP_1)
	v_add_f32_e32 v17, v17, v91
	v_add_f32_e32 v17, v96, v17
	s_delay_alu instid0(VALU_DEP_1)
	v_cndmask_b32_e32 v91, v17, v12, vcc_lo
.LBB114_78:                             ;   in Loop: Header=BB114_12 Depth=1
	s_or_b32 exec_lo, exec_lo, s29
	v_cvt_f32_f16_e32 v12, v13
	s_delay_alu instid0(VALU_DEP_1) | instskip(NEXT) | instid1(VALU_DEP_1)
	v_add_f32_e32 v92, s66, v12
	v_cmp_ge_f32_e32 vcc_lo, 0x41a00000, v92
	s_and_b32 s28, s79, vcc_lo
	s_delay_alu instid0(SALU_CYCLE_1)
	s_and_saveexec_b32 s29, s28
	s_cbranch_execz .LBB114_80
; %bb.79:                               ;   in Loop: Header=BB114_12 Depth=1
	v_mul_f32_e32 v12, 0x3fb8aa3b, v92
	v_cmp_ngt_f32_e32 vcc_lo, 0xc2ce8ed0, v92
	s_delay_alu instid0(VALU_DEP_2) | instskip(SKIP_1) | instid1(VALU_DEP_1)
	v_rndne_f32_e32 v17, v12
	v_fma_f32 v93, 0x3fb8aa3b, v92, -v12
	v_dual_sub_f32 v12, v12, v17 :: v_dual_fmac_f32 v93, 0x32a5705f, v92
	v_cvt_i32_f32_e32 v17, v17
	s_delay_alu instid0(VALU_DEP_2) | instskip(NEXT) | instid1(VALU_DEP_1)
	v_add_f32_e32 v12, v12, v93
	v_exp_f32_e32 v12, v12
	s_waitcnt_depctr 0xfff
	v_ldexp_f32 v12, v12, v17
	s_delay_alu instid0(VALU_DEP_1) | instskip(SKIP_1) | instid1(VALU_DEP_2)
	v_cndmask_b32_e32 v12, 0, v12, vcc_lo
	v_cmp_nlt_f32_e32 vcc_lo, 0x42b17218, v92
	v_cndmask_b32_e32 v12, 0x7f800000, v12, vcc_lo
	s_delay_alu instid0(VALU_DEP_1) | instskip(NEXT) | instid1(VALU_DEP_1)
	v_add_f32_e32 v17, 1.0, v12
	v_cvt_f64_f32_e32 v[92:93], v17
	s_delay_alu instid0(VALU_DEP_1) | instskip(SKIP_1) | instid1(VALU_DEP_1)
	v_frexp_exp_i32_f64_e32 v92, v[92:93]
	v_frexp_mant_f32_e32 v93, v17
	v_cmp_gt_f32_e32 vcc_lo, 0x3f2aaaab, v93
	v_add_f32_e32 v93, -1.0, v17
	s_delay_alu instid0(VALU_DEP_1) | instskip(SKIP_1) | instid1(VALU_DEP_2)
	v_sub_f32_e32 v95, v93, v17
	v_sub_f32_e32 v93, v12, v93
	v_add_f32_e32 v95, 1.0, v95
	s_delay_alu instid0(VALU_DEP_1) | instskip(SKIP_3) | instid1(VALU_DEP_2)
	v_add_f32_e32 v93, v93, v95
	v_cmp_gt_f32_e64 s28, 0x33800000, v12
	v_subrev_co_ci_u32_e32 v92, vcc_lo, 0, v92, vcc_lo
	v_cmp_eq_f32_e32 vcc_lo, 0x7f800000, v12
	v_sub_nc_u32_e32 v94, 0, v92
	v_cvt_f32_i32_e32 v92, v92
	s_or_b32 vcc_lo, s28, vcc_lo
	s_delay_alu instid0(VALU_DEP_2) | instskip(SKIP_1) | instid1(VALU_DEP_2)
	v_ldexp_f32 v17, v17, v94
	v_ldexp_f32 v93, v93, v94
	v_add_f32_e32 v96, 1.0, v17
	s_delay_alu instid0(VALU_DEP_1) | instskip(NEXT) | instid1(VALU_DEP_1)
	v_dual_add_f32 v94, -1.0, v17 :: v_dual_add_f32 v95, -1.0, v96
	v_add_f32_e32 v97, 1.0, v94
	s_delay_alu instid0(VALU_DEP_2) | instskip(NEXT) | instid1(VALU_DEP_2)
	v_sub_f32_e32 v95, v17, v95
	v_sub_f32_e32 v17, v17, v97
	s_delay_alu instid0(VALU_DEP_1) | instskip(NEXT) | instid1(VALU_DEP_1)
	v_add_f32_e32 v17, v93, v17
	v_dual_add_f32 v98, v94, v17 :: v_dual_add_f32 v95, v93, v95
	s_delay_alu instid0(VALU_DEP_1) | instskip(NEXT) | instid1(VALU_DEP_1)
	v_dual_sub_f32 v94, v94, v98 :: v_dual_add_f32 v97, v96, v95
	v_rcp_f32_e32 v93, v97
	v_sub_f32_e32 v96, v96, v97
	s_delay_alu instid0(VALU_DEP_1) | instskip(SKIP_2) | instid1(VALU_DEP_1)
	v_add_f32_e32 v95, v95, v96
	s_waitcnt_depctr 0xfff
	v_mul_f32_e32 v99, v98, v93
	v_mul_f32_e32 v100, v97, v99
	s_delay_alu instid0(VALU_DEP_1) | instskip(NEXT) | instid1(VALU_DEP_1)
	v_fma_f32 v96, v99, v97, -v100
	v_fmac_f32_e32 v96, v99, v95
	s_delay_alu instid0(VALU_DEP_1) | instskip(NEXT) | instid1(VALU_DEP_1)
	v_add_f32_e32 v101, v100, v96
	v_sub_f32_e32 v102, v98, v101
	s_delay_alu instid0(VALU_DEP_1) | instskip(SKIP_2) | instid1(VALU_DEP_3)
	v_sub_f32_e32 v98, v98, v102
	v_add_f32_e32 v17, v17, v94
	v_sub_f32_e32 v94, v101, v100
	v_sub_f32_e32 v98, v98, v101
	s_delay_alu instid0(VALU_DEP_1) | instskip(NEXT) | instid1(VALU_DEP_1)
	v_dual_sub_f32 v94, v94, v96 :: v_dual_add_f32 v17, v17, v98
	v_add_f32_e32 v17, v94, v17
	s_delay_alu instid0(VALU_DEP_1) | instskip(NEXT) | instid1(VALU_DEP_1)
	v_add_f32_e32 v94, v102, v17
	v_mul_f32_e32 v96, v93, v94
	s_delay_alu instid0(VALU_DEP_1) | instskip(NEXT) | instid1(VALU_DEP_1)
	v_dual_sub_f32 v101, v102, v94 :: v_dual_mul_f32 v98, v97, v96
	v_add_f32_e32 v17, v17, v101
	s_delay_alu instid0(VALU_DEP_2) | instskip(NEXT) | instid1(VALU_DEP_1)
	v_fma_f32 v97, v96, v97, -v98
	v_fmac_f32_e32 v97, v96, v95
	s_delay_alu instid0(VALU_DEP_1) | instskip(NEXT) | instid1(VALU_DEP_1)
	v_add_f32_e32 v95, v98, v97
	v_sub_f32_e32 v100, v94, v95
	s_delay_alu instid0(VALU_DEP_1) | instskip(NEXT) | instid1(VALU_DEP_1)
	v_sub_f32_e32 v94, v94, v100
	v_sub_f32_e32 v94, v94, v95
	s_delay_alu instid0(VALU_DEP_1) | instskip(SKIP_1) | instid1(VALU_DEP_1)
	v_dual_add_f32 v17, v17, v94 :: v_dual_add_f32 v94, v99, v96
	v_sub_f32_e32 v98, v95, v98
	v_sub_f32_e32 v95, v98, v97
	s_delay_alu instid0(VALU_DEP_1) | instskip(NEXT) | instid1(VALU_DEP_4)
	v_add_f32_e32 v17, v95, v17
	v_sub_f32_e32 v95, v94, v99
	s_delay_alu instid0(VALU_DEP_2) | instskip(NEXT) | instid1(VALU_DEP_2)
	v_add_f32_e32 v17, v100, v17
	v_sub_f32_e32 v95, v96, v95
	s_delay_alu instid0(VALU_DEP_2) | instskip(NEXT) | instid1(VALU_DEP_1)
	v_mul_f32_e32 v17, v93, v17
	v_add_f32_e32 v17, v95, v17
	s_delay_alu instid0(VALU_DEP_1) | instskip(NEXT) | instid1(VALU_DEP_1)
	v_add_f32_e32 v93, v94, v17
	v_mul_f32_e32 v95, v93, v93
	s_delay_alu instid0(VALU_DEP_1) | instskip(SKIP_1) | instid1(VALU_DEP_2)
	v_fmaak_f32 v96, s83, v95, 0x3ecc95a3
	v_mul_f32_e32 v97, v93, v95
	v_fmaak_f32 v95, v95, v96, 0x3f2aaada
	v_ldexp_f32 v96, v93, 1
	v_sub_f32_e32 v93, v93, v94
	s_delay_alu instid0(VALU_DEP_3) | instskip(SKIP_1) | instid1(VALU_DEP_2)
	v_mul_f32_e32 v95, v97, v95
	v_mul_f32_e32 v97, 0x3f317218, v92
	v_dual_sub_f32 v17, v17, v93 :: v_dual_add_f32 v94, v96, v95
	s_delay_alu instid0(VALU_DEP_1) | instskip(NEXT) | instid1(VALU_DEP_2)
	v_ldexp_f32 v17, v17, 1
	v_sub_f32_e32 v93, v94, v96
	s_delay_alu instid0(VALU_DEP_4) | instskip(NEXT) | instid1(VALU_DEP_1)
	v_fma_f32 v96, 0x3f317218, v92, -v97
	v_dual_sub_f32 v93, v95, v93 :: v_dual_fmac_f32 v96, 0xb102e308, v92
	s_delay_alu instid0(VALU_DEP_1) | instskip(NEXT) | instid1(VALU_DEP_1)
	v_add_f32_e32 v17, v17, v93
	v_dual_add_f32 v92, v97, v96 :: v_dual_add_f32 v93, v94, v17
	s_delay_alu instid0(VALU_DEP_1) | instskip(NEXT) | instid1(VALU_DEP_2)
	v_sub_f32_e32 v97, v92, v97
	v_dual_add_f32 v95, v92, v93 :: v_dual_sub_f32 v94, v93, v94
	s_delay_alu instid0(VALU_DEP_2) | instskip(NEXT) | instid1(VALU_DEP_2)
	v_sub_f32_e32 v96, v96, v97
	v_dual_sub_f32 v98, v95, v92 :: v_dual_sub_f32 v17, v17, v94
	s_delay_alu instid0(VALU_DEP_1) | instskip(NEXT) | instid1(VALU_DEP_2)
	v_sub_f32_e32 v99, v95, v98
	v_dual_sub_f32 v93, v93, v98 :: v_dual_add_f32 v94, v96, v17
	s_delay_alu instid0(VALU_DEP_2) | instskip(NEXT) | instid1(VALU_DEP_1)
	v_sub_f32_e32 v92, v92, v99
	v_add_f32_e32 v92, v93, v92
	s_delay_alu instid0(VALU_DEP_3) | instskip(NEXT) | instid1(VALU_DEP_2)
	v_sub_f32_e32 v93, v94, v96
	v_add_f32_e32 v92, v94, v92
	s_delay_alu instid0(VALU_DEP_2) | instskip(SKIP_1) | instid1(VALU_DEP_2)
	v_sub_f32_e32 v94, v94, v93
	v_sub_f32_e32 v17, v17, v93
	v_dual_add_f32 v97, v95, v92 :: v_dual_sub_f32 v94, v96, v94
	s_delay_alu instid0(VALU_DEP_1) | instskip(NEXT) | instid1(VALU_DEP_1)
	v_sub_f32_e32 v93, v97, v95
	v_dual_add_f32 v17, v17, v94 :: v_dual_sub_f32 v92, v92, v93
	s_delay_alu instid0(VALU_DEP_1) | instskip(NEXT) | instid1(VALU_DEP_1)
	v_add_f32_e32 v17, v17, v92
	v_add_f32_e32 v17, v97, v17
	s_delay_alu instid0(VALU_DEP_1)
	v_cndmask_b32_e32 v92, v17, v12, vcc_lo
.LBB114_80:                             ;   in Loop: Header=BB114_12 Depth=1
	s_or_b32 exec_lo, exec_lo, s29
	v_lshrrev_b32_e32 v12, 16, v13
	s_delay_alu instid0(VALU_DEP_1) | instskip(NEXT) | instid1(VALU_DEP_1)
	v_cvt_f32_f16_e32 v12, v12
	v_add_f32_e32 v93, s66, v12
	s_delay_alu instid0(VALU_DEP_1) | instskip(SKIP_1) | instid1(SALU_CYCLE_1)
	v_cmp_ge_f32_e32 vcc_lo, 0x41a00000, v93
	s_and_b32 s28, s79, vcc_lo
	s_and_saveexec_b32 s29, s28
	s_cbranch_execz .LBB114_82
; %bb.81:                               ;   in Loop: Header=BB114_12 Depth=1
	v_mul_f32_e32 v12, 0x3fb8aa3b, v93
	v_cmp_ngt_f32_e32 vcc_lo, 0xc2ce8ed0, v93
	s_delay_alu instid0(VALU_DEP_2) | instskip(SKIP_1) | instid1(VALU_DEP_2)
	v_rndne_f32_e32 v13, v12
	v_fma_f32 v17, 0x3fb8aa3b, v93, -v12
	v_sub_f32_e32 v12, v12, v13
	s_delay_alu instid0(VALU_DEP_2) | instskip(SKIP_1) | instid1(VALU_DEP_2)
	v_fmac_f32_e32 v17, 0x32a5705f, v93
	v_cvt_i32_f32_e32 v13, v13
	v_add_f32_e32 v12, v12, v17
	s_delay_alu instid0(VALU_DEP_1) | instskip(SKIP_2) | instid1(VALU_DEP_1)
	v_exp_f32_e32 v12, v12
	s_waitcnt_depctr 0xfff
	v_ldexp_f32 v12, v12, v13
	v_cndmask_b32_e32 v12, 0, v12, vcc_lo
	v_cmp_nlt_f32_e32 vcc_lo, 0x42b17218, v93
	s_delay_alu instid0(VALU_DEP_2) | instskip(NEXT) | instid1(VALU_DEP_1)
	v_cndmask_b32_e32 v17, 0x7f800000, v12, vcc_lo
	v_add_f32_e32 v93, 1.0, v17
	s_delay_alu instid0(VALU_DEP_1) | instskip(NEXT) | instid1(VALU_DEP_1)
	v_cvt_f64_f32_e32 v[12:13], v93
	v_frexp_exp_i32_f64_e32 v12, v[12:13]
	v_frexp_mant_f32_e32 v13, v93
	s_delay_alu instid0(VALU_DEP_1) | instskip(SKIP_1) | instid1(VALU_DEP_1)
	v_cmp_gt_f32_e32 vcc_lo, 0x3f2aaaab, v13
	v_add_f32_e32 v13, -1.0, v93
	v_sub_f32_e32 v95, v13, v93
	s_delay_alu instid0(VALU_DEP_1) | instskip(SKIP_1) | instid1(VALU_DEP_1)
	v_add_f32_e32 v95, 1.0, v95
	v_subrev_co_ci_u32_e32 v12, vcc_lo, 0, v12, vcc_lo
	v_sub_nc_u32_e32 v94, 0, v12
	v_cvt_f32_i32_e32 v12, v12
	s_delay_alu instid0(VALU_DEP_2) | instskip(NEXT) | instid1(VALU_DEP_1)
	v_ldexp_f32 v93, v93, v94
	v_add_f32_e32 v96, 1.0, v93
	v_sub_f32_e32 v13, v17, v13
	v_cmp_eq_f32_e32 vcc_lo, 0x7f800000, v17
	v_cmp_gt_f32_e64 s28, 0x33800000, v17
	s_delay_alu instid0(VALU_DEP_3) | instskip(SKIP_1) | instid1(VALU_DEP_3)
	v_add_f32_e32 v13, v13, v95
	v_add_f32_e32 v95, -1.0, v96
	s_or_b32 vcc_lo, s28, vcc_lo
	s_delay_alu instid0(VALU_DEP_2) | instskip(NEXT) | instid1(VALU_DEP_2)
	v_ldexp_f32 v13, v13, v94
	v_dual_add_f32 v94, -1.0, v93 :: v_dual_sub_f32 v95, v93, v95
	s_delay_alu instid0(VALU_DEP_1) | instskip(NEXT) | instid1(VALU_DEP_2)
	v_add_f32_e32 v97, 1.0, v94
	v_add_f32_e32 v95, v13, v95
	s_delay_alu instid0(VALU_DEP_2) | instskip(NEXT) | instid1(VALU_DEP_1)
	v_sub_f32_e32 v93, v93, v97
	v_add_f32_e32 v13, v13, v93
	s_delay_alu instid0(VALU_DEP_1) | instskip(NEXT) | instid1(VALU_DEP_1)
	v_dual_add_f32 v98, v94, v13 :: v_dual_add_f32 v97, v96, v95
	v_sub_f32_e32 v94, v94, v98
	s_delay_alu instid0(VALU_DEP_2) | instskip(NEXT) | instid1(VALU_DEP_1)
	v_rcp_f32_e32 v93, v97
	v_dual_sub_f32 v96, v96, v97 :: v_dual_add_f32 v13, v13, v94
	s_delay_alu instid0(VALU_DEP_1) | instskip(SKIP_2) | instid1(VALU_DEP_1)
	v_add_f32_e32 v95, v95, v96
	s_waitcnt_depctr 0xfff
	v_mul_f32_e32 v99, v98, v93
	v_mul_f32_e32 v100, v97, v99
	s_delay_alu instid0(VALU_DEP_1) | instskip(NEXT) | instid1(VALU_DEP_1)
	v_fma_f32 v96, v99, v97, -v100
	v_fmac_f32_e32 v96, v99, v95
	s_delay_alu instid0(VALU_DEP_1) | instskip(NEXT) | instid1(VALU_DEP_1)
	v_add_f32_e32 v101, v100, v96
	v_sub_f32_e32 v102, v98, v101
	v_sub_f32_e32 v94, v101, v100
	s_delay_alu instid0(VALU_DEP_2) | instskip(NEXT) | instid1(VALU_DEP_2)
	v_sub_f32_e32 v98, v98, v102
	v_sub_f32_e32 v94, v94, v96
	s_delay_alu instid0(VALU_DEP_2) | instskip(NEXT) | instid1(VALU_DEP_1)
	v_sub_f32_e32 v98, v98, v101
	v_add_f32_e32 v13, v13, v98
	s_delay_alu instid0(VALU_DEP_1) | instskip(NEXT) | instid1(VALU_DEP_1)
	v_add_f32_e32 v13, v94, v13
	v_add_f32_e32 v94, v102, v13
	s_delay_alu instid0(VALU_DEP_1) | instskip(NEXT) | instid1(VALU_DEP_1)
	v_mul_f32_e32 v96, v93, v94
	v_dual_sub_f32 v101, v102, v94 :: v_dual_mul_f32 v98, v97, v96
	s_delay_alu instid0(VALU_DEP_1) | instskip(NEXT) | instid1(VALU_DEP_1)
	v_fma_f32 v97, v96, v97, -v98
	v_fmac_f32_e32 v97, v96, v95
	s_delay_alu instid0(VALU_DEP_1) | instskip(NEXT) | instid1(VALU_DEP_1)
	v_add_f32_e32 v95, v98, v97
	v_dual_add_f32 v13, v13, v101 :: v_dual_sub_f32 v100, v94, v95
	s_delay_alu instid0(VALU_DEP_1) | instskip(NEXT) | instid1(VALU_DEP_1)
	v_sub_f32_e32 v94, v94, v100
	v_sub_f32_e32 v94, v94, v95
	s_delay_alu instid0(VALU_DEP_1) | instskip(SKIP_1) | instid1(VALU_DEP_1)
	v_dual_add_f32 v13, v13, v94 :: v_dual_add_f32 v94, v99, v96
	v_sub_f32_e32 v98, v95, v98
	v_sub_f32_e32 v95, v98, v97
	s_delay_alu instid0(VALU_DEP_1) | instskip(NEXT) | instid1(VALU_DEP_4)
	v_add_f32_e32 v13, v95, v13
	v_sub_f32_e32 v95, v94, v99
	s_delay_alu instid0(VALU_DEP_2) | instskip(NEXT) | instid1(VALU_DEP_2)
	v_add_f32_e32 v13, v100, v13
	v_sub_f32_e32 v95, v96, v95
	s_delay_alu instid0(VALU_DEP_2) | instskip(NEXT) | instid1(VALU_DEP_1)
	v_mul_f32_e32 v13, v93, v13
	v_add_f32_e32 v13, v95, v13
	s_delay_alu instid0(VALU_DEP_1) | instskip(NEXT) | instid1(VALU_DEP_1)
	v_add_f32_e32 v93, v94, v13
	v_mul_f32_e32 v95, v93, v93
	s_delay_alu instid0(VALU_DEP_1) | instskip(SKIP_1) | instid1(VALU_DEP_2)
	v_fmaak_f32 v96, s83, v95, 0x3ecc95a3
	v_mul_f32_e32 v97, v93, v95
	v_fmaak_f32 v95, v95, v96, 0x3f2aaada
	v_ldexp_f32 v96, v93, 1
	v_sub_f32_e32 v93, v93, v94
	s_delay_alu instid0(VALU_DEP_3) | instskip(SKIP_1) | instid1(VALU_DEP_2)
	v_mul_f32_e32 v95, v97, v95
	v_mul_f32_e32 v97, 0x3f317218, v12
	v_dual_sub_f32 v13, v13, v93 :: v_dual_add_f32 v94, v96, v95
	s_delay_alu instid0(VALU_DEP_1) | instskip(NEXT) | instid1(VALU_DEP_2)
	v_ldexp_f32 v13, v13, 1
	v_sub_f32_e32 v93, v94, v96
	s_delay_alu instid0(VALU_DEP_4) | instskip(NEXT) | instid1(VALU_DEP_1)
	v_fma_f32 v96, 0x3f317218, v12, -v97
	v_dual_sub_f32 v93, v95, v93 :: v_dual_fmac_f32 v96, 0xb102e308, v12
	s_delay_alu instid0(VALU_DEP_1) | instskip(NEXT) | instid1(VALU_DEP_2)
	v_add_f32_e32 v12, v13, v93
	v_add_f32_e32 v13, v97, v96
	s_delay_alu instid0(VALU_DEP_2) | instskip(NEXT) | instid1(VALU_DEP_2)
	v_add_f32_e32 v93, v94, v12
	v_sub_f32_e32 v97, v13, v97
	s_delay_alu instid0(VALU_DEP_2) | instskip(SKIP_1) | instid1(VALU_DEP_3)
	v_add_f32_e32 v95, v13, v93
	v_sub_f32_e32 v94, v93, v94
	v_sub_f32_e32 v96, v96, v97
	s_delay_alu instid0(VALU_DEP_3) | instskip(NEXT) | instid1(VALU_DEP_3)
	v_sub_f32_e32 v98, v95, v13
	v_sub_f32_e32 v12, v12, v94
	s_delay_alu instid0(VALU_DEP_2) | instskip(NEXT) | instid1(VALU_DEP_2)
	v_sub_f32_e32 v99, v95, v98
	v_dual_sub_f32 v93, v93, v98 :: v_dual_add_f32 v94, v96, v12
	s_delay_alu instid0(VALU_DEP_2) | instskip(NEXT) | instid1(VALU_DEP_1)
	v_sub_f32_e32 v13, v13, v99
	v_add_f32_e32 v13, v93, v13
	s_delay_alu instid0(VALU_DEP_3) | instskip(NEXT) | instid1(VALU_DEP_2)
	v_sub_f32_e32 v93, v94, v96
	v_add_f32_e32 v13, v94, v13
	s_delay_alu instid0(VALU_DEP_2) | instskip(SKIP_1) | instid1(VALU_DEP_1)
	v_sub_f32_e32 v12, v12, v93
	v_sub_f32_e32 v94, v94, v93
	v_dual_add_f32 v97, v95, v13 :: v_dual_sub_f32 v94, v96, v94
	s_delay_alu instid0(VALU_DEP_1) | instskip(NEXT) | instid1(VALU_DEP_1)
	v_dual_sub_f32 v93, v97, v95 :: v_dual_add_f32 v12, v12, v94
	v_sub_f32_e32 v13, v13, v93
	s_delay_alu instid0(VALU_DEP_1) | instskip(NEXT) | instid1(VALU_DEP_1)
	v_add_f32_e32 v12, v12, v13
	v_add_f32_e32 v12, v97, v12
	s_delay_alu instid0(VALU_DEP_1)
	v_cndmask_b32_e32 v93, v12, v17, vcc_lo
.LBB114_82:                             ;   in Loop: Header=BB114_12 Depth=1
	s_or_b32 exec_lo, exec_lo, s29
	v_cvt_f32_f16_e32 v12, v14
	s_delay_alu instid0(VALU_DEP_1) | instskip(NEXT) | instid1(VALU_DEP_1)
	v_add_f32_e32 v94, s66, v12
	v_cmp_ge_f32_e32 vcc_lo, 0x41a00000, v94
	s_and_b32 s28, s79, vcc_lo
	s_delay_alu instid0(SALU_CYCLE_1)
	s_and_saveexec_b32 s29, s28
	s_cbranch_execz .LBB114_84
; %bb.83:                               ;   in Loop: Header=BB114_12 Depth=1
	v_mul_f32_e32 v12, 0x3fb8aa3b, v94
	v_cmp_ngt_f32_e32 vcc_lo, 0xc2ce8ed0, v94
	s_delay_alu instid0(VALU_DEP_2) | instskip(SKIP_1) | instid1(VALU_DEP_1)
	v_rndne_f32_e32 v13, v12
	v_fma_f32 v17, 0x3fb8aa3b, v94, -v12
	v_dual_sub_f32 v12, v12, v13 :: v_dual_fmac_f32 v17, 0x32a5705f, v94
	v_cvt_i32_f32_e32 v13, v13
	s_delay_alu instid0(VALU_DEP_2) | instskip(NEXT) | instid1(VALU_DEP_1)
	v_add_f32_e32 v12, v12, v17
	v_exp_f32_e32 v12, v12
	s_waitcnt_depctr 0xfff
	v_ldexp_f32 v12, v12, v13
	s_delay_alu instid0(VALU_DEP_1) | instskip(SKIP_1) | instid1(VALU_DEP_2)
	v_cndmask_b32_e32 v12, 0, v12, vcc_lo
	v_cmp_nlt_f32_e32 vcc_lo, 0x42b17218, v94
	v_cndmask_b32_e32 v17, 0x7f800000, v12, vcc_lo
	s_delay_alu instid0(VALU_DEP_1) | instskip(NEXT) | instid1(VALU_DEP_1)
	v_add_f32_e32 v94, 1.0, v17
	v_cvt_f64_f32_e32 v[12:13], v94
	s_delay_alu instid0(VALU_DEP_1) | instskip(SKIP_1) | instid1(VALU_DEP_1)
	v_frexp_exp_i32_f64_e32 v12, v[12:13]
	v_frexp_mant_f32_e32 v13, v94
	v_cmp_gt_f32_e32 vcc_lo, 0x3f2aaaab, v13
	v_add_f32_e32 v13, -1.0, v94
	s_delay_alu instid0(VALU_DEP_1) | instskip(SKIP_2) | instid1(VALU_DEP_3)
	v_sub_f32_e32 v96, v13, v94
	v_sub_f32_e32 v13, v17, v13
	v_cmp_gt_f32_e64 s28, 0x33800000, v17
	v_add_f32_e32 v96, 1.0, v96
	s_delay_alu instid0(VALU_DEP_1) | instskip(SKIP_2) | instid1(VALU_DEP_2)
	v_add_f32_e32 v13, v13, v96
	v_subrev_co_ci_u32_e32 v12, vcc_lo, 0, v12, vcc_lo
	v_cmp_eq_f32_e32 vcc_lo, 0x7f800000, v17
	v_sub_nc_u32_e32 v95, 0, v12
	v_cvt_f32_i32_e32 v12, v12
	s_or_b32 vcc_lo, s28, vcc_lo
	s_delay_alu instid0(VALU_DEP_2) | instskip(SKIP_1) | instid1(VALU_DEP_2)
	v_ldexp_f32 v94, v94, v95
	v_ldexp_f32 v13, v13, v95
	v_add_f32_e32 v95, -1.0, v94
	s_delay_alu instid0(VALU_DEP_1) | instskip(NEXT) | instid1(VALU_DEP_1)
	v_dual_add_f32 v97, 1.0, v94 :: v_dual_add_f32 v98, 1.0, v95
	v_add_f32_e32 v96, -1.0, v97
	s_delay_alu instid0(VALU_DEP_1) | instskip(NEXT) | instid1(VALU_DEP_3)
	v_sub_f32_e32 v96, v94, v96
	v_sub_f32_e32 v94, v94, v98
	s_delay_alu instid0(VALU_DEP_2) | instskip(NEXT) | instid1(VALU_DEP_2)
	v_add_f32_e32 v96, v13, v96
	v_add_f32_e32 v13, v13, v94
	s_delay_alu instid0(VALU_DEP_1) | instskip(NEXT) | instid1(VALU_DEP_1)
	v_dual_add_f32 v99, v95, v13 :: v_dual_add_f32 v98, v97, v96
	v_sub_f32_e32 v95, v95, v99
	s_delay_alu instid0(VALU_DEP_2) | instskip(SKIP_1) | instid1(VALU_DEP_1)
	v_rcp_f32_e32 v94, v98
	v_sub_f32_e32 v97, v97, v98
	v_dual_add_f32 v13, v13, v95 :: v_dual_add_f32 v96, v96, v97
	s_waitcnt_depctr 0xfff
	v_mul_f32_e32 v100, v99, v94
	s_delay_alu instid0(VALU_DEP_1) | instskip(NEXT) | instid1(VALU_DEP_1)
	v_mul_f32_e32 v101, v98, v100
	v_fma_f32 v97, v100, v98, -v101
	s_delay_alu instid0(VALU_DEP_1) | instskip(NEXT) | instid1(VALU_DEP_1)
	v_fmac_f32_e32 v97, v100, v96
	v_add_f32_e32 v102, v101, v97
	s_delay_alu instid0(VALU_DEP_1) | instskip(SKIP_1) | instid1(VALU_DEP_2)
	v_sub_f32_e32 v103, v99, v102
	v_sub_f32_e32 v95, v102, v101
	;; [unrolled: 1-line block ×3, first 2 shown]
	s_delay_alu instid0(VALU_DEP_2) | instskip(NEXT) | instid1(VALU_DEP_2)
	v_sub_f32_e32 v95, v95, v97
	v_sub_f32_e32 v99, v99, v102
	s_delay_alu instid0(VALU_DEP_1) | instskip(NEXT) | instid1(VALU_DEP_1)
	v_add_f32_e32 v13, v13, v99
	v_add_f32_e32 v13, v95, v13
	s_delay_alu instid0(VALU_DEP_1) | instskip(NEXT) | instid1(VALU_DEP_1)
	v_add_f32_e32 v95, v103, v13
	v_mul_f32_e32 v97, v94, v95
	s_delay_alu instid0(VALU_DEP_1) | instskip(NEXT) | instid1(VALU_DEP_1)
	v_dual_sub_f32 v102, v103, v95 :: v_dual_mul_f32 v99, v98, v97
	v_add_f32_e32 v13, v13, v102
	s_delay_alu instid0(VALU_DEP_2) | instskip(NEXT) | instid1(VALU_DEP_1)
	v_fma_f32 v98, v97, v98, -v99
	v_fmac_f32_e32 v98, v97, v96
	s_delay_alu instid0(VALU_DEP_1) | instskip(NEXT) | instid1(VALU_DEP_1)
	v_add_f32_e32 v96, v99, v98
	v_sub_f32_e32 v101, v95, v96
	s_delay_alu instid0(VALU_DEP_1) | instskip(NEXT) | instid1(VALU_DEP_1)
	v_sub_f32_e32 v95, v95, v101
	v_sub_f32_e32 v95, v95, v96
	s_delay_alu instid0(VALU_DEP_1) | instskip(SKIP_2) | instid1(VALU_DEP_1)
	v_add_f32_e32 v13, v13, v95
	v_add_f32_e32 v95, v100, v97
	v_sub_f32_e32 v99, v96, v99
	v_sub_f32_e32 v96, v99, v98
	s_delay_alu instid0(VALU_DEP_1) | instskip(NEXT) | instid1(VALU_DEP_1)
	v_dual_add_f32 v13, v96, v13 :: v_dual_sub_f32 v96, v95, v100
	v_add_f32_e32 v13, v101, v13
	s_delay_alu instid0(VALU_DEP_1) | instskip(NEXT) | instid1(VALU_DEP_1)
	v_dual_sub_f32 v96, v97, v96 :: v_dual_mul_f32 v13, v94, v13
	v_add_f32_e32 v13, v96, v13
	s_delay_alu instid0(VALU_DEP_1) | instskip(NEXT) | instid1(VALU_DEP_1)
	v_add_f32_e32 v94, v95, v13
	v_mul_f32_e32 v96, v94, v94
	s_delay_alu instid0(VALU_DEP_1) | instskip(SKIP_1) | instid1(VALU_DEP_2)
	v_fmaak_f32 v97, s83, v96, 0x3ecc95a3
	v_mul_f32_e32 v98, v94, v96
	v_fmaak_f32 v96, v96, v97, 0x3f2aaada
	v_ldexp_f32 v97, v94, 1
	v_sub_f32_e32 v94, v94, v95
	s_delay_alu instid0(VALU_DEP_3) | instskip(NEXT) | instid1(VALU_DEP_2)
	v_mul_f32_e32 v96, v98, v96
	v_dual_mul_f32 v98, 0x3f317218, v12 :: v_dual_sub_f32 v13, v13, v94
	s_delay_alu instid0(VALU_DEP_2) | instskip(NEXT) | instid1(VALU_DEP_2)
	v_add_f32_e32 v95, v97, v96
	v_ldexp_f32 v13, v13, 1
	s_delay_alu instid0(VALU_DEP_2) | instskip(NEXT) | instid1(VALU_DEP_4)
	v_sub_f32_e32 v94, v95, v97
	v_fma_f32 v97, 0x3f317218, v12, -v98
	s_delay_alu instid0(VALU_DEP_1) | instskip(NEXT) | instid1(VALU_DEP_1)
	v_dual_sub_f32 v94, v96, v94 :: v_dual_fmac_f32 v97, 0xb102e308, v12
	v_add_f32_e32 v12, v13, v94
	s_delay_alu instid0(VALU_DEP_1) | instskip(NEXT) | instid1(VALU_DEP_1)
	v_add_f32_e32 v94, v95, v12
	v_sub_f32_e32 v95, v94, v95
	s_delay_alu instid0(VALU_DEP_1) | instskip(NEXT) | instid1(VALU_DEP_1)
	v_dual_sub_f32 v12, v12, v95 :: v_dual_add_f32 v13, v98, v97
	v_add_f32_e32 v96, v13, v94
	s_delay_alu instid0(VALU_DEP_1) | instskip(NEXT) | instid1(VALU_DEP_1)
	v_dual_sub_f32 v98, v13, v98 :: v_dual_sub_f32 v99, v96, v13
	v_dual_sub_f32 v97, v97, v98 :: v_dual_sub_f32 v100, v96, v99
	s_delay_alu instid0(VALU_DEP_1) | instskip(NEXT) | instid1(VALU_DEP_2)
	v_dual_sub_f32 v94, v94, v99 :: v_dual_add_f32 v95, v97, v12
	v_sub_f32_e32 v13, v13, v100
	s_delay_alu instid0(VALU_DEP_1) | instskip(NEXT) | instid1(VALU_DEP_3)
	v_add_f32_e32 v13, v94, v13
	v_sub_f32_e32 v94, v95, v97
	s_delay_alu instid0(VALU_DEP_2) | instskip(NEXT) | instid1(VALU_DEP_2)
	v_add_f32_e32 v13, v95, v13
	v_sub_f32_e32 v95, v95, v94
	v_sub_f32_e32 v12, v12, v94
	s_delay_alu instid0(VALU_DEP_2) | instskip(NEXT) | instid1(VALU_DEP_1)
	v_dual_add_f32 v98, v96, v13 :: v_dual_sub_f32 v95, v97, v95
	v_sub_f32_e32 v94, v98, v96
	s_delay_alu instid0(VALU_DEP_1) | instskip(NEXT) | instid1(VALU_DEP_1)
	v_dual_add_f32 v12, v12, v95 :: v_dual_sub_f32 v13, v13, v94
	v_add_f32_e32 v12, v12, v13
	s_delay_alu instid0(VALU_DEP_1) | instskip(NEXT) | instid1(VALU_DEP_1)
	v_add_f32_e32 v12, v98, v12
	v_cndmask_b32_e32 v94, v12, v17, vcc_lo
.LBB114_84:                             ;   in Loop: Header=BB114_12 Depth=1
	s_or_b32 exec_lo, exec_lo, s29
	v_lshrrev_b32_e32 v12, 16, v14
	s_delay_alu instid0(VALU_DEP_1) | instskip(NEXT) | instid1(VALU_DEP_1)
	v_cvt_f32_f16_e32 v12, v12
	v_add_f32_e32 v95, s66, v12
	s_delay_alu instid0(VALU_DEP_1) | instskip(SKIP_1) | instid1(SALU_CYCLE_1)
	v_cmp_ge_f32_e32 vcc_lo, 0x41a00000, v95
	s_and_b32 s28, s79, vcc_lo
	s_and_saveexec_b32 s29, s28
	s_cbranch_execz .LBB114_86
; %bb.85:                               ;   in Loop: Header=BB114_12 Depth=1
	v_mul_f32_e32 v12, 0x3fb8aa3b, v95
	v_cmp_ngt_f32_e32 vcc_lo, 0xc2ce8ed0, v95
	s_delay_alu instid0(VALU_DEP_2) | instskip(SKIP_1) | instid1(VALU_DEP_2)
	v_rndne_f32_e32 v13, v12
	v_fma_f32 v14, 0x3fb8aa3b, v95, -v12
	v_sub_f32_e32 v12, v12, v13
	s_delay_alu instid0(VALU_DEP_2) | instskip(SKIP_1) | instid1(VALU_DEP_2)
	v_fmac_f32_e32 v14, 0x32a5705f, v95
	v_cvt_i32_f32_e32 v13, v13
	v_add_f32_e32 v12, v12, v14
	s_delay_alu instid0(VALU_DEP_1) | instskip(SKIP_2) | instid1(VALU_DEP_1)
	v_exp_f32_e32 v12, v12
	s_waitcnt_depctr 0xfff
	v_ldexp_f32 v12, v12, v13
	v_cndmask_b32_e32 v12, 0, v12, vcc_lo
	v_cmp_nlt_f32_e32 vcc_lo, 0x42b17218, v95
	s_delay_alu instid0(VALU_DEP_2) | instskip(NEXT) | instid1(VALU_DEP_1)
	v_cndmask_b32_e32 v14, 0x7f800000, v12, vcc_lo
	v_add_f32_e32 v17, 1.0, v14
	s_delay_alu instid0(VALU_DEP_1) | instskip(NEXT) | instid1(VALU_DEP_1)
	v_cvt_f64_f32_e32 v[12:13], v17
	v_frexp_exp_i32_f64_e32 v12, v[12:13]
	v_frexp_mant_f32_e32 v13, v17
	s_delay_alu instid0(VALU_DEP_1) | instskip(SKIP_1) | instid1(VALU_DEP_1)
	v_cmp_gt_f32_e32 vcc_lo, 0x3f2aaaab, v13
	v_add_f32_e32 v13, -1.0, v17
	v_sub_f32_e32 v96, v13, v17
	v_sub_f32_e32 v13, v14, v13
	v_subrev_co_ci_u32_e32 v12, vcc_lo, 0, v12, vcc_lo
	s_delay_alu instid0(VALU_DEP_1) | instskip(SKIP_1) | instid1(VALU_DEP_2)
	v_sub_nc_u32_e32 v95, 0, v12
	v_cvt_f32_i32_e32 v12, v12
	v_ldexp_f32 v17, v17, v95
	s_delay_alu instid0(VALU_DEP_1) | instskip(NEXT) | instid1(VALU_DEP_1)
	v_dual_add_f32 v96, 1.0, v96 :: v_dual_add_f32 v97, 1.0, v17
	v_dual_add_f32 v13, v13, v96 :: v_dual_add_f32 v96, -1.0, v97
	s_delay_alu instid0(VALU_DEP_1) | instskip(SKIP_4) | instid1(VALU_DEP_4)
	v_ldexp_f32 v13, v13, v95
	v_add_f32_e32 v95, -1.0, v17
	v_cmp_eq_f32_e32 vcc_lo, 0x7f800000, v14
	v_cmp_gt_f32_e64 s28, 0x33800000, v14
	v_sub_f32_e32 v96, v17, v96
	v_add_f32_e32 v98, 1.0, v95
	s_delay_alu instid0(VALU_DEP_3) | instskip(NEXT) | instid1(VALU_DEP_2)
	s_or_b32 vcc_lo, s28, vcc_lo
	v_add_f32_e32 v96, v13, v96
	s_delay_alu instid0(VALU_DEP_2) | instskip(NEXT) | instid1(VALU_DEP_1)
	v_sub_f32_e32 v17, v17, v98
	v_add_f32_e32 v13, v13, v17
	s_delay_alu instid0(VALU_DEP_1) | instskip(NEXT) | instid1(VALU_DEP_1)
	v_dual_add_f32 v99, v95, v13 :: v_dual_add_f32 v98, v97, v96
	v_sub_f32_e32 v95, v95, v99
	s_delay_alu instid0(VALU_DEP_2) | instskip(SKIP_1) | instid1(VALU_DEP_1)
	v_rcp_f32_e32 v17, v98
	v_sub_f32_e32 v97, v97, v98
	v_dual_add_f32 v13, v13, v95 :: v_dual_add_f32 v96, v96, v97
	s_waitcnt_depctr 0xfff
	v_mul_f32_e32 v100, v99, v17
	s_delay_alu instid0(VALU_DEP_1) | instskip(NEXT) | instid1(VALU_DEP_1)
	v_mul_f32_e32 v101, v98, v100
	v_fma_f32 v97, v100, v98, -v101
	s_delay_alu instid0(VALU_DEP_1) | instskip(NEXT) | instid1(VALU_DEP_1)
	v_fmac_f32_e32 v97, v100, v96
	v_add_f32_e32 v102, v101, v97
	s_delay_alu instid0(VALU_DEP_1) | instskip(NEXT) | instid1(VALU_DEP_1)
	v_sub_f32_e32 v103, v99, v102
	v_sub_f32_e32 v99, v99, v103
	;; [unrolled: 1-line block ×3, first 2 shown]
	s_delay_alu instid0(VALU_DEP_2) | instskip(NEXT) | instid1(VALU_DEP_2)
	v_sub_f32_e32 v99, v99, v102
	v_sub_f32_e32 v95, v95, v97
	s_delay_alu instid0(VALU_DEP_2) | instskip(NEXT) | instid1(VALU_DEP_1)
	v_add_f32_e32 v13, v13, v99
	v_add_f32_e32 v13, v95, v13
	s_delay_alu instid0(VALU_DEP_1) | instskip(NEXT) | instid1(VALU_DEP_1)
	v_add_f32_e32 v95, v103, v13
	v_mul_f32_e32 v97, v17, v95
	s_delay_alu instid0(VALU_DEP_1) | instskip(NEXT) | instid1(VALU_DEP_1)
	v_dual_sub_f32 v102, v103, v95 :: v_dual_mul_f32 v99, v98, v97
	v_add_f32_e32 v13, v13, v102
	s_delay_alu instid0(VALU_DEP_2) | instskip(NEXT) | instid1(VALU_DEP_1)
	v_fma_f32 v98, v97, v98, -v99
	v_fmac_f32_e32 v98, v97, v96
	s_delay_alu instid0(VALU_DEP_1) | instskip(NEXT) | instid1(VALU_DEP_1)
	v_add_f32_e32 v96, v99, v98
	v_sub_f32_e32 v101, v95, v96
	v_sub_f32_e32 v99, v96, v99
	s_delay_alu instid0(VALU_DEP_2) | instskip(NEXT) | instid1(VALU_DEP_1)
	v_sub_f32_e32 v95, v95, v101
	v_sub_f32_e32 v95, v95, v96
	s_delay_alu instid0(VALU_DEP_1) | instskip(SKIP_1) | instid1(VALU_DEP_1)
	v_dual_sub_f32 v96, v99, v98 :: v_dual_add_f32 v13, v13, v95
	v_add_f32_e32 v95, v100, v97
	v_dual_add_f32 v13, v96, v13 :: v_dual_sub_f32 v96, v95, v100
	s_delay_alu instid0(VALU_DEP_1) | instskip(NEXT) | instid1(VALU_DEP_2)
	v_add_f32_e32 v13, v101, v13
	v_sub_f32_e32 v96, v97, v96
	s_delay_alu instid0(VALU_DEP_2) | instskip(NEXT) | instid1(VALU_DEP_1)
	v_mul_f32_e32 v13, v17, v13
	v_add_f32_e32 v13, v96, v13
	s_delay_alu instid0(VALU_DEP_1) | instskip(NEXT) | instid1(VALU_DEP_1)
	v_add_f32_e32 v17, v95, v13
	v_mul_f32_e32 v96, v17, v17
	s_delay_alu instid0(VALU_DEP_1) | instskip(SKIP_1) | instid1(VALU_DEP_2)
	v_fmaak_f32 v97, s83, v96, 0x3ecc95a3
	v_mul_f32_e32 v98, v17, v96
	v_fmaak_f32 v96, v96, v97, 0x3f2aaada
	v_ldexp_f32 v97, v17, 1
	s_delay_alu instid0(VALU_DEP_2) | instskip(NEXT) | instid1(VALU_DEP_1)
	v_dual_sub_f32 v17, v17, v95 :: v_dual_mul_f32 v96, v98, v96
	v_dual_mul_f32 v98, 0x3f317218, v12 :: v_dual_sub_f32 v13, v13, v17
	s_delay_alu instid0(VALU_DEP_2) | instskip(NEXT) | instid1(VALU_DEP_2)
	v_add_f32_e32 v95, v97, v96
	v_ldexp_f32 v13, v13, 1
	s_delay_alu instid0(VALU_DEP_2) | instskip(NEXT) | instid1(VALU_DEP_4)
	v_sub_f32_e32 v17, v95, v97
	v_fma_f32 v97, 0x3f317218, v12, -v98
	s_delay_alu instid0(VALU_DEP_2) | instskip(NEXT) | instid1(VALU_DEP_1)
	v_sub_f32_e32 v17, v96, v17
	v_dual_fmac_f32 v97, 0xb102e308, v12 :: v_dual_add_f32 v12, v13, v17
	s_delay_alu instid0(VALU_DEP_1) | instskip(NEXT) | instid1(VALU_DEP_1)
	v_add_f32_e32 v13, v98, v97
	v_dual_add_f32 v17, v95, v12 :: v_dual_sub_f32 v98, v13, v98
	s_delay_alu instid0(VALU_DEP_1) | instskip(SKIP_1) | instid1(VALU_DEP_3)
	v_add_f32_e32 v96, v13, v17
	v_sub_f32_e32 v95, v17, v95
	v_sub_f32_e32 v97, v97, v98
	s_delay_alu instid0(VALU_DEP_3) | instskip(NEXT) | instid1(VALU_DEP_3)
	v_sub_f32_e32 v99, v96, v13
	v_sub_f32_e32 v12, v12, v95
	s_delay_alu instid0(VALU_DEP_2) | instskip(SKIP_1) | instid1(VALU_DEP_3)
	v_sub_f32_e32 v100, v96, v99
	v_sub_f32_e32 v17, v17, v99
	v_add_f32_e32 v95, v97, v12
	s_delay_alu instid0(VALU_DEP_3) | instskip(NEXT) | instid1(VALU_DEP_1)
	v_sub_f32_e32 v13, v13, v100
	v_add_f32_e32 v13, v17, v13
	s_delay_alu instid0(VALU_DEP_3) | instskip(NEXT) | instid1(VALU_DEP_2)
	v_sub_f32_e32 v17, v95, v97
	v_add_f32_e32 v13, v95, v13
	s_delay_alu instid0(VALU_DEP_2) | instskip(SKIP_1) | instid1(VALU_DEP_2)
	v_sub_f32_e32 v95, v95, v17
	v_sub_f32_e32 v12, v12, v17
	v_dual_add_f32 v98, v96, v13 :: v_dual_sub_f32 v95, v97, v95
	s_delay_alu instid0(VALU_DEP_1) | instskip(NEXT) | instid1(VALU_DEP_1)
	v_dual_sub_f32 v17, v98, v96 :: v_dual_add_f32 v12, v12, v95
	v_sub_f32_e32 v13, v13, v17
	s_delay_alu instid0(VALU_DEP_1) | instskip(NEXT) | instid1(VALU_DEP_1)
	v_add_f32_e32 v12, v12, v13
	v_add_f32_e32 v12, v98, v12
	s_delay_alu instid0(VALU_DEP_1)
	v_cndmask_b32_e32 v95, v12, v14, vcc_lo
.LBB114_86:                             ;   in Loop: Header=BB114_12 Depth=1
	s_or_b32 exec_lo, exec_lo, s29
	v_cvt_f32_f16_e32 v12, v15
	s_delay_alu instid0(VALU_DEP_1) | instskip(NEXT) | instid1(VALU_DEP_1)
	v_add_f32_e32 v96, s66, v12
	v_cmp_ge_f32_e32 vcc_lo, 0x41a00000, v96
	s_and_b32 s28, s79, vcc_lo
	s_delay_alu instid0(SALU_CYCLE_1)
	s_and_saveexec_b32 s29, s28
	s_cbranch_execz .LBB114_88
; %bb.87:                               ;   in Loop: Header=BB114_12 Depth=1
	v_mul_f32_e32 v12, 0x3fb8aa3b, v96
	v_cmp_ngt_f32_e32 vcc_lo, 0xc2ce8ed0, v96
	s_delay_alu instid0(VALU_DEP_2) | instskip(SKIP_1) | instid1(VALU_DEP_2)
	v_rndne_f32_e32 v13, v12
	v_fma_f32 v14, 0x3fb8aa3b, v96, -v12
	v_sub_f32_e32 v12, v12, v13
	s_delay_alu instid0(VALU_DEP_2) | instskip(SKIP_1) | instid1(VALU_DEP_2)
	v_fmac_f32_e32 v14, 0x32a5705f, v96
	v_cvt_i32_f32_e32 v13, v13
	v_add_f32_e32 v12, v12, v14
	s_delay_alu instid0(VALU_DEP_1) | instskip(SKIP_2) | instid1(VALU_DEP_1)
	v_exp_f32_e32 v12, v12
	s_waitcnt_depctr 0xfff
	v_ldexp_f32 v12, v12, v13
	v_cndmask_b32_e32 v12, 0, v12, vcc_lo
	v_cmp_nlt_f32_e32 vcc_lo, 0x42b17218, v96
	s_delay_alu instid0(VALU_DEP_2) | instskip(NEXT) | instid1(VALU_DEP_1)
	v_cndmask_b32_e32 v14, 0x7f800000, v12, vcc_lo
	v_add_f32_e32 v17, 1.0, v14
	s_delay_alu instid0(VALU_DEP_1) | instskip(NEXT) | instid1(VALU_DEP_1)
	v_cvt_f64_f32_e32 v[12:13], v17
	v_frexp_exp_i32_f64_e32 v12, v[12:13]
	v_frexp_mant_f32_e32 v13, v17
	s_delay_alu instid0(VALU_DEP_1) | instskip(SKIP_1) | instid1(VALU_DEP_1)
	v_cmp_gt_f32_e32 vcc_lo, 0x3f2aaaab, v13
	v_add_f32_e32 v13, -1.0, v17
	v_sub_f32_e32 v97, v13, v17
	s_delay_alu instid0(VALU_DEP_1) | instskip(SKIP_2) | instid1(VALU_DEP_2)
	v_add_f32_e32 v97, 1.0, v97
	v_sub_f32_e32 v13, v14, v13
	v_cmp_gt_f32_e64 s28, 0x33800000, v14
	v_add_f32_e32 v13, v13, v97
	v_subrev_co_ci_u32_e32 v12, vcc_lo, 0, v12, vcc_lo
	v_cmp_eq_f32_e32 vcc_lo, 0x7f800000, v14
	s_delay_alu instid0(VALU_DEP_2) | instskip(SKIP_2) | instid1(VALU_DEP_2)
	v_sub_nc_u32_e32 v96, 0, v12
	v_cvt_f32_i32_e32 v12, v12
	s_or_b32 vcc_lo, s28, vcc_lo
	v_ldexp_f32 v17, v17, v96
	v_ldexp_f32 v13, v13, v96
	s_delay_alu instid0(VALU_DEP_2) | instskip(NEXT) | instid1(VALU_DEP_1)
	v_add_f32_e32 v96, -1.0, v17
	v_dual_add_f32 v98, 1.0, v17 :: v_dual_add_f32 v99, 1.0, v96
	s_delay_alu instid0(VALU_DEP_1) | instskip(NEXT) | instid1(VALU_DEP_1)
	v_add_f32_e32 v97, -1.0, v98
	v_sub_f32_e32 v97, v17, v97
	s_delay_alu instid0(VALU_DEP_3) | instskip(NEXT) | instid1(VALU_DEP_2)
	v_sub_f32_e32 v17, v17, v99
	v_add_f32_e32 v97, v13, v97
	s_delay_alu instid0(VALU_DEP_2) | instskip(NEXT) | instid1(VALU_DEP_1)
	v_add_f32_e32 v13, v13, v17
	v_add_f32_e32 v100, v96, v13
	s_delay_alu instid0(VALU_DEP_1) | instskip(NEXT) | instid1(VALU_DEP_1)
	v_dual_sub_f32 v96, v96, v100 :: v_dual_add_f32 v99, v98, v97
	v_add_f32_e32 v13, v13, v96
	s_delay_alu instid0(VALU_DEP_2) | instskip(SKIP_1) | instid1(VALU_DEP_1)
	v_rcp_f32_e32 v17, v99
	v_sub_f32_e32 v98, v98, v99
	v_add_f32_e32 v97, v97, v98
	s_waitcnt_depctr 0xfff
	v_mul_f32_e32 v101, v100, v17
	s_delay_alu instid0(VALU_DEP_1) | instskip(NEXT) | instid1(VALU_DEP_1)
	v_mul_f32_e32 v102, v99, v101
	v_fma_f32 v98, v101, v99, -v102
	s_delay_alu instid0(VALU_DEP_1) | instskip(NEXT) | instid1(VALU_DEP_1)
	v_fmac_f32_e32 v98, v101, v97
	v_add_f32_e32 v103, v102, v98
	s_delay_alu instid0(VALU_DEP_1) | instskip(SKIP_1) | instid1(VALU_DEP_2)
	v_sub_f32_e32 v104, v100, v103
	v_sub_f32_e32 v96, v103, v102
	;; [unrolled: 1-line block ×3, first 2 shown]
	s_delay_alu instid0(VALU_DEP_1) | instskip(NEXT) | instid1(VALU_DEP_1)
	v_sub_f32_e32 v100, v100, v103
	v_dual_sub_f32 v96, v96, v98 :: v_dual_add_f32 v13, v13, v100
	s_delay_alu instid0(VALU_DEP_1) | instskip(NEXT) | instid1(VALU_DEP_1)
	v_add_f32_e32 v13, v96, v13
	v_add_f32_e32 v96, v104, v13
	s_delay_alu instid0(VALU_DEP_1) | instskip(NEXT) | instid1(VALU_DEP_1)
	v_mul_f32_e32 v98, v17, v96
	v_dual_sub_f32 v103, v104, v96 :: v_dual_mul_f32 v100, v99, v98
	s_delay_alu instid0(VALU_DEP_1) | instskip(NEXT) | instid1(VALU_DEP_2)
	v_add_f32_e32 v13, v13, v103
	v_fma_f32 v99, v98, v99, -v100
	s_delay_alu instid0(VALU_DEP_1) | instskip(NEXT) | instid1(VALU_DEP_1)
	v_fmac_f32_e32 v99, v98, v97
	v_add_f32_e32 v97, v100, v99
	s_delay_alu instid0(VALU_DEP_1) | instskip(NEXT) | instid1(VALU_DEP_1)
	v_sub_f32_e32 v102, v96, v97
	v_sub_f32_e32 v96, v96, v102
	s_delay_alu instid0(VALU_DEP_1) | instskip(NEXT) | instid1(VALU_DEP_1)
	v_sub_f32_e32 v96, v96, v97
	v_add_f32_e32 v13, v13, v96
	v_add_f32_e32 v96, v101, v98
	v_sub_f32_e32 v100, v97, v100
	s_delay_alu instid0(VALU_DEP_1) | instskip(NEXT) | instid1(VALU_DEP_1)
	v_sub_f32_e32 v97, v100, v99
	v_add_f32_e32 v13, v97, v13
	s_delay_alu instid0(VALU_DEP_4) | instskip(NEXT) | instid1(VALU_DEP_2)
	v_sub_f32_e32 v97, v96, v101
	v_add_f32_e32 v13, v102, v13
	s_delay_alu instid0(VALU_DEP_2) | instskip(NEXT) | instid1(VALU_DEP_2)
	v_sub_f32_e32 v97, v98, v97
	v_mul_f32_e32 v13, v17, v13
	s_delay_alu instid0(VALU_DEP_1) | instskip(NEXT) | instid1(VALU_DEP_1)
	v_add_f32_e32 v13, v97, v13
	v_add_f32_e32 v17, v96, v13
	s_delay_alu instid0(VALU_DEP_1) | instskip(NEXT) | instid1(VALU_DEP_1)
	v_mul_f32_e32 v97, v17, v17
	v_fmaak_f32 v98, s83, v97, 0x3ecc95a3
	v_mul_f32_e32 v99, v17, v97
	s_delay_alu instid0(VALU_DEP_2) | instskip(SKIP_1) | instid1(VALU_DEP_2)
	v_fmaak_f32 v97, v97, v98, 0x3f2aaada
	v_ldexp_f32 v98, v17, 1
	v_mul_f32_e32 v97, v99, v97
	s_delay_alu instid0(VALU_DEP_1) | instskip(NEXT) | instid1(VALU_DEP_1)
	v_dual_sub_f32 v17, v17, v96 :: v_dual_add_f32 v96, v98, v97
	v_sub_f32_e32 v13, v13, v17
	s_delay_alu instid0(VALU_DEP_2) | instskip(NEXT) | instid1(VALU_DEP_2)
	v_sub_f32_e32 v17, v96, v98
	v_ldexp_f32 v13, v13, 1
	s_delay_alu instid0(VALU_DEP_2) | instskip(SKIP_1) | instid1(VALU_DEP_1)
	v_sub_f32_e32 v17, v97, v17
	v_mul_f32_e32 v99, 0x3f317218, v12
	v_fma_f32 v98, 0x3f317218, v12, -v99
	s_delay_alu instid0(VALU_DEP_1) | instskip(NEXT) | instid1(VALU_DEP_1)
	v_fmac_f32_e32 v98, 0xb102e308, v12
	v_dual_add_f32 v12, v13, v17 :: v_dual_add_f32 v13, v99, v98
	s_delay_alu instid0(VALU_DEP_1) | instskip(NEXT) | instid1(VALU_DEP_1)
	v_add_f32_e32 v17, v96, v12
	v_add_f32_e32 v97, v13, v17
	v_sub_f32_e32 v96, v17, v96
	s_delay_alu instid0(VALU_DEP_2) | instskip(NEXT) | instid1(VALU_DEP_2)
	v_sub_f32_e32 v100, v97, v13
	v_dual_sub_f32 v12, v12, v96 :: v_dual_sub_f32 v99, v13, v99
	s_delay_alu instid0(VALU_DEP_2) | instskip(NEXT) | instid1(VALU_DEP_2)
	v_sub_f32_e32 v101, v97, v100
	v_dual_sub_f32 v17, v17, v100 :: v_dual_sub_f32 v98, v98, v99
	s_delay_alu instid0(VALU_DEP_1) | instskip(NEXT) | instid1(VALU_DEP_1)
	v_dual_sub_f32 v13, v13, v101 :: v_dual_add_f32 v96, v98, v12
	v_add_f32_e32 v13, v17, v13
	s_delay_alu instid0(VALU_DEP_2) | instskip(NEXT) | instid1(VALU_DEP_2)
	v_sub_f32_e32 v17, v96, v98
	v_add_f32_e32 v13, v96, v13
	s_delay_alu instid0(VALU_DEP_2) | instskip(SKIP_1) | instid1(VALU_DEP_2)
	v_sub_f32_e32 v96, v96, v17
	v_sub_f32_e32 v12, v12, v17
	v_dual_add_f32 v99, v97, v13 :: v_dual_sub_f32 v96, v98, v96
	s_delay_alu instid0(VALU_DEP_1) | instskip(NEXT) | instid1(VALU_DEP_1)
	v_dual_sub_f32 v17, v99, v97 :: v_dual_add_f32 v12, v12, v96
	v_sub_f32_e32 v13, v13, v17
	s_delay_alu instid0(VALU_DEP_1) | instskip(NEXT) | instid1(VALU_DEP_1)
	v_add_f32_e32 v12, v12, v13
	v_add_f32_e32 v12, v99, v12
	s_delay_alu instid0(VALU_DEP_1)
	v_cndmask_b32_e32 v96, v12, v14, vcc_lo
.LBB114_88:                             ;   in Loop: Header=BB114_12 Depth=1
	s_or_b32 exec_lo, exec_lo, s29
	v_lshrrev_b32_e32 v12, 16, v15
	s_delay_alu instid0(VALU_DEP_1) | instskip(NEXT) | instid1(VALU_DEP_1)
	v_cvt_f32_f16_e32 v12, v12
	v_add_f32_e32 v97, s66, v12
	s_delay_alu instid0(VALU_DEP_1) | instskip(SKIP_1) | instid1(SALU_CYCLE_1)
	v_cmp_ge_f32_e32 vcc_lo, 0x41a00000, v97
	s_and_b32 s28, s79, vcc_lo
	s_and_saveexec_b32 s29, s28
	s_cbranch_execz .LBB114_90
; %bb.89:                               ;   in Loop: Header=BB114_12 Depth=1
	v_mul_f32_e32 v12, 0x3fb8aa3b, v97
	v_cmp_ngt_f32_e32 vcc_lo, 0xc2ce8ed0, v97
	s_delay_alu instid0(VALU_DEP_2) | instskip(SKIP_1) | instid1(VALU_DEP_2)
	v_rndne_f32_e32 v13, v12
	v_fma_f32 v14, 0x3fb8aa3b, v97, -v12
	v_sub_f32_e32 v12, v12, v13
	s_delay_alu instid0(VALU_DEP_2) | instskip(SKIP_1) | instid1(VALU_DEP_2)
	v_fmac_f32_e32 v14, 0x32a5705f, v97
	v_cvt_i32_f32_e32 v13, v13
	v_add_f32_e32 v12, v12, v14
	s_delay_alu instid0(VALU_DEP_1) | instskip(SKIP_2) | instid1(VALU_DEP_1)
	v_exp_f32_e32 v12, v12
	s_waitcnt_depctr 0xfff
	v_ldexp_f32 v12, v12, v13
	v_cndmask_b32_e32 v12, 0, v12, vcc_lo
	v_cmp_nlt_f32_e32 vcc_lo, 0x42b17218, v97
	s_delay_alu instid0(VALU_DEP_2) | instskip(NEXT) | instid1(VALU_DEP_1)
	v_cndmask_b32_e32 v14, 0x7f800000, v12, vcc_lo
	v_add_f32_e32 v15, 1.0, v14
	s_delay_alu instid0(VALU_DEP_1) | instskip(NEXT) | instid1(VALU_DEP_1)
	v_cvt_f64_f32_e32 v[12:13], v15
	v_frexp_exp_i32_f64_e32 v12, v[12:13]
	v_frexp_mant_f32_e32 v13, v15
	s_delay_alu instid0(VALU_DEP_1) | instskip(SKIP_1) | instid1(VALU_DEP_1)
	v_cmp_gt_f32_e32 vcc_lo, 0x3f2aaaab, v13
	v_add_f32_e32 v13, -1.0, v15
	v_sub_f32_e32 v97, v13, v15
	v_sub_f32_e32 v13, v14, v13
	s_delay_alu instid0(VALU_DEP_2) | instskip(NEXT) | instid1(VALU_DEP_1)
	v_add_f32_e32 v97, 1.0, v97
	v_add_f32_e32 v13, v13, v97
	v_cmp_gt_f32_e64 s28, 0x33800000, v14
	v_subrev_co_ci_u32_e32 v12, vcc_lo, 0, v12, vcc_lo
	v_cmp_eq_f32_e32 vcc_lo, 0x7f800000, v14
	s_delay_alu instid0(VALU_DEP_2) | instskip(SKIP_2) | instid1(VALU_DEP_2)
	v_sub_nc_u32_e32 v17, 0, v12
	v_cvt_f32_i32_e32 v12, v12
	s_or_b32 vcc_lo, s28, vcc_lo
	v_ldexp_f32 v15, v15, v17
	v_ldexp_f32 v13, v13, v17
	s_delay_alu instid0(VALU_DEP_2) | instskip(SKIP_1) | instid1(VALU_DEP_2)
	v_add_f32_e32 v98, 1.0, v15
	v_add_f32_e32 v17, -1.0, v15
	v_add_f32_e32 v97, -1.0, v98
	s_delay_alu instid0(VALU_DEP_2) | instskip(NEXT) | instid1(VALU_DEP_2)
	v_add_f32_e32 v99, 1.0, v17
	v_sub_f32_e32 v97, v15, v97
	s_delay_alu instid0(VALU_DEP_2) | instskip(NEXT) | instid1(VALU_DEP_2)
	v_sub_f32_e32 v15, v15, v99
	v_add_f32_e32 v97, v13, v97
	s_delay_alu instid0(VALU_DEP_2) | instskip(NEXT) | instid1(VALU_DEP_1)
	v_add_f32_e32 v13, v13, v15
	v_add_f32_e32 v100, v17, v13
	s_delay_alu instid0(VALU_DEP_3) | instskip(NEXT) | instid1(VALU_DEP_1)
	v_add_f32_e32 v99, v98, v97
	v_rcp_f32_e32 v15, v99
	v_sub_f32_e32 v98, v98, v99
	s_delay_alu instid0(VALU_DEP_1) | instskip(SKIP_2) | instid1(VALU_DEP_1)
	v_add_f32_e32 v97, v97, v98
	s_waitcnt_depctr 0xfff
	v_mul_f32_e32 v101, v100, v15
	v_dual_mul_f32 v102, v99, v101 :: v_dual_sub_f32 v17, v17, v100
	s_delay_alu instid0(VALU_DEP_1) | instskip(NEXT) | instid1(VALU_DEP_2)
	v_fma_f32 v98, v101, v99, -v102
	v_add_f32_e32 v13, v13, v17
	s_delay_alu instid0(VALU_DEP_2) | instskip(NEXT) | instid1(VALU_DEP_1)
	v_fmac_f32_e32 v98, v101, v97
	v_add_f32_e32 v103, v102, v98
	s_delay_alu instid0(VALU_DEP_1) | instskip(NEXT) | instid1(VALU_DEP_1)
	v_dual_sub_f32 v104, v100, v103 :: v_dual_sub_f32 v17, v103, v102
	v_dual_sub_f32 v100, v100, v104 :: v_dual_sub_f32 v17, v17, v98
	s_delay_alu instid0(VALU_DEP_1) | instskip(NEXT) | instid1(VALU_DEP_1)
	v_sub_f32_e32 v100, v100, v103
	v_add_f32_e32 v13, v13, v100
	s_delay_alu instid0(VALU_DEP_1) | instskip(NEXT) | instid1(VALU_DEP_1)
	v_add_f32_e32 v13, v17, v13
	v_add_f32_e32 v17, v104, v13
	s_delay_alu instid0(VALU_DEP_1) | instskip(NEXT) | instid1(VALU_DEP_1)
	v_mul_f32_e32 v98, v15, v17
	v_dual_sub_f32 v103, v104, v17 :: v_dual_mul_f32 v100, v99, v98
	s_delay_alu instid0(VALU_DEP_1) | instskip(NEXT) | instid1(VALU_DEP_2)
	v_add_f32_e32 v13, v13, v103
	v_fma_f32 v99, v98, v99, -v100
	s_delay_alu instid0(VALU_DEP_1) | instskip(NEXT) | instid1(VALU_DEP_1)
	v_fmac_f32_e32 v99, v98, v97
	v_add_f32_e32 v97, v100, v99
	s_delay_alu instid0(VALU_DEP_1) | instskip(SKIP_1) | instid1(VALU_DEP_2)
	v_sub_f32_e32 v102, v17, v97
	v_sub_f32_e32 v100, v97, v100
	v_sub_f32_e32 v17, v17, v102
	s_delay_alu instid0(VALU_DEP_1) | instskip(NEXT) | instid1(VALU_DEP_3)
	v_sub_f32_e32 v17, v17, v97
	v_sub_f32_e32 v97, v100, v99
	s_delay_alu instid0(VALU_DEP_2) | instskip(SKIP_1) | instid1(VALU_DEP_2)
	v_add_f32_e32 v13, v13, v17
	v_add_f32_e32 v17, v101, v98
	;; [unrolled: 1-line block ×3, first 2 shown]
	s_delay_alu instid0(VALU_DEP_2) | instskip(NEXT) | instid1(VALU_DEP_2)
	v_sub_f32_e32 v97, v17, v101
	v_add_f32_e32 v13, v102, v13
	s_delay_alu instid0(VALU_DEP_2) | instskip(NEXT) | instid1(VALU_DEP_2)
	v_sub_f32_e32 v97, v98, v97
	v_mul_f32_e32 v13, v15, v13
	s_delay_alu instid0(VALU_DEP_1) | instskip(NEXT) | instid1(VALU_DEP_1)
	v_add_f32_e32 v13, v97, v13
	v_add_f32_e32 v15, v17, v13
	s_delay_alu instid0(VALU_DEP_1) | instskip(NEXT) | instid1(VALU_DEP_1)
	v_mul_f32_e32 v97, v15, v15
	v_fmaak_f32 v98, s83, v97, 0x3ecc95a3
	v_mul_f32_e32 v99, v15, v97
	s_delay_alu instid0(VALU_DEP_2) | instskip(SKIP_2) | instid1(VALU_DEP_3)
	v_fmaak_f32 v97, v97, v98, 0x3f2aaada
	v_ldexp_f32 v98, v15, 1
	v_sub_f32_e32 v15, v15, v17
	v_mul_f32_e32 v97, v99, v97
	v_mul_f32_e32 v99, 0x3f317218, v12
	s_delay_alu instid0(VALU_DEP_3) | instskip(NEXT) | instid1(VALU_DEP_3)
	v_sub_f32_e32 v13, v13, v15
	v_add_f32_e32 v17, v98, v97
	s_delay_alu instid0(VALU_DEP_2) | instskip(NEXT) | instid1(VALU_DEP_2)
	v_ldexp_f32 v13, v13, 1
	v_sub_f32_e32 v15, v17, v98
	v_fma_f32 v98, 0x3f317218, v12, -v99
	s_delay_alu instid0(VALU_DEP_1) | instskip(NEXT) | instid1(VALU_DEP_1)
	v_dual_sub_f32 v15, v97, v15 :: v_dual_fmac_f32 v98, 0xb102e308, v12
	v_dual_add_f32 v12, v13, v15 :: v_dual_add_f32 v13, v99, v98
	s_delay_alu instid0(VALU_DEP_1) | instskip(NEXT) | instid1(VALU_DEP_1)
	v_add_f32_e32 v15, v17, v12
	v_add_f32_e32 v97, v13, v15
	v_sub_f32_e32 v17, v15, v17
	s_delay_alu instid0(VALU_DEP_2) | instskip(NEXT) | instid1(VALU_DEP_2)
	v_sub_f32_e32 v100, v97, v13
	v_dual_sub_f32 v99, v13, v99 :: v_dual_sub_f32 v12, v12, v17
	s_delay_alu instid0(VALU_DEP_1) | instskip(SKIP_1) | instid1(VALU_DEP_2)
	v_dual_sub_f32 v101, v97, v100 :: v_dual_sub_f32 v98, v98, v99
	v_sub_f32_e32 v15, v15, v100
	v_sub_f32_e32 v13, v13, v101
	s_delay_alu instid0(VALU_DEP_3) | instskip(NEXT) | instid1(VALU_DEP_2)
	v_add_f32_e32 v17, v98, v12
	v_add_f32_e32 v13, v15, v13
	s_delay_alu instid0(VALU_DEP_2) | instskip(NEXT) | instid1(VALU_DEP_2)
	v_sub_f32_e32 v15, v17, v98
	v_add_f32_e32 v13, v17, v13
	s_delay_alu instid0(VALU_DEP_2) | instskip(NEXT) | instid1(VALU_DEP_2)
	v_sub_f32_e32 v17, v17, v15
	v_dual_sub_f32 v12, v12, v15 :: v_dual_add_f32 v99, v97, v13
	s_delay_alu instid0(VALU_DEP_2) | instskip(NEXT) | instid1(VALU_DEP_2)
	v_sub_f32_e32 v17, v98, v17
	v_sub_f32_e32 v15, v99, v97
	s_delay_alu instid0(VALU_DEP_1) | instskip(NEXT) | instid1(VALU_DEP_1)
	v_dual_add_f32 v12, v12, v17 :: v_dual_sub_f32 v13, v13, v15
	v_add_f32_e32 v12, v12, v13
	s_delay_alu instid0(VALU_DEP_1) | instskip(NEXT) | instid1(VALU_DEP_1)
	v_add_f32_e32 v12, v99, v12
	v_cndmask_b32_e32 v97, v12, v14, vcc_lo
.LBB114_90:                             ;   in Loop: Header=BB114_12 Depth=1
	s_or_b32 exec_lo, exec_lo, s29
	s_waitcnt lgkmcnt(0)
	v_cvt_f32_f16_e32 v12, v8
	s_delay_alu instid0(VALU_DEP_1) | instskip(NEXT) | instid1(VALU_DEP_1)
	v_add_f32_e32 v98, s66, v12
	v_cmp_ge_f32_e32 vcc_lo, 0x41a00000, v98
	s_and_b32 s28, s79, vcc_lo
	s_delay_alu instid0(SALU_CYCLE_1)
	s_and_saveexec_b32 s29, s28
	s_cbranch_execz .LBB114_92
; %bb.91:                               ;   in Loop: Header=BB114_12 Depth=1
	v_mul_f32_e32 v12, 0x3fb8aa3b, v98
	v_cmp_ngt_f32_e32 vcc_lo, 0xc2ce8ed0, v98
	s_delay_alu instid0(VALU_DEP_2) | instskip(SKIP_1) | instid1(VALU_DEP_2)
	v_rndne_f32_e32 v13, v12
	v_fma_f32 v14, 0x3fb8aa3b, v98, -v12
	v_sub_f32_e32 v12, v12, v13
	s_delay_alu instid0(VALU_DEP_2) | instskip(SKIP_1) | instid1(VALU_DEP_2)
	v_fmac_f32_e32 v14, 0x32a5705f, v98
	v_cvt_i32_f32_e32 v13, v13
	v_add_f32_e32 v12, v12, v14
	s_delay_alu instid0(VALU_DEP_1) | instskip(SKIP_2) | instid1(VALU_DEP_1)
	v_exp_f32_e32 v12, v12
	s_waitcnt_depctr 0xfff
	v_ldexp_f32 v12, v12, v13
	v_cndmask_b32_e32 v12, 0, v12, vcc_lo
	v_cmp_nlt_f32_e32 vcc_lo, 0x42b17218, v98
	s_delay_alu instid0(VALU_DEP_2) | instskip(NEXT) | instid1(VALU_DEP_1)
	v_cndmask_b32_e32 v14, 0x7f800000, v12, vcc_lo
	v_add_f32_e32 v15, 1.0, v14
	s_delay_alu instid0(VALU_DEP_1) | instskip(NEXT) | instid1(VALU_DEP_1)
	v_cvt_f64_f32_e32 v[12:13], v15
	v_frexp_exp_i32_f64_e32 v12, v[12:13]
	v_frexp_mant_f32_e32 v13, v15
	s_delay_alu instid0(VALU_DEP_1) | instskip(SKIP_1) | instid1(VALU_DEP_1)
	v_cmp_gt_f32_e32 vcc_lo, 0x3f2aaaab, v13
	v_add_f32_e32 v13, -1.0, v15
	v_dual_sub_f32 v98, v13, v15 :: v_dual_sub_f32 v13, v14, v13
	s_delay_alu instid0(VALU_DEP_1) | instskip(NEXT) | instid1(VALU_DEP_1)
	v_add_f32_e32 v98, 1.0, v98
	v_add_f32_e32 v13, v13, v98
	v_subrev_co_ci_u32_e32 v12, vcc_lo, 0, v12, vcc_lo
	s_delay_alu instid0(VALU_DEP_1) | instskip(SKIP_1) | instid1(VALU_DEP_2)
	v_sub_nc_u32_e32 v17, 0, v12
	v_cvt_f32_i32_e32 v12, v12
	v_ldexp_f32 v15, v15, v17
	v_ldexp_f32 v13, v13, v17
	s_delay_alu instid0(VALU_DEP_2) | instskip(SKIP_3) | instid1(VALU_DEP_4)
	v_add_f32_e32 v99, 1.0, v15
	v_add_f32_e32 v17, -1.0, v15
	v_cmp_eq_f32_e32 vcc_lo, 0x7f800000, v14
	v_cmp_gt_f32_e64 s28, 0x33800000, v14
	v_add_f32_e32 v98, -1.0, v99
	s_delay_alu instid0(VALU_DEP_4) | instskip(NEXT) | instid1(VALU_DEP_3)
	v_add_f32_e32 v100, 1.0, v17
	s_or_b32 vcc_lo, s28, vcc_lo
	s_delay_alu instid0(VALU_DEP_2) | instskip(NEXT) | instid1(VALU_DEP_1)
	v_sub_f32_e32 v98, v15, v98
	v_dual_sub_f32 v15, v15, v100 :: v_dual_add_f32 v98, v13, v98
	s_delay_alu instid0(VALU_DEP_1) | instskip(NEXT) | instid1(VALU_DEP_1)
	v_add_f32_e32 v13, v13, v15
	v_dual_add_f32 v101, v17, v13 :: v_dual_add_f32 v100, v99, v98
	s_delay_alu instid0(VALU_DEP_1) | instskip(NEXT) | instid1(VALU_DEP_2)
	v_sub_f32_e32 v17, v17, v101
	v_rcp_f32_e32 v15, v100
	v_sub_f32_e32 v99, v99, v100
	s_delay_alu instid0(VALU_DEP_1) | instskip(SKIP_2) | instid1(VALU_DEP_1)
	v_dual_add_f32 v98, v98, v99 :: v_dual_add_f32 v13, v13, v17
	s_waitcnt_depctr 0xfff
	v_mul_f32_e32 v102, v101, v15
	v_mul_f32_e32 v103, v100, v102
	s_delay_alu instid0(VALU_DEP_1) | instskip(NEXT) | instid1(VALU_DEP_1)
	v_fma_f32 v99, v102, v100, -v103
	v_fmac_f32_e32 v99, v102, v98
	s_delay_alu instid0(VALU_DEP_1) | instskip(NEXT) | instid1(VALU_DEP_1)
	v_add_f32_e32 v104, v103, v99
	v_sub_f32_e32 v105, v101, v104
	s_delay_alu instid0(VALU_DEP_1) | instskip(SKIP_1) | instid1(VALU_DEP_2)
	v_sub_f32_e32 v101, v101, v105
	v_sub_f32_e32 v17, v104, v103
	;; [unrolled: 1-line block ×3, first 2 shown]
	s_delay_alu instid0(VALU_DEP_2) | instskip(NEXT) | instid1(VALU_DEP_2)
	v_sub_f32_e32 v17, v17, v99
	v_add_f32_e32 v13, v13, v101
	s_delay_alu instid0(VALU_DEP_1) | instskip(NEXT) | instid1(VALU_DEP_1)
	v_add_f32_e32 v13, v17, v13
	v_add_f32_e32 v17, v105, v13
	s_delay_alu instid0(VALU_DEP_1) | instskip(NEXT) | instid1(VALU_DEP_1)
	v_mul_f32_e32 v99, v15, v17
	v_dual_sub_f32 v104, v105, v17 :: v_dual_mul_f32 v101, v100, v99
	s_delay_alu instid0(VALU_DEP_1) | instskip(NEXT) | instid1(VALU_DEP_2)
	v_add_f32_e32 v13, v13, v104
	v_fma_f32 v100, v99, v100, -v101
	s_delay_alu instid0(VALU_DEP_1) | instskip(NEXT) | instid1(VALU_DEP_1)
	v_fmac_f32_e32 v100, v99, v98
	v_add_f32_e32 v98, v101, v100
	s_delay_alu instid0(VALU_DEP_1) | instskip(NEXT) | instid1(VALU_DEP_1)
	v_sub_f32_e32 v103, v17, v98
	v_sub_f32_e32 v17, v17, v103
	s_delay_alu instid0(VALU_DEP_1) | instskip(NEXT) | instid1(VALU_DEP_1)
	v_sub_f32_e32 v17, v17, v98
	v_add_f32_e32 v13, v13, v17
	v_add_f32_e32 v17, v102, v99
	v_sub_f32_e32 v101, v98, v101
	s_delay_alu instid0(VALU_DEP_1) | instskip(NEXT) | instid1(VALU_DEP_1)
	v_sub_f32_e32 v98, v101, v100
	v_dual_add_f32 v13, v98, v13 :: v_dual_sub_f32 v98, v17, v102
	s_delay_alu instid0(VALU_DEP_1) | instskip(NEXT) | instid1(VALU_DEP_2)
	v_add_f32_e32 v13, v103, v13
	v_sub_f32_e32 v98, v99, v98
	s_delay_alu instid0(VALU_DEP_2) | instskip(NEXT) | instid1(VALU_DEP_1)
	v_mul_f32_e32 v13, v15, v13
	v_add_f32_e32 v13, v98, v13
	s_delay_alu instid0(VALU_DEP_1) | instskip(NEXT) | instid1(VALU_DEP_1)
	v_add_f32_e32 v15, v17, v13
	v_mul_f32_e32 v98, v15, v15
	s_delay_alu instid0(VALU_DEP_1) | instskip(SKIP_1) | instid1(VALU_DEP_2)
	v_fmaak_f32 v99, s83, v98, 0x3ecc95a3
	v_mul_f32_e32 v100, v15, v98
	v_fmaak_f32 v98, v98, v99, 0x3f2aaada
	v_ldexp_f32 v99, v15, 1
	s_delay_alu instid0(VALU_DEP_2) | instskip(NEXT) | instid1(VALU_DEP_1)
	v_dual_sub_f32 v15, v15, v17 :: v_dual_mul_f32 v98, v100, v98
	v_dual_mul_f32 v100, 0x3f317218, v12 :: v_dual_sub_f32 v13, v13, v15
	s_delay_alu instid0(VALU_DEP_2) | instskip(NEXT) | instid1(VALU_DEP_2)
	v_add_f32_e32 v17, v99, v98
	v_ldexp_f32 v13, v13, 1
	s_delay_alu instid0(VALU_DEP_2) | instskip(NEXT) | instid1(VALU_DEP_4)
	v_sub_f32_e32 v15, v17, v99
	v_fma_f32 v99, 0x3f317218, v12, -v100
	s_delay_alu instid0(VALU_DEP_2) | instskip(NEXT) | instid1(VALU_DEP_1)
	v_sub_f32_e32 v15, v98, v15
	v_dual_fmac_f32 v99, 0xb102e308, v12 :: v_dual_add_f32 v12, v13, v15
	s_delay_alu instid0(VALU_DEP_1) | instskip(NEXT) | instid1(VALU_DEP_2)
	v_add_f32_e32 v13, v100, v99
	v_add_f32_e32 v15, v17, v12
	s_delay_alu instid0(VALU_DEP_2) | instskip(NEXT) | instid1(VALU_DEP_2)
	v_sub_f32_e32 v100, v13, v100
	v_dual_add_f32 v98, v13, v15 :: v_dual_sub_f32 v17, v15, v17
	s_delay_alu instid0(VALU_DEP_2) | instskip(NEXT) | instid1(VALU_DEP_2)
	v_sub_f32_e32 v99, v99, v100
	v_sub_f32_e32 v101, v98, v13
	s_delay_alu instid0(VALU_DEP_3) | instskip(NEXT) | instid1(VALU_DEP_2)
	v_sub_f32_e32 v12, v12, v17
	v_sub_f32_e32 v102, v98, v101
	;; [unrolled: 1-line block ×3, first 2 shown]
	s_delay_alu instid0(VALU_DEP_3) | instskip(NEXT) | instid1(VALU_DEP_3)
	v_add_f32_e32 v17, v99, v12
	v_sub_f32_e32 v13, v13, v102
	s_delay_alu instid0(VALU_DEP_1) | instskip(NEXT) | instid1(VALU_DEP_3)
	v_add_f32_e32 v13, v15, v13
	v_sub_f32_e32 v15, v17, v99
	s_delay_alu instid0(VALU_DEP_2) | instskip(NEXT) | instid1(VALU_DEP_2)
	v_add_f32_e32 v13, v17, v13
	v_sub_f32_e32 v17, v17, v15
	v_sub_f32_e32 v12, v12, v15
	s_delay_alu instid0(VALU_DEP_3) | instskip(NEXT) | instid1(VALU_DEP_3)
	v_add_f32_e32 v100, v98, v13
	v_sub_f32_e32 v17, v99, v17
	s_delay_alu instid0(VALU_DEP_2) | instskip(NEXT) | instid1(VALU_DEP_1)
	v_sub_f32_e32 v15, v100, v98
	v_dual_add_f32 v12, v12, v17 :: v_dual_sub_f32 v13, v13, v15
	s_delay_alu instid0(VALU_DEP_1) | instskip(NEXT) | instid1(VALU_DEP_1)
	v_add_f32_e32 v12, v12, v13
	v_add_f32_e32 v12, v100, v12
	s_delay_alu instid0(VALU_DEP_1)
	v_cndmask_b32_e32 v98, v12, v14, vcc_lo
.LBB114_92:                             ;   in Loop: Header=BB114_12 Depth=1
	s_or_b32 exec_lo, exec_lo, s29
	v_lshrrev_b32_e32 v8, 16, v8
	s_delay_alu instid0(VALU_DEP_1) | instskip(NEXT) | instid1(VALU_DEP_1)
	v_cvt_f32_f16_e32 v8, v8
	v_add_f32_e32 v99, s66, v8
	s_delay_alu instid0(VALU_DEP_1) | instskip(SKIP_1) | instid1(SALU_CYCLE_1)
	v_cmp_ge_f32_e32 vcc_lo, 0x41a00000, v99
	s_and_b32 s28, s79, vcc_lo
	s_and_saveexec_b32 s29, s28
	s_cbranch_execz .LBB114_94
; %bb.93:                               ;   in Loop: Header=BB114_12 Depth=1
	v_mul_f32_e32 v8, 0x3fb8aa3b, v99
	v_cmp_ngt_f32_e32 vcc_lo, 0xc2ce8ed0, v99
	s_delay_alu instid0(VALU_DEP_2) | instskip(SKIP_1) | instid1(VALU_DEP_1)
	v_rndne_f32_e32 v12, v8
	v_fma_f32 v13, 0x3fb8aa3b, v99, -v8
	v_dual_sub_f32 v8, v8, v12 :: v_dual_fmac_f32 v13, 0x32a5705f, v99
	v_cvt_i32_f32_e32 v12, v12
	s_delay_alu instid0(VALU_DEP_2) | instskip(NEXT) | instid1(VALU_DEP_1)
	v_add_f32_e32 v8, v8, v13
	v_exp_f32_e32 v8, v8
	s_waitcnt_depctr 0xfff
	v_ldexp_f32 v8, v8, v12
	s_delay_alu instid0(VALU_DEP_1) | instskip(SKIP_1) | instid1(VALU_DEP_2)
	v_cndmask_b32_e32 v8, 0, v8, vcc_lo
	v_cmp_nlt_f32_e32 vcc_lo, 0x42b17218, v99
	v_cndmask_b32_e32 v8, 0x7f800000, v8, vcc_lo
	s_delay_alu instid0(VALU_DEP_1) | instskip(NEXT) | instid1(VALU_DEP_1)
	v_add_f32_e32 v14, 1.0, v8
	v_cvt_f64_f32_e32 v[12:13], v14
	s_delay_alu instid0(VALU_DEP_1) | instskip(SKIP_1) | instid1(VALU_DEP_1)
	v_frexp_exp_i32_f64_e32 v12, v[12:13]
	v_frexp_mant_f32_e32 v13, v14
	v_cmp_gt_f32_e32 vcc_lo, 0x3f2aaaab, v13
	v_add_f32_e32 v13, -1.0, v14
	s_delay_alu instid0(VALU_DEP_1) | instskip(NEXT) | instid1(VALU_DEP_1)
	v_sub_f32_e32 v17, v13, v14
	v_add_f32_e32 v17, 1.0, v17
	v_subrev_co_ci_u32_e32 v12, vcc_lo, 0, v12, vcc_lo
	s_delay_alu instid0(VALU_DEP_1) | instskip(SKIP_1) | instid1(VALU_DEP_2)
	v_sub_nc_u32_e32 v15, 0, v12
	v_cvt_f32_i32_e32 v12, v12
	v_ldexp_f32 v14, v14, v15
	s_delay_alu instid0(VALU_DEP_1) | instskip(SKIP_3) | instid1(VALU_DEP_3)
	v_add_f32_e32 v99, 1.0, v14
	v_sub_f32_e32 v13, v8, v13
	v_cmp_eq_f32_e32 vcc_lo, 0x7f800000, v8
	v_cmp_gt_f32_e64 s28, 0x33800000, v8
	v_add_f32_e32 v13, v13, v17
	s_delay_alu instid0(VALU_DEP_2) | instskip(NEXT) | instid1(VALU_DEP_1)
	s_or_b32 vcc_lo, s28, vcc_lo
	v_ldexp_f32 v13, v13, v15
	v_add_f32_e32 v15, -1.0, v14
	s_delay_alu instid0(VALU_DEP_1) | instskip(SKIP_1) | instid1(VALU_DEP_1)
	v_add_f32_e32 v100, 1.0, v15
	v_add_f32_e32 v17, -1.0, v99
	v_sub_f32_e32 v17, v14, v17
	s_delay_alu instid0(VALU_DEP_1) | instskip(NEXT) | instid1(VALU_DEP_1)
	v_dual_sub_f32 v14, v14, v100 :: v_dual_add_f32 v17, v13, v17
	v_add_f32_e32 v100, v99, v17
	s_delay_alu instid0(VALU_DEP_1) | instskip(NEXT) | instid1(VALU_DEP_1)
	v_sub_f32_e32 v99, v99, v100
	v_add_f32_e32 v17, v17, v99
	s_delay_alu instid0(VALU_DEP_4) | instskip(SKIP_1) | instid1(VALU_DEP_1)
	v_add_f32_e32 v13, v13, v14
	v_rcp_f32_e32 v14, v100
	v_add_f32_e32 v101, v15, v13
	s_waitcnt_depctr 0xfff
	v_dual_sub_f32 v15, v15, v101 :: v_dual_mul_f32 v102, v101, v14
	s_delay_alu instid0(VALU_DEP_1) | instskip(NEXT) | instid1(VALU_DEP_2)
	v_add_f32_e32 v13, v13, v15
	v_mul_f32_e32 v103, v100, v102
	s_delay_alu instid0(VALU_DEP_1) | instskip(NEXT) | instid1(VALU_DEP_1)
	v_fma_f32 v99, v102, v100, -v103
	v_fmac_f32_e32 v99, v102, v17
	s_delay_alu instid0(VALU_DEP_1) | instskip(NEXT) | instid1(VALU_DEP_1)
	v_add_f32_e32 v104, v103, v99
	v_sub_f32_e32 v105, v101, v104
	v_sub_f32_e32 v15, v104, v103
	s_delay_alu instid0(VALU_DEP_2) | instskip(NEXT) | instid1(VALU_DEP_2)
	v_sub_f32_e32 v101, v101, v105
	v_sub_f32_e32 v15, v15, v99
	s_delay_alu instid0(VALU_DEP_2) | instskip(NEXT) | instid1(VALU_DEP_1)
	v_sub_f32_e32 v101, v101, v104
	v_add_f32_e32 v13, v13, v101
	s_delay_alu instid0(VALU_DEP_1) | instskip(NEXT) | instid1(VALU_DEP_1)
	v_add_f32_e32 v13, v15, v13
	v_add_f32_e32 v15, v105, v13
	s_delay_alu instid0(VALU_DEP_1) | instskip(SKIP_1) | instid1(VALU_DEP_2)
	v_mul_f32_e32 v99, v14, v15
	v_sub_f32_e32 v104, v105, v15
	v_mul_f32_e32 v101, v100, v99
	s_delay_alu instid0(VALU_DEP_2) | instskip(NEXT) | instid1(VALU_DEP_2)
	v_add_f32_e32 v13, v13, v104
	v_fma_f32 v100, v99, v100, -v101
	s_delay_alu instid0(VALU_DEP_1) | instskip(NEXT) | instid1(VALU_DEP_1)
	v_fmac_f32_e32 v100, v99, v17
	v_add_f32_e32 v17, v101, v100
	s_delay_alu instid0(VALU_DEP_1) | instskip(SKIP_1) | instid1(VALU_DEP_2)
	v_sub_f32_e32 v103, v15, v17
	v_sub_f32_e32 v101, v17, v101
	;; [unrolled: 1-line block ×3, first 2 shown]
	s_delay_alu instid0(VALU_DEP_1) | instskip(NEXT) | instid1(VALU_DEP_3)
	v_sub_f32_e32 v15, v15, v17
	v_sub_f32_e32 v17, v101, v100
	s_delay_alu instid0(VALU_DEP_2) | instskip(SKIP_1) | instid1(VALU_DEP_2)
	v_add_f32_e32 v13, v13, v15
	v_add_f32_e32 v15, v102, v99
	;; [unrolled: 1-line block ×3, first 2 shown]
	s_delay_alu instid0(VALU_DEP_2) | instskip(NEXT) | instid1(VALU_DEP_2)
	v_sub_f32_e32 v17, v15, v102
	v_add_f32_e32 v13, v103, v13
	s_delay_alu instid0(VALU_DEP_2) | instskip(NEXT) | instid1(VALU_DEP_2)
	v_sub_f32_e32 v17, v99, v17
	v_mul_f32_e32 v13, v14, v13
	s_delay_alu instid0(VALU_DEP_1) | instskip(NEXT) | instid1(VALU_DEP_1)
	v_add_f32_e32 v13, v17, v13
	v_add_f32_e32 v14, v15, v13
	s_delay_alu instid0(VALU_DEP_1) | instskip(NEXT) | instid1(VALU_DEP_1)
	v_mul_f32_e32 v17, v14, v14
	v_fmaak_f32 v99, s83, v17, 0x3ecc95a3
	s_delay_alu instid0(VALU_DEP_1) | instskip(SKIP_1) | instid1(VALU_DEP_2)
	v_dual_mul_f32 v100, v14, v17 :: v_dual_fmaak_f32 v17, v17, v99, 0x3f2aaada
	v_ldexp_f32 v99, v14, 1
	v_dual_sub_f32 v14, v14, v15 :: v_dual_mul_f32 v17, v100, v17
	s_delay_alu instid0(VALU_DEP_1) | instskip(NEXT) | instid1(VALU_DEP_2)
	v_dual_mul_f32 v100, 0x3f317218, v12 :: v_dual_sub_f32 v13, v13, v14
	v_add_f32_e32 v15, v99, v17
	s_delay_alu instid0(VALU_DEP_2) | instskip(NEXT) | instid1(VALU_DEP_2)
	v_ldexp_f32 v13, v13, 1
	v_sub_f32_e32 v14, v15, v99
	s_delay_alu instid0(VALU_DEP_4) | instskip(NEXT) | instid1(VALU_DEP_1)
	v_fma_f32 v99, 0x3f317218, v12, -v100
	v_dual_sub_f32 v14, v17, v14 :: v_dual_fmac_f32 v99, 0xb102e308, v12
	s_delay_alu instid0(VALU_DEP_1) | instskip(NEXT) | instid1(VALU_DEP_1)
	v_dual_add_f32 v12, v13, v14 :: v_dual_add_f32 v13, v100, v99
	v_add_f32_e32 v14, v15, v12
	s_delay_alu instid0(VALU_DEP_2) | instskip(NEXT) | instid1(VALU_DEP_2)
	v_sub_f32_e32 v100, v13, v100
	v_add_f32_e32 v17, v13, v14
	v_sub_f32_e32 v15, v14, v15
	s_delay_alu instid0(VALU_DEP_3) | instskip(NEXT) | instid1(VALU_DEP_2)
	v_sub_f32_e32 v99, v99, v100
	v_dual_sub_f32 v101, v17, v13 :: v_dual_sub_f32 v12, v12, v15
	s_delay_alu instid0(VALU_DEP_1) | instskip(NEXT) | instid1(VALU_DEP_2)
	v_sub_f32_e32 v102, v17, v101
	v_dual_sub_f32 v14, v14, v101 :: v_dual_add_f32 v15, v99, v12
	s_delay_alu instid0(VALU_DEP_2) | instskip(NEXT) | instid1(VALU_DEP_1)
	v_sub_f32_e32 v13, v13, v102
	v_dual_add_f32 v13, v14, v13 :: v_dual_sub_f32 v14, v15, v99
	s_delay_alu instid0(VALU_DEP_1) | instskip(NEXT) | instid1(VALU_DEP_2)
	v_add_f32_e32 v13, v15, v13
	v_sub_f32_e32 v15, v15, v14
	v_sub_f32_e32 v12, v12, v14
	s_delay_alu instid0(VALU_DEP_2) | instskip(NEXT) | instid1(VALU_DEP_1)
	v_dual_add_f32 v100, v17, v13 :: v_dual_sub_f32 v15, v99, v15
	v_sub_f32_e32 v14, v100, v17
	s_delay_alu instid0(VALU_DEP_1) | instskip(NEXT) | instid1(VALU_DEP_1)
	v_dual_add_f32 v12, v12, v15 :: v_dual_sub_f32 v13, v13, v14
	v_add_f32_e32 v12, v12, v13
	s_delay_alu instid0(VALU_DEP_1) | instskip(NEXT) | instid1(VALU_DEP_1)
	v_add_f32_e32 v12, v100, v12
	v_cndmask_b32_e32 v99, v12, v8, vcc_lo
.LBB114_94:                             ;   in Loop: Header=BB114_12 Depth=1
	s_or_b32 exec_lo, exec_lo, s29
	v_cvt_f32_f16_e32 v8, v9
	s_delay_alu instid0(VALU_DEP_1) | instskip(NEXT) | instid1(VALU_DEP_1)
	v_add_f32_e32 v100, s66, v8
	v_cmp_ge_f32_e32 vcc_lo, 0x41a00000, v100
	s_and_b32 s28, s79, vcc_lo
	s_delay_alu instid0(SALU_CYCLE_1)
	s_and_saveexec_b32 s29, s28
	s_cbranch_execz .LBB114_96
; %bb.95:                               ;   in Loop: Header=BB114_12 Depth=1
	v_mul_f32_e32 v8, 0x3fb8aa3b, v100
	v_cmp_ngt_f32_e32 vcc_lo, 0xc2ce8ed0, v100
	s_delay_alu instid0(VALU_DEP_2) | instskip(SKIP_1) | instid1(VALU_DEP_2)
	v_rndne_f32_e32 v12, v8
	v_fma_f32 v13, 0x3fb8aa3b, v100, -v8
	v_sub_f32_e32 v8, v8, v12
	s_delay_alu instid0(VALU_DEP_2) | instskip(SKIP_1) | instid1(VALU_DEP_2)
	v_fmac_f32_e32 v13, 0x32a5705f, v100
	v_cvt_i32_f32_e32 v12, v12
	v_add_f32_e32 v8, v8, v13
	s_delay_alu instid0(VALU_DEP_1) | instskip(SKIP_2) | instid1(VALU_DEP_1)
	v_exp_f32_e32 v8, v8
	s_waitcnt_depctr 0xfff
	v_ldexp_f32 v8, v8, v12
	v_cndmask_b32_e32 v8, 0, v8, vcc_lo
	v_cmp_nlt_f32_e32 vcc_lo, 0x42b17218, v100
	s_delay_alu instid0(VALU_DEP_2) | instskip(NEXT) | instid1(VALU_DEP_1)
	v_cndmask_b32_e32 v8, 0x7f800000, v8, vcc_lo
	v_add_f32_e32 v14, 1.0, v8
	s_delay_alu instid0(VALU_DEP_1) | instskip(NEXT) | instid1(VALU_DEP_1)
	v_cvt_f64_f32_e32 v[12:13], v14
	v_frexp_exp_i32_f64_e32 v12, v[12:13]
	v_frexp_mant_f32_e32 v13, v14
	s_delay_alu instid0(VALU_DEP_1) | instskip(SKIP_1) | instid1(VALU_DEP_1)
	v_cmp_gt_f32_e32 vcc_lo, 0x3f2aaaab, v13
	v_add_f32_e32 v13, -1.0, v14
	v_sub_f32_e32 v17, v13, v14
	v_sub_f32_e32 v13, v8, v13
	s_delay_alu instid0(VALU_DEP_2) | instskip(NEXT) | instid1(VALU_DEP_1)
	v_add_f32_e32 v17, 1.0, v17
	v_add_f32_e32 v13, v13, v17
	v_cmp_gt_f32_e64 s28, 0x33800000, v8
	v_subrev_co_ci_u32_e32 v12, vcc_lo, 0, v12, vcc_lo
	v_cmp_eq_f32_e32 vcc_lo, 0x7f800000, v8
	s_delay_alu instid0(VALU_DEP_2) | instskip(SKIP_2) | instid1(VALU_DEP_2)
	v_sub_nc_u32_e32 v15, 0, v12
	v_cvt_f32_i32_e32 v12, v12
	s_or_b32 vcc_lo, s28, vcc_lo
	v_ldexp_f32 v14, v14, v15
	v_ldexp_f32 v13, v13, v15
	s_delay_alu instid0(VALU_DEP_2) | instskip(SKIP_1) | instid1(VALU_DEP_2)
	v_add_f32_e32 v100, 1.0, v14
	v_add_f32_e32 v15, -1.0, v14
	v_add_f32_e32 v17, -1.0, v100
	s_delay_alu instid0(VALU_DEP_2) | instskip(NEXT) | instid1(VALU_DEP_2)
	v_add_f32_e32 v101, 1.0, v15
	v_sub_f32_e32 v17, v14, v17
	s_delay_alu instid0(VALU_DEP_2) | instskip(NEXT) | instid1(VALU_DEP_2)
	v_sub_f32_e32 v14, v14, v101
	v_add_f32_e32 v17, v13, v17
	s_delay_alu instid0(VALU_DEP_1) | instskip(NEXT) | instid1(VALU_DEP_1)
	v_add_f32_e32 v101, v100, v17
	v_dual_add_f32 v13, v13, v14 :: v_dual_sub_f32 v100, v100, v101
	v_rcp_f32_e32 v14, v101
	s_delay_alu instid0(VALU_DEP_1) | instskip(NEXT) | instid1(VALU_DEP_1)
	v_dual_add_f32 v102, v15, v13 :: v_dual_add_f32 v17, v17, v100
	v_sub_f32_e32 v15, v15, v102
	s_waitcnt_depctr 0xfff
	v_mul_f32_e32 v103, v102, v14
	v_add_f32_e32 v13, v13, v15
	s_delay_alu instid0(VALU_DEP_2) | instskip(NEXT) | instid1(VALU_DEP_1)
	v_mul_f32_e32 v104, v101, v103
	v_fma_f32 v100, v103, v101, -v104
	s_delay_alu instid0(VALU_DEP_1) | instskip(NEXT) | instid1(VALU_DEP_1)
	v_fmac_f32_e32 v100, v103, v17
	v_add_f32_e32 v105, v104, v100
	s_delay_alu instid0(VALU_DEP_1) | instskip(NEXT) | instid1(VALU_DEP_1)
	v_dual_sub_f32 v106, v102, v105 :: v_dual_sub_f32 v15, v105, v104
	v_dual_sub_f32 v102, v102, v106 :: v_dual_sub_f32 v15, v15, v100
	s_delay_alu instid0(VALU_DEP_1) | instskip(NEXT) | instid1(VALU_DEP_1)
	v_sub_f32_e32 v102, v102, v105
	v_add_f32_e32 v13, v13, v102
	s_delay_alu instid0(VALU_DEP_1) | instskip(NEXT) | instid1(VALU_DEP_1)
	v_add_f32_e32 v13, v15, v13
	v_add_f32_e32 v15, v106, v13
	s_delay_alu instid0(VALU_DEP_1) | instskip(NEXT) | instid1(VALU_DEP_1)
	v_mul_f32_e32 v100, v14, v15
	v_dual_sub_f32 v105, v106, v15 :: v_dual_mul_f32 v102, v101, v100
	s_delay_alu instid0(VALU_DEP_1) | instskip(NEXT) | instid1(VALU_DEP_2)
	v_add_f32_e32 v13, v13, v105
	v_fma_f32 v101, v100, v101, -v102
	s_delay_alu instid0(VALU_DEP_1) | instskip(NEXT) | instid1(VALU_DEP_1)
	v_fmac_f32_e32 v101, v100, v17
	v_add_f32_e32 v17, v102, v101
	s_delay_alu instid0(VALU_DEP_1) | instskip(NEXT) | instid1(VALU_DEP_1)
	v_sub_f32_e32 v104, v15, v17
	v_dual_sub_f32 v102, v17, v102 :: v_dual_sub_f32 v15, v15, v104
	s_delay_alu instid0(VALU_DEP_1) | instskip(NEXT) | instid1(VALU_DEP_2)
	v_sub_f32_e32 v15, v15, v17
	v_sub_f32_e32 v17, v102, v101
	s_delay_alu instid0(VALU_DEP_2) | instskip(SKIP_1) | instid1(VALU_DEP_2)
	v_add_f32_e32 v13, v13, v15
	v_add_f32_e32 v15, v103, v100
	;; [unrolled: 1-line block ×3, first 2 shown]
	s_delay_alu instid0(VALU_DEP_2) | instskip(NEXT) | instid1(VALU_DEP_2)
	v_sub_f32_e32 v17, v15, v103
	v_add_f32_e32 v13, v104, v13
	s_delay_alu instid0(VALU_DEP_2) | instskip(NEXT) | instid1(VALU_DEP_2)
	v_sub_f32_e32 v17, v100, v17
	v_mul_f32_e32 v13, v14, v13
	s_delay_alu instid0(VALU_DEP_1) | instskip(NEXT) | instid1(VALU_DEP_1)
	v_add_f32_e32 v13, v17, v13
	v_add_f32_e32 v14, v15, v13
	s_delay_alu instid0(VALU_DEP_1) | instskip(NEXT) | instid1(VALU_DEP_1)
	v_mul_f32_e32 v17, v14, v14
	v_fmaak_f32 v100, s83, v17, 0x3ecc95a3
	v_mul_f32_e32 v101, v14, v17
	s_delay_alu instid0(VALU_DEP_2) | instskip(SKIP_1) | instid1(VALU_DEP_2)
	v_fmaak_f32 v17, v17, v100, 0x3f2aaada
	v_ldexp_f32 v100, v14, 1
	v_dual_sub_f32 v14, v14, v15 :: v_dual_mul_f32 v17, v101, v17
	v_mul_f32_e32 v101, 0x3f317218, v12
	s_delay_alu instid0(VALU_DEP_2) | instskip(NEXT) | instid1(VALU_DEP_3)
	v_sub_f32_e32 v13, v13, v14
	v_add_f32_e32 v15, v100, v17
	s_delay_alu instid0(VALU_DEP_2) | instskip(NEXT) | instid1(VALU_DEP_2)
	v_ldexp_f32 v13, v13, 1
	v_sub_f32_e32 v14, v15, v100
	v_fma_f32 v100, 0x3f317218, v12, -v101
	s_delay_alu instid0(VALU_DEP_2) | instskip(NEXT) | instid1(VALU_DEP_2)
	v_sub_f32_e32 v14, v17, v14
	v_fmac_f32_e32 v100, 0xb102e308, v12
	s_delay_alu instid0(VALU_DEP_2) | instskip(NEXT) | instid1(VALU_DEP_2)
	v_add_f32_e32 v12, v13, v14
	v_add_f32_e32 v13, v101, v100
	s_delay_alu instid0(VALU_DEP_1) | instskip(NEXT) | instid1(VALU_DEP_1)
	v_dual_add_f32 v14, v15, v12 :: v_dual_sub_f32 v101, v13, v101
	v_add_f32_e32 v17, v13, v14
	s_delay_alu instid0(VALU_DEP_2) | instskip(NEXT) | instid1(VALU_DEP_2)
	v_dual_sub_f32 v15, v14, v15 :: v_dual_sub_f32 v100, v100, v101
	v_sub_f32_e32 v102, v17, v13
	s_delay_alu instid0(VALU_DEP_1) | instskip(NEXT) | instid1(VALU_DEP_1)
	v_dual_sub_f32 v12, v12, v15 :: v_dual_sub_f32 v103, v17, v102
	v_dual_sub_f32 v14, v14, v102 :: v_dual_add_f32 v15, v100, v12
	s_delay_alu instid0(VALU_DEP_2) | instskip(NEXT) | instid1(VALU_DEP_1)
	v_sub_f32_e32 v13, v13, v103
	v_dual_add_f32 v13, v14, v13 :: v_dual_sub_f32 v14, v15, v100
	s_delay_alu instid0(VALU_DEP_1) | instskip(NEXT) | instid1(VALU_DEP_2)
	v_add_f32_e32 v13, v15, v13
	v_sub_f32_e32 v15, v15, v14
	s_delay_alu instid0(VALU_DEP_2) | instskip(NEXT) | instid1(VALU_DEP_1)
	v_dual_sub_f32 v12, v12, v14 :: v_dual_add_f32 v101, v17, v13
	v_dual_sub_f32 v15, v100, v15 :: v_dual_sub_f32 v14, v101, v17
	s_delay_alu instid0(VALU_DEP_1) | instskip(NEXT) | instid1(VALU_DEP_1)
	v_dual_add_f32 v12, v12, v15 :: v_dual_sub_f32 v13, v13, v14
	v_add_f32_e32 v12, v12, v13
	s_delay_alu instid0(VALU_DEP_1) | instskip(NEXT) | instid1(VALU_DEP_1)
	v_add_f32_e32 v12, v101, v12
	v_cndmask_b32_e32 v100, v12, v8, vcc_lo
.LBB114_96:                             ;   in Loop: Header=BB114_12 Depth=1
	s_or_b32 exec_lo, exec_lo, s29
	v_lshrrev_b32_e32 v8, 16, v9
	s_delay_alu instid0(VALU_DEP_1) | instskip(NEXT) | instid1(VALU_DEP_1)
	v_cvt_f32_f16_e32 v8, v8
	v_add_f32_e32 v101, s66, v8
	s_delay_alu instid0(VALU_DEP_1) | instskip(SKIP_1) | instid1(SALU_CYCLE_1)
	v_cmp_ge_f32_e32 vcc_lo, 0x41a00000, v101
	s_and_b32 s28, s79, vcc_lo
	s_and_saveexec_b32 s29, s28
	s_cbranch_execz .LBB114_98
; %bb.97:                               ;   in Loop: Header=BB114_12 Depth=1
	v_mul_f32_e32 v8, 0x3fb8aa3b, v101
	v_cmp_ngt_f32_e32 vcc_lo, 0xc2ce8ed0, v101
	s_delay_alu instid0(VALU_DEP_2) | instskip(SKIP_1) | instid1(VALU_DEP_2)
	v_rndne_f32_e32 v9, v8
	v_fma_f32 v12, 0x3fb8aa3b, v101, -v8
	v_sub_f32_e32 v8, v8, v9
	s_delay_alu instid0(VALU_DEP_2) | instskip(SKIP_1) | instid1(VALU_DEP_2)
	v_fmac_f32_e32 v12, 0x32a5705f, v101
	v_cvt_i32_f32_e32 v9, v9
	v_add_f32_e32 v8, v8, v12
	s_delay_alu instid0(VALU_DEP_1) | instskip(SKIP_2) | instid1(VALU_DEP_1)
	v_exp_f32_e32 v8, v8
	s_waitcnt_depctr 0xfff
	v_ldexp_f32 v8, v8, v9
	v_cndmask_b32_e32 v8, 0, v8, vcc_lo
	v_cmp_nlt_f32_e32 vcc_lo, 0x42b17218, v101
	s_delay_alu instid0(VALU_DEP_2) | instskip(NEXT) | instid1(VALU_DEP_1)
	v_cndmask_b32_e32 v12, 0x7f800000, v8, vcc_lo
	v_add_f32_e32 v13, 1.0, v12
	s_delay_alu instid0(VALU_DEP_1) | instskip(NEXT) | instid1(VALU_DEP_1)
	v_cvt_f64_f32_e32 v[8:9], v13
	v_frexp_exp_i32_f64_e32 v8, v[8:9]
	v_frexp_mant_f32_e32 v9, v13
	s_delay_alu instid0(VALU_DEP_1) | instskip(SKIP_1) | instid1(VALU_DEP_1)
	v_cmp_gt_f32_e32 vcc_lo, 0x3f2aaaab, v9
	v_add_f32_e32 v9, -1.0, v13
	v_sub_f32_e32 v15, v9, v13
	s_delay_alu instid0(VALU_DEP_1) | instskip(SKIP_1) | instid1(VALU_DEP_1)
	v_add_f32_e32 v15, 1.0, v15
	v_subrev_co_ci_u32_e32 v8, vcc_lo, 0, v8, vcc_lo
	v_sub_nc_u32_e32 v14, 0, v8
	v_cvt_f32_i32_e32 v8, v8
	s_delay_alu instid0(VALU_DEP_2) | instskip(NEXT) | instid1(VALU_DEP_1)
	v_ldexp_f32 v13, v13, v14
	v_add_f32_e32 v17, 1.0, v13
	v_sub_f32_e32 v9, v12, v9
	v_cmp_eq_f32_e32 vcc_lo, 0x7f800000, v12
	v_cmp_gt_f32_e64 s28, 0x33800000, v12
	s_delay_alu instid0(VALU_DEP_3) | instskip(NEXT) | instid1(VALU_DEP_2)
	v_add_f32_e32 v9, v9, v15
	s_or_b32 vcc_lo, s28, vcc_lo
	s_delay_alu instid0(VALU_DEP_1) | instskip(SKIP_2) | instid1(VALU_DEP_1)
	v_ldexp_f32 v9, v9, v14
	v_add_f32_e32 v14, -1.0, v13
	v_add_f32_e32 v15, -1.0, v17
	v_sub_f32_e32 v15, v13, v15
	s_delay_alu instid0(VALU_DEP_3) | instskip(NEXT) | instid1(VALU_DEP_2)
	v_add_f32_e32 v101, 1.0, v14
	v_add_f32_e32 v15, v9, v15
	s_delay_alu instid0(VALU_DEP_2) | instskip(NEXT) | instid1(VALU_DEP_2)
	v_sub_f32_e32 v13, v13, v101
	v_add_f32_e32 v101, v17, v15
	s_delay_alu instid0(VALU_DEP_2) | instskip(NEXT) | instid1(VALU_DEP_2)
	v_add_f32_e32 v9, v9, v13
	v_rcp_f32_e32 v13, v101
	s_delay_alu instid0(VALU_DEP_1) | instskip(NEXT) | instid1(VALU_DEP_1)
	v_add_f32_e32 v102, v14, v9
	v_dual_sub_f32 v17, v17, v101 :: v_dual_sub_f32 v14, v14, v102
	s_delay_alu instid0(VALU_DEP_1) | instskip(SKIP_2) | instid1(VALU_DEP_1)
	v_add_f32_e32 v15, v15, v17
	s_waitcnt_depctr 0xfff
	v_mul_f32_e32 v103, v102, v13
	v_mul_f32_e32 v104, v101, v103
	s_delay_alu instid0(VALU_DEP_1) | instskip(NEXT) | instid1(VALU_DEP_1)
	v_fma_f32 v17, v103, v101, -v104
	v_fmac_f32_e32 v17, v103, v15
	v_add_f32_e32 v9, v9, v14
	s_delay_alu instid0(VALU_DEP_2) | instskip(NEXT) | instid1(VALU_DEP_1)
	v_add_f32_e32 v105, v104, v17
	v_sub_f32_e32 v106, v102, v105
	v_sub_f32_e32 v14, v105, v104
	s_delay_alu instid0(VALU_DEP_2) | instskip(NEXT) | instid1(VALU_DEP_2)
	v_sub_f32_e32 v102, v102, v106
	v_sub_f32_e32 v14, v14, v17
	s_delay_alu instid0(VALU_DEP_2) | instskip(NEXT) | instid1(VALU_DEP_1)
	v_sub_f32_e32 v102, v102, v105
	v_add_f32_e32 v9, v9, v102
	s_delay_alu instid0(VALU_DEP_1) | instskip(NEXT) | instid1(VALU_DEP_1)
	v_add_f32_e32 v9, v14, v9
	v_add_f32_e32 v14, v106, v9
	s_delay_alu instid0(VALU_DEP_1) | instskip(NEXT) | instid1(VALU_DEP_1)
	v_mul_f32_e32 v17, v13, v14
	v_dual_sub_f32 v105, v106, v14 :: v_dual_mul_f32 v102, v101, v17
	s_delay_alu instid0(VALU_DEP_1) | instskip(NEXT) | instid1(VALU_DEP_2)
	v_add_f32_e32 v9, v9, v105
	v_fma_f32 v101, v17, v101, -v102
	s_delay_alu instid0(VALU_DEP_1) | instskip(NEXT) | instid1(VALU_DEP_1)
	v_fmac_f32_e32 v101, v17, v15
	v_add_f32_e32 v15, v102, v101
	s_delay_alu instid0(VALU_DEP_1) | instskip(SKIP_1) | instid1(VALU_DEP_2)
	v_sub_f32_e32 v104, v14, v15
	v_sub_f32_e32 v102, v15, v102
	;; [unrolled: 1-line block ×3, first 2 shown]
	s_delay_alu instid0(VALU_DEP_1) | instskip(NEXT) | instid1(VALU_DEP_1)
	v_sub_f32_e32 v14, v14, v15
	v_dual_add_f32 v9, v9, v14 :: v_dual_add_f32 v14, v103, v17
	s_delay_alu instid0(VALU_DEP_4) | instskip(NEXT) | instid1(VALU_DEP_1)
	v_sub_f32_e32 v15, v102, v101
	v_add_f32_e32 v9, v15, v9
	s_delay_alu instid0(VALU_DEP_3) | instskip(NEXT) | instid1(VALU_DEP_2)
	v_sub_f32_e32 v15, v14, v103
	v_add_f32_e32 v9, v104, v9
	s_delay_alu instid0(VALU_DEP_2) | instskip(NEXT) | instid1(VALU_DEP_2)
	v_sub_f32_e32 v15, v17, v15
	v_mul_f32_e32 v9, v13, v9
	s_delay_alu instid0(VALU_DEP_1) | instskip(NEXT) | instid1(VALU_DEP_1)
	v_add_f32_e32 v9, v15, v9
	v_add_f32_e32 v13, v14, v9
	s_delay_alu instid0(VALU_DEP_1) | instskip(NEXT) | instid1(VALU_DEP_1)
	v_mul_f32_e32 v15, v13, v13
	v_fmaak_f32 v17, s83, v15, 0x3ecc95a3
	v_mul_f32_e32 v101, v13, v15
	s_delay_alu instid0(VALU_DEP_2) | instskip(SKIP_2) | instid1(VALU_DEP_3)
	v_fmaak_f32 v15, v15, v17, 0x3f2aaada
	v_ldexp_f32 v17, v13, 1
	v_sub_f32_e32 v13, v13, v14
	v_mul_f32_e32 v15, v101, v15
	v_mul_f32_e32 v101, 0x3f317218, v8
	s_delay_alu instid0(VALU_DEP_3) | instskip(NEXT) | instid1(VALU_DEP_3)
	v_sub_f32_e32 v9, v9, v13
	v_add_f32_e32 v14, v17, v15
	s_delay_alu instid0(VALU_DEP_2) | instskip(NEXT) | instid1(VALU_DEP_2)
	v_ldexp_f32 v9, v9, 1
	v_sub_f32_e32 v13, v14, v17
	v_fma_f32 v17, 0x3f317218, v8, -v101
	s_delay_alu instid0(VALU_DEP_2) | instskip(NEXT) | instid1(VALU_DEP_1)
	v_sub_f32_e32 v13, v15, v13
	v_dual_fmac_f32 v17, 0xb102e308, v8 :: v_dual_add_f32 v8, v9, v13
	s_delay_alu instid0(VALU_DEP_1) | instskip(NEXT) | instid1(VALU_DEP_2)
	v_add_f32_e32 v9, v101, v17
	v_add_f32_e32 v13, v14, v8
	s_delay_alu instid0(VALU_DEP_2) | instskip(NEXT) | instid1(VALU_DEP_2)
	v_sub_f32_e32 v101, v9, v101
	v_add_f32_e32 v15, v9, v13
	v_sub_f32_e32 v14, v13, v14
	s_delay_alu instid0(VALU_DEP_3) | instskip(NEXT) | instid1(VALU_DEP_3)
	v_sub_f32_e32 v17, v17, v101
	v_sub_f32_e32 v102, v15, v9
	s_delay_alu instid0(VALU_DEP_3) | instskip(NEXT) | instid1(VALU_DEP_2)
	v_sub_f32_e32 v8, v8, v14
	v_sub_f32_e32 v103, v15, v102
	;; [unrolled: 1-line block ×3, first 2 shown]
	s_delay_alu instid0(VALU_DEP_3) | instskip(NEXT) | instid1(VALU_DEP_3)
	v_add_f32_e32 v14, v17, v8
	v_sub_f32_e32 v9, v9, v103
	s_delay_alu instid0(VALU_DEP_1) | instskip(NEXT) | instid1(VALU_DEP_3)
	v_add_f32_e32 v9, v13, v9
	v_sub_f32_e32 v13, v14, v17
	s_delay_alu instid0(VALU_DEP_2) | instskip(NEXT) | instid1(VALU_DEP_2)
	v_add_f32_e32 v9, v14, v9
	v_sub_f32_e32 v14, v14, v13
	v_sub_f32_e32 v8, v8, v13
	s_delay_alu instid0(VALU_DEP_2) | instskip(NEXT) | instid1(VALU_DEP_1)
	v_dual_add_f32 v101, v15, v9 :: v_dual_sub_f32 v14, v17, v14
	v_dual_sub_f32 v13, v101, v15 :: v_dual_add_f32 v8, v8, v14
	s_delay_alu instid0(VALU_DEP_1) | instskip(NEXT) | instid1(VALU_DEP_1)
	v_sub_f32_e32 v9, v9, v13
	v_add_f32_e32 v8, v8, v9
	s_delay_alu instid0(VALU_DEP_1) | instskip(NEXT) | instid1(VALU_DEP_1)
	v_add_f32_e32 v8, v101, v8
	v_cndmask_b32_e32 v101, v8, v12, vcc_lo
.LBB114_98:                             ;   in Loop: Header=BB114_12 Depth=1
	s_or_b32 exec_lo, exec_lo, s29
	v_cvt_f32_f16_e32 v8, v10
	s_delay_alu instid0(VALU_DEP_1) | instskip(NEXT) | instid1(VALU_DEP_1)
	v_add_f32_e32 v102, s66, v8
	v_cmp_ge_f32_e32 vcc_lo, 0x41a00000, v102
	s_and_b32 s28, s79, vcc_lo
	s_delay_alu instid0(SALU_CYCLE_1)
	s_and_saveexec_b32 s29, s28
	s_cbranch_execz .LBB114_100
; %bb.99:                               ;   in Loop: Header=BB114_12 Depth=1
	v_mul_f32_e32 v8, 0x3fb8aa3b, v102
	v_cmp_ngt_f32_e32 vcc_lo, 0xc2ce8ed0, v102
	s_delay_alu instid0(VALU_DEP_2) | instskip(SKIP_1) | instid1(VALU_DEP_2)
	v_rndne_f32_e32 v9, v8
	v_fma_f32 v12, 0x3fb8aa3b, v102, -v8
	v_sub_f32_e32 v8, v8, v9
	s_delay_alu instid0(VALU_DEP_2) | instskip(SKIP_1) | instid1(VALU_DEP_2)
	v_fmac_f32_e32 v12, 0x32a5705f, v102
	v_cvt_i32_f32_e32 v9, v9
	v_add_f32_e32 v8, v8, v12
	s_delay_alu instid0(VALU_DEP_1) | instskip(SKIP_2) | instid1(VALU_DEP_1)
	v_exp_f32_e32 v8, v8
	s_waitcnt_depctr 0xfff
	v_ldexp_f32 v8, v8, v9
	v_cndmask_b32_e32 v8, 0, v8, vcc_lo
	v_cmp_nlt_f32_e32 vcc_lo, 0x42b17218, v102
	s_delay_alu instid0(VALU_DEP_2) | instskip(NEXT) | instid1(VALU_DEP_1)
	v_cndmask_b32_e32 v12, 0x7f800000, v8, vcc_lo
	v_add_f32_e32 v13, 1.0, v12
	s_delay_alu instid0(VALU_DEP_1) | instskip(NEXT) | instid1(VALU_DEP_1)
	v_cvt_f64_f32_e32 v[8:9], v13
	v_frexp_exp_i32_f64_e32 v8, v[8:9]
	v_frexp_mant_f32_e32 v9, v13
	s_delay_alu instid0(VALU_DEP_1) | instskip(SKIP_1) | instid1(VALU_DEP_1)
	v_cmp_gt_f32_e32 vcc_lo, 0x3f2aaaab, v9
	v_add_f32_e32 v9, -1.0, v13
	v_sub_f32_e32 v15, v9, v13
	s_delay_alu instid0(VALU_DEP_1) | instskip(SKIP_1) | instid1(VALU_DEP_1)
	v_add_f32_e32 v15, 1.0, v15
	v_subrev_co_ci_u32_e32 v8, vcc_lo, 0, v8, vcc_lo
	v_sub_nc_u32_e32 v14, 0, v8
	v_cvt_f32_i32_e32 v8, v8
	s_delay_alu instid0(VALU_DEP_2) | instskip(NEXT) | instid1(VALU_DEP_1)
	v_ldexp_f32 v13, v13, v14
	v_add_f32_e32 v17, 1.0, v13
	v_sub_f32_e32 v9, v12, v9
	v_cmp_eq_f32_e32 vcc_lo, 0x7f800000, v12
	v_cmp_gt_f32_e64 s28, 0x33800000, v12
	s_delay_alu instid0(VALU_DEP_3) | instskip(NEXT) | instid1(VALU_DEP_2)
	v_add_f32_e32 v9, v9, v15
	s_or_b32 vcc_lo, s28, vcc_lo
	s_delay_alu instid0(VALU_DEP_1) | instskip(SKIP_1) | instid1(VALU_DEP_1)
	v_ldexp_f32 v9, v9, v14
	v_add_f32_e32 v14, -1.0, v13
	v_dual_add_f32 v15, -1.0, v17 :: v_dual_add_f32 v102, 1.0, v14
	s_delay_alu instid0(VALU_DEP_1) | instskip(NEXT) | instid1(VALU_DEP_2)
	v_sub_f32_e32 v15, v13, v15
	v_sub_f32_e32 v13, v13, v102
	s_delay_alu instid0(VALU_DEP_2) | instskip(NEXT) | instid1(VALU_DEP_2)
	v_add_f32_e32 v15, v9, v15
	v_add_f32_e32 v9, v9, v13
	s_delay_alu instid0(VALU_DEP_1) | instskip(NEXT) | instid1(VALU_DEP_1)
	v_dual_add_f32 v102, v17, v15 :: v_dual_add_f32 v103, v14, v9
	v_rcp_f32_e32 v13, v102
	s_delay_alu instid0(VALU_DEP_1) | instskip(NEXT) | instid1(VALU_DEP_1)
	v_dual_sub_f32 v17, v17, v102 :: v_dual_sub_f32 v14, v14, v103
	v_add_f32_e32 v15, v15, v17
	s_waitcnt_depctr 0xfff
	v_dual_add_f32 v9, v9, v14 :: v_dual_mul_f32 v104, v103, v13
	s_delay_alu instid0(VALU_DEP_1) | instskip(NEXT) | instid1(VALU_DEP_1)
	v_mul_f32_e32 v105, v102, v104
	v_fma_f32 v17, v104, v102, -v105
	s_delay_alu instid0(VALU_DEP_1) | instskip(NEXT) | instid1(VALU_DEP_1)
	v_fmac_f32_e32 v17, v104, v15
	v_add_f32_e32 v106, v105, v17
	s_delay_alu instid0(VALU_DEP_1) | instskip(NEXT) | instid1(VALU_DEP_1)
	v_sub_f32_e32 v107, v103, v106
	v_dual_sub_f32 v103, v103, v107 :: v_dual_sub_f32 v14, v106, v105
	s_delay_alu instid0(VALU_DEP_1) | instskip(NEXT) | instid1(VALU_DEP_1)
	v_dual_sub_f32 v103, v103, v106 :: v_dual_sub_f32 v14, v14, v17
	v_add_f32_e32 v9, v9, v103
	s_delay_alu instid0(VALU_DEP_1) | instskip(NEXT) | instid1(VALU_DEP_1)
	v_add_f32_e32 v9, v14, v9
	v_add_f32_e32 v14, v107, v9
	s_delay_alu instid0(VALU_DEP_1) | instskip(NEXT) | instid1(VALU_DEP_1)
	v_mul_f32_e32 v17, v13, v14
	v_dual_sub_f32 v106, v107, v14 :: v_dual_mul_f32 v103, v102, v17
	s_delay_alu instid0(VALU_DEP_1) | instskip(NEXT) | instid1(VALU_DEP_2)
	v_add_f32_e32 v9, v9, v106
	v_fma_f32 v102, v17, v102, -v103
	s_delay_alu instid0(VALU_DEP_1) | instskip(NEXT) | instid1(VALU_DEP_1)
	v_fmac_f32_e32 v102, v17, v15
	v_add_f32_e32 v15, v103, v102
	s_delay_alu instid0(VALU_DEP_1) | instskip(NEXT) | instid1(VALU_DEP_1)
	v_sub_f32_e32 v105, v14, v15
	v_dual_sub_f32 v103, v15, v103 :: v_dual_sub_f32 v14, v14, v105
	s_delay_alu instid0(VALU_DEP_1) | instskip(NEXT) | instid1(VALU_DEP_1)
	v_dual_sub_f32 v14, v14, v15 :: v_dual_sub_f32 v15, v103, v102
	v_dual_add_f32 v9, v9, v14 :: v_dual_add_f32 v14, v104, v17
	s_delay_alu instid0(VALU_DEP_1) | instskip(NEXT) | instid1(VALU_DEP_2)
	v_add_f32_e32 v9, v15, v9
	v_sub_f32_e32 v15, v14, v104
	s_delay_alu instid0(VALU_DEP_2) | instskip(NEXT) | instid1(VALU_DEP_2)
	v_add_f32_e32 v9, v105, v9
	v_sub_f32_e32 v15, v17, v15
	s_delay_alu instid0(VALU_DEP_2) | instskip(NEXT) | instid1(VALU_DEP_1)
	v_mul_f32_e32 v9, v13, v9
	v_add_f32_e32 v9, v15, v9
	s_delay_alu instid0(VALU_DEP_1) | instskip(NEXT) | instid1(VALU_DEP_1)
	v_add_f32_e32 v13, v14, v9
	v_mul_f32_e32 v15, v13, v13
	s_delay_alu instid0(VALU_DEP_1) | instskip(NEXT) | instid1(VALU_DEP_1)
	v_fmaak_f32 v17, s83, v15, 0x3ecc95a3
	v_dual_mul_f32 v102, v13, v15 :: v_dual_fmaak_f32 v15, v15, v17, 0x3f2aaada
	v_ldexp_f32 v17, v13, 1
	v_sub_f32_e32 v13, v13, v14
	s_delay_alu instid0(VALU_DEP_3) | instskip(NEXT) | instid1(VALU_DEP_2)
	v_dual_mul_f32 v15, v102, v15 :: v_dual_mul_f32 v102, 0x3f317218, v8
	v_sub_f32_e32 v9, v9, v13
	s_delay_alu instid0(VALU_DEP_2) | instskip(NEXT) | instid1(VALU_DEP_2)
	v_add_f32_e32 v14, v17, v15
	v_ldexp_f32 v9, v9, 1
	s_delay_alu instid0(VALU_DEP_2) | instskip(SKIP_1) | instid1(VALU_DEP_2)
	v_sub_f32_e32 v13, v14, v17
	v_fma_f32 v17, 0x3f317218, v8, -v102
	v_sub_f32_e32 v13, v15, v13
	s_delay_alu instid0(VALU_DEP_1) | instskip(NEXT) | instid1(VALU_DEP_1)
	v_dual_fmac_f32 v17, 0xb102e308, v8 :: v_dual_add_f32 v8, v9, v13
	v_add_f32_e32 v9, v102, v17
	s_delay_alu instid0(VALU_DEP_1) | instskip(NEXT) | instid1(VALU_DEP_1)
	v_dual_add_f32 v13, v14, v8 :: v_dual_sub_f32 v102, v9, v102
	v_add_f32_e32 v15, v9, v13
	v_sub_f32_e32 v14, v13, v14
	s_delay_alu instid0(VALU_DEP_3) | instskip(NEXT) | instid1(VALU_DEP_2)
	v_sub_f32_e32 v17, v17, v102
	v_dual_sub_f32 v103, v15, v9 :: v_dual_sub_f32 v8, v8, v14
	s_delay_alu instid0(VALU_DEP_1) | instskip(SKIP_1) | instid1(VALU_DEP_3)
	v_sub_f32_e32 v104, v15, v103
	v_sub_f32_e32 v13, v13, v103
	v_add_f32_e32 v14, v17, v8
	s_delay_alu instid0(VALU_DEP_3) | instskip(NEXT) | instid1(VALU_DEP_1)
	v_sub_f32_e32 v9, v9, v104
	v_add_f32_e32 v9, v13, v9
	s_delay_alu instid0(VALU_DEP_3) | instskip(NEXT) | instid1(VALU_DEP_2)
	v_sub_f32_e32 v13, v14, v17
	v_add_f32_e32 v9, v14, v9
	s_delay_alu instid0(VALU_DEP_2) | instskip(SKIP_1) | instid1(VALU_DEP_3)
	v_sub_f32_e32 v14, v14, v13
	v_sub_f32_e32 v8, v8, v13
	v_add_f32_e32 v102, v15, v9
	s_delay_alu instid0(VALU_DEP_1) | instskip(NEXT) | instid1(VALU_DEP_1)
	v_dual_sub_f32 v14, v17, v14 :: v_dual_sub_f32 v13, v102, v15
	v_dual_add_f32 v8, v8, v14 :: v_dual_sub_f32 v9, v9, v13
	s_delay_alu instid0(VALU_DEP_1) | instskip(NEXT) | instid1(VALU_DEP_1)
	v_add_f32_e32 v8, v8, v9
	v_add_f32_e32 v8, v102, v8
	s_delay_alu instid0(VALU_DEP_1)
	v_cndmask_b32_e32 v102, v8, v12, vcc_lo
.LBB114_100:                            ;   in Loop: Header=BB114_12 Depth=1
	s_or_b32 exec_lo, exec_lo, s29
	v_lshrrev_b32_e32 v8, 16, v10
	s_delay_alu instid0(VALU_DEP_1) | instskip(NEXT) | instid1(VALU_DEP_1)
	v_cvt_f32_f16_e32 v8, v8
	v_add_f32_e32 v103, s66, v8
	s_delay_alu instid0(VALU_DEP_1) | instskip(SKIP_1) | instid1(SALU_CYCLE_1)
	v_cmp_ge_f32_e32 vcc_lo, 0x41a00000, v103
	s_and_b32 s28, s79, vcc_lo
	s_and_saveexec_b32 s29, s28
	s_cbranch_execz .LBB114_102
; %bb.101:                              ;   in Loop: Header=BB114_12 Depth=1
	v_mul_f32_e32 v8, 0x3fb8aa3b, v103
	v_cmp_ngt_f32_e32 vcc_lo, 0xc2ce8ed0, v103
	s_delay_alu instid0(VALU_DEP_2) | instskip(SKIP_1) | instid1(VALU_DEP_2)
	v_rndne_f32_e32 v9, v8
	v_fma_f32 v10, 0x3fb8aa3b, v103, -v8
	v_sub_f32_e32 v8, v8, v9
	s_delay_alu instid0(VALU_DEP_2) | instskip(SKIP_1) | instid1(VALU_DEP_2)
	v_fmac_f32_e32 v10, 0x32a5705f, v103
	v_cvt_i32_f32_e32 v9, v9
	v_add_f32_e32 v8, v8, v10
	s_delay_alu instid0(VALU_DEP_1) | instskip(SKIP_2) | instid1(VALU_DEP_1)
	v_exp_f32_e32 v8, v8
	s_waitcnt_depctr 0xfff
	v_ldexp_f32 v8, v8, v9
	v_cndmask_b32_e32 v8, 0, v8, vcc_lo
	v_cmp_nlt_f32_e32 vcc_lo, 0x42b17218, v103
	s_delay_alu instid0(VALU_DEP_2) | instskip(NEXT) | instid1(VALU_DEP_1)
	v_cndmask_b32_e32 v10, 0x7f800000, v8, vcc_lo
	v_add_f32_e32 v12, 1.0, v10
	s_delay_alu instid0(VALU_DEP_1) | instskip(NEXT) | instid1(VALU_DEP_1)
	v_cvt_f64_f32_e32 v[8:9], v12
	v_frexp_exp_i32_f64_e32 v8, v[8:9]
	v_frexp_mant_f32_e32 v9, v12
	s_delay_alu instid0(VALU_DEP_1) | instskip(SKIP_1) | instid1(VALU_DEP_1)
	v_cmp_gt_f32_e32 vcc_lo, 0x3f2aaaab, v9
	v_add_f32_e32 v9, -1.0, v12
	v_dual_sub_f32 v14, v9, v12 :: v_dual_sub_f32 v9, v10, v9
	v_subrev_co_ci_u32_e32 v8, vcc_lo, 0, v8, vcc_lo
	s_delay_alu instid0(VALU_DEP_1) | instskip(SKIP_1) | instid1(VALU_DEP_2)
	v_sub_nc_u32_e32 v13, 0, v8
	v_cvt_f32_i32_e32 v8, v8
	v_ldexp_f32 v12, v12, v13
	s_delay_alu instid0(VALU_DEP_1) | instskip(NEXT) | instid1(VALU_DEP_1)
	v_dual_add_f32 v14, 1.0, v14 :: v_dual_add_f32 v15, 1.0, v12
	v_add_f32_e32 v9, v9, v14
	s_delay_alu instid0(VALU_DEP_1) | instskip(NEXT) | instid1(VALU_DEP_3)
	v_ldexp_f32 v9, v9, v13
	v_dual_add_f32 v13, -1.0, v12 :: v_dual_add_f32 v14, -1.0, v15
	s_delay_alu instid0(VALU_DEP_1) | instskip(NEXT) | instid1(VALU_DEP_1)
	v_dual_add_f32 v17, 1.0, v13 :: v_dual_sub_f32 v14, v12, v14
	v_sub_f32_e32 v12, v12, v17
	s_delay_alu instid0(VALU_DEP_2) | instskip(NEXT) | instid1(VALU_DEP_2)
	v_add_f32_e32 v14, v9, v14
	v_add_f32_e32 v9, v9, v12
	s_delay_alu instid0(VALU_DEP_2) | instskip(SKIP_2) | instid1(VALU_DEP_4)
	v_add_f32_e32 v17, v15, v14
	v_cmp_eq_f32_e32 vcc_lo, 0x7f800000, v10
	v_cmp_gt_f32_e64 s28, 0x33800000, v10
	v_add_f32_e32 v103, v13, v9
	s_delay_alu instid0(VALU_DEP_4) | instskip(SKIP_1) | instid1(VALU_DEP_3)
	v_rcp_f32_e32 v12, v17
	v_sub_f32_e32 v15, v15, v17
	s_or_b32 vcc_lo, s28, vcc_lo
	s_delay_alu instid0(VALU_DEP_2) | instskip(NEXT) | instid1(VALU_DEP_1)
	v_sub_f32_e32 v13, v13, v103
	v_dual_add_f32 v14, v14, v15 :: v_dual_add_f32 v9, v9, v13
	s_waitcnt_depctr 0xfff
	v_mul_f32_e32 v104, v103, v12
	s_delay_alu instid0(VALU_DEP_1) | instskip(NEXT) | instid1(VALU_DEP_1)
	v_mul_f32_e32 v105, v17, v104
	v_fma_f32 v15, v104, v17, -v105
	s_delay_alu instid0(VALU_DEP_1) | instskip(NEXT) | instid1(VALU_DEP_1)
	v_fmac_f32_e32 v15, v104, v14
	v_add_f32_e32 v106, v105, v15
	s_delay_alu instid0(VALU_DEP_1) | instskip(SKIP_1) | instid1(VALU_DEP_2)
	v_sub_f32_e32 v107, v103, v106
	v_sub_f32_e32 v13, v106, v105
	;; [unrolled: 1-line block ×3, first 2 shown]
	s_delay_alu instid0(VALU_DEP_2) | instskip(NEXT) | instid1(VALU_DEP_2)
	v_sub_f32_e32 v13, v13, v15
	v_sub_f32_e32 v103, v103, v106
	s_delay_alu instid0(VALU_DEP_1) | instskip(NEXT) | instid1(VALU_DEP_1)
	v_add_f32_e32 v9, v9, v103
	v_add_f32_e32 v9, v13, v9
	s_delay_alu instid0(VALU_DEP_1) | instskip(NEXT) | instid1(VALU_DEP_1)
	v_add_f32_e32 v13, v107, v9
	v_mul_f32_e32 v15, v12, v13
	s_delay_alu instid0(VALU_DEP_1) | instskip(NEXT) | instid1(VALU_DEP_1)
	v_dual_sub_f32 v106, v107, v13 :: v_dual_mul_f32 v103, v17, v15
	v_add_f32_e32 v9, v9, v106
	s_delay_alu instid0(VALU_DEP_2) | instskip(NEXT) | instid1(VALU_DEP_1)
	v_fma_f32 v17, v15, v17, -v103
	v_fmac_f32_e32 v17, v15, v14
	s_delay_alu instid0(VALU_DEP_1) | instskip(NEXT) | instid1(VALU_DEP_1)
	v_add_f32_e32 v14, v103, v17
	v_sub_f32_e32 v105, v13, v14
	v_sub_f32_e32 v103, v14, v103
	s_delay_alu instid0(VALU_DEP_2) | instskip(NEXT) | instid1(VALU_DEP_1)
	v_sub_f32_e32 v13, v13, v105
	v_dual_sub_f32 v13, v13, v14 :: v_dual_sub_f32 v14, v103, v17
	s_delay_alu instid0(VALU_DEP_1) | instskip(SKIP_1) | instid1(VALU_DEP_1)
	v_add_f32_e32 v9, v9, v13
	v_add_f32_e32 v13, v104, v15
	v_dual_add_f32 v9, v14, v9 :: v_dual_sub_f32 v14, v13, v104
	s_delay_alu instid0(VALU_DEP_1) | instskip(NEXT) | instid1(VALU_DEP_1)
	v_dual_add_f32 v9, v105, v9 :: v_dual_sub_f32 v14, v15, v14
	v_mul_f32_e32 v9, v12, v9
	s_delay_alu instid0(VALU_DEP_1) | instskip(NEXT) | instid1(VALU_DEP_1)
	v_add_f32_e32 v9, v14, v9
	v_add_f32_e32 v12, v13, v9
	s_delay_alu instid0(VALU_DEP_1) | instskip(NEXT) | instid1(VALU_DEP_1)
	v_mul_f32_e32 v14, v12, v12
	v_fmaak_f32 v15, s83, v14, 0x3ecc95a3
	s_delay_alu instid0(VALU_DEP_1) | instskip(SKIP_2) | instid1(VALU_DEP_3)
	v_dual_mul_f32 v17, v12, v14 :: v_dual_fmaak_f32 v14, v14, v15, 0x3f2aaada
	v_ldexp_f32 v15, v12, 1
	v_sub_f32_e32 v12, v12, v13
	v_dual_mul_f32 v14, v17, v14 :: v_dual_mul_f32 v17, 0x3f317218, v8
	s_delay_alu instid0(VALU_DEP_2) | instskip(NEXT) | instid1(VALU_DEP_2)
	v_sub_f32_e32 v9, v9, v12
	v_add_f32_e32 v13, v15, v14
	s_delay_alu instid0(VALU_DEP_2) | instskip(NEXT) | instid1(VALU_DEP_2)
	v_ldexp_f32 v9, v9, 1
	v_sub_f32_e32 v12, v13, v15
	v_fma_f32 v15, 0x3f317218, v8, -v17
	s_delay_alu instid0(VALU_DEP_2) | instskip(NEXT) | instid1(VALU_DEP_2)
	v_sub_f32_e32 v12, v14, v12
	v_fmac_f32_e32 v15, 0xb102e308, v8
	s_delay_alu instid0(VALU_DEP_2) | instskip(NEXT) | instid1(VALU_DEP_2)
	v_add_f32_e32 v8, v9, v12
	v_add_f32_e32 v9, v17, v15
	s_delay_alu instid0(VALU_DEP_2) | instskip(NEXT) | instid1(VALU_DEP_2)
	v_add_f32_e32 v12, v13, v8
	v_sub_f32_e32 v17, v9, v17
	s_delay_alu instid0(VALU_DEP_2) | instskip(NEXT) | instid1(VALU_DEP_2)
	v_dual_add_f32 v14, v9, v12 :: v_dual_sub_f32 v13, v12, v13
	v_sub_f32_e32 v15, v15, v17
	s_delay_alu instid0(VALU_DEP_2) | instskip(NEXT) | instid1(VALU_DEP_3)
	v_sub_f32_e32 v103, v14, v9
	v_sub_f32_e32 v8, v8, v13
	s_delay_alu instid0(VALU_DEP_2) | instskip(NEXT) | instid1(VALU_DEP_2)
	v_sub_f32_e32 v104, v14, v103
	v_dual_sub_f32 v12, v12, v103 :: v_dual_add_f32 v13, v15, v8
	s_delay_alu instid0(VALU_DEP_2) | instskip(NEXT) | instid1(VALU_DEP_1)
	v_sub_f32_e32 v9, v9, v104
	v_dual_add_f32 v9, v12, v9 :: v_dual_sub_f32 v12, v13, v15
	s_delay_alu instid0(VALU_DEP_1) | instskip(NEXT) | instid1(VALU_DEP_2)
	v_add_f32_e32 v9, v13, v9
	v_sub_f32_e32 v13, v13, v12
	s_delay_alu instid0(VALU_DEP_2) | instskip(NEXT) | instid1(VALU_DEP_1)
	v_dual_sub_f32 v8, v8, v12 :: v_dual_add_f32 v17, v14, v9
	v_dual_sub_f32 v13, v15, v13 :: v_dual_sub_f32 v12, v17, v14
	s_delay_alu instid0(VALU_DEP_1) | instskip(NEXT) | instid1(VALU_DEP_1)
	v_dual_add_f32 v8, v8, v13 :: v_dual_sub_f32 v9, v9, v12
	v_add_f32_e32 v8, v8, v9
	s_delay_alu instid0(VALU_DEP_1) | instskip(NEXT) | instid1(VALU_DEP_1)
	v_add_f32_e32 v8, v17, v8
	v_cndmask_b32_e32 v103, v8, v10, vcc_lo
.LBB114_102:                            ;   in Loop: Header=BB114_12 Depth=1
	s_or_b32 exec_lo, exec_lo, s29
	v_cvt_f32_f16_e32 v8, v11
	s_delay_alu instid0(VALU_DEP_1) | instskip(NEXT) | instid1(VALU_DEP_1)
	v_add_f32_e32 v104, s66, v8
	v_cmp_ge_f32_e32 vcc_lo, 0x41a00000, v104
	s_and_b32 s28, s79, vcc_lo
	s_delay_alu instid0(SALU_CYCLE_1)
	s_and_saveexec_b32 s29, s28
	s_cbranch_execz .LBB114_104
; %bb.103:                              ;   in Loop: Header=BB114_12 Depth=1
	v_mul_f32_e32 v8, 0x3fb8aa3b, v104
	v_cmp_ngt_f32_e32 vcc_lo, 0xc2ce8ed0, v104
	s_delay_alu instid0(VALU_DEP_2) | instskip(SKIP_1) | instid1(VALU_DEP_2)
	v_rndne_f32_e32 v9, v8
	v_fma_f32 v10, 0x3fb8aa3b, v104, -v8
	v_sub_f32_e32 v8, v8, v9
	s_delay_alu instid0(VALU_DEP_2) | instskip(SKIP_1) | instid1(VALU_DEP_2)
	v_fmac_f32_e32 v10, 0x32a5705f, v104
	v_cvt_i32_f32_e32 v9, v9
	v_add_f32_e32 v8, v8, v10
	s_delay_alu instid0(VALU_DEP_1) | instskip(SKIP_2) | instid1(VALU_DEP_1)
	v_exp_f32_e32 v8, v8
	s_waitcnt_depctr 0xfff
	v_ldexp_f32 v8, v8, v9
	v_cndmask_b32_e32 v8, 0, v8, vcc_lo
	v_cmp_nlt_f32_e32 vcc_lo, 0x42b17218, v104
	s_delay_alu instid0(VALU_DEP_2) | instskip(NEXT) | instid1(VALU_DEP_1)
	v_cndmask_b32_e32 v10, 0x7f800000, v8, vcc_lo
	v_add_f32_e32 v12, 1.0, v10
	s_delay_alu instid0(VALU_DEP_1) | instskip(NEXT) | instid1(VALU_DEP_1)
	v_cvt_f64_f32_e32 v[8:9], v12
	v_frexp_exp_i32_f64_e32 v8, v[8:9]
	v_frexp_mant_f32_e32 v9, v12
	s_delay_alu instid0(VALU_DEP_1) | instskip(SKIP_1) | instid1(VALU_DEP_1)
	v_cmp_gt_f32_e32 vcc_lo, 0x3f2aaaab, v9
	v_add_f32_e32 v9, -1.0, v12
	v_dual_sub_f32 v14, v9, v12 :: v_dual_sub_f32 v9, v10, v9
	v_subrev_co_ci_u32_e32 v8, vcc_lo, 0, v8, vcc_lo
	s_delay_alu instid0(VALU_DEP_1) | instskip(SKIP_1) | instid1(VALU_DEP_2)
	v_sub_nc_u32_e32 v13, 0, v8
	v_cvt_f32_i32_e32 v8, v8
	v_ldexp_f32 v12, v12, v13
	s_delay_alu instid0(VALU_DEP_1) | instskip(NEXT) | instid1(VALU_DEP_1)
	v_dual_add_f32 v14, 1.0, v14 :: v_dual_add_f32 v15, 1.0, v12
	v_add_f32_e32 v9, v9, v14
	s_delay_alu instid0(VALU_DEP_1) | instskip(NEXT) | instid1(VALU_DEP_3)
	v_ldexp_f32 v9, v9, v13
	v_dual_add_f32 v13, -1.0, v12 :: v_dual_add_f32 v14, -1.0, v15
	s_delay_alu instid0(VALU_DEP_1) | instskip(NEXT) | instid1(VALU_DEP_1)
	v_dual_add_f32 v17, 1.0, v13 :: v_dual_sub_f32 v14, v12, v14
	v_sub_f32_e32 v12, v12, v17
	s_delay_alu instid0(VALU_DEP_2) | instskip(NEXT) | instid1(VALU_DEP_2)
	v_add_f32_e32 v14, v9, v14
	v_add_f32_e32 v9, v9, v12
	s_delay_alu instid0(VALU_DEP_2) | instskip(SKIP_2) | instid1(VALU_DEP_4)
	v_add_f32_e32 v17, v15, v14
	v_cmp_eq_f32_e32 vcc_lo, 0x7f800000, v10
	v_cmp_gt_f32_e64 s28, 0x33800000, v10
	v_add_f32_e32 v104, v13, v9
	s_delay_alu instid0(VALU_DEP_4) | instskip(SKIP_1) | instid1(VALU_DEP_3)
	v_rcp_f32_e32 v12, v17
	v_sub_f32_e32 v15, v15, v17
	s_or_b32 vcc_lo, s28, vcc_lo
	s_delay_alu instid0(VALU_DEP_2) | instskip(NEXT) | instid1(VALU_DEP_1)
	v_sub_f32_e32 v13, v13, v104
	v_add_f32_e32 v9, v9, v13
	s_waitcnt_depctr 0xfff
	v_dual_mul_f32 v105, v104, v12 :: v_dual_add_f32 v14, v14, v15
	s_delay_alu instid0(VALU_DEP_1) | instskip(NEXT) | instid1(VALU_DEP_1)
	v_mul_f32_e32 v106, v17, v105
	v_fma_f32 v15, v105, v17, -v106
	s_delay_alu instid0(VALU_DEP_1) | instskip(NEXT) | instid1(VALU_DEP_1)
	v_fmac_f32_e32 v15, v105, v14
	v_add_f32_e32 v107, v106, v15
	s_delay_alu instid0(VALU_DEP_1) | instskip(NEXT) | instid1(VALU_DEP_1)
	v_dual_sub_f32 v13, v107, v106 :: v_dual_sub_f32 v108, v104, v107
	v_dual_sub_f32 v13, v13, v15 :: v_dual_sub_f32 v104, v104, v108
	s_delay_alu instid0(VALU_DEP_1) | instskip(NEXT) | instid1(VALU_DEP_1)
	v_sub_f32_e32 v104, v104, v107
	v_add_f32_e32 v9, v9, v104
	s_delay_alu instid0(VALU_DEP_1) | instskip(NEXT) | instid1(VALU_DEP_1)
	v_add_f32_e32 v9, v13, v9
	v_add_f32_e32 v13, v108, v9
	s_delay_alu instid0(VALU_DEP_1) | instskip(NEXT) | instid1(VALU_DEP_1)
	v_mul_f32_e32 v15, v12, v13
	v_mul_f32_e32 v104, v17, v15
	s_delay_alu instid0(VALU_DEP_1) | instskip(NEXT) | instid1(VALU_DEP_1)
	v_fma_f32 v17, v15, v17, -v104
	v_fmac_f32_e32 v17, v15, v14
	s_delay_alu instid0(VALU_DEP_1) | instskip(NEXT) | instid1(VALU_DEP_1)
	v_add_f32_e32 v14, v104, v17
	v_dual_sub_f32 v107, v108, v13 :: v_dual_sub_f32 v106, v13, v14
	s_delay_alu instid0(VALU_DEP_1) | instskip(NEXT) | instid1(VALU_DEP_2)
	v_dual_sub_f32 v13, v13, v106 :: v_dual_sub_f32 v104, v14, v104
	v_add_f32_e32 v9, v9, v107
	s_delay_alu instid0(VALU_DEP_2) | instskip(NEXT) | instid1(VALU_DEP_1)
	v_dual_sub_f32 v13, v13, v14 :: v_dual_sub_f32 v14, v104, v17
	v_add_f32_e32 v9, v9, v13
	v_add_f32_e32 v13, v105, v15
	s_delay_alu instid0(VALU_DEP_2) | instskip(NEXT) | instid1(VALU_DEP_2)
	v_add_f32_e32 v9, v14, v9
	v_sub_f32_e32 v14, v13, v105
	s_delay_alu instid0(VALU_DEP_1) | instskip(NEXT) | instid1(VALU_DEP_1)
	v_dual_add_f32 v9, v106, v9 :: v_dual_sub_f32 v14, v15, v14
	v_mul_f32_e32 v9, v12, v9
	s_delay_alu instid0(VALU_DEP_1) | instskip(NEXT) | instid1(VALU_DEP_1)
	v_add_f32_e32 v9, v14, v9
	v_add_f32_e32 v12, v13, v9
	s_delay_alu instid0(VALU_DEP_1) | instskip(NEXT) | instid1(VALU_DEP_1)
	v_mul_f32_e32 v14, v12, v12
	v_fmaak_f32 v15, s83, v14, 0x3ecc95a3
	s_delay_alu instid0(VALU_DEP_1) | instskip(SKIP_1) | instid1(VALU_DEP_2)
	v_dual_mul_f32 v17, v12, v14 :: v_dual_fmaak_f32 v14, v14, v15, 0x3f2aaada
	v_ldexp_f32 v15, v12, 1
	v_mul_f32_e32 v14, v17, v14
	v_dual_sub_f32 v12, v12, v13 :: v_dual_mul_f32 v17, 0x3f317218, v8
	s_delay_alu instid0(VALU_DEP_2) | instskip(NEXT) | instid1(VALU_DEP_2)
	v_add_f32_e32 v13, v15, v14
	v_sub_f32_e32 v9, v9, v12
	s_delay_alu instid0(VALU_DEP_2) | instskip(NEXT) | instid1(VALU_DEP_4)
	v_sub_f32_e32 v12, v13, v15
	v_fma_f32 v15, 0x3f317218, v8, -v17
	s_delay_alu instid0(VALU_DEP_3) | instskip(NEXT) | instid1(VALU_DEP_3)
	v_ldexp_f32 v9, v9, 1
	v_sub_f32_e32 v12, v14, v12
	s_delay_alu instid0(VALU_DEP_3) | instskip(NEXT) | instid1(VALU_DEP_2)
	v_fmac_f32_e32 v15, 0xb102e308, v8
	v_add_f32_e32 v8, v9, v12
	s_delay_alu instid0(VALU_DEP_1) | instskip(NEXT) | instid1(VALU_DEP_3)
	v_add_f32_e32 v12, v13, v8
	v_add_f32_e32 v9, v17, v15
	s_delay_alu instid0(VALU_DEP_1) | instskip(NEXT) | instid1(VALU_DEP_1)
	v_dual_sub_f32 v13, v12, v13 :: v_dual_add_f32 v14, v9, v12
	v_sub_f32_e32 v8, v8, v13
	s_delay_alu instid0(VALU_DEP_2) | instskip(NEXT) | instid1(VALU_DEP_1)
	v_sub_f32_e32 v104, v14, v9
	v_dual_sub_f32 v12, v12, v104 :: v_dual_sub_f32 v17, v9, v17
	s_delay_alu instid0(VALU_DEP_1) | instskip(NEXT) | instid1(VALU_DEP_1)
	v_sub_f32_e32 v15, v15, v17
	v_add_f32_e32 v13, v15, v8
	v_sub_f32_e32 v105, v14, v104
	s_delay_alu instid0(VALU_DEP_1) | instskip(NEXT) | instid1(VALU_DEP_1)
	v_sub_f32_e32 v9, v9, v105
	v_dual_add_f32 v9, v12, v9 :: v_dual_sub_f32 v12, v13, v15
	s_delay_alu instid0(VALU_DEP_1) | instskip(NEXT) | instid1(VALU_DEP_2)
	v_add_f32_e32 v9, v13, v9
	v_sub_f32_e32 v13, v13, v12
	s_delay_alu instid0(VALU_DEP_2) | instskip(NEXT) | instid1(VALU_DEP_1)
	v_dual_sub_f32 v8, v8, v12 :: v_dual_add_f32 v17, v14, v9
	v_dual_sub_f32 v12, v17, v14 :: v_dual_sub_f32 v13, v15, v13
	s_delay_alu instid0(VALU_DEP_1) | instskip(NEXT) | instid1(VALU_DEP_1)
	v_dual_sub_f32 v9, v9, v12 :: v_dual_add_f32 v8, v8, v13
	v_add_f32_e32 v8, v8, v9
	s_delay_alu instid0(VALU_DEP_1) | instskip(NEXT) | instid1(VALU_DEP_1)
	v_add_f32_e32 v8, v17, v8
	v_cndmask_b32_e32 v104, v8, v10, vcc_lo
.LBB114_104:                            ;   in Loop: Header=BB114_12 Depth=1
	s_or_b32 exec_lo, exec_lo, s29
	v_lshrrev_b32_e32 v8, 16, v11
	s_delay_alu instid0(VALU_DEP_1) | instskip(NEXT) | instid1(VALU_DEP_1)
	v_cvt_f32_f16_e32 v8, v8
	v_add_f32_e32 v111, s66, v8
	s_delay_alu instid0(VALU_DEP_1) | instskip(SKIP_1) | instid1(SALU_CYCLE_1)
	v_cmp_ge_f32_e32 vcc_lo, 0x41a00000, v111
	s_and_b32 s28, s79, vcc_lo
	s_and_saveexec_b32 s29, s28
	s_cbranch_execz .LBB114_106
; %bb.105:                              ;   in Loop: Header=BB114_12 Depth=1
	v_mul_f32_e32 v8, 0x3fb8aa3b, v111
	v_cmp_ngt_f32_e32 vcc_lo, 0xc2ce8ed0, v111
	s_delay_alu instid0(VALU_DEP_2) | instskip(SKIP_1) | instid1(VALU_DEP_2)
	v_rndne_f32_e32 v9, v8
	v_fma_f32 v10, 0x3fb8aa3b, v111, -v8
	v_sub_f32_e32 v8, v8, v9
	s_delay_alu instid0(VALU_DEP_2) | instskip(SKIP_1) | instid1(VALU_DEP_2)
	v_fmac_f32_e32 v10, 0x32a5705f, v111
	v_cvt_i32_f32_e32 v9, v9
	v_add_f32_e32 v8, v8, v10
	s_delay_alu instid0(VALU_DEP_1) | instskip(SKIP_2) | instid1(VALU_DEP_1)
	v_exp_f32_e32 v8, v8
	s_waitcnt_depctr 0xfff
	v_ldexp_f32 v8, v8, v9
	v_cndmask_b32_e32 v8, 0, v8, vcc_lo
	v_cmp_nlt_f32_e32 vcc_lo, 0x42b17218, v111
	s_delay_alu instid0(VALU_DEP_2) | instskip(NEXT) | instid1(VALU_DEP_1)
	v_cndmask_b32_e32 v10, 0x7f800000, v8, vcc_lo
	v_add_f32_e32 v11, 1.0, v10
	s_delay_alu instid0(VALU_DEP_1) | instskip(NEXT) | instid1(VALU_DEP_1)
	v_cvt_f64_f32_e32 v[8:9], v11
	v_frexp_exp_i32_f64_e32 v8, v[8:9]
	v_frexp_mant_f32_e32 v9, v11
	s_delay_alu instid0(VALU_DEP_1) | instskip(SKIP_1) | instid1(VALU_DEP_1)
	v_cmp_gt_f32_e32 vcc_lo, 0x3f2aaaab, v9
	v_add_f32_e32 v9, -1.0, v11
	v_sub_f32_e32 v13, v9, v11
	v_sub_f32_e32 v9, v10, v9
	s_delay_alu instid0(VALU_DEP_2) | instskip(NEXT) | instid1(VALU_DEP_1)
	v_add_f32_e32 v13, 1.0, v13
	v_add_f32_e32 v9, v9, v13
	v_cmp_gt_f32_e64 s28, 0x33800000, v10
	v_subrev_co_ci_u32_e32 v8, vcc_lo, 0, v8, vcc_lo
	v_cmp_eq_f32_e32 vcc_lo, 0x7f800000, v10
	s_delay_alu instid0(VALU_DEP_2) | instskip(SKIP_2) | instid1(VALU_DEP_2)
	v_sub_nc_u32_e32 v12, 0, v8
	v_cvt_f32_i32_e32 v8, v8
	s_or_b32 vcc_lo, s28, vcc_lo
	v_ldexp_f32 v11, v11, v12
	v_ldexp_f32 v9, v9, v12
	s_delay_alu instid0(VALU_DEP_2) | instskip(NEXT) | instid1(VALU_DEP_1)
	v_add_f32_e32 v14, 1.0, v11
	v_dual_add_f32 v12, -1.0, v11 :: v_dual_add_f32 v13, -1.0, v14
	s_delay_alu instid0(VALU_DEP_1) | instskip(NEXT) | instid1(VALU_DEP_2)
	v_add_f32_e32 v15, 1.0, v12
	v_sub_f32_e32 v13, v11, v13
	s_delay_alu instid0(VALU_DEP_2) | instskip(NEXT) | instid1(VALU_DEP_2)
	v_sub_f32_e32 v11, v11, v15
	v_add_f32_e32 v13, v9, v13
	s_delay_alu instid0(VALU_DEP_2) | instskip(NEXT) | instid1(VALU_DEP_1)
	v_add_f32_e32 v9, v9, v11
	v_add_f32_e32 v17, v12, v9
	s_delay_alu instid0(VALU_DEP_3) | instskip(NEXT) | instid1(VALU_DEP_2)
	v_add_f32_e32 v15, v14, v13
	v_sub_f32_e32 v12, v12, v17
	s_delay_alu instid0(VALU_DEP_2) | instskip(SKIP_1) | instid1(VALU_DEP_1)
	v_rcp_f32_e32 v11, v15
	v_sub_f32_e32 v14, v14, v15
	v_add_f32_e32 v13, v13, v14
	s_waitcnt_depctr 0xfff
	v_mul_f32_e32 v105, v17, v11
	s_delay_alu instid0(VALU_DEP_1) | instskip(NEXT) | instid1(VALU_DEP_1)
	v_dual_mul_f32 v106, v15, v105 :: v_dual_add_f32 v9, v9, v12
	v_fma_f32 v14, v105, v15, -v106
	s_delay_alu instid0(VALU_DEP_1) | instskip(NEXT) | instid1(VALU_DEP_1)
	v_fmac_f32_e32 v14, v105, v13
	v_add_f32_e32 v107, v106, v14
	s_delay_alu instid0(VALU_DEP_1) | instskip(SKIP_1) | instid1(VALU_DEP_1)
	v_sub_f32_e32 v12, v107, v106
	v_sub_f32_e32 v108, v17, v107
	v_dual_sub_f32 v12, v12, v14 :: v_dual_sub_f32 v17, v17, v108
	s_delay_alu instid0(VALU_DEP_1) | instskip(NEXT) | instid1(VALU_DEP_1)
	v_sub_f32_e32 v17, v17, v107
	v_add_f32_e32 v9, v9, v17
	s_delay_alu instid0(VALU_DEP_1) | instskip(NEXT) | instid1(VALU_DEP_1)
	v_add_f32_e32 v9, v12, v9
	v_add_f32_e32 v12, v108, v9
	s_delay_alu instid0(VALU_DEP_1) | instskip(SKIP_1) | instid1(VALU_DEP_2)
	v_mul_f32_e32 v14, v11, v12
	v_sub_f32_e32 v107, v108, v12
	v_mul_f32_e32 v17, v15, v14
	s_delay_alu instid0(VALU_DEP_2) | instskip(NEXT) | instid1(VALU_DEP_2)
	v_add_f32_e32 v9, v9, v107
	v_fma_f32 v15, v14, v15, -v17
	s_delay_alu instid0(VALU_DEP_1) | instskip(NEXT) | instid1(VALU_DEP_1)
	v_fmac_f32_e32 v15, v14, v13
	v_add_f32_e32 v13, v17, v15
	s_delay_alu instid0(VALU_DEP_1) | instskip(NEXT) | instid1(VALU_DEP_1)
	v_sub_f32_e32 v106, v12, v13
	v_dual_sub_f32 v17, v13, v17 :: v_dual_sub_f32 v12, v12, v106
	s_delay_alu instid0(VALU_DEP_1) | instskip(NEXT) | instid1(VALU_DEP_1)
	v_dual_sub_f32 v12, v12, v13 :: v_dual_sub_f32 v13, v17, v15
	v_add_f32_e32 v9, v9, v12
	v_add_f32_e32 v12, v105, v14
	s_delay_alu instid0(VALU_DEP_2) | instskip(NEXT) | instid1(VALU_DEP_2)
	v_add_f32_e32 v9, v13, v9
	v_sub_f32_e32 v13, v12, v105
	s_delay_alu instid0(VALU_DEP_2) | instskip(NEXT) | instid1(VALU_DEP_2)
	v_add_f32_e32 v9, v106, v9
	v_sub_f32_e32 v13, v14, v13
	s_delay_alu instid0(VALU_DEP_2) | instskip(NEXT) | instid1(VALU_DEP_1)
	v_mul_f32_e32 v9, v11, v9
	v_add_f32_e32 v9, v13, v9
	s_delay_alu instid0(VALU_DEP_1) | instskip(NEXT) | instid1(VALU_DEP_1)
	v_add_f32_e32 v11, v12, v9
	v_mul_f32_e32 v13, v11, v11
	s_delay_alu instid0(VALU_DEP_1) | instskip(SKIP_1) | instid1(VALU_DEP_2)
	v_fmaak_f32 v14, s83, v13, 0x3ecc95a3
	v_mul_f32_e32 v15, v11, v13
	v_fmaak_f32 v13, v13, v14, 0x3f2aaada
	v_ldexp_f32 v14, v11, 1
	v_sub_f32_e32 v11, v11, v12
	s_delay_alu instid0(VALU_DEP_3) | instskip(SKIP_1) | instid1(VALU_DEP_2)
	v_mul_f32_e32 v13, v15, v13
	v_mul_f32_e32 v15, 0x3f317218, v8
	v_dual_sub_f32 v9, v9, v11 :: v_dual_add_f32 v12, v14, v13
	s_delay_alu instid0(VALU_DEP_1) | instskip(NEXT) | instid1(VALU_DEP_2)
	v_ldexp_f32 v9, v9, 1
	v_sub_f32_e32 v11, v12, v14
	s_delay_alu instid0(VALU_DEP_4) | instskip(NEXT) | instid1(VALU_DEP_1)
	v_fma_f32 v14, 0x3f317218, v8, -v15
	v_dual_sub_f32 v11, v13, v11 :: v_dual_fmac_f32 v14, 0xb102e308, v8
	s_delay_alu instid0(VALU_DEP_1) | instskip(NEXT) | instid1(VALU_DEP_1)
	v_dual_add_f32 v8, v9, v11 :: v_dual_add_f32 v9, v15, v14
	v_add_f32_e32 v11, v12, v8
	s_delay_alu instid0(VALU_DEP_2) | instskip(NEXT) | instid1(VALU_DEP_2)
	v_sub_f32_e32 v15, v9, v15
	v_dual_add_f32 v13, v9, v11 :: v_dual_sub_f32 v12, v11, v12
	s_delay_alu instid0(VALU_DEP_1) | instskip(NEXT) | instid1(VALU_DEP_1)
	v_dual_sub_f32 v14, v14, v15 :: v_dual_sub_f32 v17, v13, v9
	v_dual_sub_f32 v8, v8, v12 :: v_dual_sub_f32 v105, v13, v17
	s_delay_alu instid0(VALU_DEP_1) | instskip(NEXT) | instid1(VALU_DEP_2)
	v_dual_sub_f32 v11, v11, v17 :: v_dual_add_f32 v12, v14, v8
	v_sub_f32_e32 v9, v9, v105
	s_delay_alu instid0(VALU_DEP_1) | instskip(NEXT) | instid1(VALU_DEP_3)
	v_add_f32_e32 v9, v11, v9
	v_sub_f32_e32 v11, v12, v14
	s_delay_alu instid0(VALU_DEP_2) | instskip(NEXT) | instid1(VALU_DEP_2)
	v_add_f32_e32 v9, v12, v9
	v_sub_f32_e32 v12, v12, v11
	s_delay_alu instid0(VALU_DEP_2) | instskip(NEXT) | instid1(VALU_DEP_1)
	v_dual_sub_f32 v8, v8, v11 :: v_dual_add_f32 v15, v13, v9
	v_dual_sub_f32 v12, v14, v12 :: v_dual_sub_f32 v11, v15, v13
	s_delay_alu instid0(VALU_DEP_1) | instskip(NEXT) | instid1(VALU_DEP_1)
	v_dual_add_f32 v8, v8, v12 :: v_dual_sub_f32 v9, v9, v11
	v_add_f32_e32 v8, v8, v9
	s_delay_alu instid0(VALU_DEP_1) | instskip(NEXT) | instid1(VALU_DEP_1)
	v_add_f32_e32 v8, v15, v8
	v_cndmask_b32_e32 v111, v8, v10, vcc_lo
.LBB114_106:                            ;   in Loop: Header=BB114_12 Depth=1
	s_or_b32 exec_lo, exec_lo, s29
	v_lshrrev_b32_e32 v9, 16, v6
	v_lshrrev_b32_e32 v10, 16, v7
	;; [unrolled: 1-line block ×6, first 2 shown]
	v_cvt_f32_f16_e32 v8, v7
	v_cvt_f32_f16_e32 v7, v9
	;; [unrolled: 1-line block ×7, first 2 shown]
	v_lshrrev_b32_e32 v14, 16, v1
	v_lshrrev_b32_e32 v15, 16, v0
	v_cvt_f32_f16_e32 v6, v6
	v_cvt_f32_f16_e32 v5, v5
	;; [unrolled: 1-line block ×9, first 2 shown]
	v_dual_mul_f32 v105, s67, v8 :: v_dual_mul_f32 v106, s67, v7
	v_dual_mul_f32 v107, s67, v6 :: v_dual_mul_f32 v108, s67, v9
	;; [unrolled: 1-line block ×8, first 2 shown]
	s_and_b32 vcc_lo, exec_lo, s80
	s_barrier
	buffer_gl0_inv
	s_cbranch_vccz .LBB114_202
; %bb.107:                              ;   in Loop: Header=BB114_12 Depth=1
	v_dual_mul_f32 v122, v111, v11 :: v_dual_mul_f32 v127, v104, v8
	v_add_co_u32 v11, s28, s53, v16
	s_delay_alu instid0(VALU_DEP_1) | instskip(SKIP_1) | instid1(VALU_DEP_1)
	v_add_co_ci_u32_e64 v17, null, s73, 0, s28
	v_add_co_u32 v16, s28, s57, v16
	v_add_co_ci_u32_e64 v126, null, s74, 0, s28
	s_delay_alu instid0(VALU_DEP_4) | instskip(NEXT) | instid1(VALU_DEP_4)
	v_add_co_u32 v123, vcc_lo, v11, v89
	v_add_co_ci_u32_e32 v124, vcc_lo, 0, v17, vcc_lo
	s_delay_alu instid0(VALU_DEP_4) | instskip(NEXT) | instid1(VALU_DEP_4)
	v_add_co_u32 v125, vcc_lo, v16, v89
	v_add_co_ci_u32_e32 v126, vcc_lo, 0, v126, vcc_lo
	v_cmp_gt_u32_e32 vcc_lo, s40, v18
	s_cmp_lg_u32 s85, 0
	v_cmp_gt_u32_e64 s30, s40, v75
	s_cselect_b32 s51, -1, 0
	s_cmp_eq_u32 s85, s82
	v_cmp_gt_u32_e64 s31, s40, v76
	s_cselect_b32 s86, -1, 0
	s_or_b32 s28, s81, vcc_lo
	v_cmp_gt_u32_e32 vcc_lo, s40, v74
	v_cmp_gt_u32_e64 s33, s40, v77
	v_cmp_gt_u32_e64 s34, s40, v78
	;; [unrolled: 1-line block ×4, first 2 shown]
	s_or_b32 s29, s81, vcc_lo
	v_cmp_gt_u32_e32 vcc_lo, s40, v79
	v_cmp_gt_u32_e64 s38, s40, v82
	v_cmp_gt_u32_e64 s39, s40, v83
	;; [unrolled: 1-line block ×4, first 2 shown]
	s_or_b32 s35, s81, vcc_lo
	v_cmp_gt_u32_e32 vcc_lo, s40, v84
	v_cmp_gt_u32_e64 s43, s40, v87
	v_cmp_gt_u32_e64 s44, s40, v88
	v_dual_mul_f32 v128, v103, v7 :: v_dual_mul_f32 v129, v102, v6
	v_dual_mul_f32 v130, v101, v9 :: v_dual_mul_f32 v133, v98, v4
	;; [unrolled: 1-line block ×7, first 2 shown]
	s_mov_b32 s64, 0
	s_or_b32 s30, s81, s30
	s_or_b32 s31, s81, s31
	;; [unrolled: 1-line block ×8, first 2 shown]
	s_or_b32 s40, s81, vcc_lo
	s_or_b32 s41, s81, s41
	s_or_b32 s42, s81, s42
	s_or_b32 s43, s81, s43
	s_or_b32 s44, s81, s44
	s_mov_b32 s54, s64
	s_mov_b32 s58, s64
	;; [unrolled: 1-line block ×5, first 2 shown]
	s_branch .LBB114_109
.LBB114_108:                            ;   in Loop: Header=BB114_109 Depth=2
	s_or_b32 exec_lo, exec_lo, s45
	v_cndmask_b32_e64 v9, v171, v11, s11
	v_cndmask_b32_e64 v10, v170, v10, s11
	s_add_i32 s87, s87, -1
	s_add_i32 s88, s88, 8
	s_add_i32 s60, s60, s62
	v_fma_f32 v9, v9, v142, v15
	v_mul_f32_e32 v10, v10, v142
	s_add_i32 s58, s58, s56
	s_add_i32 s54, s54, s52
	;; [unrolled: 1-line block ×3, first 2 shown]
	v_cndmask_b32_e64 v9, v9, v15, s10
	v_cndmask_b32_e64 v10, v10, v142, s10
	s_cmp_eq_u32 s87, 0
	s_waitcnt lgkmcnt(0)
	s_delay_alu instid0(VALU_DEP_1) | instskip(NEXT) | instid1(VALU_DEP_1)
	v_fmac_f32_e32 v9, v8, v10
	v_fmac_f32_e32 v12, v9, v144
	s_delay_alu instid0(VALU_DEP_1) | instskip(NEXT) | instid1(VALU_DEP_1)
	v_fmac_f32_e32 v13, v12, v146
	v_fmac_f32_e32 v14, v13, v148
	v_fma_mix_f32 v121, v9, v4, v121 op_sel_hi:[0,1,0]
	s_delay_alu instid0(VALU_DEP_2) | instskip(SKIP_2) | instid1(VALU_DEP_3)
	v_fmac_f32_e32 v143, v14, v150
	v_fma_mix_f32 v120, v12, v4, v120 op_sel:[0,1,0] op_sel_hi:[0,1,0]
	v_fma_mix_f32 v118, v14, v5, v118 op_sel:[0,1,0] op_sel_hi:[0,1,0]
	v_fmac_f32_e32 v145, v143, v151
	v_fma_mix_f32 v117, v143, v6, v117 op_sel_hi:[0,1,0]
	s_delay_alu instid0(VALU_DEP_2) | instskip(SKIP_1) | instid1(VALU_DEP_2)
	v_fmac_f32_e32 v147, v145, v153
	v_fma_mix_f32 v115, v145, v6, v115 op_sel:[0,1,0] op_sel_hi:[0,1,0]
	v_fmac_f32_e32 v149, v147, v156
	s_delay_alu instid0(VALU_DEP_1) | instskip(SKIP_1) | instid1(VALU_DEP_2)
	v_fmac_f32_e32 v152, v149, v157
	v_fma_mix_f32 v119, v13, v5, v119 op_sel_hi:[0,1,0]
	v_fmac_f32_e32 v154, v152, v158
	v_fma_mix_f32 v114, v147, v7, v114 op_sel_hi:[0,1,0]
	v_fma_mix_f32 v112, v152, v0, v112 op_sel_hi:[0,1,0]
	s_delay_alu instid0(VALU_DEP_3) | instskip(SKIP_1) | instid1(VALU_DEP_2)
	v_fmac_f32_e32 v155, v154, v159
	v_fma_mix_f32 v110, v154, v0, v110 op_sel:[0,1,0] op_sel_hi:[0,1,0]
	v_fmac_f32_e32 v160, v155, v166
	v_fma_mix_f32 v109, v155, v1, v109 op_sel_hi:[0,1,0]
	s_delay_alu instid0(VALU_DEP_2) | instskip(NEXT) | instid1(VALU_DEP_1)
	v_fmac_f32_e32 v161, v160, v163
	v_fmac_f32_e32 v162, v161, v165
	v_fma_mix_f32 v113, v149, v7, v113 op_sel:[0,1,0] op_sel_hi:[0,1,0]
	s_delay_alu instid0(VALU_DEP_2) | instskip(SKIP_2) | instid1(VALU_DEP_3)
	v_fmac_f32_e32 v164, v162, v168
	v_fma_mix_f32 v107, v161, v2, v107 op_sel_hi:[0,1,0]
	v_fma_mix_f32 v106, v162, v2, v106 op_sel:[0,1,0] op_sel_hi:[0,1,0]
	v_fmac_f32_e32 v167, v164, v169
	v_fma_mix_f32 v108, v160, v1, v108 op_sel:[0,1,0] op_sel_hi:[0,1,0]
	v_fma_mix_f32 v105, v164, v3, v105 op_sel_hi:[0,1,0]
	s_delay_alu instid0(VALU_DEP_3)
	v_fma_mix_f32 v116, v167, v3, v116 op_sel:[0,1,0] op_sel_hi:[0,1,0]
	s_cbranch_scc1 .LBB114_202
.LBB114_109:                            ;   Parent Loop BB114_12 Depth=1
                                        ; =>  This Inner Loop Header: Depth=2
	s_lshl_b64 s[90:91], s[64:65], 2
	s_mov_b32 s55, s65
	s_add_u32 s90, s72, s90
	s_addc_u32 s91, s63, s91
	v_dual_mov_b32 v2, 0 :: v_dual_mov_b32 v3, 0
	global_load_b32 v142, v21, s[90:91]
	s_lshl_b64 s[90:91], s[54:55], 1
	s_delay_alu instid0(SALU_CYCLE_1)
	v_add_co_u32 v0, vcc_lo, v123, s90
	v_add_co_ci_u32_e32 v1, vcc_lo, s91, v124, vcc_lo
	s_and_saveexec_b32 s45, s12
	s_cbranch_execnz .LBB114_145
; %bb.110:                              ;   in Loop: Header=BB114_109 Depth=2
	s_or_b32 exec_lo, exec_lo, s45
	s_and_saveexec_b32 s45, s13
	s_cbranch_execnz .LBB114_146
.LBB114_111:                            ;   in Loop: Header=BB114_109 Depth=2
	s_or_b32 exec_lo, exec_lo, s45
	v_mov_b32_e32 v4, 0
	s_and_saveexec_b32 s45, s14
	s_cbranch_execnz .LBB114_147
.LBB114_112:                            ;   in Loop: Header=BB114_109 Depth=2
	s_or_b32 exec_lo, exec_lo, s45
	s_and_saveexec_b32 s45, s15
	s_cbranch_execnz .LBB114_148
.LBB114_113:                            ;   in Loop: Header=BB114_109 Depth=2
	s_or_b32 exec_lo, exec_lo, s45
	v_mov_b32_e32 v5, 0
	s_and_saveexec_b32 s45, s16
	s_cbranch_execnz .LBB114_149
.LBB114_114:                            ;   in Loop: Header=BB114_109 Depth=2
	s_or_b32 exec_lo, exec_lo, s45
	s_and_saveexec_b32 s45, s17
	s_cbranch_execnz .LBB114_150
.LBB114_115:                            ;   in Loop: Header=BB114_109 Depth=2
	s_or_b32 exec_lo, exec_lo, s45
	v_mov_b32_e32 v6, 0
	s_and_saveexec_b32 s45, s18
	s_cbranch_execnz .LBB114_151
.LBB114_116:                            ;   in Loop: Header=BB114_109 Depth=2
	s_or_b32 exec_lo, exec_lo, s45
	s_and_saveexec_b32 s45, s19
	s_cbranch_execnz .LBB114_152
.LBB114_117:                            ;   in Loop: Header=BB114_109 Depth=2
	s_or_b32 exec_lo, exec_lo, s45
	v_mov_b32_e32 v7, 0
	s_and_saveexec_b32 s45, s20
	s_cbranch_execnz .LBB114_153
.LBB114_118:                            ;   in Loop: Header=BB114_109 Depth=2
	s_or_b32 exec_lo, exec_lo, s45
	s_and_saveexec_b32 s45, s21
	s_cbranch_execnz .LBB114_154
.LBB114_119:                            ;   in Loop: Header=BB114_109 Depth=2
	s_or_b32 exec_lo, exec_lo, s45
	v_mov_b32_e32 v8, 0
	s_and_saveexec_b32 s45, s22
	s_cbranch_execnz .LBB114_155
.LBB114_120:                            ;   in Loop: Header=BB114_109 Depth=2
	s_or_b32 exec_lo, exec_lo, s45
	s_and_saveexec_b32 s45, s23
	s_cbranch_execnz .LBB114_156
.LBB114_121:                            ;   in Loop: Header=BB114_109 Depth=2
	s_or_b32 exec_lo, exec_lo, s45
	v_mov_b32_e32 v9, 0
	s_and_saveexec_b32 s45, s24
	s_cbranch_execnz .LBB114_157
.LBB114_122:                            ;   in Loop: Header=BB114_109 Depth=2
	s_or_b32 exec_lo, exec_lo, s45
	s_and_saveexec_b32 s45, s25
	s_cbranch_execnz .LBB114_158
.LBB114_123:                            ;   in Loop: Header=BB114_109 Depth=2
	s_or_b32 exec_lo, exec_lo, s45
	v_mov_b32_e32 v10, 0
	s_and_saveexec_b32 s45, s26
	s_cbranch_execnz .LBB114_159
.LBB114_124:                            ;   in Loop: Header=BB114_109 Depth=2
	s_or_b32 exec_lo, exec_lo, s45
	s_and_saveexec_b32 s45, s27
	s_cbranch_execz .LBB114_126
.LBB114_125:                            ;   in Loop: Header=BB114_109 Depth=2
	global_load_u16 v0, v[0:1], off offset:960
	s_waitcnt vmcnt(0)
	v_lshl_or_b32 v10, v0, 16, v10
.LBB114_126:                            ;   in Loop: Header=BB114_109 Depth=2
	s_or_b32 exec_lo, exec_lo, s45
	s_waitcnt vmcnt(0)
	ds_store_b16 v37, v3
	ds_store_b16 v37, v2 offset:64
	ds_store_b16 v38, v4 offset:128
	ds_store_b16_d16_hi v39, v4 offset:192
	ds_store_b16 v40, v5 offset:256
	ds_store_b16_d16_hi v41, v5 offset:320
	;; [unrolled: 2-line block ×7, first 2 shown]
	; wave barrier
	ds_load_b128 v[12:15], v52
	ds_load_b128 v[8:11], v52 offset:16
	s_mov_b32 s59, s65
	v_dual_mov_b32 v2, 0 :: v_dual_mov_b32 v3, 0
	s_lshl_b64 s[90:91], s[58:59], 1
	s_delay_alu instid0(SALU_CYCLE_1)
	v_add_co_u32 v0, vcc_lo, v125, s90
	v_add_co_ci_u32_e32 v1, vcc_lo, s91, v126, vcc_lo
	s_and_saveexec_b32 s45, s12
	s_cbranch_execnz .LBB114_160
; %bb.127:                              ;   in Loop: Header=BB114_109 Depth=2
	s_or_b32 exec_lo, exec_lo, s45
	s_and_saveexec_b32 s45, s13
	s_cbranch_execnz .LBB114_161
.LBB114_128:                            ;   in Loop: Header=BB114_109 Depth=2
	s_or_b32 exec_lo, exec_lo, s45
	v_mov_b32_e32 v4, 0
	s_and_saveexec_b32 s45, s14
	s_cbranch_execnz .LBB114_162
.LBB114_129:                            ;   in Loop: Header=BB114_109 Depth=2
	s_or_b32 exec_lo, exec_lo, s45
	s_and_saveexec_b32 s45, s15
	s_cbranch_execnz .LBB114_163
.LBB114_130:                            ;   in Loop: Header=BB114_109 Depth=2
	s_or_b32 exec_lo, exec_lo, s45
	v_mov_b32_e32 v5, 0
	s_and_saveexec_b32 s45, s16
	s_cbranch_execnz .LBB114_164
.LBB114_131:                            ;   in Loop: Header=BB114_109 Depth=2
	s_or_b32 exec_lo, exec_lo, s45
	s_and_saveexec_b32 s45, s17
	s_cbranch_execnz .LBB114_165
.LBB114_132:                            ;   in Loop: Header=BB114_109 Depth=2
	s_or_b32 exec_lo, exec_lo, s45
	v_mov_b32_e32 v6, 0
	s_and_saveexec_b32 s45, s18
	s_cbranch_execnz .LBB114_166
.LBB114_133:                            ;   in Loop: Header=BB114_109 Depth=2
	s_or_b32 exec_lo, exec_lo, s45
	s_and_saveexec_b32 s45, s19
	s_cbranch_execnz .LBB114_167
.LBB114_134:                            ;   in Loop: Header=BB114_109 Depth=2
	s_or_b32 exec_lo, exec_lo, s45
	v_mov_b32_e32 v7, 0
	s_and_saveexec_b32 s45, s20
	s_cbranch_execnz .LBB114_168
.LBB114_135:                            ;   in Loop: Header=BB114_109 Depth=2
	s_or_b32 exec_lo, exec_lo, s45
	s_and_saveexec_b32 s45, s21
	s_cbranch_execnz .LBB114_169
.LBB114_136:                            ;   in Loop: Header=BB114_109 Depth=2
	s_or_b32 exec_lo, exec_lo, s45
	v_mov_b32_e32 v16, 0
	s_and_saveexec_b32 s45, s22
	s_cbranch_execnz .LBB114_170
.LBB114_137:                            ;   in Loop: Header=BB114_109 Depth=2
	s_or_b32 exec_lo, exec_lo, s45
	s_and_saveexec_b32 s45, s23
	s_cbranch_execnz .LBB114_171
.LBB114_138:                            ;   in Loop: Header=BB114_109 Depth=2
	s_or_b32 exec_lo, exec_lo, s45
	v_mov_b32_e32 v17, 0
	s_and_saveexec_b32 s45, s24
	s_cbranch_execnz .LBB114_172
.LBB114_139:                            ;   in Loop: Header=BB114_109 Depth=2
	s_or_b32 exec_lo, exec_lo, s45
	s_and_saveexec_b32 s45, s25
	s_cbranch_execnz .LBB114_173
.LBB114_140:                            ;   in Loop: Header=BB114_109 Depth=2
	s_or_b32 exec_lo, exec_lo, s45
	v_mov_b32_e32 v143, 0
	s_and_saveexec_b32 s45, s26
	s_cbranch_execnz .LBB114_174
.LBB114_141:                            ;   in Loop: Header=BB114_109 Depth=2
	s_or_b32 exec_lo, exec_lo, s45
	s_and_saveexec_b32 s45, s27
	s_cbranch_execz .LBB114_143
.LBB114_142:                            ;   in Loop: Header=BB114_109 Depth=2
	global_load_u16 v0, v[0:1], off offset:960
	s_waitcnt vmcnt(0)
	v_lshl_or_b32 v143, v0, 16, v143
.LBB114_143:                            ;   in Loop: Header=BB114_109 Depth=2
	s_or_b32 exec_lo, exec_lo, s45
	s_waitcnt vmcnt(0)
	ds_store_b16 v37, v3 offset:2112
	ds_store_b16 v53, v2 offset:64
	;; [unrolled: 1-line block ×3, first 2 shown]
	ds_store_b16_d16_hi v55, v4 offset:192
	ds_store_b16 v56, v5 offset:256
	ds_store_b16_d16_hi v57, v5 offset:320
	ds_store_b16 v58, v6 offset:384
	;; [unrolled: 2-line block ×6, first 2 shown]
	ds_store_b16_d16_hi v67, v143 offset:960
	; wave barrier
	ds_load_b128 v[4:7], v52 offset:2112
	ds_load_b128 v[0:3], v68 offset:16
	s_and_not1_b32 vcc_lo, exec_lo, s51
	s_cbranch_vccnz .LBB114_175
; %bb.144:                              ;   in Loop: Header=BB114_109 Depth=2
	v_mov_b32_e32 v16, s88
	ds_load_b64 v[16:17], v16
	s_cbranch_execz .LBB114_176
	s_branch .LBB114_179
.LBB114_145:                            ;   in Loop: Header=BB114_109 Depth=2
	global_load_u16 v3, v[0:1], off
	s_or_b32 exec_lo, exec_lo, s45
	s_and_saveexec_b32 s45, s13
	s_cbranch_execz .LBB114_111
.LBB114_146:                            ;   in Loop: Header=BB114_109 Depth=2
	global_load_u16 v2, v[0:1], off offset:64
	s_or_b32 exec_lo, exec_lo, s45
	v_mov_b32_e32 v4, 0
	s_and_saveexec_b32 s45, s14
	s_cbranch_execz .LBB114_112
.LBB114_147:                            ;   in Loop: Header=BB114_109 Depth=2
	global_load_u16 v4, v[0:1], off offset:128
	s_or_b32 exec_lo, exec_lo, s45
	s_and_saveexec_b32 s45, s15
	s_cbranch_execz .LBB114_113
.LBB114_148:                            ;   in Loop: Header=BB114_109 Depth=2
	global_load_u16 v5, v[0:1], off offset:192
	s_waitcnt vmcnt(0)
	v_lshl_or_b32 v4, v5, 16, v4
	s_or_b32 exec_lo, exec_lo, s45
	v_mov_b32_e32 v5, 0
	s_and_saveexec_b32 s45, s16
	s_cbranch_execz .LBB114_114
.LBB114_149:                            ;   in Loop: Header=BB114_109 Depth=2
	global_load_u16 v5, v[0:1], off offset:256
	s_or_b32 exec_lo, exec_lo, s45
	s_and_saveexec_b32 s45, s17
	s_cbranch_execz .LBB114_115
.LBB114_150:                            ;   in Loop: Header=BB114_109 Depth=2
	global_load_u16 v6, v[0:1], off offset:320
	s_waitcnt vmcnt(0)
	v_lshl_or_b32 v5, v6, 16, v5
	s_or_b32 exec_lo, exec_lo, s45
	v_mov_b32_e32 v6, 0
	s_and_saveexec_b32 s45, s18
	s_cbranch_execz .LBB114_116
.LBB114_151:                            ;   in Loop: Header=BB114_109 Depth=2
	global_load_u16 v6, v[0:1], off offset:384
	s_or_b32 exec_lo, exec_lo, s45
	s_and_saveexec_b32 s45, s19
	s_cbranch_execz .LBB114_117
.LBB114_152:                            ;   in Loop: Header=BB114_109 Depth=2
	global_load_u16 v7, v[0:1], off offset:448
	s_waitcnt vmcnt(0)
	v_lshl_or_b32 v6, v7, 16, v6
	s_or_b32 exec_lo, exec_lo, s45
	v_mov_b32_e32 v7, 0
	s_and_saveexec_b32 s45, s20
	s_cbranch_execz .LBB114_118
.LBB114_153:                            ;   in Loop: Header=BB114_109 Depth=2
	global_load_u16 v7, v[0:1], off offset:512
	s_or_b32 exec_lo, exec_lo, s45
	s_and_saveexec_b32 s45, s21
	s_cbranch_execz .LBB114_119
.LBB114_154:                            ;   in Loop: Header=BB114_109 Depth=2
	global_load_u16 v8, v[0:1], off offset:576
	s_waitcnt vmcnt(0)
	v_lshl_or_b32 v7, v8, 16, v7
	s_or_b32 exec_lo, exec_lo, s45
	v_mov_b32_e32 v8, 0
	s_and_saveexec_b32 s45, s22
	s_cbranch_execz .LBB114_120
.LBB114_155:                            ;   in Loop: Header=BB114_109 Depth=2
	global_load_u16 v8, v[0:1], off offset:640
	s_or_b32 exec_lo, exec_lo, s45
	s_and_saveexec_b32 s45, s23
	s_cbranch_execz .LBB114_121
.LBB114_156:                            ;   in Loop: Header=BB114_109 Depth=2
	global_load_u16 v9, v[0:1], off offset:704
	s_waitcnt vmcnt(0)
	v_lshl_or_b32 v8, v9, 16, v8
	s_or_b32 exec_lo, exec_lo, s45
	v_mov_b32_e32 v9, 0
	s_and_saveexec_b32 s45, s24
	s_cbranch_execz .LBB114_122
.LBB114_157:                            ;   in Loop: Header=BB114_109 Depth=2
	global_load_u16 v9, v[0:1], off offset:768
	s_or_b32 exec_lo, exec_lo, s45
	s_and_saveexec_b32 s45, s25
	s_cbranch_execz .LBB114_123
.LBB114_158:                            ;   in Loop: Header=BB114_109 Depth=2
	global_load_u16 v10, v[0:1], off offset:832
	s_waitcnt vmcnt(0)
	v_lshl_or_b32 v9, v10, 16, v9
	s_or_b32 exec_lo, exec_lo, s45
	v_mov_b32_e32 v10, 0
	s_and_saveexec_b32 s45, s26
	s_cbranch_execz .LBB114_124
.LBB114_159:                            ;   in Loop: Header=BB114_109 Depth=2
	global_load_u16 v10, v[0:1], off offset:896
	s_or_b32 exec_lo, exec_lo, s45
	s_and_saveexec_b32 s45, s27
	s_cbranch_execnz .LBB114_125
	s_branch .LBB114_126
.LBB114_160:                            ;   in Loop: Header=BB114_109 Depth=2
	global_load_u16 v3, v[0:1], off
	s_or_b32 exec_lo, exec_lo, s45
	s_and_saveexec_b32 s45, s13
	s_cbranch_execz .LBB114_128
.LBB114_161:                            ;   in Loop: Header=BB114_109 Depth=2
	global_load_u16 v2, v[0:1], off offset:64
	s_or_b32 exec_lo, exec_lo, s45
	v_mov_b32_e32 v4, 0
	s_and_saveexec_b32 s45, s14
	s_cbranch_execz .LBB114_129
.LBB114_162:                            ;   in Loop: Header=BB114_109 Depth=2
	global_load_u16 v4, v[0:1], off offset:128
	s_or_b32 exec_lo, exec_lo, s45
	s_and_saveexec_b32 s45, s15
	s_cbranch_execz .LBB114_130
.LBB114_163:                            ;   in Loop: Header=BB114_109 Depth=2
	global_load_u16 v5, v[0:1], off offset:192
	s_waitcnt vmcnt(0)
	v_lshl_or_b32 v4, v5, 16, v4
	s_or_b32 exec_lo, exec_lo, s45
	v_mov_b32_e32 v5, 0
	s_and_saveexec_b32 s45, s16
	s_cbranch_execz .LBB114_131
.LBB114_164:                            ;   in Loop: Header=BB114_109 Depth=2
	global_load_u16 v5, v[0:1], off offset:256
	s_or_b32 exec_lo, exec_lo, s45
	s_and_saveexec_b32 s45, s17
	s_cbranch_execz .LBB114_132
.LBB114_165:                            ;   in Loop: Header=BB114_109 Depth=2
	global_load_u16 v6, v[0:1], off offset:320
	s_waitcnt vmcnt(0)
	v_lshl_or_b32 v5, v6, 16, v5
	s_or_b32 exec_lo, exec_lo, s45
	v_mov_b32_e32 v6, 0
	s_and_saveexec_b32 s45, s18
	s_cbranch_execz .LBB114_133
.LBB114_166:                            ;   in Loop: Header=BB114_109 Depth=2
	global_load_u16 v6, v[0:1], off offset:384
	s_or_b32 exec_lo, exec_lo, s45
	s_and_saveexec_b32 s45, s19
	s_cbranch_execz .LBB114_134
.LBB114_167:                            ;   in Loop: Header=BB114_109 Depth=2
	global_load_u16 v7, v[0:1], off offset:448
	s_waitcnt vmcnt(0)
	v_lshl_or_b32 v6, v7, 16, v6
	s_or_b32 exec_lo, exec_lo, s45
	v_mov_b32_e32 v7, 0
	s_and_saveexec_b32 s45, s20
	s_cbranch_execz .LBB114_135
.LBB114_168:                            ;   in Loop: Header=BB114_109 Depth=2
	global_load_u16 v7, v[0:1], off offset:512
	s_or_b32 exec_lo, exec_lo, s45
	s_and_saveexec_b32 s45, s21
	s_cbranch_execz .LBB114_136
.LBB114_169:                            ;   in Loop: Header=BB114_109 Depth=2
	global_load_u16 v16, v[0:1], off offset:576
	s_waitcnt vmcnt(0)
	v_lshl_or_b32 v7, v16, 16, v7
	s_or_b32 exec_lo, exec_lo, s45
	v_mov_b32_e32 v16, 0
	s_and_saveexec_b32 s45, s22
	s_cbranch_execz .LBB114_137
.LBB114_170:                            ;   in Loop: Header=BB114_109 Depth=2
	global_load_u16 v16, v[0:1], off offset:640
	s_or_b32 exec_lo, exec_lo, s45
	s_and_saveexec_b32 s45, s23
	s_cbranch_execz .LBB114_138
.LBB114_171:                            ;   in Loop: Header=BB114_109 Depth=2
	global_load_u16 v17, v[0:1], off offset:704
	s_waitcnt vmcnt(0)
	v_lshl_or_b32 v16, v17, 16, v16
	s_or_b32 exec_lo, exec_lo, s45
	v_mov_b32_e32 v17, 0
	s_and_saveexec_b32 s45, s24
	s_cbranch_execz .LBB114_139
.LBB114_172:                            ;   in Loop: Header=BB114_109 Depth=2
	global_load_u16 v17, v[0:1], off offset:768
	s_or_b32 exec_lo, exec_lo, s45
	s_and_saveexec_b32 s45, s25
	s_cbranch_execz .LBB114_140
.LBB114_173:                            ;   in Loop: Header=BB114_109 Depth=2
	global_load_u16 v143, v[0:1], off offset:832
	s_waitcnt vmcnt(0)
	v_lshl_or_b32 v17, v143, 16, v17
	s_or_b32 exec_lo, exec_lo, s45
	v_mov_b32_e32 v143, 0
	s_and_saveexec_b32 s45, s26
	s_cbranch_execz .LBB114_141
.LBB114_174:                            ;   in Loop: Header=BB114_109 Depth=2
	global_load_u16 v143, v[0:1], off offset:896
	s_or_b32 exec_lo, exec_lo, s45
	s_and_saveexec_b32 s45, s27
	s_cbranch_execnz .LBB114_142
	s_branch .LBB114_143
.LBB114_175:                            ;   in Loop: Header=BB114_109 Depth=2
                                        ; implicit-def: $vgpr16
.LBB114_176:                            ;   in Loop: Header=BB114_109 Depth=2
	s_waitcnt lgkmcnt(0)
	v_mov_b32_e32 v17, 0
	s_and_not1_b32 vcc_lo, exec_lo, s47
	s_cbranch_vccnz .LBB114_178
; %bb.177:                              ;   in Loop: Header=BB114_109 Depth=2
	s_mov_b32 s61, s65
	s_delay_alu instid0(SALU_CYCLE_1) | instskip(NEXT) | instid1(SALU_CYCLE_1)
	s_lshl_b64 s[90:91], s[60:61], 2
	s_add_u32 s90, s75, s90
	s_addc_u32 s91, s76, s91
	global_load_b32 v17, v21, s[90:91]
.LBB114_178:                            ;   in Loop: Header=BB114_109 Depth=2
	v_mov_b32_e32 v16, 1.0
.LBB114_179:                            ;   in Loop: Header=BB114_109 Depth=2
	v_mul_f32_e32 v164, 0x3fb8aa3b, v142
	s_waitcnt lgkmcnt(19)
	v_lshrrev_b32_e32 v144, 16, v13
	v_lshrrev_b32_e32 v145, 16, v14
	v_cvt_f32_f16_e32 v13, v13
	v_cvt_f32_f16_e64 v152, v14
	v_mul_f32_e32 v14, v164, v90
	v_lshrrev_b32_e32 v143, 16, v12
	v_lshrrev_b32_e32 v146, 16, v15
	v_mul_f32_e32 v13, v139, v13
	v_cvt_f32_f16_e32 v12, v12
	v_cmp_gt_f32_e32 vcc_lo, 0xc2fc0000, v14
	v_cvt_f32_f16_e64 v153, v15
	v_mul_f32_e32 v15, v164, v91
	v_cvt_f32_f16_e64 v151, v144
	v_mul_f32_e32 v12, v141, v12
	v_cndmask_b32_e64 v14, 0, 0x42800000, vcc_lo
	v_mul_f32_e32 v142, v164, v92
	v_cmp_gt_f32_e64 s45, 0xc2fc0000, v15
	v_cndmask_b32_e64 v144, 1.0, 0x1f800000, vcc_lo
	s_waitcnt lgkmcnt(18)
	v_lshrrev_b32_e32 v147, 16, v8
	v_fmac_f32_e32 v14, v164, v90
	v_cvt_f32_f16_e64 v143, v143
	v_cndmask_b32_e64 v15, 0, 0x42800000, s45
	v_cvt_f32_f16_e64 v154, v146
	v_cmp_gt_f32_e32 vcc_lo, 0xc2fc0000, v142
	v_exp_f32_e32 v14, v14
	v_mul_f32_e32 v142, v164, v93
	v_fmac_f32_e32 v15, v164, v91
	v_cvt_f32_f16_e64 v155, v147
	v_cndmask_b32_e64 v147, 0, 0x42800000, vcc_lo
	v_lshrrev_b32_e32 v148, 16, v9
	v_lshrrev_b32_e32 v149, 16, v10
	;; [unrolled: 1-line block ×3, first 2 shown]
	v_cvt_f32_f16_e32 v9, v9
	v_cvt_f32_f16_e32 v8, v8
	v_mul_f32_e32 v14, v14, v144
	v_exp_f32_e32 v146, v15
	v_cndmask_b32_e64 v15, 0, v12, s28
	v_cndmask_b32_e64 v12, 1.0, 0x1f800000, s45
	v_cmp_gt_f32_e64 s45, 0xc2fc0000, v142
	v_cndmask_b32_e64 v142, 1.0, v14, s28
	v_mul_f32_e32 v14, v140, v143
	v_cvt_f32_f16_e64 v160, v148
	v_cvt_f32_f16_e64 v162, v149
	v_cndmask_b32_e64 v144, 0, 0x42800000, s45
	v_cvt_f32_f16_e64 v167, v150
	v_mul_f32_e32 v143, v146, v12
	v_cndmask_b32_e64 v12, 0, v14, s29
	v_cndmask_b32_e64 v14, 1.0, 0x1f800000, vcc_lo
	v_fmac_f32_e32 v147, v164, v92
	v_fmac_f32_e32 v144, v164, v93
	v_dual_mul_f32 v149, v164, v95 :: v_dual_mul_f32 v154, v134, v154
	v_dual_mul_f32 v150, v164, v96 :: v_dual_mul_f32 v9, v131, v9
	s_delay_alu instid0(VALU_DEP_4)
	v_exp_f32_e32 v146, v147
	v_mul_f32_e32 v147, v164, v94
	v_exp_f32_e32 v148, v144
	v_cndmask_b32_e64 v144, 1.0, v143, s29
	v_cndmask_b32_e64 v143, 1.0, 0x1f800000, s45
	v_cmp_gt_f32_e64 s45, 0xc2fc0000, v149
	v_cvt_f32_f16_e32 v10, v10
	v_cvt_f32_f16_e32 v11, v11
	v_mul_f32_e32 v165, v164, v102
	s_delay_alu instid0(TRANS32_DEP_2) | instskip(SKIP_1) | instid1(TRANS32_DEP_1)
	v_dual_mul_f32 v155, v132, v155 :: v_dual_mul_f32 v14, v146, v14
	v_cndmask_b32_e64 v149, 0, 0x42800000, s45
	v_dual_mul_f32 v143, v148, v143 :: v_dual_mul_f32 v10, v129, v10
	v_cndmask_b32_e64 v13, 0, v13, s30
	s_delay_alu instid0(VALU_DEP_4)
	v_cndmask_b32_e64 v146, 1.0, v14, s30
	v_mul_f32_e32 v14, v138, v151
	v_cmp_gt_f32_e32 vcc_lo, 0xc2fc0000, v147
	v_cndmask_b32_e64 v148, 1.0, v143, s31
	v_dual_fmac_f32 v149, v164, v95 :: v_dual_mul_f32 v8, v133, v8
	v_mul_f32_e32 v151, v164, v97
	v_cndmask_b32_e64 v147, 0, 0x42800000, vcc_lo
	v_cndmask_b32_e64 v143, 1.0, 0x1f800000, vcc_lo
	v_cmp_gt_f32_e32 vcc_lo, 0xc2fc0000, v150
	v_exp_f32_e32 v149, v149
	v_cmp_gt_f32_e64 s46, 0xc2fc0000, v151
	v_fmac_f32_e32 v147, v164, v94
	v_mul_f32_e32 v158, v164, v99
	v_cndmask_b32_e64 v150, 0, 0x42800000, vcc_lo
	v_cvt_f32_f16_e64 v145, v145
	v_cndmask_b32_e64 v151, 0, 0x42800000, s46
	v_exp_f32_e32 v147, v147
	v_cndmask_b32_e64 v14, 0, v14, s31
	v_dual_fmac_f32 v150, v164, v96 :: v_dual_mul_f32 v11, v127, v11
	s_delay_alu instid0(VALU_DEP_3) | instskip(SKIP_2) | instid1(VALU_DEP_4)
	v_fmac_f32_e32 v151, v164, v97
	v_mul_f32_e32 v166, v164, v103
	v_mul_f32_e32 v162, v128, v162
	v_exp_f32_e32 v156, v150
	s_delay_alu instid0(TRANS32_DEP_2)
	v_mul_f32_e32 v147, v147, v143
	v_mul_f32_e32 v143, v137, v152
	v_cndmask_b32_e64 v152, 1.0, 0x1f800000, s45
	v_cmp_gt_f32_e64 s45, 0xc2fc0000, v158
	v_mul_f32_e32 v158, v164, v101
	v_cndmask_b32_e64 v150, 1.0, v147, s33
	v_cndmask_b32_e64 v143, 0, v143, s33
	v_mul_f32_e32 v147, v149, v152
	v_cndmask_b32_e64 v149, 1.0, 0x1f800000, vcc_lo
	v_exp_f32_e32 v152, v151
	v_cndmask_b32_e64 v162, 0, v162, s42
	s_delay_alu instid0(VALU_DEP_3) | instskip(NEXT) | instid1(VALU_DEP_3)
	v_cndmask_b32_e64 v151, 1.0, v147, s34
	v_mul_f32_e32 v149, v156, v149
	v_mul_f32_e32 v147, v135, v153
	v_cndmask_b32_e64 v156, 1.0, 0x1f800000, s46
	s_delay_alu instid0(VALU_DEP_3)
	v_cndmask_b32_e64 v153, 1.0, v149, s35
	v_mul_f32_e32 v157, v164, v98
	v_cndmask_b32_e64 v149, 0, v154, s36
	v_mul_f32_e32 v154, v164, v100
	v_mul_f32_e32 v152, v152, v156
	v_cndmask_b32_e64 v147, 0, v147, s35
	v_cmp_gt_f32_e32 vcc_lo, 0xc2fc0000, v157
	s_delay_alu instid0(VALU_DEP_4) | instskip(NEXT) | instid1(VALU_DEP_4)
	v_cmp_gt_f32_e64 s46, 0xc2fc0000, v154
	v_cndmask_b32_e64 v156, 1.0, v152, s36
	v_cndmask_b32_e64 v157, 0, 0x42800000, vcc_lo
	v_cndmask_b32_e64 v159, 1.0, 0x1f800000, vcc_lo
	s_delay_alu instid0(VALU_DEP_4) | instskip(SKIP_1) | instid1(VALU_DEP_4)
	v_cndmask_b32_e64 v154, 0, 0x42800000, s46
	v_cmp_gt_f32_e32 vcc_lo, 0xc2fc0000, v158
	v_fmac_f32_e32 v157, v164, v98
	s_delay_alu instid0(VALU_DEP_3) | instskip(SKIP_1) | instid1(VALU_DEP_3)
	v_fmac_f32_e32 v154, v164, v100
	v_cndmask_b32_e64 v158, 0, 0x42800000, vcc_lo
	v_exp_f32_e32 v152, v157
	v_cndmask_b32_e64 v157, 0, 0x42800000, s45
	s_delay_alu instid0(VALU_DEP_2) | instskip(NEXT) | instid1(VALU_DEP_2)
	v_fmac_f32_e32 v158, v164, v101
	v_fmac_f32_e32 v157, v164, v99
	s_delay_alu instid0(VALU_DEP_2) | instskip(NEXT) | instid1(VALU_DEP_1)
	v_exp_f32_e32 v163, v158
	v_exp_f32_e32 v161, v157
	s_delay_alu instid0(TRANS32_DEP_3)
	v_mul_f32_e32 v157, v152, v159
	v_cndmask_b32_e64 v152, 0, v8, s37
	v_exp_f32_e32 v8, v154
	v_cndmask_b32_e64 v154, 1.0, 0x1f800000, s45
	v_cndmask_b32_e64 v159, 1.0, 0x1f800000, s46
	v_cmp_gt_f32_e64 s45, 0xc2fc0000, v166
	v_cndmask_b32_e64 v157, 1.0, v157, s37
	s_delay_alu instid0(TRANS32_DEP_2) | instid1(VALU_DEP_4)
	v_mul_f32_e32 v158, v161, v154
	v_cndmask_b32_e64 v161, 1.0, 0x1f800000, vcc_lo
	v_cmp_gt_f32_e32 vcc_lo, 0xc2fc0000, v165
	s_delay_alu instid0(TRANS32_DEP_1)
	v_mul_f32_e32 v8, v8, v159
	v_cndmask_b32_e64 v154, 0, v155, s38
	v_cndmask_b32_e64 v155, 0, v9, s39
	v_mul_f32_e32 v9, v130, v160
	v_fma_f32 v165, v144, v15, v12
	v_cndmask_b32_e64 v159, 1.0, v8, s39
	v_mul_f32_e32 v8, v163, v161
	v_cndmask_b32_e64 v161, 0, 0x42800000, vcc_lo
	v_mul_f32_e32 v163, v144, v142
	v_cndmask_b32_e64 v160, 0, v9, s40
	v_cndmask_b32_e64 v158, 1.0, v158, s38
	v_cndmask_b32_e64 v166, 1.0, v8, s40
	v_fmac_f32_e32 v161, v164, v102
	v_mul_f32_e32 v9, v163, v146
	v_fma_f32 v163, v165, v146, v13
	v_cndmask_b32_e64 v8, 1.0, 0x1f800000, vcc_lo
	v_cndmask_b32_e64 v165, 0, 0x42800000, s45
	v_exp_f32_e32 v161, v161
	v_mul_f32_e32 v145, v136, v145
	v_mul_f32_e32 v9, v9, v148
	v_fma_f32 v163, v163, v148, v14
	v_fmac_f32_e32 v165, v164, v103
	s_delay_alu instid0(VALU_DEP_3) | instskip(NEXT) | instid1(VALU_DEP_3)
	v_mul_f32_e32 v9, v9, v150
	v_fma_f32 v163, v163, v150, v143
	s_delay_alu instid0(VALU_DEP_3) | instskip(NEXT) | instid1(TRANS32_DEP_2)
	v_exp_f32_e32 v165, v165
	v_mul_f32_e32 v8, v161, v8
	v_cndmask_b32_e64 v145, 0, v145, s34
	v_mul_f32_e32 v9, v9, v151
	v_cndmask_b32_e64 v161, 0, v10, s41
	v_cndmask_b32_e64 v10, 1.0, 0x1f800000, s45
	s_delay_alu instid0(VALU_DEP_4)
	v_fma_f32 v168, v163, v151, v145
	v_cndmask_b32_e64 v163, 1.0, v8, s41
	v_mul_f32_e32 v8, v9, v153
	s_delay_alu instid0(TRANS32_DEP_1) | instid1(VALU_DEP_4)
	v_mul_f32_e32 v10, v165, v10
	s_delay_alu instid0(VALU_DEP_4) | instskip(SKIP_1) | instid1(VALU_DEP_4)
	v_fma_f32 v9, v168, v153, v147
	v_mul_f32_e32 v168, v164, v104
	v_mul_f32_e32 v8, v8, v156
	s_delay_alu instid0(VALU_DEP_3) | instskip(NEXT) | instid1(VALU_DEP_3)
	v_fma_f32 v9, v9, v156, v149
	v_cmp_gt_f32_e32 vcc_lo, 0xc2fc0000, v168
	v_mul_f32_e32 v168, v164, v111
	s_delay_alu instid0(VALU_DEP_4) | instskip(NEXT) | instid1(VALU_DEP_4)
	v_mul_f32_e32 v8, v8, v157
	v_fma_f32 v9, v9, v157, v152
	v_cndmask_b32_e64 v165, 0, 0x42800000, vcc_lo
	s_delay_alu instid0(VALU_DEP_4) | instskip(NEXT) | instid1(VALU_DEP_4)
	v_cmp_gt_f32_e64 s45, 0xc2fc0000, v168
	v_mul_f32_e32 v8, v8, v158
	s_delay_alu instid0(VALU_DEP_4) | instskip(NEXT) | instid1(VALU_DEP_4)
	v_fma_f32 v9, v9, v158, v154
	v_fmac_f32_e32 v165, v164, v104
	s_delay_alu instid0(VALU_DEP_4) | instskip(NEXT) | instid1(VALU_DEP_4)
	v_cndmask_b32_e64 v168, 0, 0x42800000, s45
	v_mul_f32_e32 v8, v8, v159
	s_delay_alu instid0(VALU_DEP_4) | instskip(NEXT) | instid1(VALU_DEP_4)
	v_fma_f32 v9, v9, v159, v155
	v_exp_f32_e32 v169, v165
	s_delay_alu instid0(VALU_DEP_3)
	v_fmac_f32_e32 v168, v164, v111
	v_cndmask_b32_e64 v165, 1.0, v10, s42
	v_cndmask_b32_e64 v10, 1.0, 0x1f800000, vcc_lo
	v_mul_f32_e32 v8, v8, v166
	v_fma_f32 v9, v9, v166, v160
	v_exp_f32_e32 v170, v168
	v_cndmask_b32_e64 v164, 0, v11, s43
	v_cndmask_b32_e64 v11, 1.0, 0x1f800000, s45
	v_mul_f32_e32 v8, v8, v163
	v_mul_f32_e32 v10, v169, v10
	v_fma_f32 v9, v9, v163, v161
	s_delay_alu instid0(VALU_DEP_3) | instskip(NEXT) | instid1(VALU_DEP_3)
	v_mul_f32_e32 v8, v8, v165
	v_cndmask_b32_e64 v168, 1.0, v10, s43
	v_mul_f32_e32 v10, v122, v167
	s_delay_alu instid0(TRANS32_DEP_1) | instskip(SKIP_1) | instid1(VALU_DEP_4)
	v_mul_f32_e32 v11, v170, v11
	v_fma_f32 v9, v9, v165, v162
	v_mul_f32_e32 v8, v8, v168
	s_delay_alu instid0(VALU_DEP_4) | instskip(NEXT) | instid1(VALU_DEP_4)
	v_cndmask_b32_e64 v167, 0, v10, s44
	v_cndmask_b32_e64 v169, 1.0, v11, s44
	s_delay_alu instid0(VALU_DEP_4) | instskip(NEXT) | instid1(VALU_DEP_2)
	v_fma_f32 v9, v9, v168, v164
	v_mul_f32_e32 v8, v8, v169
	s_delay_alu instid0(VALU_DEP_2) | instskip(NEXT) | instid1(VALU_DEP_2)
	v_fma_f32 v9, v9, v169, v167
	v_mov_b32_dpp v11, v8 row_shr:1 row_mask:0xf bank_mask:0xf
	s_delay_alu instid0(VALU_DEP_2)
	v_mov_b32_dpp v10, v9 row_shr:1 row_mask:0xf bank_mask:0xf
	s_and_saveexec_b32 s45, s0
; %bb.180:                              ;   in Loop: Header=BB114_109 Depth=2
	s_delay_alu instid0(VALU_DEP_2) | instskip(NEXT) | instid1(VALU_DEP_1)
	v_mul_f32_e32 v11, v8, v11
	v_dual_fmac_f32 v9, v8, v10 :: v_dual_mov_b32 v8, v11
; %bb.181:                              ;   in Loop: Header=BB114_109 Depth=2
	s_or_b32 exec_lo, exec_lo, s45
	s_delay_alu instid0(VALU_DEP_1) | instskip(NEXT) | instid1(VALU_DEP_2)
	v_mov_b32_dpp v10, v8 row_shr:2 row_mask:0xf bank_mask:0xf
	v_mov_b32_dpp v11, v9 row_shr:2 row_mask:0xf bank_mask:0xf
	s_and_saveexec_b32 s45, s1
; %bb.182:                              ;   in Loop: Header=BB114_109 Depth=2
	s_delay_alu instid0(VALU_DEP_1) | instskip(NEXT) | instid1(VALU_DEP_3)
	v_fmac_f32_e32 v9, v8, v11
	v_mul_f32_e32 v8, v8, v10
; %bb.183:                              ;   in Loop: Header=BB114_109 Depth=2
	s_or_b32 exec_lo, exec_lo, s45
	s_delay_alu instid0(VALU_DEP_1) | instskip(NEXT) | instid1(VALU_DEP_3)
	v_mov_b32_dpp v10, v8 row_shr:4 row_mask:0xf bank_mask:0xf
	v_mov_b32_dpp v11, v9 row_shr:4 row_mask:0xf bank_mask:0xf
	s_and_saveexec_b32 s45, s2
; %bb.184:                              ;   in Loop: Header=BB114_109 Depth=2
	s_delay_alu instid0(VALU_DEP_1) | instskip(NEXT) | instid1(VALU_DEP_3)
	v_fmac_f32_e32 v9, v8, v11
	v_mul_f32_e32 v8, v8, v10
; %bb.185:                              ;   in Loop: Header=BB114_109 Depth=2
	s_or_b32 exec_lo, exec_lo, s45
	s_delay_alu instid0(VALU_DEP_1) | instskip(NEXT) | instid1(VALU_DEP_3)
	v_mov_b32_dpp v10, v8 row_shr:8 row_mask:0xf bank_mask:0xf
	v_mov_b32_dpp v11, v9 row_shr:8 row_mask:0xf bank_mask:0xf
	s_and_saveexec_b32 s45, s3
; %bb.186:                              ;   in Loop: Header=BB114_109 Depth=2
	s_delay_alu instid0(VALU_DEP_1) | instskip(NEXT) | instid1(VALU_DEP_3)
	v_fmac_f32_e32 v9, v8, v11
	v_mul_f32_e32 v8, v8, v10
; %bb.187:                              ;   in Loop: Header=BB114_109 Depth=2
	s_or_b32 exec_lo, exec_lo, s45
	ds_swizzle_b32 v11, v8 offset:swizzle(BROADCAST,32,15)
	ds_swizzle_b32 v10, v9 offset:swizzle(BROADCAST,32,15)
	s_and_saveexec_b32 s45, s4
	s_cbranch_execz .LBB114_189
; %bb.188:                              ;   in Loop: Header=BB114_109 Depth=2
	s_waitcnt lgkmcnt(1)
	v_mul_f32_e32 v11, v8, v11
	s_waitcnt lgkmcnt(0)
	s_delay_alu instid0(VALU_DEP_1)
	v_dual_fmac_f32 v9, v8, v10 :: v_dual_mov_b32 v8, v11
.LBB114_189:                            ;   in Loop: Header=BB114_109 Depth=2
	s_or_b32 exec_lo, exec_lo, s45
	s_and_saveexec_b32 s45, s5
	s_cbranch_execz .LBB114_191
; %bb.190:                              ;   in Loop: Header=BB114_109 Depth=2
	ds_store_b64 v69, v[8:9] offset:4224
.LBB114_191:                            ;   in Loop: Header=BB114_109 Depth=2
	s_or_b32 exec_lo, exec_lo, s45
	s_waitcnt vmcnt(0) lgkmcnt(0)
	s_waitcnt_vscnt null, 0x0
	s_barrier
	buffer_gl0_inv
	s_and_saveexec_b32 s45, s6
	s_cbranch_execz .LBB114_193
; %bb.192:                              ;   in Loop: Header=BB114_109 Depth=2
	ds_load_b64 v[10:11], v70 offset:4224
	s_waitcnt lgkmcnt(0)
	v_mov_b32_dpp v170, v10 row_shr:1 row_mask:0xf bank_mask:0xf
	v_mov_b32_dpp v171, v11 row_shr:1 row_mask:0xf bank_mask:0xf
	s_delay_alu instid0(VALU_DEP_2) | instskip(NEXT) | instid1(VALU_DEP_2)
	v_mul_f32_e32 v170, v10, v170
	v_fma_f32 v171, v10, v171, v11
	s_delay_alu instid0(VALU_DEP_2) | instskip(NEXT) | instid1(VALU_DEP_2)
	v_cndmask_b32_e64 v10, v170, v10, s7
	v_cndmask_b32_e64 v11, v171, v11, s7
	ds_store_b64 v70, v[10:11] offset:4224
.LBB114_193:                            ;   in Loop: Header=BB114_109 Depth=2
	s_or_b32 exec_lo, exec_lo, s45
	s_waitcnt lgkmcnt(0)
	s_barrier
	buffer_gl0_inv
                                        ; implicit-def: $vgpr11
	s_and_saveexec_b32 s45, s9
	s_cbranch_execz .LBB114_195
; %bb.194:                              ;   in Loop: Header=BB114_109 Depth=2
	ds_load_b64 v[10:11], v69 offset:4216
	s_waitcnt lgkmcnt(0)
	v_mul_f32_e32 v170, v8, v10
	s_delay_alu instid0(VALU_DEP_1)
	v_dual_fmac_f32 v9, v8, v11 :: v_dual_mov_b32 v8, v170
.LBB114_195:                            ;   in Loop: Header=BB114_109 Depth=2
	s_or_b32 exec_lo, exec_lo, s45
	ds_bpermute_b32 v170, v71, v8
	ds_bpermute_b32 v171, v71, v9
	s_and_saveexec_b32 s45, s8
	s_cbranch_execz .LBB114_199
; %bb.196:                              ;   in Loop: Header=BB114_109 Depth=2
	ds_load_b64 v[8:9], v21 offset:4232
	s_and_saveexec_b32 s46, s10
	s_cbranch_execz .LBB114_198
; %bb.197:                              ;   in Loop: Header=BB114_109 Depth=2
	ds_store_b64 v21, v[16:17] offset:4232
.LBB114_198:                            ;   in Loop: Header=BB114_109 Depth=2
	s_or_b32 exec_lo, exec_lo, s46
	s_waitcnt lgkmcnt(0)
	v_fmac_f32_e32 v9, v17, v8
	s_delay_alu instid0(VALU_DEP_1)
	v_dual_mul_f32 v16, v16, v8 :: v_dual_mov_b32 v17, v9
.LBB114_199:                            ;   in Loop: Header=BB114_109 Depth=2
	s_or_b32 exec_lo, exec_lo, s45
	s_waitcnt lgkmcnt(0)
	s_barrier
	buffer_gl0_inv
	ds_load_b32 v8, v21 offset:4236
	s_and_saveexec_b32 s45, s10
	s_cbranch_execz .LBB114_108
; %bb.200:                              ;   in Loop: Header=BB114_109 Depth=2
	v_mov_b32_e32 v9, s88
	s_and_not1_b32 vcc_lo, exec_lo, s86
	ds_store_b64 v9, v[16:17]
	s_cbranch_vccnz .LBB114_108
; %bb.201:                              ;   in Loop: Header=BB114_109 Depth=2
	s_mov_b32 s61, s65
	s_delay_alu instid0(SALU_CYCLE_1) | instskip(NEXT) | instid1(SALU_CYCLE_1)
	s_lshl_b64 s[90:91], s[60:61], 2
	s_add_u32 s90, s75, s90
	s_addc_u32 s91, s76, s91
	global_store_b32 v21, v17, s[90:91]
	s_branch .LBB114_108
.LBB114_202:                            ;   in Loop: Header=BB114_12 Depth=1
	v_cvt_f16_f32_e32 v0, v121
	v_cvt_f16_f32_e32 v4, v120
	;; [unrolled: 1-line block ×16, first 2 shown]
	v_pack_b32_f16 v3, v3, v7
	v_pack_b32_f16 v2, v2, v6
	;; [unrolled: 1-line block ×8, first 2 shown]
	s_waitcnt_vscnt null, 0x0
	s_barrier
	buffer_gl0_inv
	ds_store_b128 v52, v[0:3]
	ds_store_b128 v52, v[4:7] offset:16
	; wave barrier
	ds_load_u16 v16, v37 offset:64
	ds_load_u16 v15, v38 offset:128
	;; [unrolled: 1-line block ×15, first 2 shown]
	s_mov_b32 s51, s65
	s_delay_alu instid0(SALU_CYCLE_1) | instskip(NEXT) | instid1(SALU_CYCLE_1)
	s_lshl_b64 s[28:29], s[50:51], 1
	v_add_co_u32 v0, vcc_lo, v72, s28
	v_add_co_ci_u32_e32 v1, vcc_lo, s29, v73, vcc_lo
	s_and_saveexec_b32 s28, s12
	s_cbranch_execnz .LBB114_220
; %bb.203:                              ;   in Loop: Header=BB114_12 Depth=1
	s_or_b32 exec_lo, exec_lo, s28
	s_and_saveexec_b32 s12, s13
	s_cbranch_execnz .LBB114_221
.LBB114_204:                            ;   in Loop: Header=BB114_12 Depth=1
	s_or_b32 exec_lo, exec_lo, s12
	s_and_saveexec_b32 s12, s14
	s_cbranch_execnz .LBB114_222
.LBB114_205:                            ;   in Loop: Header=BB114_12 Depth=1
	s_or_b32 exec_lo, exec_lo, s12
	s_and_saveexec_b32 s12, s15
	s_cbranch_execnz .LBB114_223
.LBB114_206:                            ;   in Loop: Header=BB114_12 Depth=1
	s_or_b32 exec_lo, exec_lo, s12
	s_and_saveexec_b32 s12, s16
	s_cbranch_execnz .LBB114_224
.LBB114_207:                            ;   in Loop: Header=BB114_12 Depth=1
	s_or_b32 exec_lo, exec_lo, s12
	s_and_saveexec_b32 s12, s17
	s_cbranch_execnz .LBB114_225
.LBB114_208:                            ;   in Loop: Header=BB114_12 Depth=1
	s_or_b32 exec_lo, exec_lo, s12
	s_and_saveexec_b32 s12, s18
	s_cbranch_execnz .LBB114_226
.LBB114_209:                            ;   in Loop: Header=BB114_12 Depth=1
	s_or_b32 exec_lo, exec_lo, s12
	s_and_saveexec_b32 s12, s19
	s_cbranch_execnz .LBB114_227
.LBB114_210:                            ;   in Loop: Header=BB114_12 Depth=1
	s_or_b32 exec_lo, exec_lo, s12
	s_and_saveexec_b32 s12, s20
	s_cbranch_execnz .LBB114_228
.LBB114_211:                            ;   in Loop: Header=BB114_12 Depth=1
	s_or_b32 exec_lo, exec_lo, s12
	s_and_saveexec_b32 s12, s21
	s_cbranch_execnz .LBB114_229
.LBB114_212:                            ;   in Loop: Header=BB114_12 Depth=1
	s_or_b32 exec_lo, exec_lo, s12
	s_and_saveexec_b32 s12, s22
	s_cbranch_execnz .LBB114_230
.LBB114_213:                            ;   in Loop: Header=BB114_12 Depth=1
	s_or_b32 exec_lo, exec_lo, s12
	s_and_saveexec_b32 s12, s23
	s_cbranch_execnz .LBB114_231
.LBB114_214:                            ;   in Loop: Header=BB114_12 Depth=1
	s_or_b32 exec_lo, exec_lo, s12
	s_and_saveexec_b32 s12, s24
	s_cbranch_execnz .LBB114_232
.LBB114_215:                            ;   in Loop: Header=BB114_12 Depth=1
	s_or_b32 exec_lo, exec_lo, s12
	s_and_saveexec_b32 s12, s25
	s_cbranch_execnz .LBB114_233
.LBB114_216:                            ;   in Loop: Header=BB114_12 Depth=1
	s_or_b32 exec_lo, exec_lo, s12
	s_and_saveexec_b32 s12, s26
	s_cbranch_execnz .LBB114_234
.LBB114_217:                            ;   in Loop: Header=BB114_12 Depth=1
	s_or_b32 exec_lo, exec_lo, s12
	s_and_saveexec_b32 s12, s27
	s_cbranch_execz .LBB114_11
	s_branch .LBB114_235
.LBB114_218:                            ;   in Loop: Header=BB114_12 Depth=1
	global_load_u16 v97, v[8:9], off offset:832
	s_or_b32 exec_lo, exec_lo, s28
	s_and_saveexec_b32 s28, s26
	s_cbranch_execz .LBB114_72
.LBB114_219:                            ;   in Loop: Header=BB114_12 Depth=1
	global_load_u16 v96, v[8:9], off offset:896
	s_or_b32 exec_lo, exec_lo, s28
	v_mov_b32_e32 v98, 0
	s_and_saveexec_b32 s28, s27
	s_cbranch_execnz .LBB114_73
	s_branch .LBB114_74
.LBB114_220:                            ;   in Loop: Header=BB114_12 Depth=1
	ds_load_u16 v17, v37
	s_waitcnt lgkmcnt(0)
	global_store_b16 v[0:1], v17, off
	s_or_b32 exec_lo, exec_lo, s28
	s_and_saveexec_b32 s12, s13
	s_cbranch_execz .LBB114_204
.LBB114_221:                            ;   in Loop: Header=BB114_12 Depth=1
	s_waitcnt lgkmcnt(14)
	global_store_b16 v[0:1], v16, off offset:64
	s_or_b32 exec_lo, exec_lo, s12
	s_and_saveexec_b32 s12, s14
	s_cbranch_execz .LBB114_205
.LBB114_222:                            ;   in Loop: Header=BB114_12 Depth=1
	s_waitcnt lgkmcnt(13)
	global_store_b16 v[0:1], v15, off offset:128
	s_or_b32 exec_lo, exec_lo, s12
	s_and_saveexec_b32 s12, s15
	s_cbranch_execz .LBB114_206
.LBB114_223:                            ;   in Loop: Header=BB114_12 Depth=1
	s_waitcnt lgkmcnt(12)
	global_store_b16 v[0:1], v14, off offset:192
	s_or_b32 exec_lo, exec_lo, s12
	s_and_saveexec_b32 s12, s16
	s_cbranch_execz .LBB114_207
.LBB114_224:                            ;   in Loop: Header=BB114_12 Depth=1
	s_waitcnt lgkmcnt(11)
	global_store_b16 v[0:1], v13, off offset:256
	s_or_b32 exec_lo, exec_lo, s12
	s_and_saveexec_b32 s12, s17
	s_cbranch_execz .LBB114_208
.LBB114_225:                            ;   in Loop: Header=BB114_12 Depth=1
	s_waitcnt lgkmcnt(10)
	global_store_b16 v[0:1], v12, off offset:320
	s_or_b32 exec_lo, exec_lo, s12
	s_and_saveexec_b32 s12, s18
	s_cbranch_execz .LBB114_209
.LBB114_226:                            ;   in Loop: Header=BB114_12 Depth=1
	s_waitcnt lgkmcnt(9)
	global_store_b16 v[0:1], v11, off offset:384
	s_or_b32 exec_lo, exec_lo, s12
	s_and_saveexec_b32 s12, s19
	s_cbranch_execz .LBB114_210
.LBB114_227:                            ;   in Loop: Header=BB114_12 Depth=1
	s_waitcnt lgkmcnt(8)
	global_store_b16 v[0:1], v10, off offset:448
	s_or_b32 exec_lo, exec_lo, s12
	s_and_saveexec_b32 s12, s20
	s_cbranch_execz .LBB114_211
.LBB114_228:                            ;   in Loop: Header=BB114_12 Depth=1
	s_waitcnt lgkmcnt(7)
	global_store_b16 v[0:1], v9, off offset:512
	s_or_b32 exec_lo, exec_lo, s12
	s_and_saveexec_b32 s12, s21
	s_cbranch_execz .LBB114_212
.LBB114_229:                            ;   in Loop: Header=BB114_12 Depth=1
	s_waitcnt lgkmcnt(6)
	global_store_b16 v[0:1], v8, off offset:576
	s_or_b32 exec_lo, exec_lo, s12
	s_and_saveexec_b32 s12, s22
	s_cbranch_execz .LBB114_213
.LBB114_230:                            ;   in Loop: Header=BB114_12 Depth=1
	s_waitcnt lgkmcnt(5)
	global_store_b16 v[0:1], v7, off offset:640
	s_or_b32 exec_lo, exec_lo, s12
	s_and_saveexec_b32 s12, s23
	s_cbranch_execz .LBB114_214
.LBB114_231:                            ;   in Loop: Header=BB114_12 Depth=1
	s_waitcnt lgkmcnt(4)
	global_store_b16 v[0:1], v6, off offset:704
	s_or_b32 exec_lo, exec_lo, s12
	s_and_saveexec_b32 s12, s24
	s_cbranch_execz .LBB114_215
.LBB114_232:                            ;   in Loop: Header=BB114_12 Depth=1
	s_waitcnt lgkmcnt(3)
	global_store_b16 v[0:1], v5, off offset:768
	s_or_b32 exec_lo, exec_lo, s12
	s_and_saveexec_b32 s12, s25
	s_cbranch_execz .LBB114_216
.LBB114_233:                            ;   in Loop: Header=BB114_12 Depth=1
	s_waitcnt lgkmcnt(2)
	global_store_b16 v[0:1], v4, off offset:832
	s_or_b32 exec_lo, exec_lo, s12
	s_and_saveexec_b32 s12, s26
	s_cbranch_execz .LBB114_217
.LBB114_234:                            ;   in Loop: Header=BB114_12 Depth=1
	s_waitcnt lgkmcnt(1)
	global_store_b16 v[0:1], v3, off offset:896
	s_or_b32 exec_lo, exec_lo, s12
	s_and_saveexec_b32 s12, s27
	s_cbranch_execz .LBB114_11
.LBB114_235:                            ;   in Loop: Header=BB114_12 Depth=1
	s_waitcnt lgkmcnt(0)
	global_store_b16 v[0:1], v2, off offset:960
	s_branch .LBB114_11
.LBB114_236:
	s_nop 0
	s_sendmsg sendmsg(MSG_DEALLOC_VGPRS)
	s_endpgm
	.section	.rodata,"a",@progbits
	.p2align	6, 0x0
	.amdhsa_kernel _Z25selective_scan_fwd_kernelI32Selective_Scan_fwd_kernel_traitsILi64ELi16ELi1ELb1ELb1ELb1ELb0ELb1EN3c104HalfEffEEv13SSMParamsBase
		.amdhsa_group_segment_fixed_size 0
		.amdhsa_private_segment_fixed_size 0
		.amdhsa_kernarg_size 248
		.amdhsa_user_sgpr_count 14
		.amdhsa_user_sgpr_dispatch_ptr 0
		.amdhsa_user_sgpr_queue_ptr 0
		.amdhsa_user_sgpr_kernarg_segment_ptr 1
		.amdhsa_user_sgpr_dispatch_id 0
		.amdhsa_user_sgpr_private_segment_size 0
		.amdhsa_wavefront_size32 1
		.amdhsa_uses_dynamic_stack 0
		.amdhsa_enable_private_segment 0
		.amdhsa_system_sgpr_workgroup_id_x 1
		.amdhsa_system_sgpr_workgroup_id_y 1
		.amdhsa_system_sgpr_workgroup_id_z 0
		.amdhsa_system_sgpr_workgroup_info 0
		.amdhsa_system_vgpr_workitem_id 0
		.amdhsa_next_free_vgpr 172
		.amdhsa_next_free_sgpr 92
		.amdhsa_reserve_vcc 1
		.amdhsa_float_round_mode_32 0
		.amdhsa_float_round_mode_16_64 0
		.amdhsa_float_denorm_mode_32 3
		.amdhsa_float_denorm_mode_16_64 3
		.amdhsa_dx10_clamp 1
		.amdhsa_ieee_mode 1
		.amdhsa_fp16_overflow 0
		.amdhsa_workgroup_processor_mode 1
		.amdhsa_memory_ordered 1
		.amdhsa_forward_progress 0
		.amdhsa_shared_vgpr_count 0
		.amdhsa_exception_fp_ieee_invalid_op 0
		.amdhsa_exception_fp_denorm_src 0
		.amdhsa_exception_fp_ieee_div_zero 0
		.amdhsa_exception_fp_ieee_overflow 0
		.amdhsa_exception_fp_ieee_underflow 0
		.amdhsa_exception_fp_ieee_inexact 0
		.amdhsa_exception_int_div_zero 0
	.end_amdhsa_kernel
	.section	.text._Z25selective_scan_fwd_kernelI32Selective_Scan_fwd_kernel_traitsILi64ELi16ELi1ELb1ELb1ELb1ELb0ELb1EN3c104HalfEffEEv13SSMParamsBase,"axG",@progbits,_Z25selective_scan_fwd_kernelI32Selective_Scan_fwd_kernel_traitsILi64ELi16ELi1ELb1ELb1ELb1ELb0ELb1EN3c104HalfEffEEv13SSMParamsBase,comdat
.Lfunc_end114:
	.size	_Z25selective_scan_fwd_kernelI32Selective_Scan_fwd_kernel_traitsILi64ELi16ELi1ELb1ELb1ELb1ELb0ELb1EN3c104HalfEffEEv13SSMParamsBase, .Lfunc_end114-_Z25selective_scan_fwd_kernelI32Selective_Scan_fwd_kernel_traitsILi64ELi16ELi1ELb1ELb1ELb1ELb0ELb1EN3c104HalfEffEEv13SSMParamsBase
                                        ; -- End function
	.section	.AMDGPU.csdata,"",@progbits
; Kernel info:
; codeLenInByte = 21408
; NumSgprs: 94
; NumVgprs: 172
; ScratchSize: 0
; MemoryBound: 0
; FloatMode: 240
; IeeeMode: 1
; LDSByteSize: 0 bytes/workgroup (compile time only)
; SGPRBlocks: 11
; VGPRBlocks: 21
; NumSGPRsForWavesPerEU: 94
; NumVGPRsForWavesPerEU: 172
; Occupancy: 8
; WaveLimiterHint : 1
; COMPUTE_PGM_RSRC2:SCRATCH_EN: 0
; COMPUTE_PGM_RSRC2:USER_SGPR: 14
; COMPUTE_PGM_RSRC2:TRAP_HANDLER: 0
; COMPUTE_PGM_RSRC2:TGID_X_EN: 1
; COMPUTE_PGM_RSRC2:TGID_Y_EN: 1
; COMPUTE_PGM_RSRC2:TGID_Z_EN: 0
; COMPUTE_PGM_RSRC2:TIDIG_COMP_CNT: 0
	.section	.text._Z25selective_scan_fwd_kernelI32Selective_Scan_fwd_kernel_traitsILi64ELi16ELi1ELb1ELb1ELb1ELb0ELb0EN3c104HalfEffEEv13SSMParamsBase,"axG",@progbits,_Z25selective_scan_fwd_kernelI32Selective_Scan_fwd_kernel_traitsILi64ELi16ELi1ELb1ELb1ELb1ELb0ELb0EN3c104HalfEffEEv13SSMParamsBase,comdat
	.protected	_Z25selective_scan_fwd_kernelI32Selective_Scan_fwd_kernel_traitsILi64ELi16ELi1ELb1ELb1ELb1ELb0ELb0EN3c104HalfEffEEv13SSMParamsBase ; -- Begin function _Z25selective_scan_fwd_kernelI32Selective_Scan_fwd_kernel_traitsILi64ELi16ELi1ELb1ELb1ELb1ELb0ELb0EN3c104HalfEffEEv13SSMParamsBase
	.globl	_Z25selective_scan_fwd_kernelI32Selective_Scan_fwd_kernel_traitsILi64ELi16ELi1ELb1ELb1ELb1ELb0ELb0EN3c104HalfEffEEv13SSMParamsBase
	.p2align	8
	.type	_Z25selective_scan_fwd_kernelI32Selective_Scan_fwd_kernel_traitsILi64ELi16ELi1ELb1ELb1ELb1ELb0ELb0EN3c104HalfEffEEv13SSMParamsBase,@function
_Z25selective_scan_fwd_kernelI32Selective_Scan_fwd_kernel_traitsILi64ELi16ELi1ELb1ELb1ELb1ELb0ELb0EN3c104HalfEffEEv13SSMParamsBase: ; @_Z25selective_scan_fwd_kernelI32Selective_Scan_fwd_kernel_traitsILi64ELi16ELi1ELb1ELb1ELb1ELb0ELb0EN3c104HalfEffEEv13SSMParamsBase
; %bb.0:
	s_clause 0x1
	s_load_b32 s9, s[0:1], 0x18
	s_load_b128 s[4:7], s[0:1], 0xe8
	s_mov_b32 s54, s15
	s_mov_b32 s33, 0
	s_waitcnt lgkmcnt(0)
	s_abs_i32 s8, s9
	s_cmp_eq_u64 s[6:7], 0
	v_cvt_f32_u32_e32 v1, s8
	s_delay_alu instid0(VALU_DEP_1) | instskip(SKIP_2) | instid1(VALU_DEP_1)
	v_rcp_iflag_f32_e32 v1, v1
	s_waitcnt_depctr 0xfff
	v_mul_f32_e32 v1, 0x4f7ffffe, v1
	v_cvt_u32_f32_e32 v1, v1
	s_delay_alu instid0(VALU_DEP_1)
	v_readfirstlane_b32 s10, v1
	s_cbranch_scc1 .LBB115_2
; %bb.1:
	v_mov_b32_e32 v1, 0
	s_ashr_i32 s3, s14, 31
	s_add_u32 s2, s6, s14
	s_addc_u32 s3, s7, s3
	global_load_u8 v1, v1, s[2:3]
	s_waitcnt vmcnt(0)
	v_and_b32_e32 v1, 1, v1
	s_delay_alu instid0(VALU_DEP_1)
	v_cmp_eq_u32_e64 s33, 1, v1
.LBB115_2:
	s_load_b64 s[6:7], s[0:1], 0x20
	s_cmp_eq_u64 s[4:5], 0
	s_cbranch_scc1 .LBB115_4
; %bb.3:
	s_ashr_i32 s15, s14, 31
	s_delay_alu instid0(SALU_CYCLE_1) | instskip(NEXT) | instid1(SALU_CYCLE_1)
	s_lshl_b64 s[2:3], s[14:15], 2
	s_add_u32 s2, s4, s2
	s_addc_u32 s3, s5, s3
	s_load_b32 s2, s[2:3], 0x0
	s_waitcnt lgkmcnt(0)
	s_ashr_i32 s3, s2, 31
	s_delay_alu instid0(SALU_CYCLE_1)
	s_cmp_eq_u64 s[6:7], s[2:3]
	s_cbranch_scc0 .LBB115_5
	s_branch .LBB115_84
.LBB115_4:
	s_mov_b32 s2, s14
	s_delay_alu instid0(SALU_CYCLE_1)
	s_ashr_i32 s3, s2, 31
	s_waitcnt lgkmcnt(0)
	s_cmp_eq_u64 s[6:7], s[2:3]
	s_cbranch_scc1 .LBB115_84
.LBB115_5:
	s_clause 0x1
	s_load_b512 s[16:31], s[0:1], 0x88
	s_load_b64 s[34:35], s[0:1], 0x8
	s_mov_b32 s56, 0
	s_mov_b32 s57, 0
	s_waitcnt lgkmcnt(0)
	s_cmp_eq_u64 s[22:23], 0
	s_cbranch_scc1 .LBB115_7
; %bb.6:
	s_ashr_i32 s55, s54, 31
	s_delay_alu instid0(SALU_CYCLE_1) | instskip(NEXT) | instid1(SALU_CYCLE_1)
	s_lshl_b64 s[4:5], s[54:55], 2
	s_add_u32 s4, s22, s4
	s_addc_u32 s5, s23, s5
	s_load_b32 s57, s[4:5], 0x0
.LBB115_7:
	s_cmp_eq_u64 s[28:29], 0
	s_cbranch_scc1 .LBB115_9
; %bb.8:
	s_ashr_i32 s55, s54, 31
	s_delay_alu instid0(SALU_CYCLE_1) | instskip(NEXT) | instid1(SALU_CYCLE_1)
	s_lshl_b64 s[4:5], s[54:55], 2
	s_add_u32 s4, s28, s4
	s_addc_u32 s5, s29, s5
	s_load_b32 s56, s[4:5], 0x0
.LBB115_9:
	s_cmp_lt_i32 s34, 1
	s_cbranch_scc1 .LBB115_84
; %bb.10:
	s_sub_i32 s3, 0, s8
	s_clause 0x1
	s_load_b64 s[4:5], s[0:1], 0x5c
	s_load_b128 s[44:47], s[0:1], 0x4c
	s_mul_i32 s3, s3, s10
	s_abs_i32 s6, s54
	s_mul_hi_u32 s3, s10, s3
	s_ashr_i32 s9, s9, 31
	s_add_i32 s10, s10, s3
	s_ashr_i32 s3, s54, 31
	s_mul_hi_u32 s7, s6, s10
	s_xor_b32 s3, s3, s9
	s_mul_i32 s10, s7, s8
	s_add_i32 s9, s7, 1
	s_sub_i32 s6, s6, s10
	s_load_b256 s[36:43], s[0:1], 0x2c
	s_sub_i32 s10, s6, s8
	s_cmp_ge_u32 s6, s8
	s_mov_b32 s53, 0
	s_cselect_b32 s7, s9, s7
	s_cselect_b32 s6, s10, s6
	s_add_i32 s9, s7, 1
	s_cmp_ge_u32 s6, s8
	s_waitcnt lgkmcnt(0)
	s_mul_i32 s52, s46, s14
	s_cselect_b32 s6, s9, s7
	s_load_b128 s[48:51], s[0:1], 0x7c
	s_xor_b32 s8, s6, s3
	s_lshl_b64 s[6:7], s[52:53], 1
	s_sub_i32 s3, s8, s3
	s_mul_i32 s52, s47, s54
	s_add_u32 s8, s24, s6
	s_addc_u32 s9, s25, s7
	s_lshl_b64 s[6:7], s[52:53], 1
	s_mul_i32 s52, s4, s14
	s_add_u32 s55, s8, s6
	s_addc_u32 s58, s9, s7
	s_lshl_b64 s[6:7], s[52:53], 1
	;; [unrolled: 4-line block ×3, first 2 shown]
	s_mul_i32 s52, s36, s54
	s_add_u32 s59, s6, s4
	s_addc_u32 s36, s7, s5
	s_load_b64 s[6:7], s[0:1], 0xc8
	s_lshl_b64 s[4:5], s[52:53], 2
	s_mul_i32 s52, s38, s14
	s_add_u32 s60, s16, s4
	s_waitcnt lgkmcnt(0)
	s_addc_u32 s51, s17, s5
	s_lshl_b64 s[4:5], s[52:53], 1
	s_mul_i32 s52, s3, s41
	s_add_u32 s8, s18, s4
	s_addc_u32 s9, s19, s5
	s_lshl_b64 s[4:5], s[52:53], 1
	s_mul_i32 s52, s42, s14
	s_add_u32 s41, s8, s4
	;; [unrolled: 4-line block ×3, first 2 shown]
	s_addc_u32 s3, s21, s5
	s_lshl_b64 s[4:5], s[52:53], 1
	s_mul_i32 s52, s2, s48
	v_dual_mov_b32 v34, 0 :: v_dual_lshlrev_b32 v1, 1, v0
	s_add_u32 s45, s8, s4
	s_addc_u32 s62, s3, s5
	s_lshl_b64 s[2:3], s[52:53], 2
	s_load_b64 s[12:13], s[0:1], 0x6c
	s_add_u32 s4, s6, s2
	s_load_b32 s6, s[0:1], 0x28
	v_mbcnt_lo_u32_b32 v2, -1, 0
	v_and_b32_e32 v1, 64, v1
	v_and_b32_e32 v4, 32, v0
	s_mul_i32 s52, s49, s54
	s_addc_u32 s5, s7, s3
	s_lshl_b64 s[2:3], s[52:53], 2
	v_or_b32_e32 v3, v2, v1
	s_add_u32 s63, s4, s2
	v_lshrrev_b32_e32 v5, 5, v1
	v_or_b32_e32 v7, v2, v4
	s_addc_u32 s64, s5, s3
	v_or_b32_e32 v6, 32, v3
	s_add_i32 s0, s34, 0x7ff
	v_add_nc_u32_e32 v5, v5, v3
	s_lshr_b32 s65, s0, 11
	v_cmp_gt_u32_e64 s0, 0x80, v3
	v_lshrrev_b32_e32 v8, 5, v6
	v_lshlrev_b32_e32 v9, 1, v7
	v_bfe_u32 v7, v7, 4, 27
	s_waitcnt lgkmcnt(0)
	s_bitcmp1_b32 s6, 0
	v_lshl_add_u32 v35, v5, 4, 0
	v_add_lshl_u32 v3, v8, v3, 4
	s_cselect_b32 s66, -1, 0
	s_cmp_gt_i32 s35, 0
	v_add_lshl_u32 v5, v7, v9, 4
	s_cselect_b32 s67, -1, 0
	s_add_i32 s2, 0, 0x840
	v_add_nc_u32_e32 v36, 0, v3
	v_add_nc_u32_e32 v38, s2, v3
	v_and_b32_e32 v3, 15, v2
	s_and_b32 s3, s34, 0x3ff
	v_add_nc_u32_e32 v39, s2, v5
	s_cmp_eq_u32 s3, 0
	s_mul_i32 s52, s12, s14
	v_cmp_ne_u32_e64 s2, 0, v3
	v_cmp_lt_u32_e64 s3, 1, v3
	v_cmp_lt_u32_e64 s4, 3, v3
	;; [unrolled: 1-line block ×3, first 2 shown]
	v_add_nc_u32_e32 v3, -1, v2
	s_cselect_b32 s68, -1, 0
	s_lshl_b64 s[14:15], s[52:53], 1
	s_add_i32 s69, s65, -1
	s_mul_i32 s52, s13, s54
	v_cmp_gt_i32_e32 vcc_lo, 0, v3
	v_add_nc_u32_e32 v37, 0, v5
	v_lshlrev_b32_e32 v40, 4, v0
	v_lshrrev_b32_e32 v5, 2, v0
	v_cmp_gt_u32_e64 s8, 2, v0
	v_cndmask_b32_e32 v3, v3, v2, vcc_lo
	v_or_b32_e32 v4, 31, v4
	v_lshl_add_u32 v42, v0, 3, 0
	v_cmp_gt_u32_e64 s10, 32, v0
	v_cmp_lt_u32_e64 s11, 31, v0
	v_cmp_eq_u32_e64 s12, 0, v0
	v_cmp_eq_u32_e64 s7, v4, v0
	s_add_u32 s16, s30, s14
	v_lshlrev_b32_e32 v0, 4, v2
	s_addc_u32 s13, s31, s15
	s_lshl_b64 s[14:15], s[52:53], 1
	v_and_b32_e32 v4, 1, v2
	s_add_u32 s14, s16, s14
	v_lshlrev_b32_e32 v43, 2, v3
	s_addc_u32 s13, s13, s15
	v_lshlrev_b32_e32 v3, 4, v1
	v_add_co_u32 v0, s14, s14, v0
	v_cmp_gt_u32_e64 s1, 0x80, v6
	v_and_b32_e32 v6, 16, v2
	v_and_b32_e32 v5, 8, v5
	v_cmp_eq_u32_e64 s9, 0, v4
	v_add_co_ci_u32_e64 v4, null, s13, 0, s14
	v_add_co_u32 v44, vcc_lo, v0, v3
	v_cmp_ne_u32_e64 s6, 0, v6
	v_add_nc_u32_e32 v41, 0, v5
	v_cmp_eq_u32_e64 s13, 0, v2
	v_add_co_ci_u32_e32 v45, vcc_lo, 0, v4, vcc_lo
	v_or_b32_e32 v46, 1, v40
	v_or_b32_e32 v47, 2, v40
	;; [unrolled: 1-line block ×15, first 2 shown]
	v_lshlrev_b32_e32 v61, 4, v2
	v_lshlrev_b32_e32 v62, 4, v1
	s_mov_b32 s54, 0x3e9b6dac
	s_add_i32 s70, 0, 0x1090
	s_mov_b32 s71, 0
                                        ; implicit-def: $vgpr4
                                        ; implicit-def: $vgpr0
                                        ; implicit-def: $vgpr12
                                        ; implicit-def: $vgpr8
	s_branch .LBB115_12
.LBB115_11:                             ;   in Loop: Header=BB115_12 Depth=1
	v_cvt_f16_f32_e32 v16, v94
	v_cvt_f16_f32_e32 v20, v93
	;; [unrolled: 1-line block ×16, first 2 shown]
	v_pack_b32_f16 v19, v23, v19
	v_pack_b32_f16 v18, v22, v18
	;; [unrolled: 1-line block ×8, first 2 shown]
	s_waitcnt_vscnt null, 0x0
	s_barrier
	buffer_gl0_inv
	ds_store_b128 v37, v[16:19]
	ds_store_b128 v37, v[20:23] offset:16
	; wave barrier
	ds_load_b128 v[16:19], v35
	ds_load_b128 v[20:23], v36 offset:512
	s_add_u32 s59, s59, 0x800
	s_addc_u32 s36, s36, 0
	s_mov_b32 s39, s53
	s_add_u32 s55, s55, 0x800
	s_addc_u32 s58, s58, 0
	s_lshl_b64 s[14:15], s[38:39], 1
	s_add_u32 s41, s41, 0x800
	v_add_co_u32 v24, vcc_lo, v44, s14
	s_addc_u32 s61, s61, 0
	v_add_co_ci_u32_e32 v25, vcc_lo, s15, v45, vcc_lo
	s_add_u32 s45, s45, 0x800
	s_addc_u32 s62, s62, 0
	s_add_i32 s71, s71, 1
	s_delay_alu instid0(SALU_CYCLE_1)
	s_cmp_eq_u32 s71, s65
	s_waitcnt lgkmcnt(1)
	v_lshrrev_b32_e32 v28, 16, v19
	v_alignbit_b32 v27, v18, v17, 16
	v_alignbit_b32 v26, v17, v16, 16
	;; [unrolled: 1-line block ×3, first 2 shown]
	s_clause 0x3
	global_store_b16 v[24:25], v16, off
	global_store_b16 v[24:25], v28, off offset:14
	global_store_b32 v[24:25], v17, off offset:10
	global_store_b64 v[24:25], v[26:27], off offset:2
	s_waitcnt lgkmcnt(0)
	global_store_b128 v[24:25], v[20:23], off offset:512
	s_cbranch_scc1 .LBB115_84
.LBB115_12:                             ; =>This Loop Header: Depth=1
                                        ;     Child Loop BB115_55 Depth 2
	v_add_co_u32 v16, s14, s55, v61
	s_delay_alu instid0(VALU_DEP_1) | instskip(NEXT) | instid1(VALU_DEP_2)
	v_add_co_ci_u32_e64 v17, null, s58, 0, s14
	v_add_co_u32 v16, vcc_lo, v16, v62
	s_delay_alu instid0(VALU_DEP_2)
	v_add_co_ci_u32_e32 v17, vcc_lo, 0, v17, vcc_lo
	s_waitcnt_vscnt null, 0x0
	s_barrier
	buffer_gl0_inv
	s_and_saveexec_b32 s14, s0
	s_cbranch_execz .LBB115_14
; %bb.13:                               ;   in Loop: Header=BB115_12 Depth=1
	global_load_b128 v[12:15], v[16:17], off
.LBB115_14:                             ;   in Loop: Header=BB115_12 Depth=1
	s_or_b32 exec_lo, exec_lo, s14
	s_and_saveexec_b32 s14, s1
	s_cbranch_execz .LBB115_16
; %bb.15:                               ;   in Loop: Header=BB115_12 Depth=1
	global_load_b128 v[8:11], v[16:17], off offset:512
.LBB115_16:                             ;   in Loop: Header=BB115_12 Depth=1
	s_or_b32 exec_lo, exec_lo, s14
	s_waitcnt vmcnt(0)
	ds_store_b128 v35, v[12:15]
	ds_store_b128 v36, v[8:11] offset:512
	; wave barrier
	ds_load_b128 v[12:15], v37
	ds_load_b128 v[8:11], v37 offset:16
	v_add_co_u32 v16, s14, s59, v61
	s_delay_alu instid0(VALU_DEP_1) | instskip(SKIP_1) | instid1(VALU_DEP_2)
	v_add_co_ci_u32_e64 v17, null, s36, 0, s14
	s_waitcnt lgkmcnt(0)
	v_add_co_u32 v16, vcc_lo, v16, v62
	s_delay_alu instid0(VALU_DEP_2)
	v_add_co_ci_u32_e32 v17, vcc_lo, 0, v17, vcc_lo
	s_barrier
	buffer_gl0_inv
	s_and_saveexec_b32 s14, s0
	s_cbranch_execz .LBB115_18
; %bb.17:                               ;   in Loop: Header=BB115_12 Depth=1
	global_load_b128 v[4:7], v[16:17], off
.LBB115_18:                             ;   in Loop: Header=BB115_12 Depth=1
	s_or_b32 exec_lo, exec_lo, s14
	s_and_saveexec_b32 s14, s1
	s_cbranch_execz .LBB115_20
; %bb.19:                               ;   in Loop: Header=BB115_12 Depth=1
	global_load_b128 v[0:3], v[16:17], off offset:512
.LBB115_20:                             ;   in Loop: Header=BB115_12 Depth=1
	s_or_b32 exec_lo, exec_lo, s14
	s_waitcnt vmcnt(0)
	ds_store_b128 v35, v[4:7]
	ds_store_b128 v36, v[0:3] offset:512
	; wave barrier
	ds_load_b128 v[4:7], v37
	ds_load_b128 v[0:3], v37 offset:16
	s_waitcnt lgkmcnt(1)
	v_cvt_f32_f16_e32 v16, v4
	s_delay_alu instid0(VALU_DEP_1) | instskip(NEXT) | instid1(VALU_DEP_1)
	v_add_f32_e32 v63, s56, v16
	v_cmp_ge_f32_e32 vcc_lo, 0x41a00000, v63
	s_and_b32 s14, s66, vcc_lo
	s_delay_alu instid0(SALU_CYCLE_1)
	s_and_saveexec_b32 s15, s14
	s_cbranch_execz .LBB115_22
; %bb.21:                               ;   in Loop: Header=BB115_12 Depth=1
	v_mul_f32_e32 v16, 0x3fb8aa3b, v63
	v_cmp_ngt_f32_e32 vcc_lo, 0xc2ce8ed0, v63
	s_delay_alu instid0(VALU_DEP_2) | instskip(SKIP_1) | instid1(VALU_DEP_2)
	v_rndne_f32_e32 v17, v16
	v_fma_f32 v18, 0x3fb8aa3b, v63, -v16
	v_sub_f32_e32 v16, v16, v17
	s_delay_alu instid0(VALU_DEP_2) | instskip(SKIP_1) | instid1(VALU_DEP_2)
	v_fmac_f32_e32 v18, 0x32a5705f, v63
	v_cvt_i32_f32_e32 v17, v17
	v_add_f32_e32 v16, v16, v18
	s_delay_alu instid0(VALU_DEP_1) | instskip(SKIP_2) | instid1(VALU_DEP_1)
	v_exp_f32_e32 v16, v16
	s_waitcnt_depctr 0xfff
	v_ldexp_f32 v16, v16, v17
	v_cndmask_b32_e32 v16, 0, v16, vcc_lo
	v_cmp_nlt_f32_e32 vcc_lo, 0x42b17218, v63
	s_delay_alu instid0(VALU_DEP_2) | instskip(NEXT) | instid1(VALU_DEP_1)
	v_cndmask_b32_e32 v18, 0x7f800000, v16, vcc_lo
	v_add_f32_e32 v19, 1.0, v18
	s_delay_alu instid0(VALU_DEP_1) | instskip(NEXT) | instid1(VALU_DEP_1)
	v_cvt_f64_f32_e32 v[16:17], v19
	v_frexp_exp_i32_f64_e32 v16, v[16:17]
	v_frexp_mant_f32_e32 v17, v19
	s_delay_alu instid0(VALU_DEP_1) | instskip(SKIP_1) | instid1(VALU_DEP_1)
	v_cmp_gt_f32_e32 vcc_lo, 0x3f2aaaab, v17
	v_add_f32_e32 v17, -1.0, v19
	v_sub_f32_e32 v21, v17, v19
	v_sub_f32_e32 v17, v18, v17
	s_delay_alu instid0(VALU_DEP_2) | instskip(NEXT) | instid1(VALU_DEP_1)
	v_add_f32_e32 v21, 1.0, v21
	v_add_f32_e32 v17, v17, v21
	v_cmp_gt_f32_e64 s14, 0x33800000, v18
	v_subrev_co_ci_u32_e32 v16, vcc_lo, 0, v16, vcc_lo
	v_cmp_eq_f32_e32 vcc_lo, 0x7f800000, v18
	s_delay_alu instid0(VALU_DEP_2) | instskip(SKIP_2) | instid1(VALU_DEP_2)
	v_sub_nc_u32_e32 v20, 0, v16
	v_cvt_f32_i32_e32 v16, v16
	s_or_b32 vcc_lo, s14, vcc_lo
	v_ldexp_f32 v19, v19, v20
	v_ldexp_f32 v17, v17, v20
	s_delay_alu instid0(VALU_DEP_2) | instskip(NEXT) | instid1(VALU_DEP_1)
	v_add_f32_e32 v22, 1.0, v19
	v_dual_add_f32 v20, -1.0, v19 :: v_dual_add_f32 v21, -1.0, v22
	s_delay_alu instid0(VALU_DEP_1) | instskip(NEXT) | instid1(VALU_DEP_2)
	v_add_f32_e32 v23, 1.0, v20
	v_sub_f32_e32 v21, v19, v21
	s_delay_alu instid0(VALU_DEP_2) | instskip(NEXT) | instid1(VALU_DEP_2)
	v_sub_f32_e32 v19, v19, v23
	v_add_f32_e32 v21, v17, v21
	s_delay_alu instid0(VALU_DEP_2) | instskip(NEXT) | instid1(VALU_DEP_1)
	v_add_f32_e32 v17, v17, v19
	v_add_f32_e32 v24, v20, v17
	s_delay_alu instid0(VALU_DEP_1) | instskip(NEXT) | instid1(VALU_DEP_1)
	v_dual_add_f32 v23, v22, v21 :: v_dual_sub_f32 v20, v20, v24
	v_rcp_f32_e32 v19, v23
	v_sub_f32_e32 v22, v22, v23
	s_delay_alu instid0(VALU_DEP_1) | instskip(SKIP_2) | instid1(VALU_DEP_1)
	v_add_f32_e32 v21, v21, v22
	s_waitcnt_depctr 0xfff
	v_mul_f32_e32 v25, v24, v19
	v_mul_f32_e32 v26, v23, v25
	s_delay_alu instid0(VALU_DEP_1) | instskip(NEXT) | instid1(VALU_DEP_1)
	v_fma_f32 v22, v25, v23, -v26
	v_fmac_f32_e32 v22, v25, v21
	s_delay_alu instid0(VALU_DEP_1) | instskip(NEXT) | instid1(VALU_DEP_1)
	v_add_f32_e32 v27, v26, v22
	v_sub_f32_e32 v28, v24, v27
	s_delay_alu instid0(VALU_DEP_1) | instskip(SKIP_1) | instid1(VALU_DEP_2)
	v_sub_f32_e32 v24, v24, v28
	v_dual_add_f32 v17, v17, v20 :: v_dual_sub_f32 v20, v27, v26
	v_sub_f32_e32 v24, v24, v27
	s_delay_alu instid0(VALU_DEP_1) | instskip(NEXT) | instid1(VALU_DEP_1)
	v_dual_sub_f32 v20, v20, v22 :: v_dual_add_f32 v17, v17, v24
	v_add_f32_e32 v17, v20, v17
	s_delay_alu instid0(VALU_DEP_1) | instskip(NEXT) | instid1(VALU_DEP_1)
	v_add_f32_e32 v20, v28, v17
	v_mul_f32_e32 v22, v19, v20
	s_delay_alu instid0(VALU_DEP_1) | instskip(NEXT) | instid1(VALU_DEP_1)
	v_dual_sub_f32 v27, v28, v20 :: v_dual_mul_f32 v24, v23, v22
	v_add_f32_e32 v17, v17, v27
	s_delay_alu instid0(VALU_DEP_2) | instskip(NEXT) | instid1(VALU_DEP_1)
	v_fma_f32 v23, v22, v23, -v24
	v_fmac_f32_e32 v23, v22, v21
	s_delay_alu instid0(VALU_DEP_1) | instskip(NEXT) | instid1(VALU_DEP_1)
	v_add_f32_e32 v21, v24, v23
	v_sub_f32_e32 v26, v20, v21
	s_delay_alu instid0(VALU_DEP_1) | instskip(NEXT) | instid1(VALU_DEP_1)
	v_sub_f32_e32 v20, v20, v26
	v_sub_f32_e32 v20, v20, v21
	s_delay_alu instid0(VALU_DEP_1) | instskip(SKIP_2) | instid1(VALU_DEP_1)
	v_add_f32_e32 v17, v17, v20
	v_add_f32_e32 v20, v25, v22
	v_sub_f32_e32 v24, v21, v24
	v_sub_f32_e32 v21, v24, v23
	s_delay_alu instid0(VALU_DEP_1) | instskip(NEXT) | instid1(VALU_DEP_4)
	v_add_f32_e32 v17, v21, v17
	v_sub_f32_e32 v21, v20, v25
	s_delay_alu instid0(VALU_DEP_2) | instskip(NEXT) | instid1(VALU_DEP_2)
	v_add_f32_e32 v17, v26, v17
	v_sub_f32_e32 v21, v22, v21
	s_delay_alu instid0(VALU_DEP_2) | instskip(NEXT) | instid1(VALU_DEP_1)
	v_mul_f32_e32 v17, v19, v17
	v_add_f32_e32 v17, v21, v17
	s_delay_alu instid0(VALU_DEP_1) | instskip(NEXT) | instid1(VALU_DEP_1)
	v_add_f32_e32 v19, v20, v17
	v_mul_f32_e32 v21, v19, v19
	s_delay_alu instid0(VALU_DEP_1) | instskip(SKIP_1) | instid1(VALU_DEP_2)
	v_fmaak_f32 v22, s54, v21, 0x3ecc95a3
	v_mul_f32_e32 v23, v19, v21
	v_fmaak_f32 v21, v21, v22, 0x3f2aaada
	v_ldexp_f32 v22, v19, 1
	s_delay_alu instid0(VALU_DEP_2) | instskip(SKIP_1) | instid1(VALU_DEP_2)
	v_mul_f32_e32 v21, v23, v21
	v_sub_f32_e32 v19, v19, v20
	v_dual_mul_f32 v23, 0x3f317218, v16 :: v_dual_add_f32 v20, v22, v21
	s_delay_alu instid0(VALU_DEP_2) | instskip(NEXT) | instid1(VALU_DEP_2)
	v_sub_f32_e32 v17, v17, v19
	v_sub_f32_e32 v19, v20, v22
	s_delay_alu instid0(VALU_DEP_3) | instskip(NEXT) | instid1(VALU_DEP_3)
	v_fma_f32 v22, 0x3f317218, v16, -v23
	v_ldexp_f32 v17, v17, 1
	s_delay_alu instid0(VALU_DEP_2) | instskip(NEXT) | instid1(VALU_DEP_1)
	v_dual_sub_f32 v19, v21, v19 :: v_dual_fmac_f32 v22, 0xb102e308, v16
	v_dual_add_f32 v16, v17, v19 :: v_dual_add_f32 v17, v23, v22
	s_delay_alu instid0(VALU_DEP_1) | instskip(NEXT) | instid1(VALU_DEP_1)
	v_add_f32_e32 v19, v20, v16
	v_dual_add_f32 v21, v17, v19 :: v_dual_sub_f32 v20, v19, v20
	s_delay_alu instid0(VALU_DEP_1) | instskip(NEXT) | instid1(VALU_DEP_2)
	v_sub_f32_e32 v24, v21, v17
	v_dual_sub_f32 v23, v17, v23 :: v_dual_sub_f32 v16, v16, v20
	s_delay_alu instid0(VALU_DEP_1) | instskip(SKIP_1) | instid1(VALU_DEP_2)
	v_dual_sub_f32 v25, v21, v24 :: v_dual_sub_f32 v22, v22, v23
	v_sub_f32_e32 v19, v19, v24
	v_dual_sub_f32 v17, v17, v25 :: v_dual_add_f32 v20, v22, v16
	s_delay_alu instid0(VALU_DEP_1) | instskip(NEXT) | instid1(VALU_DEP_2)
	v_add_f32_e32 v17, v19, v17
	v_sub_f32_e32 v19, v20, v22
	s_delay_alu instid0(VALU_DEP_2) | instskip(NEXT) | instid1(VALU_DEP_2)
	v_add_f32_e32 v17, v20, v17
	v_sub_f32_e32 v20, v20, v19
	s_delay_alu instid0(VALU_DEP_2) | instskip(NEXT) | instid1(VALU_DEP_1)
	v_dual_sub_f32 v16, v16, v19 :: v_dual_add_f32 v23, v21, v17
	v_dual_sub_f32 v20, v22, v20 :: v_dual_sub_f32 v19, v23, v21
	s_delay_alu instid0(VALU_DEP_1) | instskip(NEXT) | instid1(VALU_DEP_1)
	v_dual_add_f32 v16, v16, v20 :: v_dual_sub_f32 v17, v17, v19
	v_add_f32_e32 v16, v16, v17
	s_delay_alu instid0(VALU_DEP_1) | instskip(NEXT) | instid1(VALU_DEP_1)
	v_add_f32_e32 v16, v23, v16
	v_cndmask_b32_e32 v63, v16, v18, vcc_lo
.LBB115_22:                             ;   in Loop: Header=BB115_12 Depth=1
	s_or_b32 exec_lo, exec_lo, s15
	v_lshrrev_b32_e32 v16, 16, v4
	s_delay_alu instid0(VALU_DEP_1) | instskip(NEXT) | instid1(VALU_DEP_1)
	v_cvt_f32_f16_e32 v16, v16
	v_add_f32_e32 v64, s56, v16
	s_delay_alu instid0(VALU_DEP_1) | instskip(SKIP_1) | instid1(SALU_CYCLE_1)
	v_cmp_ge_f32_e32 vcc_lo, 0x41a00000, v64
	s_and_b32 s14, s66, vcc_lo
	s_and_saveexec_b32 s15, s14
	s_cbranch_execz .LBB115_24
; %bb.23:                               ;   in Loop: Header=BB115_12 Depth=1
	v_mul_f32_e32 v16, 0x3fb8aa3b, v64
	v_cmp_ngt_f32_e32 vcc_lo, 0xc2ce8ed0, v64
	s_delay_alu instid0(VALU_DEP_2) | instskip(SKIP_1) | instid1(VALU_DEP_2)
	v_rndne_f32_e32 v17, v16
	v_fma_f32 v18, 0x3fb8aa3b, v64, -v16
	v_sub_f32_e32 v16, v16, v17
	s_delay_alu instid0(VALU_DEP_2) | instskip(SKIP_1) | instid1(VALU_DEP_2)
	v_fmac_f32_e32 v18, 0x32a5705f, v64
	v_cvt_i32_f32_e32 v17, v17
	v_add_f32_e32 v16, v16, v18
	s_delay_alu instid0(VALU_DEP_1) | instskip(SKIP_2) | instid1(VALU_DEP_1)
	v_exp_f32_e32 v16, v16
	s_waitcnt_depctr 0xfff
	v_ldexp_f32 v16, v16, v17
	v_cndmask_b32_e32 v16, 0, v16, vcc_lo
	v_cmp_nlt_f32_e32 vcc_lo, 0x42b17218, v64
	s_delay_alu instid0(VALU_DEP_2) | instskip(NEXT) | instid1(VALU_DEP_1)
	v_cndmask_b32_e32 v18, 0x7f800000, v16, vcc_lo
	v_add_f32_e32 v19, 1.0, v18
	s_delay_alu instid0(VALU_DEP_1) | instskip(NEXT) | instid1(VALU_DEP_1)
	v_cvt_f64_f32_e32 v[16:17], v19
	v_frexp_exp_i32_f64_e32 v16, v[16:17]
	v_frexp_mant_f32_e32 v17, v19
	s_delay_alu instid0(VALU_DEP_1) | instskip(SKIP_1) | instid1(VALU_DEP_1)
	v_cmp_gt_f32_e32 vcc_lo, 0x3f2aaaab, v17
	v_add_f32_e32 v17, -1.0, v19
	v_sub_f32_e32 v21, v17, v19
	v_sub_f32_e32 v17, v18, v17
	s_delay_alu instid0(VALU_DEP_2) | instskip(NEXT) | instid1(VALU_DEP_1)
	v_add_f32_e32 v21, 1.0, v21
	v_add_f32_e32 v17, v17, v21
	v_cmp_gt_f32_e64 s14, 0x33800000, v18
	v_subrev_co_ci_u32_e32 v16, vcc_lo, 0, v16, vcc_lo
	v_cmp_eq_f32_e32 vcc_lo, 0x7f800000, v18
	s_delay_alu instid0(VALU_DEP_2) | instskip(SKIP_2) | instid1(VALU_DEP_2)
	v_sub_nc_u32_e32 v20, 0, v16
	v_cvt_f32_i32_e32 v16, v16
	s_or_b32 vcc_lo, s14, vcc_lo
	v_ldexp_f32 v19, v19, v20
	v_ldexp_f32 v17, v17, v20
	s_delay_alu instid0(VALU_DEP_2) | instskip(NEXT) | instid1(VALU_DEP_1)
	v_add_f32_e32 v22, 1.0, v19
	v_dual_add_f32 v20, -1.0, v19 :: v_dual_add_f32 v21, -1.0, v22
	s_delay_alu instid0(VALU_DEP_1) | instskip(NEXT) | instid1(VALU_DEP_2)
	v_add_f32_e32 v23, 1.0, v20
	v_sub_f32_e32 v21, v19, v21
	s_delay_alu instid0(VALU_DEP_2) | instskip(NEXT) | instid1(VALU_DEP_2)
	v_sub_f32_e32 v19, v19, v23
	v_add_f32_e32 v21, v17, v21
	s_delay_alu instid0(VALU_DEP_2) | instskip(NEXT) | instid1(VALU_DEP_1)
	v_add_f32_e32 v17, v17, v19
	v_add_f32_e32 v24, v20, v17
	s_delay_alu instid0(VALU_DEP_1) | instskip(NEXT) | instid1(VALU_DEP_1)
	v_dual_add_f32 v23, v22, v21 :: v_dual_sub_f32 v20, v20, v24
	v_rcp_f32_e32 v19, v23
	v_sub_f32_e32 v22, v22, v23
	s_delay_alu instid0(VALU_DEP_1) | instskip(SKIP_2) | instid1(VALU_DEP_1)
	v_add_f32_e32 v21, v21, v22
	s_waitcnt_depctr 0xfff
	v_mul_f32_e32 v25, v24, v19
	v_mul_f32_e32 v26, v23, v25
	s_delay_alu instid0(VALU_DEP_1) | instskip(NEXT) | instid1(VALU_DEP_1)
	v_fma_f32 v22, v25, v23, -v26
	v_fmac_f32_e32 v22, v25, v21
	s_delay_alu instid0(VALU_DEP_1) | instskip(NEXT) | instid1(VALU_DEP_1)
	v_add_f32_e32 v27, v26, v22
	v_sub_f32_e32 v28, v24, v27
	s_delay_alu instid0(VALU_DEP_1) | instskip(SKIP_1) | instid1(VALU_DEP_2)
	v_sub_f32_e32 v24, v24, v28
	v_dual_add_f32 v17, v17, v20 :: v_dual_sub_f32 v20, v27, v26
	v_sub_f32_e32 v24, v24, v27
	s_delay_alu instid0(VALU_DEP_1) | instskip(NEXT) | instid1(VALU_DEP_1)
	v_dual_sub_f32 v20, v20, v22 :: v_dual_add_f32 v17, v17, v24
	v_add_f32_e32 v17, v20, v17
	s_delay_alu instid0(VALU_DEP_1) | instskip(NEXT) | instid1(VALU_DEP_1)
	v_add_f32_e32 v20, v28, v17
	v_mul_f32_e32 v22, v19, v20
	s_delay_alu instid0(VALU_DEP_1) | instskip(NEXT) | instid1(VALU_DEP_1)
	v_dual_sub_f32 v27, v28, v20 :: v_dual_mul_f32 v24, v23, v22
	v_add_f32_e32 v17, v17, v27
	s_delay_alu instid0(VALU_DEP_2) | instskip(NEXT) | instid1(VALU_DEP_1)
	v_fma_f32 v23, v22, v23, -v24
	v_fmac_f32_e32 v23, v22, v21
	s_delay_alu instid0(VALU_DEP_1) | instskip(NEXT) | instid1(VALU_DEP_1)
	v_add_f32_e32 v21, v24, v23
	v_sub_f32_e32 v26, v20, v21
	s_delay_alu instid0(VALU_DEP_1) | instskip(NEXT) | instid1(VALU_DEP_1)
	v_sub_f32_e32 v20, v20, v26
	v_sub_f32_e32 v20, v20, v21
	s_delay_alu instid0(VALU_DEP_1) | instskip(SKIP_2) | instid1(VALU_DEP_1)
	v_add_f32_e32 v17, v17, v20
	v_add_f32_e32 v20, v25, v22
	v_sub_f32_e32 v24, v21, v24
	v_sub_f32_e32 v21, v24, v23
	s_delay_alu instid0(VALU_DEP_1) | instskip(NEXT) | instid1(VALU_DEP_4)
	v_add_f32_e32 v17, v21, v17
	v_sub_f32_e32 v21, v20, v25
	s_delay_alu instid0(VALU_DEP_2) | instskip(NEXT) | instid1(VALU_DEP_2)
	v_add_f32_e32 v17, v26, v17
	v_sub_f32_e32 v21, v22, v21
	s_delay_alu instid0(VALU_DEP_2) | instskip(NEXT) | instid1(VALU_DEP_1)
	v_mul_f32_e32 v17, v19, v17
	v_add_f32_e32 v17, v21, v17
	s_delay_alu instid0(VALU_DEP_1) | instskip(NEXT) | instid1(VALU_DEP_1)
	v_add_f32_e32 v19, v20, v17
	v_mul_f32_e32 v21, v19, v19
	s_delay_alu instid0(VALU_DEP_1) | instskip(SKIP_1) | instid1(VALU_DEP_2)
	v_fmaak_f32 v22, s54, v21, 0x3ecc95a3
	v_mul_f32_e32 v23, v19, v21
	v_fmaak_f32 v21, v21, v22, 0x3f2aaada
	v_ldexp_f32 v22, v19, 1
	s_delay_alu instid0(VALU_DEP_2) | instskip(SKIP_1) | instid1(VALU_DEP_2)
	v_mul_f32_e32 v21, v23, v21
	v_sub_f32_e32 v19, v19, v20
	v_dual_mul_f32 v23, 0x3f317218, v16 :: v_dual_add_f32 v20, v22, v21
	s_delay_alu instid0(VALU_DEP_2) | instskip(NEXT) | instid1(VALU_DEP_2)
	v_sub_f32_e32 v17, v17, v19
	v_sub_f32_e32 v19, v20, v22
	s_delay_alu instid0(VALU_DEP_3) | instskip(NEXT) | instid1(VALU_DEP_3)
	v_fma_f32 v22, 0x3f317218, v16, -v23
	v_ldexp_f32 v17, v17, 1
	s_delay_alu instid0(VALU_DEP_2) | instskip(NEXT) | instid1(VALU_DEP_1)
	v_dual_sub_f32 v19, v21, v19 :: v_dual_fmac_f32 v22, 0xb102e308, v16
	v_dual_add_f32 v16, v17, v19 :: v_dual_add_f32 v17, v23, v22
	s_delay_alu instid0(VALU_DEP_1) | instskip(NEXT) | instid1(VALU_DEP_1)
	v_add_f32_e32 v19, v20, v16
	v_dual_add_f32 v21, v17, v19 :: v_dual_sub_f32 v20, v19, v20
	s_delay_alu instid0(VALU_DEP_1) | instskip(NEXT) | instid1(VALU_DEP_2)
	v_sub_f32_e32 v24, v21, v17
	v_dual_sub_f32 v23, v17, v23 :: v_dual_sub_f32 v16, v16, v20
	s_delay_alu instid0(VALU_DEP_1) | instskip(SKIP_1) | instid1(VALU_DEP_2)
	v_dual_sub_f32 v25, v21, v24 :: v_dual_sub_f32 v22, v22, v23
	v_sub_f32_e32 v19, v19, v24
	v_dual_sub_f32 v17, v17, v25 :: v_dual_add_f32 v20, v22, v16
	s_delay_alu instid0(VALU_DEP_1) | instskip(NEXT) | instid1(VALU_DEP_2)
	v_add_f32_e32 v17, v19, v17
	v_sub_f32_e32 v19, v20, v22
	s_delay_alu instid0(VALU_DEP_2) | instskip(NEXT) | instid1(VALU_DEP_2)
	v_add_f32_e32 v17, v20, v17
	v_sub_f32_e32 v20, v20, v19
	s_delay_alu instid0(VALU_DEP_2) | instskip(NEXT) | instid1(VALU_DEP_1)
	v_dual_sub_f32 v16, v16, v19 :: v_dual_add_f32 v23, v21, v17
	v_dual_sub_f32 v20, v22, v20 :: v_dual_sub_f32 v19, v23, v21
	s_delay_alu instid0(VALU_DEP_1) | instskip(NEXT) | instid1(VALU_DEP_1)
	v_dual_add_f32 v16, v16, v20 :: v_dual_sub_f32 v17, v17, v19
	v_add_f32_e32 v16, v16, v17
	s_delay_alu instid0(VALU_DEP_1) | instskip(NEXT) | instid1(VALU_DEP_1)
	v_add_f32_e32 v16, v23, v16
	v_cndmask_b32_e32 v64, v16, v18, vcc_lo
.LBB115_24:                             ;   in Loop: Header=BB115_12 Depth=1
	s_or_b32 exec_lo, exec_lo, s15
	v_cvt_f32_f16_e32 v16, v5
	s_delay_alu instid0(VALU_DEP_1) | instskip(NEXT) | instid1(VALU_DEP_1)
	v_add_f32_e32 v65, s56, v16
	v_cmp_ge_f32_e32 vcc_lo, 0x41a00000, v65
	s_and_b32 s14, s66, vcc_lo
	s_delay_alu instid0(SALU_CYCLE_1)
	s_and_saveexec_b32 s15, s14
	s_cbranch_execz .LBB115_26
; %bb.25:                               ;   in Loop: Header=BB115_12 Depth=1
	v_mul_f32_e32 v16, 0x3fb8aa3b, v65
	v_cmp_ngt_f32_e32 vcc_lo, 0xc2ce8ed0, v65
	s_delay_alu instid0(VALU_DEP_2) | instskip(SKIP_1) | instid1(VALU_DEP_2)
	v_rndne_f32_e32 v17, v16
	v_fma_f32 v18, 0x3fb8aa3b, v65, -v16
	v_sub_f32_e32 v16, v16, v17
	s_delay_alu instid0(VALU_DEP_2) | instskip(SKIP_1) | instid1(VALU_DEP_2)
	v_fmac_f32_e32 v18, 0x32a5705f, v65
	v_cvt_i32_f32_e32 v17, v17
	v_add_f32_e32 v16, v16, v18
	s_delay_alu instid0(VALU_DEP_1) | instskip(SKIP_2) | instid1(VALU_DEP_1)
	v_exp_f32_e32 v16, v16
	s_waitcnt_depctr 0xfff
	v_ldexp_f32 v16, v16, v17
	v_cndmask_b32_e32 v16, 0, v16, vcc_lo
	v_cmp_nlt_f32_e32 vcc_lo, 0x42b17218, v65
	s_delay_alu instid0(VALU_DEP_2) | instskip(NEXT) | instid1(VALU_DEP_1)
	v_cndmask_b32_e32 v18, 0x7f800000, v16, vcc_lo
	v_add_f32_e32 v19, 1.0, v18
	s_delay_alu instid0(VALU_DEP_1) | instskip(NEXT) | instid1(VALU_DEP_1)
	v_cvt_f64_f32_e32 v[16:17], v19
	v_frexp_exp_i32_f64_e32 v16, v[16:17]
	v_frexp_mant_f32_e32 v17, v19
	s_delay_alu instid0(VALU_DEP_1) | instskip(SKIP_1) | instid1(VALU_DEP_1)
	v_cmp_gt_f32_e32 vcc_lo, 0x3f2aaaab, v17
	v_add_f32_e32 v17, -1.0, v19
	v_sub_f32_e32 v21, v17, v19
	v_sub_f32_e32 v17, v18, v17
	s_delay_alu instid0(VALU_DEP_2) | instskip(NEXT) | instid1(VALU_DEP_1)
	v_add_f32_e32 v21, 1.0, v21
	v_add_f32_e32 v17, v17, v21
	v_cmp_gt_f32_e64 s14, 0x33800000, v18
	v_subrev_co_ci_u32_e32 v16, vcc_lo, 0, v16, vcc_lo
	v_cmp_eq_f32_e32 vcc_lo, 0x7f800000, v18
	s_delay_alu instid0(VALU_DEP_2) | instskip(SKIP_2) | instid1(VALU_DEP_2)
	v_sub_nc_u32_e32 v20, 0, v16
	v_cvt_f32_i32_e32 v16, v16
	s_or_b32 vcc_lo, s14, vcc_lo
	v_ldexp_f32 v19, v19, v20
	v_ldexp_f32 v17, v17, v20
	s_delay_alu instid0(VALU_DEP_2) | instskip(NEXT) | instid1(VALU_DEP_1)
	v_add_f32_e32 v22, 1.0, v19
	v_dual_add_f32 v20, -1.0, v19 :: v_dual_add_f32 v21, -1.0, v22
	s_delay_alu instid0(VALU_DEP_1) | instskip(NEXT) | instid1(VALU_DEP_2)
	v_add_f32_e32 v23, 1.0, v20
	v_sub_f32_e32 v21, v19, v21
	s_delay_alu instid0(VALU_DEP_2) | instskip(NEXT) | instid1(VALU_DEP_2)
	v_sub_f32_e32 v19, v19, v23
	v_add_f32_e32 v21, v17, v21
	s_delay_alu instid0(VALU_DEP_2) | instskip(NEXT) | instid1(VALU_DEP_1)
	v_add_f32_e32 v17, v17, v19
	v_add_f32_e32 v24, v20, v17
	s_delay_alu instid0(VALU_DEP_1) | instskip(NEXT) | instid1(VALU_DEP_1)
	v_dual_add_f32 v23, v22, v21 :: v_dual_sub_f32 v20, v20, v24
	v_rcp_f32_e32 v19, v23
	v_sub_f32_e32 v22, v22, v23
	s_delay_alu instid0(VALU_DEP_1) | instskip(SKIP_2) | instid1(VALU_DEP_1)
	v_add_f32_e32 v21, v21, v22
	s_waitcnt_depctr 0xfff
	v_mul_f32_e32 v25, v24, v19
	v_mul_f32_e32 v26, v23, v25
	s_delay_alu instid0(VALU_DEP_1) | instskip(NEXT) | instid1(VALU_DEP_1)
	v_fma_f32 v22, v25, v23, -v26
	v_fmac_f32_e32 v22, v25, v21
	s_delay_alu instid0(VALU_DEP_1) | instskip(NEXT) | instid1(VALU_DEP_1)
	v_add_f32_e32 v27, v26, v22
	v_sub_f32_e32 v28, v24, v27
	s_delay_alu instid0(VALU_DEP_1) | instskip(SKIP_1) | instid1(VALU_DEP_2)
	v_sub_f32_e32 v24, v24, v28
	v_dual_add_f32 v17, v17, v20 :: v_dual_sub_f32 v20, v27, v26
	v_sub_f32_e32 v24, v24, v27
	s_delay_alu instid0(VALU_DEP_1) | instskip(NEXT) | instid1(VALU_DEP_1)
	v_dual_sub_f32 v20, v20, v22 :: v_dual_add_f32 v17, v17, v24
	v_add_f32_e32 v17, v20, v17
	s_delay_alu instid0(VALU_DEP_1) | instskip(NEXT) | instid1(VALU_DEP_1)
	v_add_f32_e32 v20, v28, v17
	v_mul_f32_e32 v22, v19, v20
	s_delay_alu instid0(VALU_DEP_1) | instskip(NEXT) | instid1(VALU_DEP_1)
	v_dual_sub_f32 v27, v28, v20 :: v_dual_mul_f32 v24, v23, v22
	v_add_f32_e32 v17, v17, v27
	s_delay_alu instid0(VALU_DEP_2) | instskip(NEXT) | instid1(VALU_DEP_1)
	v_fma_f32 v23, v22, v23, -v24
	v_fmac_f32_e32 v23, v22, v21
	s_delay_alu instid0(VALU_DEP_1) | instskip(NEXT) | instid1(VALU_DEP_1)
	v_add_f32_e32 v21, v24, v23
	v_sub_f32_e32 v26, v20, v21
	s_delay_alu instid0(VALU_DEP_1) | instskip(NEXT) | instid1(VALU_DEP_1)
	v_sub_f32_e32 v20, v20, v26
	v_sub_f32_e32 v20, v20, v21
	s_delay_alu instid0(VALU_DEP_1) | instskip(SKIP_2) | instid1(VALU_DEP_1)
	v_add_f32_e32 v17, v17, v20
	v_add_f32_e32 v20, v25, v22
	v_sub_f32_e32 v24, v21, v24
	v_sub_f32_e32 v21, v24, v23
	s_delay_alu instid0(VALU_DEP_1) | instskip(NEXT) | instid1(VALU_DEP_4)
	v_add_f32_e32 v17, v21, v17
	v_sub_f32_e32 v21, v20, v25
	s_delay_alu instid0(VALU_DEP_2) | instskip(NEXT) | instid1(VALU_DEP_2)
	v_add_f32_e32 v17, v26, v17
	v_sub_f32_e32 v21, v22, v21
	s_delay_alu instid0(VALU_DEP_2) | instskip(NEXT) | instid1(VALU_DEP_1)
	v_mul_f32_e32 v17, v19, v17
	v_add_f32_e32 v17, v21, v17
	s_delay_alu instid0(VALU_DEP_1) | instskip(NEXT) | instid1(VALU_DEP_1)
	v_add_f32_e32 v19, v20, v17
	v_mul_f32_e32 v21, v19, v19
	s_delay_alu instid0(VALU_DEP_1) | instskip(SKIP_1) | instid1(VALU_DEP_2)
	v_fmaak_f32 v22, s54, v21, 0x3ecc95a3
	v_mul_f32_e32 v23, v19, v21
	v_fmaak_f32 v21, v21, v22, 0x3f2aaada
	v_ldexp_f32 v22, v19, 1
	s_delay_alu instid0(VALU_DEP_2) | instskip(SKIP_1) | instid1(VALU_DEP_2)
	v_mul_f32_e32 v21, v23, v21
	v_sub_f32_e32 v19, v19, v20
	v_dual_mul_f32 v23, 0x3f317218, v16 :: v_dual_add_f32 v20, v22, v21
	s_delay_alu instid0(VALU_DEP_2) | instskip(NEXT) | instid1(VALU_DEP_2)
	v_sub_f32_e32 v17, v17, v19
	v_sub_f32_e32 v19, v20, v22
	s_delay_alu instid0(VALU_DEP_3) | instskip(NEXT) | instid1(VALU_DEP_3)
	v_fma_f32 v22, 0x3f317218, v16, -v23
	v_ldexp_f32 v17, v17, 1
	s_delay_alu instid0(VALU_DEP_2) | instskip(NEXT) | instid1(VALU_DEP_1)
	v_dual_sub_f32 v19, v21, v19 :: v_dual_fmac_f32 v22, 0xb102e308, v16
	v_dual_add_f32 v16, v17, v19 :: v_dual_add_f32 v17, v23, v22
	s_delay_alu instid0(VALU_DEP_1) | instskip(NEXT) | instid1(VALU_DEP_1)
	v_add_f32_e32 v19, v20, v16
	v_dual_add_f32 v21, v17, v19 :: v_dual_sub_f32 v20, v19, v20
	s_delay_alu instid0(VALU_DEP_1) | instskip(NEXT) | instid1(VALU_DEP_2)
	v_sub_f32_e32 v24, v21, v17
	v_dual_sub_f32 v23, v17, v23 :: v_dual_sub_f32 v16, v16, v20
	s_delay_alu instid0(VALU_DEP_1) | instskip(SKIP_1) | instid1(VALU_DEP_2)
	v_dual_sub_f32 v25, v21, v24 :: v_dual_sub_f32 v22, v22, v23
	v_sub_f32_e32 v19, v19, v24
	v_dual_sub_f32 v17, v17, v25 :: v_dual_add_f32 v20, v22, v16
	s_delay_alu instid0(VALU_DEP_1) | instskip(NEXT) | instid1(VALU_DEP_2)
	v_add_f32_e32 v17, v19, v17
	v_sub_f32_e32 v19, v20, v22
	s_delay_alu instid0(VALU_DEP_2) | instskip(NEXT) | instid1(VALU_DEP_2)
	v_add_f32_e32 v17, v20, v17
	v_sub_f32_e32 v20, v20, v19
	s_delay_alu instid0(VALU_DEP_2) | instskip(NEXT) | instid1(VALU_DEP_1)
	v_dual_sub_f32 v16, v16, v19 :: v_dual_add_f32 v23, v21, v17
	v_dual_sub_f32 v20, v22, v20 :: v_dual_sub_f32 v19, v23, v21
	s_delay_alu instid0(VALU_DEP_1) | instskip(NEXT) | instid1(VALU_DEP_1)
	v_dual_add_f32 v16, v16, v20 :: v_dual_sub_f32 v17, v17, v19
	v_add_f32_e32 v16, v16, v17
	s_delay_alu instid0(VALU_DEP_1) | instskip(NEXT) | instid1(VALU_DEP_1)
	v_add_f32_e32 v16, v23, v16
	v_cndmask_b32_e32 v65, v16, v18, vcc_lo
.LBB115_26:                             ;   in Loop: Header=BB115_12 Depth=1
	s_or_b32 exec_lo, exec_lo, s15
	v_lshrrev_b32_e32 v16, 16, v5
	s_delay_alu instid0(VALU_DEP_1) | instskip(NEXT) | instid1(VALU_DEP_1)
	v_cvt_f32_f16_e32 v16, v16
	v_add_f32_e32 v66, s56, v16
	s_delay_alu instid0(VALU_DEP_1) | instskip(SKIP_1) | instid1(SALU_CYCLE_1)
	v_cmp_ge_f32_e32 vcc_lo, 0x41a00000, v66
	s_and_b32 s14, s66, vcc_lo
	s_and_saveexec_b32 s15, s14
	s_cbranch_execz .LBB115_28
; %bb.27:                               ;   in Loop: Header=BB115_12 Depth=1
	v_mul_f32_e32 v16, 0x3fb8aa3b, v66
	v_cmp_ngt_f32_e32 vcc_lo, 0xc2ce8ed0, v66
	s_delay_alu instid0(VALU_DEP_2) | instskip(SKIP_1) | instid1(VALU_DEP_2)
	v_rndne_f32_e32 v17, v16
	v_fma_f32 v18, 0x3fb8aa3b, v66, -v16
	v_sub_f32_e32 v16, v16, v17
	s_delay_alu instid0(VALU_DEP_2) | instskip(SKIP_1) | instid1(VALU_DEP_2)
	v_fmac_f32_e32 v18, 0x32a5705f, v66
	v_cvt_i32_f32_e32 v17, v17
	v_add_f32_e32 v16, v16, v18
	s_delay_alu instid0(VALU_DEP_1) | instskip(SKIP_2) | instid1(VALU_DEP_1)
	v_exp_f32_e32 v16, v16
	s_waitcnt_depctr 0xfff
	v_ldexp_f32 v16, v16, v17
	v_cndmask_b32_e32 v16, 0, v16, vcc_lo
	v_cmp_nlt_f32_e32 vcc_lo, 0x42b17218, v66
	s_delay_alu instid0(VALU_DEP_2) | instskip(NEXT) | instid1(VALU_DEP_1)
	v_cndmask_b32_e32 v18, 0x7f800000, v16, vcc_lo
	v_add_f32_e32 v19, 1.0, v18
	s_delay_alu instid0(VALU_DEP_1) | instskip(NEXT) | instid1(VALU_DEP_1)
	v_cvt_f64_f32_e32 v[16:17], v19
	v_frexp_exp_i32_f64_e32 v16, v[16:17]
	v_frexp_mant_f32_e32 v17, v19
	s_delay_alu instid0(VALU_DEP_1) | instskip(SKIP_1) | instid1(VALU_DEP_1)
	v_cmp_gt_f32_e32 vcc_lo, 0x3f2aaaab, v17
	v_add_f32_e32 v17, -1.0, v19
	v_sub_f32_e32 v21, v17, v19
	v_sub_f32_e32 v17, v18, v17
	s_delay_alu instid0(VALU_DEP_2) | instskip(NEXT) | instid1(VALU_DEP_1)
	v_add_f32_e32 v21, 1.0, v21
	v_add_f32_e32 v17, v17, v21
	v_cmp_gt_f32_e64 s14, 0x33800000, v18
	v_subrev_co_ci_u32_e32 v16, vcc_lo, 0, v16, vcc_lo
	v_cmp_eq_f32_e32 vcc_lo, 0x7f800000, v18
	s_delay_alu instid0(VALU_DEP_2) | instskip(SKIP_2) | instid1(VALU_DEP_2)
	v_sub_nc_u32_e32 v20, 0, v16
	v_cvt_f32_i32_e32 v16, v16
	s_or_b32 vcc_lo, s14, vcc_lo
	v_ldexp_f32 v19, v19, v20
	v_ldexp_f32 v17, v17, v20
	s_delay_alu instid0(VALU_DEP_2) | instskip(NEXT) | instid1(VALU_DEP_1)
	v_add_f32_e32 v22, 1.0, v19
	v_dual_add_f32 v20, -1.0, v19 :: v_dual_add_f32 v21, -1.0, v22
	s_delay_alu instid0(VALU_DEP_1) | instskip(NEXT) | instid1(VALU_DEP_2)
	v_add_f32_e32 v23, 1.0, v20
	v_sub_f32_e32 v21, v19, v21
	s_delay_alu instid0(VALU_DEP_2) | instskip(NEXT) | instid1(VALU_DEP_2)
	v_sub_f32_e32 v19, v19, v23
	v_add_f32_e32 v21, v17, v21
	s_delay_alu instid0(VALU_DEP_2) | instskip(NEXT) | instid1(VALU_DEP_1)
	v_add_f32_e32 v17, v17, v19
	v_add_f32_e32 v24, v20, v17
	s_delay_alu instid0(VALU_DEP_1) | instskip(NEXT) | instid1(VALU_DEP_1)
	v_dual_add_f32 v23, v22, v21 :: v_dual_sub_f32 v20, v20, v24
	v_rcp_f32_e32 v19, v23
	v_sub_f32_e32 v22, v22, v23
	s_delay_alu instid0(VALU_DEP_1) | instskip(SKIP_2) | instid1(VALU_DEP_1)
	v_add_f32_e32 v21, v21, v22
	s_waitcnt_depctr 0xfff
	v_mul_f32_e32 v25, v24, v19
	v_mul_f32_e32 v26, v23, v25
	s_delay_alu instid0(VALU_DEP_1) | instskip(NEXT) | instid1(VALU_DEP_1)
	v_fma_f32 v22, v25, v23, -v26
	v_fmac_f32_e32 v22, v25, v21
	s_delay_alu instid0(VALU_DEP_1) | instskip(NEXT) | instid1(VALU_DEP_1)
	v_add_f32_e32 v27, v26, v22
	v_sub_f32_e32 v28, v24, v27
	s_delay_alu instid0(VALU_DEP_1) | instskip(SKIP_1) | instid1(VALU_DEP_2)
	v_sub_f32_e32 v24, v24, v28
	v_dual_add_f32 v17, v17, v20 :: v_dual_sub_f32 v20, v27, v26
	v_sub_f32_e32 v24, v24, v27
	s_delay_alu instid0(VALU_DEP_1) | instskip(NEXT) | instid1(VALU_DEP_1)
	v_dual_sub_f32 v20, v20, v22 :: v_dual_add_f32 v17, v17, v24
	v_add_f32_e32 v17, v20, v17
	s_delay_alu instid0(VALU_DEP_1) | instskip(NEXT) | instid1(VALU_DEP_1)
	v_add_f32_e32 v20, v28, v17
	v_mul_f32_e32 v22, v19, v20
	s_delay_alu instid0(VALU_DEP_1) | instskip(NEXT) | instid1(VALU_DEP_1)
	v_dual_sub_f32 v27, v28, v20 :: v_dual_mul_f32 v24, v23, v22
	v_add_f32_e32 v17, v17, v27
	s_delay_alu instid0(VALU_DEP_2) | instskip(NEXT) | instid1(VALU_DEP_1)
	v_fma_f32 v23, v22, v23, -v24
	v_fmac_f32_e32 v23, v22, v21
	s_delay_alu instid0(VALU_DEP_1) | instskip(NEXT) | instid1(VALU_DEP_1)
	v_add_f32_e32 v21, v24, v23
	v_sub_f32_e32 v26, v20, v21
	s_delay_alu instid0(VALU_DEP_1) | instskip(NEXT) | instid1(VALU_DEP_1)
	v_sub_f32_e32 v20, v20, v26
	v_sub_f32_e32 v20, v20, v21
	s_delay_alu instid0(VALU_DEP_1) | instskip(SKIP_2) | instid1(VALU_DEP_1)
	v_add_f32_e32 v17, v17, v20
	v_add_f32_e32 v20, v25, v22
	v_sub_f32_e32 v24, v21, v24
	v_sub_f32_e32 v21, v24, v23
	s_delay_alu instid0(VALU_DEP_1) | instskip(NEXT) | instid1(VALU_DEP_4)
	v_add_f32_e32 v17, v21, v17
	v_sub_f32_e32 v21, v20, v25
	s_delay_alu instid0(VALU_DEP_2) | instskip(NEXT) | instid1(VALU_DEP_2)
	v_add_f32_e32 v17, v26, v17
	v_sub_f32_e32 v21, v22, v21
	s_delay_alu instid0(VALU_DEP_2) | instskip(NEXT) | instid1(VALU_DEP_1)
	v_mul_f32_e32 v17, v19, v17
	v_add_f32_e32 v17, v21, v17
	s_delay_alu instid0(VALU_DEP_1) | instskip(NEXT) | instid1(VALU_DEP_1)
	v_add_f32_e32 v19, v20, v17
	v_mul_f32_e32 v21, v19, v19
	s_delay_alu instid0(VALU_DEP_1) | instskip(SKIP_1) | instid1(VALU_DEP_2)
	v_fmaak_f32 v22, s54, v21, 0x3ecc95a3
	v_mul_f32_e32 v23, v19, v21
	v_fmaak_f32 v21, v21, v22, 0x3f2aaada
	v_ldexp_f32 v22, v19, 1
	s_delay_alu instid0(VALU_DEP_2) | instskip(SKIP_1) | instid1(VALU_DEP_2)
	v_mul_f32_e32 v21, v23, v21
	v_sub_f32_e32 v19, v19, v20
	v_dual_mul_f32 v23, 0x3f317218, v16 :: v_dual_add_f32 v20, v22, v21
	s_delay_alu instid0(VALU_DEP_2) | instskip(NEXT) | instid1(VALU_DEP_2)
	v_sub_f32_e32 v17, v17, v19
	v_sub_f32_e32 v19, v20, v22
	s_delay_alu instid0(VALU_DEP_3) | instskip(NEXT) | instid1(VALU_DEP_3)
	v_fma_f32 v22, 0x3f317218, v16, -v23
	v_ldexp_f32 v17, v17, 1
	s_delay_alu instid0(VALU_DEP_2) | instskip(NEXT) | instid1(VALU_DEP_1)
	v_dual_sub_f32 v19, v21, v19 :: v_dual_fmac_f32 v22, 0xb102e308, v16
	v_dual_add_f32 v16, v17, v19 :: v_dual_add_f32 v17, v23, v22
	s_delay_alu instid0(VALU_DEP_1) | instskip(NEXT) | instid1(VALU_DEP_1)
	v_add_f32_e32 v19, v20, v16
	v_dual_add_f32 v21, v17, v19 :: v_dual_sub_f32 v20, v19, v20
	s_delay_alu instid0(VALU_DEP_1) | instskip(NEXT) | instid1(VALU_DEP_2)
	v_sub_f32_e32 v24, v21, v17
	v_dual_sub_f32 v23, v17, v23 :: v_dual_sub_f32 v16, v16, v20
	s_delay_alu instid0(VALU_DEP_1) | instskip(SKIP_1) | instid1(VALU_DEP_2)
	v_dual_sub_f32 v25, v21, v24 :: v_dual_sub_f32 v22, v22, v23
	v_sub_f32_e32 v19, v19, v24
	v_dual_sub_f32 v17, v17, v25 :: v_dual_add_f32 v20, v22, v16
	s_delay_alu instid0(VALU_DEP_1) | instskip(NEXT) | instid1(VALU_DEP_2)
	v_add_f32_e32 v17, v19, v17
	v_sub_f32_e32 v19, v20, v22
	s_delay_alu instid0(VALU_DEP_2) | instskip(NEXT) | instid1(VALU_DEP_2)
	v_add_f32_e32 v17, v20, v17
	v_sub_f32_e32 v20, v20, v19
	s_delay_alu instid0(VALU_DEP_2) | instskip(NEXT) | instid1(VALU_DEP_1)
	v_dual_sub_f32 v16, v16, v19 :: v_dual_add_f32 v23, v21, v17
	v_dual_sub_f32 v20, v22, v20 :: v_dual_sub_f32 v19, v23, v21
	s_delay_alu instid0(VALU_DEP_1) | instskip(NEXT) | instid1(VALU_DEP_1)
	v_dual_add_f32 v16, v16, v20 :: v_dual_sub_f32 v17, v17, v19
	v_add_f32_e32 v16, v16, v17
	s_delay_alu instid0(VALU_DEP_1) | instskip(NEXT) | instid1(VALU_DEP_1)
	v_add_f32_e32 v16, v23, v16
	v_cndmask_b32_e32 v66, v16, v18, vcc_lo
.LBB115_28:                             ;   in Loop: Header=BB115_12 Depth=1
	s_or_b32 exec_lo, exec_lo, s15
	v_cvt_f32_f16_e32 v16, v6
	s_delay_alu instid0(VALU_DEP_1) | instskip(NEXT) | instid1(VALU_DEP_1)
	v_add_f32_e32 v67, s56, v16
	v_cmp_ge_f32_e32 vcc_lo, 0x41a00000, v67
	s_and_b32 s14, s66, vcc_lo
	s_delay_alu instid0(SALU_CYCLE_1)
	s_and_saveexec_b32 s15, s14
	s_cbranch_execz .LBB115_30
; %bb.29:                               ;   in Loop: Header=BB115_12 Depth=1
	v_mul_f32_e32 v16, 0x3fb8aa3b, v67
	v_cmp_ngt_f32_e32 vcc_lo, 0xc2ce8ed0, v67
	s_delay_alu instid0(VALU_DEP_2) | instskip(SKIP_1) | instid1(VALU_DEP_2)
	v_rndne_f32_e32 v17, v16
	v_fma_f32 v18, 0x3fb8aa3b, v67, -v16
	v_sub_f32_e32 v16, v16, v17
	s_delay_alu instid0(VALU_DEP_2) | instskip(SKIP_1) | instid1(VALU_DEP_2)
	v_fmac_f32_e32 v18, 0x32a5705f, v67
	v_cvt_i32_f32_e32 v17, v17
	v_add_f32_e32 v16, v16, v18
	s_delay_alu instid0(VALU_DEP_1) | instskip(SKIP_2) | instid1(VALU_DEP_1)
	v_exp_f32_e32 v16, v16
	s_waitcnt_depctr 0xfff
	v_ldexp_f32 v16, v16, v17
	v_cndmask_b32_e32 v16, 0, v16, vcc_lo
	v_cmp_nlt_f32_e32 vcc_lo, 0x42b17218, v67
	s_delay_alu instid0(VALU_DEP_2) | instskip(NEXT) | instid1(VALU_DEP_1)
	v_cndmask_b32_e32 v18, 0x7f800000, v16, vcc_lo
	v_add_f32_e32 v19, 1.0, v18
	s_delay_alu instid0(VALU_DEP_1) | instskip(NEXT) | instid1(VALU_DEP_1)
	v_cvt_f64_f32_e32 v[16:17], v19
	v_frexp_exp_i32_f64_e32 v16, v[16:17]
	v_frexp_mant_f32_e32 v17, v19
	s_delay_alu instid0(VALU_DEP_1) | instskip(SKIP_1) | instid1(VALU_DEP_1)
	v_cmp_gt_f32_e32 vcc_lo, 0x3f2aaaab, v17
	v_add_f32_e32 v17, -1.0, v19
	v_sub_f32_e32 v21, v17, v19
	v_sub_f32_e32 v17, v18, v17
	s_delay_alu instid0(VALU_DEP_2) | instskip(NEXT) | instid1(VALU_DEP_1)
	v_add_f32_e32 v21, 1.0, v21
	v_add_f32_e32 v17, v17, v21
	v_cmp_gt_f32_e64 s14, 0x33800000, v18
	v_subrev_co_ci_u32_e32 v16, vcc_lo, 0, v16, vcc_lo
	v_cmp_eq_f32_e32 vcc_lo, 0x7f800000, v18
	s_delay_alu instid0(VALU_DEP_2) | instskip(SKIP_2) | instid1(VALU_DEP_2)
	v_sub_nc_u32_e32 v20, 0, v16
	v_cvt_f32_i32_e32 v16, v16
	s_or_b32 vcc_lo, s14, vcc_lo
	v_ldexp_f32 v19, v19, v20
	v_ldexp_f32 v17, v17, v20
	s_delay_alu instid0(VALU_DEP_2) | instskip(NEXT) | instid1(VALU_DEP_1)
	v_add_f32_e32 v22, 1.0, v19
	v_dual_add_f32 v20, -1.0, v19 :: v_dual_add_f32 v21, -1.0, v22
	s_delay_alu instid0(VALU_DEP_1) | instskip(NEXT) | instid1(VALU_DEP_2)
	v_add_f32_e32 v23, 1.0, v20
	v_sub_f32_e32 v21, v19, v21
	s_delay_alu instid0(VALU_DEP_2) | instskip(NEXT) | instid1(VALU_DEP_2)
	v_sub_f32_e32 v19, v19, v23
	v_add_f32_e32 v21, v17, v21
	s_delay_alu instid0(VALU_DEP_2) | instskip(NEXT) | instid1(VALU_DEP_1)
	v_add_f32_e32 v17, v17, v19
	v_add_f32_e32 v24, v20, v17
	s_delay_alu instid0(VALU_DEP_1) | instskip(NEXT) | instid1(VALU_DEP_1)
	v_dual_add_f32 v23, v22, v21 :: v_dual_sub_f32 v20, v20, v24
	v_rcp_f32_e32 v19, v23
	v_sub_f32_e32 v22, v22, v23
	s_delay_alu instid0(VALU_DEP_1) | instskip(SKIP_2) | instid1(VALU_DEP_1)
	v_add_f32_e32 v21, v21, v22
	s_waitcnt_depctr 0xfff
	v_mul_f32_e32 v25, v24, v19
	v_mul_f32_e32 v26, v23, v25
	s_delay_alu instid0(VALU_DEP_1) | instskip(NEXT) | instid1(VALU_DEP_1)
	v_fma_f32 v22, v25, v23, -v26
	v_fmac_f32_e32 v22, v25, v21
	s_delay_alu instid0(VALU_DEP_1) | instskip(NEXT) | instid1(VALU_DEP_1)
	v_add_f32_e32 v27, v26, v22
	v_sub_f32_e32 v28, v24, v27
	s_delay_alu instid0(VALU_DEP_1) | instskip(SKIP_1) | instid1(VALU_DEP_2)
	v_sub_f32_e32 v24, v24, v28
	v_dual_add_f32 v17, v17, v20 :: v_dual_sub_f32 v20, v27, v26
	v_sub_f32_e32 v24, v24, v27
	s_delay_alu instid0(VALU_DEP_1) | instskip(NEXT) | instid1(VALU_DEP_1)
	v_dual_sub_f32 v20, v20, v22 :: v_dual_add_f32 v17, v17, v24
	v_add_f32_e32 v17, v20, v17
	s_delay_alu instid0(VALU_DEP_1) | instskip(NEXT) | instid1(VALU_DEP_1)
	v_add_f32_e32 v20, v28, v17
	v_mul_f32_e32 v22, v19, v20
	s_delay_alu instid0(VALU_DEP_1) | instskip(NEXT) | instid1(VALU_DEP_1)
	v_dual_sub_f32 v27, v28, v20 :: v_dual_mul_f32 v24, v23, v22
	v_add_f32_e32 v17, v17, v27
	s_delay_alu instid0(VALU_DEP_2) | instskip(NEXT) | instid1(VALU_DEP_1)
	v_fma_f32 v23, v22, v23, -v24
	v_fmac_f32_e32 v23, v22, v21
	s_delay_alu instid0(VALU_DEP_1) | instskip(NEXT) | instid1(VALU_DEP_1)
	v_add_f32_e32 v21, v24, v23
	v_sub_f32_e32 v26, v20, v21
	s_delay_alu instid0(VALU_DEP_1) | instskip(NEXT) | instid1(VALU_DEP_1)
	v_sub_f32_e32 v20, v20, v26
	v_sub_f32_e32 v20, v20, v21
	s_delay_alu instid0(VALU_DEP_1) | instskip(SKIP_2) | instid1(VALU_DEP_1)
	v_add_f32_e32 v17, v17, v20
	v_add_f32_e32 v20, v25, v22
	v_sub_f32_e32 v24, v21, v24
	v_sub_f32_e32 v21, v24, v23
	s_delay_alu instid0(VALU_DEP_1) | instskip(NEXT) | instid1(VALU_DEP_4)
	v_add_f32_e32 v17, v21, v17
	v_sub_f32_e32 v21, v20, v25
	s_delay_alu instid0(VALU_DEP_2) | instskip(NEXT) | instid1(VALU_DEP_2)
	v_add_f32_e32 v17, v26, v17
	v_sub_f32_e32 v21, v22, v21
	s_delay_alu instid0(VALU_DEP_2) | instskip(NEXT) | instid1(VALU_DEP_1)
	v_mul_f32_e32 v17, v19, v17
	v_add_f32_e32 v17, v21, v17
	s_delay_alu instid0(VALU_DEP_1) | instskip(NEXT) | instid1(VALU_DEP_1)
	v_add_f32_e32 v19, v20, v17
	v_mul_f32_e32 v21, v19, v19
	s_delay_alu instid0(VALU_DEP_1) | instskip(SKIP_1) | instid1(VALU_DEP_2)
	v_fmaak_f32 v22, s54, v21, 0x3ecc95a3
	v_mul_f32_e32 v23, v19, v21
	v_fmaak_f32 v21, v21, v22, 0x3f2aaada
	v_ldexp_f32 v22, v19, 1
	s_delay_alu instid0(VALU_DEP_2) | instskip(SKIP_1) | instid1(VALU_DEP_2)
	v_mul_f32_e32 v21, v23, v21
	v_sub_f32_e32 v19, v19, v20
	v_dual_mul_f32 v23, 0x3f317218, v16 :: v_dual_add_f32 v20, v22, v21
	s_delay_alu instid0(VALU_DEP_2) | instskip(NEXT) | instid1(VALU_DEP_2)
	v_sub_f32_e32 v17, v17, v19
	v_sub_f32_e32 v19, v20, v22
	s_delay_alu instid0(VALU_DEP_3) | instskip(NEXT) | instid1(VALU_DEP_3)
	v_fma_f32 v22, 0x3f317218, v16, -v23
	v_ldexp_f32 v17, v17, 1
	s_delay_alu instid0(VALU_DEP_2) | instskip(NEXT) | instid1(VALU_DEP_1)
	v_dual_sub_f32 v19, v21, v19 :: v_dual_fmac_f32 v22, 0xb102e308, v16
	v_dual_add_f32 v16, v17, v19 :: v_dual_add_f32 v17, v23, v22
	s_delay_alu instid0(VALU_DEP_1) | instskip(NEXT) | instid1(VALU_DEP_1)
	v_add_f32_e32 v19, v20, v16
	v_dual_add_f32 v21, v17, v19 :: v_dual_sub_f32 v20, v19, v20
	s_delay_alu instid0(VALU_DEP_1) | instskip(NEXT) | instid1(VALU_DEP_2)
	v_sub_f32_e32 v24, v21, v17
	v_dual_sub_f32 v23, v17, v23 :: v_dual_sub_f32 v16, v16, v20
	s_delay_alu instid0(VALU_DEP_1) | instskip(SKIP_1) | instid1(VALU_DEP_2)
	v_dual_sub_f32 v25, v21, v24 :: v_dual_sub_f32 v22, v22, v23
	v_sub_f32_e32 v19, v19, v24
	v_dual_sub_f32 v17, v17, v25 :: v_dual_add_f32 v20, v22, v16
	s_delay_alu instid0(VALU_DEP_1) | instskip(NEXT) | instid1(VALU_DEP_2)
	v_add_f32_e32 v17, v19, v17
	v_sub_f32_e32 v19, v20, v22
	s_delay_alu instid0(VALU_DEP_2) | instskip(NEXT) | instid1(VALU_DEP_2)
	v_add_f32_e32 v17, v20, v17
	v_sub_f32_e32 v20, v20, v19
	s_delay_alu instid0(VALU_DEP_2) | instskip(NEXT) | instid1(VALU_DEP_1)
	v_dual_sub_f32 v16, v16, v19 :: v_dual_add_f32 v23, v21, v17
	v_dual_sub_f32 v20, v22, v20 :: v_dual_sub_f32 v19, v23, v21
	s_delay_alu instid0(VALU_DEP_1) | instskip(NEXT) | instid1(VALU_DEP_1)
	v_dual_add_f32 v16, v16, v20 :: v_dual_sub_f32 v17, v17, v19
	v_add_f32_e32 v16, v16, v17
	s_delay_alu instid0(VALU_DEP_1) | instskip(NEXT) | instid1(VALU_DEP_1)
	v_add_f32_e32 v16, v23, v16
	v_cndmask_b32_e32 v67, v16, v18, vcc_lo
.LBB115_30:                             ;   in Loop: Header=BB115_12 Depth=1
	s_or_b32 exec_lo, exec_lo, s15
	v_lshrrev_b32_e32 v16, 16, v6
	s_delay_alu instid0(VALU_DEP_1) | instskip(NEXT) | instid1(VALU_DEP_1)
	v_cvt_f32_f16_e32 v16, v16
	v_add_f32_e32 v68, s56, v16
	s_delay_alu instid0(VALU_DEP_1) | instskip(SKIP_1) | instid1(SALU_CYCLE_1)
	v_cmp_ge_f32_e32 vcc_lo, 0x41a00000, v68
	s_and_b32 s14, s66, vcc_lo
	s_and_saveexec_b32 s15, s14
	s_cbranch_execz .LBB115_32
; %bb.31:                               ;   in Loop: Header=BB115_12 Depth=1
	v_mul_f32_e32 v16, 0x3fb8aa3b, v68
	v_cmp_ngt_f32_e32 vcc_lo, 0xc2ce8ed0, v68
	s_delay_alu instid0(VALU_DEP_2) | instskip(SKIP_1) | instid1(VALU_DEP_2)
	v_rndne_f32_e32 v17, v16
	v_fma_f32 v18, 0x3fb8aa3b, v68, -v16
	v_sub_f32_e32 v16, v16, v17
	s_delay_alu instid0(VALU_DEP_2) | instskip(SKIP_1) | instid1(VALU_DEP_2)
	v_fmac_f32_e32 v18, 0x32a5705f, v68
	v_cvt_i32_f32_e32 v17, v17
	v_add_f32_e32 v16, v16, v18
	s_delay_alu instid0(VALU_DEP_1) | instskip(SKIP_2) | instid1(VALU_DEP_1)
	v_exp_f32_e32 v16, v16
	s_waitcnt_depctr 0xfff
	v_ldexp_f32 v16, v16, v17
	v_cndmask_b32_e32 v16, 0, v16, vcc_lo
	v_cmp_nlt_f32_e32 vcc_lo, 0x42b17218, v68
	s_delay_alu instid0(VALU_DEP_2) | instskip(NEXT) | instid1(VALU_DEP_1)
	v_cndmask_b32_e32 v18, 0x7f800000, v16, vcc_lo
	v_add_f32_e32 v19, 1.0, v18
	s_delay_alu instid0(VALU_DEP_1) | instskip(NEXT) | instid1(VALU_DEP_1)
	v_cvt_f64_f32_e32 v[16:17], v19
	v_frexp_exp_i32_f64_e32 v16, v[16:17]
	v_frexp_mant_f32_e32 v17, v19
	s_delay_alu instid0(VALU_DEP_1) | instskip(SKIP_1) | instid1(VALU_DEP_1)
	v_cmp_gt_f32_e32 vcc_lo, 0x3f2aaaab, v17
	v_add_f32_e32 v17, -1.0, v19
	v_sub_f32_e32 v21, v17, v19
	v_sub_f32_e32 v17, v18, v17
	s_delay_alu instid0(VALU_DEP_2) | instskip(NEXT) | instid1(VALU_DEP_1)
	v_add_f32_e32 v21, 1.0, v21
	v_add_f32_e32 v17, v17, v21
	v_cmp_gt_f32_e64 s14, 0x33800000, v18
	v_subrev_co_ci_u32_e32 v16, vcc_lo, 0, v16, vcc_lo
	v_cmp_eq_f32_e32 vcc_lo, 0x7f800000, v18
	s_delay_alu instid0(VALU_DEP_2) | instskip(SKIP_2) | instid1(VALU_DEP_2)
	v_sub_nc_u32_e32 v20, 0, v16
	v_cvt_f32_i32_e32 v16, v16
	s_or_b32 vcc_lo, s14, vcc_lo
	v_ldexp_f32 v19, v19, v20
	v_ldexp_f32 v17, v17, v20
	s_delay_alu instid0(VALU_DEP_2) | instskip(NEXT) | instid1(VALU_DEP_1)
	v_add_f32_e32 v22, 1.0, v19
	v_dual_add_f32 v20, -1.0, v19 :: v_dual_add_f32 v21, -1.0, v22
	s_delay_alu instid0(VALU_DEP_1) | instskip(NEXT) | instid1(VALU_DEP_2)
	v_add_f32_e32 v23, 1.0, v20
	v_sub_f32_e32 v21, v19, v21
	s_delay_alu instid0(VALU_DEP_2) | instskip(NEXT) | instid1(VALU_DEP_2)
	v_sub_f32_e32 v19, v19, v23
	v_add_f32_e32 v21, v17, v21
	s_delay_alu instid0(VALU_DEP_2) | instskip(NEXT) | instid1(VALU_DEP_1)
	v_add_f32_e32 v17, v17, v19
	v_add_f32_e32 v24, v20, v17
	s_delay_alu instid0(VALU_DEP_1) | instskip(NEXT) | instid1(VALU_DEP_1)
	v_dual_add_f32 v23, v22, v21 :: v_dual_sub_f32 v20, v20, v24
	v_rcp_f32_e32 v19, v23
	v_sub_f32_e32 v22, v22, v23
	s_delay_alu instid0(VALU_DEP_1) | instskip(SKIP_2) | instid1(VALU_DEP_1)
	v_add_f32_e32 v21, v21, v22
	s_waitcnt_depctr 0xfff
	v_mul_f32_e32 v25, v24, v19
	v_mul_f32_e32 v26, v23, v25
	s_delay_alu instid0(VALU_DEP_1) | instskip(NEXT) | instid1(VALU_DEP_1)
	v_fma_f32 v22, v25, v23, -v26
	v_fmac_f32_e32 v22, v25, v21
	s_delay_alu instid0(VALU_DEP_1) | instskip(NEXT) | instid1(VALU_DEP_1)
	v_add_f32_e32 v27, v26, v22
	v_sub_f32_e32 v28, v24, v27
	s_delay_alu instid0(VALU_DEP_1) | instskip(SKIP_1) | instid1(VALU_DEP_2)
	v_sub_f32_e32 v24, v24, v28
	v_dual_add_f32 v17, v17, v20 :: v_dual_sub_f32 v20, v27, v26
	v_sub_f32_e32 v24, v24, v27
	s_delay_alu instid0(VALU_DEP_1) | instskip(NEXT) | instid1(VALU_DEP_1)
	v_dual_sub_f32 v20, v20, v22 :: v_dual_add_f32 v17, v17, v24
	v_add_f32_e32 v17, v20, v17
	s_delay_alu instid0(VALU_DEP_1) | instskip(NEXT) | instid1(VALU_DEP_1)
	v_add_f32_e32 v20, v28, v17
	v_mul_f32_e32 v22, v19, v20
	s_delay_alu instid0(VALU_DEP_1) | instskip(NEXT) | instid1(VALU_DEP_1)
	v_dual_sub_f32 v27, v28, v20 :: v_dual_mul_f32 v24, v23, v22
	v_add_f32_e32 v17, v17, v27
	s_delay_alu instid0(VALU_DEP_2) | instskip(NEXT) | instid1(VALU_DEP_1)
	v_fma_f32 v23, v22, v23, -v24
	v_fmac_f32_e32 v23, v22, v21
	s_delay_alu instid0(VALU_DEP_1) | instskip(NEXT) | instid1(VALU_DEP_1)
	v_add_f32_e32 v21, v24, v23
	v_sub_f32_e32 v26, v20, v21
	s_delay_alu instid0(VALU_DEP_1) | instskip(NEXT) | instid1(VALU_DEP_1)
	v_sub_f32_e32 v20, v20, v26
	v_sub_f32_e32 v20, v20, v21
	s_delay_alu instid0(VALU_DEP_1) | instskip(SKIP_2) | instid1(VALU_DEP_1)
	v_add_f32_e32 v17, v17, v20
	v_add_f32_e32 v20, v25, v22
	v_sub_f32_e32 v24, v21, v24
	v_sub_f32_e32 v21, v24, v23
	s_delay_alu instid0(VALU_DEP_1) | instskip(NEXT) | instid1(VALU_DEP_4)
	v_add_f32_e32 v17, v21, v17
	v_sub_f32_e32 v21, v20, v25
	s_delay_alu instid0(VALU_DEP_2) | instskip(NEXT) | instid1(VALU_DEP_2)
	v_add_f32_e32 v17, v26, v17
	v_sub_f32_e32 v21, v22, v21
	s_delay_alu instid0(VALU_DEP_2) | instskip(NEXT) | instid1(VALU_DEP_1)
	v_mul_f32_e32 v17, v19, v17
	v_add_f32_e32 v17, v21, v17
	s_delay_alu instid0(VALU_DEP_1) | instskip(NEXT) | instid1(VALU_DEP_1)
	v_add_f32_e32 v19, v20, v17
	v_mul_f32_e32 v21, v19, v19
	s_delay_alu instid0(VALU_DEP_1) | instskip(SKIP_1) | instid1(VALU_DEP_2)
	v_fmaak_f32 v22, s54, v21, 0x3ecc95a3
	v_mul_f32_e32 v23, v19, v21
	v_fmaak_f32 v21, v21, v22, 0x3f2aaada
	v_ldexp_f32 v22, v19, 1
	s_delay_alu instid0(VALU_DEP_2) | instskip(SKIP_1) | instid1(VALU_DEP_2)
	v_mul_f32_e32 v21, v23, v21
	v_sub_f32_e32 v19, v19, v20
	v_dual_mul_f32 v23, 0x3f317218, v16 :: v_dual_add_f32 v20, v22, v21
	s_delay_alu instid0(VALU_DEP_2) | instskip(NEXT) | instid1(VALU_DEP_2)
	v_sub_f32_e32 v17, v17, v19
	v_sub_f32_e32 v19, v20, v22
	s_delay_alu instid0(VALU_DEP_3) | instskip(NEXT) | instid1(VALU_DEP_3)
	v_fma_f32 v22, 0x3f317218, v16, -v23
	v_ldexp_f32 v17, v17, 1
	s_delay_alu instid0(VALU_DEP_2) | instskip(NEXT) | instid1(VALU_DEP_1)
	v_dual_sub_f32 v19, v21, v19 :: v_dual_fmac_f32 v22, 0xb102e308, v16
	v_dual_add_f32 v16, v17, v19 :: v_dual_add_f32 v17, v23, v22
	s_delay_alu instid0(VALU_DEP_1) | instskip(NEXT) | instid1(VALU_DEP_1)
	v_add_f32_e32 v19, v20, v16
	v_dual_add_f32 v21, v17, v19 :: v_dual_sub_f32 v20, v19, v20
	s_delay_alu instid0(VALU_DEP_1) | instskip(NEXT) | instid1(VALU_DEP_2)
	v_sub_f32_e32 v24, v21, v17
	v_dual_sub_f32 v23, v17, v23 :: v_dual_sub_f32 v16, v16, v20
	s_delay_alu instid0(VALU_DEP_1) | instskip(SKIP_1) | instid1(VALU_DEP_2)
	v_dual_sub_f32 v25, v21, v24 :: v_dual_sub_f32 v22, v22, v23
	v_sub_f32_e32 v19, v19, v24
	v_dual_sub_f32 v17, v17, v25 :: v_dual_add_f32 v20, v22, v16
	s_delay_alu instid0(VALU_DEP_1) | instskip(NEXT) | instid1(VALU_DEP_2)
	v_add_f32_e32 v17, v19, v17
	v_sub_f32_e32 v19, v20, v22
	s_delay_alu instid0(VALU_DEP_2) | instskip(NEXT) | instid1(VALU_DEP_2)
	v_add_f32_e32 v17, v20, v17
	v_sub_f32_e32 v20, v20, v19
	s_delay_alu instid0(VALU_DEP_2) | instskip(NEXT) | instid1(VALU_DEP_1)
	v_dual_sub_f32 v16, v16, v19 :: v_dual_add_f32 v23, v21, v17
	v_dual_sub_f32 v20, v22, v20 :: v_dual_sub_f32 v19, v23, v21
	s_delay_alu instid0(VALU_DEP_1) | instskip(NEXT) | instid1(VALU_DEP_1)
	v_dual_add_f32 v16, v16, v20 :: v_dual_sub_f32 v17, v17, v19
	v_add_f32_e32 v16, v16, v17
	s_delay_alu instid0(VALU_DEP_1) | instskip(NEXT) | instid1(VALU_DEP_1)
	v_add_f32_e32 v16, v23, v16
	v_cndmask_b32_e32 v68, v16, v18, vcc_lo
.LBB115_32:                             ;   in Loop: Header=BB115_12 Depth=1
	s_or_b32 exec_lo, exec_lo, s15
	v_cvt_f32_f16_e32 v16, v7
	s_delay_alu instid0(VALU_DEP_1) | instskip(NEXT) | instid1(VALU_DEP_1)
	v_add_f32_e32 v69, s56, v16
	v_cmp_ge_f32_e32 vcc_lo, 0x41a00000, v69
	s_and_b32 s14, s66, vcc_lo
	s_delay_alu instid0(SALU_CYCLE_1)
	s_and_saveexec_b32 s15, s14
	s_cbranch_execz .LBB115_34
; %bb.33:                               ;   in Loop: Header=BB115_12 Depth=1
	v_mul_f32_e32 v16, 0x3fb8aa3b, v69
	v_cmp_ngt_f32_e32 vcc_lo, 0xc2ce8ed0, v69
	s_delay_alu instid0(VALU_DEP_2) | instskip(SKIP_1) | instid1(VALU_DEP_2)
	v_rndne_f32_e32 v17, v16
	v_fma_f32 v18, 0x3fb8aa3b, v69, -v16
	v_sub_f32_e32 v16, v16, v17
	s_delay_alu instid0(VALU_DEP_2) | instskip(SKIP_1) | instid1(VALU_DEP_2)
	v_fmac_f32_e32 v18, 0x32a5705f, v69
	v_cvt_i32_f32_e32 v17, v17
	v_add_f32_e32 v16, v16, v18
	s_delay_alu instid0(VALU_DEP_1) | instskip(SKIP_2) | instid1(VALU_DEP_1)
	v_exp_f32_e32 v16, v16
	s_waitcnt_depctr 0xfff
	v_ldexp_f32 v16, v16, v17
	v_cndmask_b32_e32 v16, 0, v16, vcc_lo
	v_cmp_nlt_f32_e32 vcc_lo, 0x42b17218, v69
	s_delay_alu instid0(VALU_DEP_2) | instskip(NEXT) | instid1(VALU_DEP_1)
	v_cndmask_b32_e32 v18, 0x7f800000, v16, vcc_lo
	v_add_f32_e32 v19, 1.0, v18
	s_delay_alu instid0(VALU_DEP_1) | instskip(NEXT) | instid1(VALU_DEP_1)
	v_cvt_f64_f32_e32 v[16:17], v19
	v_frexp_exp_i32_f64_e32 v16, v[16:17]
	v_frexp_mant_f32_e32 v17, v19
	s_delay_alu instid0(VALU_DEP_1) | instskip(SKIP_1) | instid1(VALU_DEP_1)
	v_cmp_gt_f32_e32 vcc_lo, 0x3f2aaaab, v17
	v_add_f32_e32 v17, -1.0, v19
	v_sub_f32_e32 v21, v17, v19
	v_sub_f32_e32 v17, v18, v17
	s_delay_alu instid0(VALU_DEP_2) | instskip(NEXT) | instid1(VALU_DEP_1)
	v_add_f32_e32 v21, 1.0, v21
	v_add_f32_e32 v17, v17, v21
	v_cmp_gt_f32_e64 s14, 0x33800000, v18
	v_subrev_co_ci_u32_e32 v16, vcc_lo, 0, v16, vcc_lo
	v_cmp_eq_f32_e32 vcc_lo, 0x7f800000, v18
	s_delay_alu instid0(VALU_DEP_2) | instskip(SKIP_2) | instid1(VALU_DEP_2)
	v_sub_nc_u32_e32 v20, 0, v16
	v_cvt_f32_i32_e32 v16, v16
	s_or_b32 vcc_lo, s14, vcc_lo
	v_ldexp_f32 v19, v19, v20
	v_ldexp_f32 v17, v17, v20
	s_delay_alu instid0(VALU_DEP_2) | instskip(NEXT) | instid1(VALU_DEP_1)
	v_add_f32_e32 v22, 1.0, v19
	v_dual_add_f32 v20, -1.0, v19 :: v_dual_add_f32 v21, -1.0, v22
	s_delay_alu instid0(VALU_DEP_1) | instskip(NEXT) | instid1(VALU_DEP_2)
	v_add_f32_e32 v23, 1.0, v20
	v_sub_f32_e32 v21, v19, v21
	s_delay_alu instid0(VALU_DEP_2) | instskip(NEXT) | instid1(VALU_DEP_2)
	v_sub_f32_e32 v19, v19, v23
	v_add_f32_e32 v21, v17, v21
	s_delay_alu instid0(VALU_DEP_2) | instskip(NEXT) | instid1(VALU_DEP_1)
	v_add_f32_e32 v17, v17, v19
	v_add_f32_e32 v24, v20, v17
	s_delay_alu instid0(VALU_DEP_1) | instskip(NEXT) | instid1(VALU_DEP_1)
	v_dual_add_f32 v23, v22, v21 :: v_dual_sub_f32 v20, v20, v24
	v_rcp_f32_e32 v19, v23
	v_sub_f32_e32 v22, v22, v23
	s_delay_alu instid0(VALU_DEP_1) | instskip(SKIP_2) | instid1(VALU_DEP_1)
	v_add_f32_e32 v21, v21, v22
	s_waitcnt_depctr 0xfff
	v_mul_f32_e32 v25, v24, v19
	v_mul_f32_e32 v26, v23, v25
	s_delay_alu instid0(VALU_DEP_1) | instskip(NEXT) | instid1(VALU_DEP_1)
	v_fma_f32 v22, v25, v23, -v26
	v_fmac_f32_e32 v22, v25, v21
	s_delay_alu instid0(VALU_DEP_1) | instskip(NEXT) | instid1(VALU_DEP_1)
	v_add_f32_e32 v27, v26, v22
	v_sub_f32_e32 v28, v24, v27
	s_delay_alu instid0(VALU_DEP_1) | instskip(SKIP_1) | instid1(VALU_DEP_2)
	v_sub_f32_e32 v24, v24, v28
	v_dual_add_f32 v17, v17, v20 :: v_dual_sub_f32 v20, v27, v26
	v_sub_f32_e32 v24, v24, v27
	s_delay_alu instid0(VALU_DEP_1) | instskip(NEXT) | instid1(VALU_DEP_1)
	v_dual_sub_f32 v20, v20, v22 :: v_dual_add_f32 v17, v17, v24
	v_add_f32_e32 v17, v20, v17
	s_delay_alu instid0(VALU_DEP_1) | instskip(NEXT) | instid1(VALU_DEP_1)
	v_add_f32_e32 v20, v28, v17
	v_mul_f32_e32 v22, v19, v20
	s_delay_alu instid0(VALU_DEP_1) | instskip(NEXT) | instid1(VALU_DEP_1)
	v_dual_sub_f32 v27, v28, v20 :: v_dual_mul_f32 v24, v23, v22
	v_add_f32_e32 v17, v17, v27
	s_delay_alu instid0(VALU_DEP_2) | instskip(NEXT) | instid1(VALU_DEP_1)
	v_fma_f32 v23, v22, v23, -v24
	v_fmac_f32_e32 v23, v22, v21
	s_delay_alu instid0(VALU_DEP_1) | instskip(NEXT) | instid1(VALU_DEP_1)
	v_add_f32_e32 v21, v24, v23
	v_sub_f32_e32 v26, v20, v21
	s_delay_alu instid0(VALU_DEP_1) | instskip(NEXT) | instid1(VALU_DEP_1)
	v_sub_f32_e32 v20, v20, v26
	v_sub_f32_e32 v20, v20, v21
	s_delay_alu instid0(VALU_DEP_1) | instskip(SKIP_2) | instid1(VALU_DEP_1)
	v_add_f32_e32 v17, v17, v20
	v_add_f32_e32 v20, v25, v22
	v_sub_f32_e32 v24, v21, v24
	v_sub_f32_e32 v21, v24, v23
	s_delay_alu instid0(VALU_DEP_1) | instskip(NEXT) | instid1(VALU_DEP_4)
	v_add_f32_e32 v17, v21, v17
	v_sub_f32_e32 v21, v20, v25
	s_delay_alu instid0(VALU_DEP_2) | instskip(NEXT) | instid1(VALU_DEP_2)
	v_add_f32_e32 v17, v26, v17
	v_sub_f32_e32 v21, v22, v21
	s_delay_alu instid0(VALU_DEP_2) | instskip(NEXT) | instid1(VALU_DEP_1)
	v_mul_f32_e32 v17, v19, v17
	v_add_f32_e32 v17, v21, v17
	s_delay_alu instid0(VALU_DEP_1) | instskip(NEXT) | instid1(VALU_DEP_1)
	v_add_f32_e32 v19, v20, v17
	v_mul_f32_e32 v21, v19, v19
	s_delay_alu instid0(VALU_DEP_1) | instskip(SKIP_1) | instid1(VALU_DEP_2)
	v_fmaak_f32 v22, s54, v21, 0x3ecc95a3
	v_mul_f32_e32 v23, v19, v21
	v_fmaak_f32 v21, v21, v22, 0x3f2aaada
	v_ldexp_f32 v22, v19, 1
	s_delay_alu instid0(VALU_DEP_2) | instskip(SKIP_1) | instid1(VALU_DEP_2)
	v_mul_f32_e32 v21, v23, v21
	v_sub_f32_e32 v19, v19, v20
	v_dual_mul_f32 v23, 0x3f317218, v16 :: v_dual_add_f32 v20, v22, v21
	s_delay_alu instid0(VALU_DEP_2) | instskip(NEXT) | instid1(VALU_DEP_2)
	v_sub_f32_e32 v17, v17, v19
	v_sub_f32_e32 v19, v20, v22
	s_delay_alu instid0(VALU_DEP_3) | instskip(NEXT) | instid1(VALU_DEP_3)
	v_fma_f32 v22, 0x3f317218, v16, -v23
	v_ldexp_f32 v17, v17, 1
	s_delay_alu instid0(VALU_DEP_2) | instskip(NEXT) | instid1(VALU_DEP_1)
	v_dual_sub_f32 v19, v21, v19 :: v_dual_fmac_f32 v22, 0xb102e308, v16
	v_dual_add_f32 v16, v17, v19 :: v_dual_add_f32 v17, v23, v22
	s_delay_alu instid0(VALU_DEP_1) | instskip(NEXT) | instid1(VALU_DEP_1)
	v_add_f32_e32 v19, v20, v16
	v_dual_add_f32 v21, v17, v19 :: v_dual_sub_f32 v20, v19, v20
	s_delay_alu instid0(VALU_DEP_1) | instskip(NEXT) | instid1(VALU_DEP_2)
	v_sub_f32_e32 v24, v21, v17
	v_dual_sub_f32 v23, v17, v23 :: v_dual_sub_f32 v16, v16, v20
	s_delay_alu instid0(VALU_DEP_1) | instskip(SKIP_1) | instid1(VALU_DEP_2)
	v_dual_sub_f32 v25, v21, v24 :: v_dual_sub_f32 v22, v22, v23
	v_sub_f32_e32 v19, v19, v24
	v_dual_sub_f32 v17, v17, v25 :: v_dual_add_f32 v20, v22, v16
	s_delay_alu instid0(VALU_DEP_1) | instskip(NEXT) | instid1(VALU_DEP_2)
	v_add_f32_e32 v17, v19, v17
	v_sub_f32_e32 v19, v20, v22
	s_delay_alu instid0(VALU_DEP_2) | instskip(NEXT) | instid1(VALU_DEP_2)
	v_add_f32_e32 v17, v20, v17
	v_sub_f32_e32 v20, v20, v19
	s_delay_alu instid0(VALU_DEP_2) | instskip(NEXT) | instid1(VALU_DEP_1)
	v_dual_sub_f32 v16, v16, v19 :: v_dual_add_f32 v23, v21, v17
	v_dual_sub_f32 v20, v22, v20 :: v_dual_sub_f32 v19, v23, v21
	s_delay_alu instid0(VALU_DEP_1) | instskip(NEXT) | instid1(VALU_DEP_1)
	v_dual_add_f32 v16, v16, v20 :: v_dual_sub_f32 v17, v17, v19
	v_add_f32_e32 v16, v16, v17
	s_delay_alu instid0(VALU_DEP_1) | instskip(NEXT) | instid1(VALU_DEP_1)
	v_add_f32_e32 v16, v23, v16
	v_cndmask_b32_e32 v69, v16, v18, vcc_lo
.LBB115_34:                             ;   in Loop: Header=BB115_12 Depth=1
	s_or_b32 exec_lo, exec_lo, s15
	v_lshrrev_b32_e32 v16, 16, v7
	s_delay_alu instid0(VALU_DEP_1) | instskip(NEXT) | instid1(VALU_DEP_1)
	v_cvt_f32_f16_e32 v16, v16
	v_add_f32_e32 v70, s56, v16
	s_delay_alu instid0(VALU_DEP_1) | instskip(SKIP_1) | instid1(SALU_CYCLE_1)
	v_cmp_ge_f32_e32 vcc_lo, 0x41a00000, v70
	s_and_b32 s14, s66, vcc_lo
	s_and_saveexec_b32 s15, s14
	s_cbranch_execz .LBB115_36
; %bb.35:                               ;   in Loop: Header=BB115_12 Depth=1
	v_mul_f32_e32 v16, 0x3fb8aa3b, v70
	v_cmp_ngt_f32_e32 vcc_lo, 0xc2ce8ed0, v70
	s_delay_alu instid0(VALU_DEP_2) | instskip(SKIP_1) | instid1(VALU_DEP_2)
	v_rndne_f32_e32 v17, v16
	v_fma_f32 v18, 0x3fb8aa3b, v70, -v16
	v_sub_f32_e32 v16, v16, v17
	s_delay_alu instid0(VALU_DEP_2) | instskip(SKIP_1) | instid1(VALU_DEP_2)
	v_fmac_f32_e32 v18, 0x32a5705f, v70
	v_cvt_i32_f32_e32 v17, v17
	v_add_f32_e32 v16, v16, v18
	s_delay_alu instid0(VALU_DEP_1) | instskip(SKIP_2) | instid1(VALU_DEP_1)
	v_exp_f32_e32 v16, v16
	s_waitcnt_depctr 0xfff
	v_ldexp_f32 v16, v16, v17
	v_cndmask_b32_e32 v16, 0, v16, vcc_lo
	v_cmp_nlt_f32_e32 vcc_lo, 0x42b17218, v70
	s_delay_alu instid0(VALU_DEP_2) | instskip(NEXT) | instid1(VALU_DEP_1)
	v_cndmask_b32_e32 v18, 0x7f800000, v16, vcc_lo
	v_add_f32_e32 v19, 1.0, v18
	s_delay_alu instid0(VALU_DEP_1) | instskip(NEXT) | instid1(VALU_DEP_1)
	v_cvt_f64_f32_e32 v[16:17], v19
	v_frexp_exp_i32_f64_e32 v16, v[16:17]
	v_frexp_mant_f32_e32 v17, v19
	s_delay_alu instid0(VALU_DEP_1) | instskip(SKIP_1) | instid1(VALU_DEP_1)
	v_cmp_gt_f32_e32 vcc_lo, 0x3f2aaaab, v17
	v_add_f32_e32 v17, -1.0, v19
	v_sub_f32_e32 v21, v17, v19
	v_sub_f32_e32 v17, v18, v17
	s_delay_alu instid0(VALU_DEP_2) | instskip(NEXT) | instid1(VALU_DEP_1)
	v_add_f32_e32 v21, 1.0, v21
	v_add_f32_e32 v17, v17, v21
	v_cmp_gt_f32_e64 s14, 0x33800000, v18
	v_subrev_co_ci_u32_e32 v16, vcc_lo, 0, v16, vcc_lo
	v_cmp_eq_f32_e32 vcc_lo, 0x7f800000, v18
	s_delay_alu instid0(VALU_DEP_2) | instskip(SKIP_2) | instid1(VALU_DEP_2)
	v_sub_nc_u32_e32 v20, 0, v16
	v_cvt_f32_i32_e32 v16, v16
	s_or_b32 vcc_lo, s14, vcc_lo
	v_ldexp_f32 v19, v19, v20
	v_ldexp_f32 v17, v17, v20
	s_delay_alu instid0(VALU_DEP_2) | instskip(NEXT) | instid1(VALU_DEP_1)
	v_add_f32_e32 v22, 1.0, v19
	v_dual_add_f32 v20, -1.0, v19 :: v_dual_add_f32 v21, -1.0, v22
	s_delay_alu instid0(VALU_DEP_1) | instskip(NEXT) | instid1(VALU_DEP_2)
	v_add_f32_e32 v23, 1.0, v20
	v_sub_f32_e32 v21, v19, v21
	s_delay_alu instid0(VALU_DEP_2) | instskip(NEXT) | instid1(VALU_DEP_2)
	v_sub_f32_e32 v19, v19, v23
	v_add_f32_e32 v21, v17, v21
	s_delay_alu instid0(VALU_DEP_2) | instskip(NEXT) | instid1(VALU_DEP_1)
	v_add_f32_e32 v17, v17, v19
	v_add_f32_e32 v24, v20, v17
	s_delay_alu instid0(VALU_DEP_1) | instskip(NEXT) | instid1(VALU_DEP_1)
	v_dual_add_f32 v23, v22, v21 :: v_dual_sub_f32 v20, v20, v24
	v_rcp_f32_e32 v19, v23
	v_sub_f32_e32 v22, v22, v23
	s_delay_alu instid0(VALU_DEP_1) | instskip(SKIP_2) | instid1(VALU_DEP_1)
	v_add_f32_e32 v21, v21, v22
	s_waitcnt_depctr 0xfff
	v_mul_f32_e32 v25, v24, v19
	v_mul_f32_e32 v26, v23, v25
	s_delay_alu instid0(VALU_DEP_1) | instskip(NEXT) | instid1(VALU_DEP_1)
	v_fma_f32 v22, v25, v23, -v26
	v_fmac_f32_e32 v22, v25, v21
	s_delay_alu instid0(VALU_DEP_1) | instskip(NEXT) | instid1(VALU_DEP_1)
	v_add_f32_e32 v27, v26, v22
	v_sub_f32_e32 v28, v24, v27
	s_delay_alu instid0(VALU_DEP_1) | instskip(SKIP_1) | instid1(VALU_DEP_2)
	v_sub_f32_e32 v24, v24, v28
	v_dual_add_f32 v17, v17, v20 :: v_dual_sub_f32 v20, v27, v26
	v_sub_f32_e32 v24, v24, v27
	s_delay_alu instid0(VALU_DEP_1) | instskip(NEXT) | instid1(VALU_DEP_1)
	v_dual_sub_f32 v20, v20, v22 :: v_dual_add_f32 v17, v17, v24
	v_add_f32_e32 v17, v20, v17
	s_delay_alu instid0(VALU_DEP_1) | instskip(NEXT) | instid1(VALU_DEP_1)
	v_add_f32_e32 v20, v28, v17
	v_mul_f32_e32 v22, v19, v20
	s_delay_alu instid0(VALU_DEP_1) | instskip(NEXT) | instid1(VALU_DEP_1)
	v_dual_sub_f32 v27, v28, v20 :: v_dual_mul_f32 v24, v23, v22
	v_add_f32_e32 v17, v17, v27
	s_delay_alu instid0(VALU_DEP_2) | instskip(NEXT) | instid1(VALU_DEP_1)
	v_fma_f32 v23, v22, v23, -v24
	v_fmac_f32_e32 v23, v22, v21
	s_delay_alu instid0(VALU_DEP_1) | instskip(NEXT) | instid1(VALU_DEP_1)
	v_add_f32_e32 v21, v24, v23
	v_sub_f32_e32 v26, v20, v21
	s_delay_alu instid0(VALU_DEP_1) | instskip(NEXT) | instid1(VALU_DEP_1)
	v_sub_f32_e32 v20, v20, v26
	v_sub_f32_e32 v20, v20, v21
	s_delay_alu instid0(VALU_DEP_1) | instskip(SKIP_2) | instid1(VALU_DEP_1)
	v_add_f32_e32 v17, v17, v20
	v_add_f32_e32 v20, v25, v22
	v_sub_f32_e32 v24, v21, v24
	v_sub_f32_e32 v21, v24, v23
	s_delay_alu instid0(VALU_DEP_1) | instskip(NEXT) | instid1(VALU_DEP_4)
	v_add_f32_e32 v17, v21, v17
	v_sub_f32_e32 v21, v20, v25
	s_delay_alu instid0(VALU_DEP_2) | instskip(NEXT) | instid1(VALU_DEP_2)
	v_add_f32_e32 v17, v26, v17
	v_sub_f32_e32 v21, v22, v21
	s_delay_alu instid0(VALU_DEP_2) | instskip(NEXT) | instid1(VALU_DEP_1)
	v_mul_f32_e32 v17, v19, v17
	v_add_f32_e32 v17, v21, v17
	s_delay_alu instid0(VALU_DEP_1) | instskip(NEXT) | instid1(VALU_DEP_1)
	v_add_f32_e32 v19, v20, v17
	v_mul_f32_e32 v21, v19, v19
	s_delay_alu instid0(VALU_DEP_1) | instskip(SKIP_1) | instid1(VALU_DEP_2)
	v_fmaak_f32 v22, s54, v21, 0x3ecc95a3
	v_mul_f32_e32 v23, v19, v21
	v_fmaak_f32 v21, v21, v22, 0x3f2aaada
	v_ldexp_f32 v22, v19, 1
	s_delay_alu instid0(VALU_DEP_2) | instskip(SKIP_1) | instid1(VALU_DEP_2)
	v_mul_f32_e32 v21, v23, v21
	v_sub_f32_e32 v19, v19, v20
	v_dual_mul_f32 v23, 0x3f317218, v16 :: v_dual_add_f32 v20, v22, v21
	s_delay_alu instid0(VALU_DEP_2) | instskip(NEXT) | instid1(VALU_DEP_2)
	v_sub_f32_e32 v17, v17, v19
	v_sub_f32_e32 v19, v20, v22
	s_delay_alu instid0(VALU_DEP_3) | instskip(NEXT) | instid1(VALU_DEP_3)
	v_fma_f32 v22, 0x3f317218, v16, -v23
	v_ldexp_f32 v17, v17, 1
	s_delay_alu instid0(VALU_DEP_2) | instskip(NEXT) | instid1(VALU_DEP_1)
	v_dual_sub_f32 v19, v21, v19 :: v_dual_fmac_f32 v22, 0xb102e308, v16
	v_dual_add_f32 v16, v17, v19 :: v_dual_add_f32 v17, v23, v22
	s_delay_alu instid0(VALU_DEP_1) | instskip(NEXT) | instid1(VALU_DEP_1)
	v_add_f32_e32 v19, v20, v16
	v_dual_add_f32 v21, v17, v19 :: v_dual_sub_f32 v20, v19, v20
	s_delay_alu instid0(VALU_DEP_1) | instskip(NEXT) | instid1(VALU_DEP_2)
	v_sub_f32_e32 v24, v21, v17
	v_dual_sub_f32 v23, v17, v23 :: v_dual_sub_f32 v16, v16, v20
	s_delay_alu instid0(VALU_DEP_1) | instskip(SKIP_1) | instid1(VALU_DEP_2)
	v_dual_sub_f32 v25, v21, v24 :: v_dual_sub_f32 v22, v22, v23
	v_sub_f32_e32 v19, v19, v24
	v_dual_sub_f32 v17, v17, v25 :: v_dual_add_f32 v20, v22, v16
	s_delay_alu instid0(VALU_DEP_1) | instskip(NEXT) | instid1(VALU_DEP_2)
	v_add_f32_e32 v17, v19, v17
	v_sub_f32_e32 v19, v20, v22
	s_delay_alu instid0(VALU_DEP_2) | instskip(NEXT) | instid1(VALU_DEP_2)
	v_add_f32_e32 v17, v20, v17
	v_sub_f32_e32 v20, v20, v19
	s_delay_alu instid0(VALU_DEP_2) | instskip(NEXT) | instid1(VALU_DEP_1)
	v_dual_sub_f32 v16, v16, v19 :: v_dual_add_f32 v23, v21, v17
	v_dual_sub_f32 v20, v22, v20 :: v_dual_sub_f32 v19, v23, v21
	s_delay_alu instid0(VALU_DEP_1) | instskip(NEXT) | instid1(VALU_DEP_1)
	v_dual_add_f32 v16, v16, v20 :: v_dual_sub_f32 v17, v17, v19
	v_add_f32_e32 v16, v16, v17
	s_delay_alu instid0(VALU_DEP_1) | instskip(NEXT) | instid1(VALU_DEP_1)
	v_add_f32_e32 v16, v23, v16
	v_cndmask_b32_e32 v70, v16, v18, vcc_lo
.LBB115_36:                             ;   in Loop: Header=BB115_12 Depth=1
	s_or_b32 exec_lo, exec_lo, s15
	s_waitcnt lgkmcnt(0)
	v_cvt_f32_f16_e32 v16, v0
	s_delay_alu instid0(VALU_DEP_1) | instskip(NEXT) | instid1(VALU_DEP_1)
	v_add_f32_e32 v71, s56, v16
	v_cmp_ge_f32_e32 vcc_lo, 0x41a00000, v71
	s_and_b32 s14, s66, vcc_lo
	s_delay_alu instid0(SALU_CYCLE_1)
	s_and_saveexec_b32 s15, s14
	s_cbranch_execz .LBB115_38
; %bb.37:                               ;   in Loop: Header=BB115_12 Depth=1
	v_mul_f32_e32 v16, 0x3fb8aa3b, v71
	v_cmp_ngt_f32_e32 vcc_lo, 0xc2ce8ed0, v71
	s_delay_alu instid0(VALU_DEP_2) | instskip(SKIP_1) | instid1(VALU_DEP_2)
	v_rndne_f32_e32 v17, v16
	v_fma_f32 v18, 0x3fb8aa3b, v71, -v16
	v_sub_f32_e32 v16, v16, v17
	s_delay_alu instid0(VALU_DEP_2) | instskip(SKIP_1) | instid1(VALU_DEP_2)
	v_fmac_f32_e32 v18, 0x32a5705f, v71
	v_cvt_i32_f32_e32 v17, v17
	v_add_f32_e32 v16, v16, v18
	s_delay_alu instid0(VALU_DEP_1) | instskip(SKIP_2) | instid1(VALU_DEP_1)
	v_exp_f32_e32 v16, v16
	s_waitcnt_depctr 0xfff
	v_ldexp_f32 v16, v16, v17
	v_cndmask_b32_e32 v16, 0, v16, vcc_lo
	v_cmp_nlt_f32_e32 vcc_lo, 0x42b17218, v71
	s_delay_alu instid0(VALU_DEP_2) | instskip(NEXT) | instid1(VALU_DEP_1)
	v_cndmask_b32_e32 v18, 0x7f800000, v16, vcc_lo
	v_add_f32_e32 v19, 1.0, v18
	s_delay_alu instid0(VALU_DEP_1) | instskip(NEXT) | instid1(VALU_DEP_1)
	v_cvt_f64_f32_e32 v[16:17], v19
	v_frexp_exp_i32_f64_e32 v16, v[16:17]
	v_frexp_mant_f32_e32 v17, v19
	s_delay_alu instid0(VALU_DEP_1) | instskip(SKIP_1) | instid1(VALU_DEP_1)
	v_cmp_gt_f32_e32 vcc_lo, 0x3f2aaaab, v17
	v_add_f32_e32 v17, -1.0, v19
	v_sub_f32_e32 v21, v17, v19
	v_sub_f32_e32 v17, v18, v17
	s_delay_alu instid0(VALU_DEP_2) | instskip(NEXT) | instid1(VALU_DEP_1)
	v_add_f32_e32 v21, 1.0, v21
	v_add_f32_e32 v17, v17, v21
	v_cmp_gt_f32_e64 s14, 0x33800000, v18
	v_subrev_co_ci_u32_e32 v16, vcc_lo, 0, v16, vcc_lo
	v_cmp_eq_f32_e32 vcc_lo, 0x7f800000, v18
	s_delay_alu instid0(VALU_DEP_2) | instskip(SKIP_2) | instid1(VALU_DEP_2)
	v_sub_nc_u32_e32 v20, 0, v16
	v_cvt_f32_i32_e32 v16, v16
	s_or_b32 vcc_lo, s14, vcc_lo
	v_ldexp_f32 v19, v19, v20
	v_ldexp_f32 v17, v17, v20
	s_delay_alu instid0(VALU_DEP_2) | instskip(NEXT) | instid1(VALU_DEP_1)
	v_add_f32_e32 v22, 1.0, v19
	v_dual_add_f32 v20, -1.0, v19 :: v_dual_add_f32 v21, -1.0, v22
	s_delay_alu instid0(VALU_DEP_1) | instskip(NEXT) | instid1(VALU_DEP_2)
	v_add_f32_e32 v23, 1.0, v20
	v_sub_f32_e32 v21, v19, v21
	s_delay_alu instid0(VALU_DEP_2) | instskip(NEXT) | instid1(VALU_DEP_2)
	v_sub_f32_e32 v19, v19, v23
	v_add_f32_e32 v21, v17, v21
	s_delay_alu instid0(VALU_DEP_2) | instskip(NEXT) | instid1(VALU_DEP_1)
	v_add_f32_e32 v17, v17, v19
	v_add_f32_e32 v24, v20, v17
	s_delay_alu instid0(VALU_DEP_1) | instskip(NEXT) | instid1(VALU_DEP_1)
	v_dual_add_f32 v23, v22, v21 :: v_dual_sub_f32 v20, v20, v24
	v_rcp_f32_e32 v19, v23
	v_sub_f32_e32 v22, v22, v23
	s_delay_alu instid0(VALU_DEP_1) | instskip(SKIP_2) | instid1(VALU_DEP_1)
	v_add_f32_e32 v21, v21, v22
	s_waitcnt_depctr 0xfff
	v_mul_f32_e32 v25, v24, v19
	v_mul_f32_e32 v26, v23, v25
	s_delay_alu instid0(VALU_DEP_1) | instskip(NEXT) | instid1(VALU_DEP_1)
	v_fma_f32 v22, v25, v23, -v26
	v_fmac_f32_e32 v22, v25, v21
	s_delay_alu instid0(VALU_DEP_1) | instskip(NEXT) | instid1(VALU_DEP_1)
	v_add_f32_e32 v27, v26, v22
	v_sub_f32_e32 v28, v24, v27
	s_delay_alu instid0(VALU_DEP_1) | instskip(SKIP_1) | instid1(VALU_DEP_2)
	v_sub_f32_e32 v24, v24, v28
	v_dual_add_f32 v17, v17, v20 :: v_dual_sub_f32 v20, v27, v26
	v_sub_f32_e32 v24, v24, v27
	s_delay_alu instid0(VALU_DEP_1) | instskip(NEXT) | instid1(VALU_DEP_1)
	v_dual_sub_f32 v20, v20, v22 :: v_dual_add_f32 v17, v17, v24
	v_add_f32_e32 v17, v20, v17
	s_delay_alu instid0(VALU_DEP_1) | instskip(NEXT) | instid1(VALU_DEP_1)
	v_add_f32_e32 v20, v28, v17
	v_mul_f32_e32 v22, v19, v20
	s_delay_alu instid0(VALU_DEP_1) | instskip(NEXT) | instid1(VALU_DEP_1)
	v_dual_sub_f32 v27, v28, v20 :: v_dual_mul_f32 v24, v23, v22
	v_add_f32_e32 v17, v17, v27
	s_delay_alu instid0(VALU_DEP_2) | instskip(NEXT) | instid1(VALU_DEP_1)
	v_fma_f32 v23, v22, v23, -v24
	v_fmac_f32_e32 v23, v22, v21
	s_delay_alu instid0(VALU_DEP_1) | instskip(NEXT) | instid1(VALU_DEP_1)
	v_add_f32_e32 v21, v24, v23
	v_sub_f32_e32 v26, v20, v21
	s_delay_alu instid0(VALU_DEP_1) | instskip(NEXT) | instid1(VALU_DEP_1)
	v_sub_f32_e32 v20, v20, v26
	v_sub_f32_e32 v20, v20, v21
	s_delay_alu instid0(VALU_DEP_1) | instskip(SKIP_2) | instid1(VALU_DEP_1)
	v_add_f32_e32 v17, v17, v20
	v_add_f32_e32 v20, v25, v22
	v_sub_f32_e32 v24, v21, v24
	v_sub_f32_e32 v21, v24, v23
	s_delay_alu instid0(VALU_DEP_1) | instskip(NEXT) | instid1(VALU_DEP_4)
	v_add_f32_e32 v17, v21, v17
	v_sub_f32_e32 v21, v20, v25
	s_delay_alu instid0(VALU_DEP_2) | instskip(NEXT) | instid1(VALU_DEP_2)
	v_add_f32_e32 v17, v26, v17
	v_sub_f32_e32 v21, v22, v21
	s_delay_alu instid0(VALU_DEP_2) | instskip(NEXT) | instid1(VALU_DEP_1)
	v_mul_f32_e32 v17, v19, v17
	v_add_f32_e32 v17, v21, v17
	s_delay_alu instid0(VALU_DEP_1) | instskip(NEXT) | instid1(VALU_DEP_1)
	v_add_f32_e32 v19, v20, v17
	v_mul_f32_e32 v21, v19, v19
	s_delay_alu instid0(VALU_DEP_1) | instskip(SKIP_1) | instid1(VALU_DEP_2)
	v_fmaak_f32 v22, s54, v21, 0x3ecc95a3
	v_mul_f32_e32 v23, v19, v21
	v_fmaak_f32 v21, v21, v22, 0x3f2aaada
	v_ldexp_f32 v22, v19, 1
	s_delay_alu instid0(VALU_DEP_2) | instskip(SKIP_1) | instid1(VALU_DEP_2)
	v_mul_f32_e32 v21, v23, v21
	v_sub_f32_e32 v19, v19, v20
	v_dual_mul_f32 v23, 0x3f317218, v16 :: v_dual_add_f32 v20, v22, v21
	s_delay_alu instid0(VALU_DEP_2) | instskip(NEXT) | instid1(VALU_DEP_2)
	v_sub_f32_e32 v17, v17, v19
	v_sub_f32_e32 v19, v20, v22
	s_delay_alu instid0(VALU_DEP_3) | instskip(NEXT) | instid1(VALU_DEP_3)
	v_fma_f32 v22, 0x3f317218, v16, -v23
	v_ldexp_f32 v17, v17, 1
	s_delay_alu instid0(VALU_DEP_2) | instskip(NEXT) | instid1(VALU_DEP_1)
	v_dual_sub_f32 v19, v21, v19 :: v_dual_fmac_f32 v22, 0xb102e308, v16
	v_dual_add_f32 v16, v17, v19 :: v_dual_add_f32 v17, v23, v22
	s_delay_alu instid0(VALU_DEP_1) | instskip(NEXT) | instid1(VALU_DEP_1)
	v_add_f32_e32 v19, v20, v16
	v_dual_add_f32 v21, v17, v19 :: v_dual_sub_f32 v20, v19, v20
	s_delay_alu instid0(VALU_DEP_1) | instskip(NEXT) | instid1(VALU_DEP_2)
	v_sub_f32_e32 v24, v21, v17
	v_dual_sub_f32 v23, v17, v23 :: v_dual_sub_f32 v16, v16, v20
	s_delay_alu instid0(VALU_DEP_1) | instskip(SKIP_1) | instid1(VALU_DEP_2)
	v_dual_sub_f32 v25, v21, v24 :: v_dual_sub_f32 v22, v22, v23
	v_sub_f32_e32 v19, v19, v24
	v_dual_sub_f32 v17, v17, v25 :: v_dual_add_f32 v20, v22, v16
	s_delay_alu instid0(VALU_DEP_1) | instskip(NEXT) | instid1(VALU_DEP_2)
	v_add_f32_e32 v17, v19, v17
	v_sub_f32_e32 v19, v20, v22
	s_delay_alu instid0(VALU_DEP_2) | instskip(NEXT) | instid1(VALU_DEP_2)
	v_add_f32_e32 v17, v20, v17
	v_sub_f32_e32 v20, v20, v19
	s_delay_alu instid0(VALU_DEP_2) | instskip(NEXT) | instid1(VALU_DEP_1)
	v_dual_sub_f32 v16, v16, v19 :: v_dual_add_f32 v23, v21, v17
	v_dual_sub_f32 v20, v22, v20 :: v_dual_sub_f32 v19, v23, v21
	s_delay_alu instid0(VALU_DEP_1) | instskip(NEXT) | instid1(VALU_DEP_1)
	v_dual_add_f32 v16, v16, v20 :: v_dual_sub_f32 v17, v17, v19
	v_add_f32_e32 v16, v16, v17
	s_delay_alu instid0(VALU_DEP_1) | instskip(NEXT) | instid1(VALU_DEP_1)
	v_add_f32_e32 v16, v23, v16
	v_cndmask_b32_e32 v71, v16, v18, vcc_lo
.LBB115_38:                             ;   in Loop: Header=BB115_12 Depth=1
	s_or_b32 exec_lo, exec_lo, s15
	v_lshrrev_b32_e32 v16, 16, v0
	s_delay_alu instid0(VALU_DEP_1) | instskip(NEXT) | instid1(VALU_DEP_1)
	v_cvt_f32_f16_e32 v16, v16
	v_add_f32_e32 v72, s56, v16
	s_delay_alu instid0(VALU_DEP_1) | instskip(SKIP_1) | instid1(SALU_CYCLE_1)
	v_cmp_ge_f32_e32 vcc_lo, 0x41a00000, v72
	s_and_b32 s14, s66, vcc_lo
	s_and_saveexec_b32 s15, s14
	s_cbranch_execz .LBB115_40
; %bb.39:                               ;   in Loop: Header=BB115_12 Depth=1
	v_mul_f32_e32 v16, 0x3fb8aa3b, v72
	v_cmp_ngt_f32_e32 vcc_lo, 0xc2ce8ed0, v72
	s_delay_alu instid0(VALU_DEP_2) | instskip(SKIP_1) | instid1(VALU_DEP_2)
	v_rndne_f32_e32 v17, v16
	v_fma_f32 v18, 0x3fb8aa3b, v72, -v16
	v_sub_f32_e32 v16, v16, v17
	s_delay_alu instid0(VALU_DEP_2) | instskip(SKIP_1) | instid1(VALU_DEP_2)
	v_fmac_f32_e32 v18, 0x32a5705f, v72
	v_cvt_i32_f32_e32 v17, v17
	v_add_f32_e32 v16, v16, v18
	s_delay_alu instid0(VALU_DEP_1) | instskip(SKIP_2) | instid1(VALU_DEP_1)
	v_exp_f32_e32 v16, v16
	s_waitcnt_depctr 0xfff
	v_ldexp_f32 v16, v16, v17
	v_cndmask_b32_e32 v16, 0, v16, vcc_lo
	v_cmp_nlt_f32_e32 vcc_lo, 0x42b17218, v72
	s_delay_alu instid0(VALU_DEP_2) | instskip(NEXT) | instid1(VALU_DEP_1)
	v_cndmask_b32_e32 v18, 0x7f800000, v16, vcc_lo
	v_add_f32_e32 v19, 1.0, v18
	s_delay_alu instid0(VALU_DEP_1) | instskip(NEXT) | instid1(VALU_DEP_1)
	v_cvt_f64_f32_e32 v[16:17], v19
	v_frexp_exp_i32_f64_e32 v16, v[16:17]
	v_frexp_mant_f32_e32 v17, v19
	s_delay_alu instid0(VALU_DEP_1) | instskip(SKIP_1) | instid1(VALU_DEP_1)
	v_cmp_gt_f32_e32 vcc_lo, 0x3f2aaaab, v17
	v_add_f32_e32 v17, -1.0, v19
	v_sub_f32_e32 v21, v17, v19
	v_sub_f32_e32 v17, v18, v17
	s_delay_alu instid0(VALU_DEP_2) | instskip(NEXT) | instid1(VALU_DEP_1)
	v_add_f32_e32 v21, 1.0, v21
	v_add_f32_e32 v17, v17, v21
	v_cmp_gt_f32_e64 s14, 0x33800000, v18
	v_subrev_co_ci_u32_e32 v16, vcc_lo, 0, v16, vcc_lo
	v_cmp_eq_f32_e32 vcc_lo, 0x7f800000, v18
	s_delay_alu instid0(VALU_DEP_2) | instskip(SKIP_2) | instid1(VALU_DEP_2)
	v_sub_nc_u32_e32 v20, 0, v16
	v_cvt_f32_i32_e32 v16, v16
	s_or_b32 vcc_lo, s14, vcc_lo
	v_ldexp_f32 v19, v19, v20
	v_ldexp_f32 v17, v17, v20
	s_delay_alu instid0(VALU_DEP_2) | instskip(NEXT) | instid1(VALU_DEP_1)
	v_add_f32_e32 v22, 1.0, v19
	v_dual_add_f32 v20, -1.0, v19 :: v_dual_add_f32 v21, -1.0, v22
	s_delay_alu instid0(VALU_DEP_1) | instskip(NEXT) | instid1(VALU_DEP_2)
	v_add_f32_e32 v23, 1.0, v20
	v_sub_f32_e32 v21, v19, v21
	s_delay_alu instid0(VALU_DEP_2) | instskip(NEXT) | instid1(VALU_DEP_2)
	v_sub_f32_e32 v19, v19, v23
	v_add_f32_e32 v21, v17, v21
	s_delay_alu instid0(VALU_DEP_2) | instskip(NEXT) | instid1(VALU_DEP_1)
	v_add_f32_e32 v17, v17, v19
	v_add_f32_e32 v24, v20, v17
	s_delay_alu instid0(VALU_DEP_1) | instskip(NEXT) | instid1(VALU_DEP_1)
	v_dual_add_f32 v23, v22, v21 :: v_dual_sub_f32 v20, v20, v24
	v_rcp_f32_e32 v19, v23
	v_sub_f32_e32 v22, v22, v23
	s_delay_alu instid0(VALU_DEP_1) | instskip(SKIP_2) | instid1(VALU_DEP_1)
	v_add_f32_e32 v21, v21, v22
	s_waitcnt_depctr 0xfff
	v_mul_f32_e32 v25, v24, v19
	v_mul_f32_e32 v26, v23, v25
	s_delay_alu instid0(VALU_DEP_1) | instskip(NEXT) | instid1(VALU_DEP_1)
	v_fma_f32 v22, v25, v23, -v26
	v_fmac_f32_e32 v22, v25, v21
	s_delay_alu instid0(VALU_DEP_1) | instskip(NEXT) | instid1(VALU_DEP_1)
	v_add_f32_e32 v27, v26, v22
	v_sub_f32_e32 v28, v24, v27
	s_delay_alu instid0(VALU_DEP_1) | instskip(SKIP_1) | instid1(VALU_DEP_2)
	v_sub_f32_e32 v24, v24, v28
	v_dual_add_f32 v17, v17, v20 :: v_dual_sub_f32 v20, v27, v26
	v_sub_f32_e32 v24, v24, v27
	s_delay_alu instid0(VALU_DEP_1) | instskip(NEXT) | instid1(VALU_DEP_1)
	v_dual_sub_f32 v20, v20, v22 :: v_dual_add_f32 v17, v17, v24
	v_add_f32_e32 v17, v20, v17
	s_delay_alu instid0(VALU_DEP_1) | instskip(NEXT) | instid1(VALU_DEP_1)
	v_add_f32_e32 v20, v28, v17
	v_mul_f32_e32 v22, v19, v20
	s_delay_alu instid0(VALU_DEP_1) | instskip(NEXT) | instid1(VALU_DEP_1)
	v_dual_sub_f32 v27, v28, v20 :: v_dual_mul_f32 v24, v23, v22
	v_add_f32_e32 v17, v17, v27
	s_delay_alu instid0(VALU_DEP_2) | instskip(NEXT) | instid1(VALU_DEP_1)
	v_fma_f32 v23, v22, v23, -v24
	v_fmac_f32_e32 v23, v22, v21
	s_delay_alu instid0(VALU_DEP_1) | instskip(NEXT) | instid1(VALU_DEP_1)
	v_add_f32_e32 v21, v24, v23
	v_sub_f32_e32 v26, v20, v21
	s_delay_alu instid0(VALU_DEP_1) | instskip(NEXT) | instid1(VALU_DEP_1)
	v_sub_f32_e32 v20, v20, v26
	v_sub_f32_e32 v20, v20, v21
	s_delay_alu instid0(VALU_DEP_1) | instskip(SKIP_2) | instid1(VALU_DEP_1)
	v_add_f32_e32 v17, v17, v20
	v_add_f32_e32 v20, v25, v22
	v_sub_f32_e32 v24, v21, v24
	v_sub_f32_e32 v21, v24, v23
	s_delay_alu instid0(VALU_DEP_1) | instskip(NEXT) | instid1(VALU_DEP_4)
	v_add_f32_e32 v17, v21, v17
	v_sub_f32_e32 v21, v20, v25
	s_delay_alu instid0(VALU_DEP_2) | instskip(NEXT) | instid1(VALU_DEP_2)
	v_add_f32_e32 v17, v26, v17
	v_sub_f32_e32 v21, v22, v21
	s_delay_alu instid0(VALU_DEP_2) | instskip(NEXT) | instid1(VALU_DEP_1)
	v_mul_f32_e32 v17, v19, v17
	v_add_f32_e32 v17, v21, v17
	s_delay_alu instid0(VALU_DEP_1) | instskip(NEXT) | instid1(VALU_DEP_1)
	v_add_f32_e32 v19, v20, v17
	v_mul_f32_e32 v21, v19, v19
	s_delay_alu instid0(VALU_DEP_1) | instskip(SKIP_1) | instid1(VALU_DEP_2)
	v_fmaak_f32 v22, s54, v21, 0x3ecc95a3
	v_mul_f32_e32 v23, v19, v21
	v_fmaak_f32 v21, v21, v22, 0x3f2aaada
	v_ldexp_f32 v22, v19, 1
	s_delay_alu instid0(VALU_DEP_2) | instskip(SKIP_1) | instid1(VALU_DEP_2)
	v_mul_f32_e32 v21, v23, v21
	v_sub_f32_e32 v19, v19, v20
	v_dual_mul_f32 v23, 0x3f317218, v16 :: v_dual_add_f32 v20, v22, v21
	s_delay_alu instid0(VALU_DEP_2) | instskip(NEXT) | instid1(VALU_DEP_2)
	v_sub_f32_e32 v17, v17, v19
	v_sub_f32_e32 v19, v20, v22
	s_delay_alu instid0(VALU_DEP_3) | instskip(NEXT) | instid1(VALU_DEP_3)
	v_fma_f32 v22, 0x3f317218, v16, -v23
	v_ldexp_f32 v17, v17, 1
	s_delay_alu instid0(VALU_DEP_2) | instskip(NEXT) | instid1(VALU_DEP_1)
	v_dual_sub_f32 v19, v21, v19 :: v_dual_fmac_f32 v22, 0xb102e308, v16
	v_dual_add_f32 v16, v17, v19 :: v_dual_add_f32 v17, v23, v22
	s_delay_alu instid0(VALU_DEP_1) | instskip(NEXT) | instid1(VALU_DEP_1)
	v_add_f32_e32 v19, v20, v16
	v_dual_add_f32 v21, v17, v19 :: v_dual_sub_f32 v20, v19, v20
	s_delay_alu instid0(VALU_DEP_1) | instskip(NEXT) | instid1(VALU_DEP_2)
	v_sub_f32_e32 v24, v21, v17
	v_dual_sub_f32 v23, v17, v23 :: v_dual_sub_f32 v16, v16, v20
	s_delay_alu instid0(VALU_DEP_1) | instskip(SKIP_1) | instid1(VALU_DEP_2)
	v_dual_sub_f32 v25, v21, v24 :: v_dual_sub_f32 v22, v22, v23
	v_sub_f32_e32 v19, v19, v24
	v_dual_sub_f32 v17, v17, v25 :: v_dual_add_f32 v20, v22, v16
	s_delay_alu instid0(VALU_DEP_1) | instskip(NEXT) | instid1(VALU_DEP_2)
	v_add_f32_e32 v17, v19, v17
	v_sub_f32_e32 v19, v20, v22
	s_delay_alu instid0(VALU_DEP_2) | instskip(NEXT) | instid1(VALU_DEP_2)
	v_add_f32_e32 v17, v20, v17
	v_sub_f32_e32 v20, v20, v19
	s_delay_alu instid0(VALU_DEP_2) | instskip(NEXT) | instid1(VALU_DEP_1)
	v_dual_sub_f32 v16, v16, v19 :: v_dual_add_f32 v23, v21, v17
	v_dual_sub_f32 v20, v22, v20 :: v_dual_sub_f32 v19, v23, v21
	s_delay_alu instid0(VALU_DEP_1) | instskip(NEXT) | instid1(VALU_DEP_1)
	v_dual_add_f32 v16, v16, v20 :: v_dual_sub_f32 v17, v17, v19
	v_add_f32_e32 v16, v16, v17
	s_delay_alu instid0(VALU_DEP_1) | instskip(NEXT) | instid1(VALU_DEP_1)
	v_add_f32_e32 v16, v23, v16
	v_cndmask_b32_e32 v72, v16, v18, vcc_lo
.LBB115_40:                             ;   in Loop: Header=BB115_12 Depth=1
	s_or_b32 exec_lo, exec_lo, s15
	v_cvt_f32_f16_e32 v16, v1
	s_delay_alu instid0(VALU_DEP_1) | instskip(NEXT) | instid1(VALU_DEP_1)
	v_add_f32_e32 v73, s56, v16
	v_cmp_ge_f32_e32 vcc_lo, 0x41a00000, v73
	s_and_b32 s14, s66, vcc_lo
	s_delay_alu instid0(SALU_CYCLE_1)
	s_and_saveexec_b32 s15, s14
	s_cbranch_execz .LBB115_42
; %bb.41:                               ;   in Loop: Header=BB115_12 Depth=1
	v_mul_f32_e32 v16, 0x3fb8aa3b, v73
	v_cmp_ngt_f32_e32 vcc_lo, 0xc2ce8ed0, v73
	s_delay_alu instid0(VALU_DEP_2) | instskip(SKIP_1) | instid1(VALU_DEP_2)
	v_rndne_f32_e32 v17, v16
	v_fma_f32 v18, 0x3fb8aa3b, v73, -v16
	v_sub_f32_e32 v16, v16, v17
	s_delay_alu instid0(VALU_DEP_2) | instskip(SKIP_1) | instid1(VALU_DEP_2)
	v_fmac_f32_e32 v18, 0x32a5705f, v73
	v_cvt_i32_f32_e32 v17, v17
	v_add_f32_e32 v16, v16, v18
	s_delay_alu instid0(VALU_DEP_1) | instskip(SKIP_2) | instid1(VALU_DEP_1)
	v_exp_f32_e32 v16, v16
	s_waitcnt_depctr 0xfff
	v_ldexp_f32 v16, v16, v17
	v_cndmask_b32_e32 v16, 0, v16, vcc_lo
	v_cmp_nlt_f32_e32 vcc_lo, 0x42b17218, v73
	s_delay_alu instid0(VALU_DEP_2) | instskip(NEXT) | instid1(VALU_DEP_1)
	v_cndmask_b32_e32 v18, 0x7f800000, v16, vcc_lo
	v_add_f32_e32 v19, 1.0, v18
	s_delay_alu instid0(VALU_DEP_1) | instskip(NEXT) | instid1(VALU_DEP_1)
	v_cvt_f64_f32_e32 v[16:17], v19
	v_frexp_exp_i32_f64_e32 v16, v[16:17]
	v_frexp_mant_f32_e32 v17, v19
	s_delay_alu instid0(VALU_DEP_1) | instskip(SKIP_1) | instid1(VALU_DEP_1)
	v_cmp_gt_f32_e32 vcc_lo, 0x3f2aaaab, v17
	v_add_f32_e32 v17, -1.0, v19
	v_sub_f32_e32 v21, v17, v19
	v_sub_f32_e32 v17, v18, v17
	s_delay_alu instid0(VALU_DEP_2) | instskip(NEXT) | instid1(VALU_DEP_1)
	v_add_f32_e32 v21, 1.0, v21
	v_add_f32_e32 v17, v17, v21
	v_cmp_gt_f32_e64 s14, 0x33800000, v18
	v_subrev_co_ci_u32_e32 v16, vcc_lo, 0, v16, vcc_lo
	v_cmp_eq_f32_e32 vcc_lo, 0x7f800000, v18
	s_delay_alu instid0(VALU_DEP_2) | instskip(SKIP_2) | instid1(VALU_DEP_2)
	v_sub_nc_u32_e32 v20, 0, v16
	v_cvt_f32_i32_e32 v16, v16
	s_or_b32 vcc_lo, s14, vcc_lo
	v_ldexp_f32 v19, v19, v20
	v_ldexp_f32 v17, v17, v20
	s_delay_alu instid0(VALU_DEP_2) | instskip(NEXT) | instid1(VALU_DEP_1)
	v_add_f32_e32 v22, 1.0, v19
	v_dual_add_f32 v20, -1.0, v19 :: v_dual_add_f32 v21, -1.0, v22
	s_delay_alu instid0(VALU_DEP_1) | instskip(NEXT) | instid1(VALU_DEP_2)
	v_add_f32_e32 v23, 1.0, v20
	v_sub_f32_e32 v21, v19, v21
	s_delay_alu instid0(VALU_DEP_2) | instskip(NEXT) | instid1(VALU_DEP_2)
	v_sub_f32_e32 v19, v19, v23
	v_add_f32_e32 v21, v17, v21
	s_delay_alu instid0(VALU_DEP_2) | instskip(NEXT) | instid1(VALU_DEP_1)
	v_add_f32_e32 v17, v17, v19
	v_add_f32_e32 v24, v20, v17
	s_delay_alu instid0(VALU_DEP_1) | instskip(NEXT) | instid1(VALU_DEP_1)
	v_dual_add_f32 v23, v22, v21 :: v_dual_sub_f32 v20, v20, v24
	v_rcp_f32_e32 v19, v23
	v_sub_f32_e32 v22, v22, v23
	s_delay_alu instid0(VALU_DEP_1) | instskip(SKIP_2) | instid1(VALU_DEP_1)
	v_add_f32_e32 v21, v21, v22
	s_waitcnt_depctr 0xfff
	v_mul_f32_e32 v25, v24, v19
	v_mul_f32_e32 v26, v23, v25
	s_delay_alu instid0(VALU_DEP_1) | instskip(NEXT) | instid1(VALU_DEP_1)
	v_fma_f32 v22, v25, v23, -v26
	v_fmac_f32_e32 v22, v25, v21
	s_delay_alu instid0(VALU_DEP_1) | instskip(NEXT) | instid1(VALU_DEP_1)
	v_add_f32_e32 v27, v26, v22
	v_sub_f32_e32 v28, v24, v27
	s_delay_alu instid0(VALU_DEP_1) | instskip(SKIP_1) | instid1(VALU_DEP_2)
	v_sub_f32_e32 v24, v24, v28
	v_dual_add_f32 v17, v17, v20 :: v_dual_sub_f32 v20, v27, v26
	v_sub_f32_e32 v24, v24, v27
	s_delay_alu instid0(VALU_DEP_1) | instskip(NEXT) | instid1(VALU_DEP_1)
	v_dual_sub_f32 v20, v20, v22 :: v_dual_add_f32 v17, v17, v24
	v_add_f32_e32 v17, v20, v17
	s_delay_alu instid0(VALU_DEP_1) | instskip(NEXT) | instid1(VALU_DEP_1)
	v_add_f32_e32 v20, v28, v17
	v_mul_f32_e32 v22, v19, v20
	s_delay_alu instid0(VALU_DEP_1) | instskip(NEXT) | instid1(VALU_DEP_1)
	v_dual_sub_f32 v27, v28, v20 :: v_dual_mul_f32 v24, v23, v22
	v_add_f32_e32 v17, v17, v27
	s_delay_alu instid0(VALU_DEP_2) | instskip(NEXT) | instid1(VALU_DEP_1)
	v_fma_f32 v23, v22, v23, -v24
	v_fmac_f32_e32 v23, v22, v21
	s_delay_alu instid0(VALU_DEP_1) | instskip(NEXT) | instid1(VALU_DEP_1)
	v_add_f32_e32 v21, v24, v23
	v_sub_f32_e32 v26, v20, v21
	s_delay_alu instid0(VALU_DEP_1) | instskip(NEXT) | instid1(VALU_DEP_1)
	v_sub_f32_e32 v20, v20, v26
	v_sub_f32_e32 v20, v20, v21
	s_delay_alu instid0(VALU_DEP_1) | instskip(SKIP_2) | instid1(VALU_DEP_1)
	v_add_f32_e32 v17, v17, v20
	v_add_f32_e32 v20, v25, v22
	v_sub_f32_e32 v24, v21, v24
	v_sub_f32_e32 v21, v24, v23
	s_delay_alu instid0(VALU_DEP_1) | instskip(NEXT) | instid1(VALU_DEP_4)
	v_add_f32_e32 v17, v21, v17
	v_sub_f32_e32 v21, v20, v25
	s_delay_alu instid0(VALU_DEP_2) | instskip(NEXT) | instid1(VALU_DEP_2)
	v_add_f32_e32 v17, v26, v17
	v_sub_f32_e32 v21, v22, v21
	s_delay_alu instid0(VALU_DEP_2) | instskip(NEXT) | instid1(VALU_DEP_1)
	v_mul_f32_e32 v17, v19, v17
	v_add_f32_e32 v17, v21, v17
	s_delay_alu instid0(VALU_DEP_1) | instskip(NEXT) | instid1(VALU_DEP_1)
	v_add_f32_e32 v19, v20, v17
	v_mul_f32_e32 v21, v19, v19
	s_delay_alu instid0(VALU_DEP_1) | instskip(SKIP_1) | instid1(VALU_DEP_2)
	v_fmaak_f32 v22, s54, v21, 0x3ecc95a3
	v_mul_f32_e32 v23, v19, v21
	v_fmaak_f32 v21, v21, v22, 0x3f2aaada
	v_ldexp_f32 v22, v19, 1
	s_delay_alu instid0(VALU_DEP_2) | instskip(SKIP_1) | instid1(VALU_DEP_2)
	v_mul_f32_e32 v21, v23, v21
	v_sub_f32_e32 v19, v19, v20
	v_dual_mul_f32 v23, 0x3f317218, v16 :: v_dual_add_f32 v20, v22, v21
	s_delay_alu instid0(VALU_DEP_2) | instskip(NEXT) | instid1(VALU_DEP_2)
	v_sub_f32_e32 v17, v17, v19
	v_sub_f32_e32 v19, v20, v22
	s_delay_alu instid0(VALU_DEP_3) | instskip(NEXT) | instid1(VALU_DEP_3)
	v_fma_f32 v22, 0x3f317218, v16, -v23
	v_ldexp_f32 v17, v17, 1
	s_delay_alu instid0(VALU_DEP_2) | instskip(NEXT) | instid1(VALU_DEP_1)
	v_dual_sub_f32 v19, v21, v19 :: v_dual_fmac_f32 v22, 0xb102e308, v16
	v_dual_add_f32 v16, v17, v19 :: v_dual_add_f32 v17, v23, v22
	s_delay_alu instid0(VALU_DEP_1) | instskip(NEXT) | instid1(VALU_DEP_1)
	v_add_f32_e32 v19, v20, v16
	v_dual_add_f32 v21, v17, v19 :: v_dual_sub_f32 v20, v19, v20
	s_delay_alu instid0(VALU_DEP_1) | instskip(NEXT) | instid1(VALU_DEP_2)
	v_sub_f32_e32 v24, v21, v17
	v_dual_sub_f32 v23, v17, v23 :: v_dual_sub_f32 v16, v16, v20
	s_delay_alu instid0(VALU_DEP_1) | instskip(SKIP_1) | instid1(VALU_DEP_2)
	v_dual_sub_f32 v25, v21, v24 :: v_dual_sub_f32 v22, v22, v23
	v_sub_f32_e32 v19, v19, v24
	v_dual_sub_f32 v17, v17, v25 :: v_dual_add_f32 v20, v22, v16
	s_delay_alu instid0(VALU_DEP_1) | instskip(NEXT) | instid1(VALU_DEP_2)
	v_add_f32_e32 v17, v19, v17
	v_sub_f32_e32 v19, v20, v22
	s_delay_alu instid0(VALU_DEP_2) | instskip(NEXT) | instid1(VALU_DEP_2)
	v_add_f32_e32 v17, v20, v17
	v_sub_f32_e32 v20, v20, v19
	s_delay_alu instid0(VALU_DEP_2) | instskip(NEXT) | instid1(VALU_DEP_1)
	v_dual_sub_f32 v16, v16, v19 :: v_dual_add_f32 v23, v21, v17
	v_dual_sub_f32 v20, v22, v20 :: v_dual_sub_f32 v19, v23, v21
	s_delay_alu instid0(VALU_DEP_1) | instskip(NEXT) | instid1(VALU_DEP_1)
	v_dual_add_f32 v16, v16, v20 :: v_dual_sub_f32 v17, v17, v19
	v_add_f32_e32 v16, v16, v17
	s_delay_alu instid0(VALU_DEP_1) | instskip(NEXT) | instid1(VALU_DEP_1)
	v_add_f32_e32 v16, v23, v16
	v_cndmask_b32_e32 v73, v16, v18, vcc_lo
.LBB115_42:                             ;   in Loop: Header=BB115_12 Depth=1
	s_or_b32 exec_lo, exec_lo, s15
	v_lshrrev_b32_e32 v16, 16, v1
	s_delay_alu instid0(VALU_DEP_1) | instskip(NEXT) | instid1(VALU_DEP_1)
	v_cvt_f32_f16_e32 v16, v16
	v_add_f32_e32 v74, s56, v16
	s_delay_alu instid0(VALU_DEP_1) | instskip(SKIP_1) | instid1(SALU_CYCLE_1)
	v_cmp_ge_f32_e32 vcc_lo, 0x41a00000, v74
	s_and_b32 s14, s66, vcc_lo
	s_and_saveexec_b32 s15, s14
	s_cbranch_execz .LBB115_44
; %bb.43:                               ;   in Loop: Header=BB115_12 Depth=1
	v_mul_f32_e32 v16, 0x3fb8aa3b, v74
	v_cmp_ngt_f32_e32 vcc_lo, 0xc2ce8ed0, v74
	s_delay_alu instid0(VALU_DEP_2) | instskip(SKIP_1) | instid1(VALU_DEP_2)
	v_rndne_f32_e32 v17, v16
	v_fma_f32 v18, 0x3fb8aa3b, v74, -v16
	v_sub_f32_e32 v16, v16, v17
	s_delay_alu instid0(VALU_DEP_2) | instskip(SKIP_1) | instid1(VALU_DEP_2)
	v_fmac_f32_e32 v18, 0x32a5705f, v74
	v_cvt_i32_f32_e32 v17, v17
	v_add_f32_e32 v16, v16, v18
	s_delay_alu instid0(VALU_DEP_1) | instskip(SKIP_2) | instid1(VALU_DEP_1)
	v_exp_f32_e32 v16, v16
	s_waitcnt_depctr 0xfff
	v_ldexp_f32 v16, v16, v17
	v_cndmask_b32_e32 v16, 0, v16, vcc_lo
	v_cmp_nlt_f32_e32 vcc_lo, 0x42b17218, v74
	s_delay_alu instid0(VALU_DEP_2) | instskip(NEXT) | instid1(VALU_DEP_1)
	v_cndmask_b32_e32 v18, 0x7f800000, v16, vcc_lo
	v_add_f32_e32 v19, 1.0, v18
	s_delay_alu instid0(VALU_DEP_1) | instskip(NEXT) | instid1(VALU_DEP_1)
	v_cvt_f64_f32_e32 v[16:17], v19
	v_frexp_exp_i32_f64_e32 v16, v[16:17]
	v_frexp_mant_f32_e32 v17, v19
	s_delay_alu instid0(VALU_DEP_1) | instskip(SKIP_1) | instid1(VALU_DEP_1)
	v_cmp_gt_f32_e32 vcc_lo, 0x3f2aaaab, v17
	v_add_f32_e32 v17, -1.0, v19
	v_sub_f32_e32 v21, v17, v19
	v_sub_f32_e32 v17, v18, v17
	s_delay_alu instid0(VALU_DEP_2) | instskip(NEXT) | instid1(VALU_DEP_1)
	v_add_f32_e32 v21, 1.0, v21
	v_add_f32_e32 v17, v17, v21
	v_cmp_gt_f32_e64 s14, 0x33800000, v18
	v_subrev_co_ci_u32_e32 v16, vcc_lo, 0, v16, vcc_lo
	v_cmp_eq_f32_e32 vcc_lo, 0x7f800000, v18
	s_delay_alu instid0(VALU_DEP_2) | instskip(SKIP_2) | instid1(VALU_DEP_2)
	v_sub_nc_u32_e32 v20, 0, v16
	v_cvt_f32_i32_e32 v16, v16
	s_or_b32 vcc_lo, s14, vcc_lo
	v_ldexp_f32 v19, v19, v20
	v_ldexp_f32 v17, v17, v20
	s_delay_alu instid0(VALU_DEP_2) | instskip(NEXT) | instid1(VALU_DEP_1)
	v_add_f32_e32 v22, 1.0, v19
	v_dual_add_f32 v20, -1.0, v19 :: v_dual_add_f32 v21, -1.0, v22
	s_delay_alu instid0(VALU_DEP_1) | instskip(NEXT) | instid1(VALU_DEP_2)
	v_add_f32_e32 v23, 1.0, v20
	v_sub_f32_e32 v21, v19, v21
	s_delay_alu instid0(VALU_DEP_2) | instskip(NEXT) | instid1(VALU_DEP_2)
	v_sub_f32_e32 v19, v19, v23
	v_add_f32_e32 v21, v17, v21
	s_delay_alu instid0(VALU_DEP_2) | instskip(NEXT) | instid1(VALU_DEP_1)
	v_add_f32_e32 v17, v17, v19
	v_add_f32_e32 v24, v20, v17
	s_delay_alu instid0(VALU_DEP_1) | instskip(NEXT) | instid1(VALU_DEP_1)
	v_dual_add_f32 v23, v22, v21 :: v_dual_sub_f32 v20, v20, v24
	v_rcp_f32_e32 v19, v23
	v_sub_f32_e32 v22, v22, v23
	s_delay_alu instid0(VALU_DEP_1) | instskip(SKIP_2) | instid1(VALU_DEP_1)
	v_add_f32_e32 v21, v21, v22
	s_waitcnt_depctr 0xfff
	v_mul_f32_e32 v25, v24, v19
	v_mul_f32_e32 v26, v23, v25
	s_delay_alu instid0(VALU_DEP_1) | instskip(NEXT) | instid1(VALU_DEP_1)
	v_fma_f32 v22, v25, v23, -v26
	v_fmac_f32_e32 v22, v25, v21
	s_delay_alu instid0(VALU_DEP_1) | instskip(NEXT) | instid1(VALU_DEP_1)
	v_add_f32_e32 v27, v26, v22
	v_sub_f32_e32 v28, v24, v27
	s_delay_alu instid0(VALU_DEP_1) | instskip(SKIP_1) | instid1(VALU_DEP_2)
	v_sub_f32_e32 v24, v24, v28
	v_dual_add_f32 v17, v17, v20 :: v_dual_sub_f32 v20, v27, v26
	v_sub_f32_e32 v24, v24, v27
	s_delay_alu instid0(VALU_DEP_1) | instskip(NEXT) | instid1(VALU_DEP_1)
	v_dual_sub_f32 v20, v20, v22 :: v_dual_add_f32 v17, v17, v24
	v_add_f32_e32 v17, v20, v17
	s_delay_alu instid0(VALU_DEP_1) | instskip(NEXT) | instid1(VALU_DEP_1)
	v_add_f32_e32 v20, v28, v17
	v_mul_f32_e32 v22, v19, v20
	s_delay_alu instid0(VALU_DEP_1) | instskip(NEXT) | instid1(VALU_DEP_1)
	v_dual_sub_f32 v27, v28, v20 :: v_dual_mul_f32 v24, v23, v22
	v_add_f32_e32 v17, v17, v27
	s_delay_alu instid0(VALU_DEP_2) | instskip(NEXT) | instid1(VALU_DEP_1)
	v_fma_f32 v23, v22, v23, -v24
	v_fmac_f32_e32 v23, v22, v21
	s_delay_alu instid0(VALU_DEP_1) | instskip(NEXT) | instid1(VALU_DEP_1)
	v_add_f32_e32 v21, v24, v23
	v_sub_f32_e32 v26, v20, v21
	s_delay_alu instid0(VALU_DEP_1) | instskip(NEXT) | instid1(VALU_DEP_1)
	v_sub_f32_e32 v20, v20, v26
	v_sub_f32_e32 v20, v20, v21
	s_delay_alu instid0(VALU_DEP_1) | instskip(SKIP_2) | instid1(VALU_DEP_1)
	v_add_f32_e32 v17, v17, v20
	v_add_f32_e32 v20, v25, v22
	v_sub_f32_e32 v24, v21, v24
	v_sub_f32_e32 v21, v24, v23
	s_delay_alu instid0(VALU_DEP_1) | instskip(NEXT) | instid1(VALU_DEP_4)
	v_add_f32_e32 v17, v21, v17
	v_sub_f32_e32 v21, v20, v25
	s_delay_alu instid0(VALU_DEP_2) | instskip(NEXT) | instid1(VALU_DEP_2)
	v_add_f32_e32 v17, v26, v17
	v_sub_f32_e32 v21, v22, v21
	s_delay_alu instid0(VALU_DEP_2) | instskip(NEXT) | instid1(VALU_DEP_1)
	v_mul_f32_e32 v17, v19, v17
	v_add_f32_e32 v17, v21, v17
	s_delay_alu instid0(VALU_DEP_1) | instskip(NEXT) | instid1(VALU_DEP_1)
	v_add_f32_e32 v19, v20, v17
	v_mul_f32_e32 v21, v19, v19
	s_delay_alu instid0(VALU_DEP_1) | instskip(SKIP_1) | instid1(VALU_DEP_2)
	v_fmaak_f32 v22, s54, v21, 0x3ecc95a3
	v_mul_f32_e32 v23, v19, v21
	v_fmaak_f32 v21, v21, v22, 0x3f2aaada
	v_ldexp_f32 v22, v19, 1
	s_delay_alu instid0(VALU_DEP_2) | instskip(SKIP_1) | instid1(VALU_DEP_2)
	v_mul_f32_e32 v21, v23, v21
	v_sub_f32_e32 v19, v19, v20
	v_dual_mul_f32 v23, 0x3f317218, v16 :: v_dual_add_f32 v20, v22, v21
	s_delay_alu instid0(VALU_DEP_2) | instskip(NEXT) | instid1(VALU_DEP_2)
	v_sub_f32_e32 v17, v17, v19
	v_sub_f32_e32 v19, v20, v22
	s_delay_alu instid0(VALU_DEP_3) | instskip(NEXT) | instid1(VALU_DEP_3)
	v_fma_f32 v22, 0x3f317218, v16, -v23
	v_ldexp_f32 v17, v17, 1
	s_delay_alu instid0(VALU_DEP_2) | instskip(NEXT) | instid1(VALU_DEP_1)
	v_dual_sub_f32 v19, v21, v19 :: v_dual_fmac_f32 v22, 0xb102e308, v16
	v_dual_add_f32 v16, v17, v19 :: v_dual_add_f32 v17, v23, v22
	s_delay_alu instid0(VALU_DEP_1) | instskip(NEXT) | instid1(VALU_DEP_1)
	v_add_f32_e32 v19, v20, v16
	v_dual_add_f32 v21, v17, v19 :: v_dual_sub_f32 v20, v19, v20
	s_delay_alu instid0(VALU_DEP_1) | instskip(NEXT) | instid1(VALU_DEP_2)
	v_sub_f32_e32 v24, v21, v17
	v_dual_sub_f32 v23, v17, v23 :: v_dual_sub_f32 v16, v16, v20
	s_delay_alu instid0(VALU_DEP_1) | instskip(SKIP_1) | instid1(VALU_DEP_2)
	v_dual_sub_f32 v25, v21, v24 :: v_dual_sub_f32 v22, v22, v23
	v_sub_f32_e32 v19, v19, v24
	v_dual_sub_f32 v17, v17, v25 :: v_dual_add_f32 v20, v22, v16
	s_delay_alu instid0(VALU_DEP_1) | instskip(NEXT) | instid1(VALU_DEP_2)
	v_add_f32_e32 v17, v19, v17
	v_sub_f32_e32 v19, v20, v22
	s_delay_alu instid0(VALU_DEP_2) | instskip(NEXT) | instid1(VALU_DEP_2)
	v_add_f32_e32 v17, v20, v17
	v_sub_f32_e32 v20, v20, v19
	s_delay_alu instid0(VALU_DEP_2) | instskip(NEXT) | instid1(VALU_DEP_1)
	v_dual_sub_f32 v16, v16, v19 :: v_dual_add_f32 v23, v21, v17
	v_dual_sub_f32 v20, v22, v20 :: v_dual_sub_f32 v19, v23, v21
	s_delay_alu instid0(VALU_DEP_1) | instskip(NEXT) | instid1(VALU_DEP_1)
	v_dual_add_f32 v16, v16, v20 :: v_dual_sub_f32 v17, v17, v19
	v_add_f32_e32 v16, v16, v17
	s_delay_alu instid0(VALU_DEP_1) | instskip(NEXT) | instid1(VALU_DEP_1)
	v_add_f32_e32 v16, v23, v16
	v_cndmask_b32_e32 v74, v16, v18, vcc_lo
.LBB115_44:                             ;   in Loop: Header=BB115_12 Depth=1
	s_or_b32 exec_lo, exec_lo, s15
	v_cvt_f32_f16_e32 v16, v2
	s_delay_alu instid0(VALU_DEP_1) | instskip(NEXT) | instid1(VALU_DEP_1)
	v_add_f32_e32 v75, s56, v16
	v_cmp_ge_f32_e32 vcc_lo, 0x41a00000, v75
	s_and_b32 s14, s66, vcc_lo
	s_delay_alu instid0(SALU_CYCLE_1)
	s_and_saveexec_b32 s15, s14
	s_cbranch_execz .LBB115_46
; %bb.45:                               ;   in Loop: Header=BB115_12 Depth=1
	v_mul_f32_e32 v16, 0x3fb8aa3b, v75
	v_cmp_ngt_f32_e32 vcc_lo, 0xc2ce8ed0, v75
	s_delay_alu instid0(VALU_DEP_2) | instskip(SKIP_1) | instid1(VALU_DEP_2)
	v_rndne_f32_e32 v17, v16
	v_fma_f32 v18, 0x3fb8aa3b, v75, -v16
	v_sub_f32_e32 v16, v16, v17
	s_delay_alu instid0(VALU_DEP_2) | instskip(SKIP_1) | instid1(VALU_DEP_2)
	v_fmac_f32_e32 v18, 0x32a5705f, v75
	v_cvt_i32_f32_e32 v17, v17
	v_add_f32_e32 v16, v16, v18
	s_delay_alu instid0(VALU_DEP_1) | instskip(SKIP_2) | instid1(VALU_DEP_1)
	v_exp_f32_e32 v16, v16
	s_waitcnt_depctr 0xfff
	v_ldexp_f32 v16, v16, v17
	v_cndmask_b32_e32 v16, 0, v16, vcc_lo
	v_cmp_nlt_f32_e32 vcc_lo, 0x42b17218, v75
	s_delay_alu instid0(VALU_DEP_2) | instskip(NEXT) | instid1(VALU_DEP_1)
	v_cndmask_b32_e32 v18, 0x7f800000, v16, vcc_lo
	v_add_f32_e32 v19, 1.0, v18
	s_delay_alu instid0(VALU_DEP_1) | instskip(NEXT) | instid1(VALU_DEP_1)
	v_cvt_f64_f32_e32 v[16:17], v19
	v_frexp_exp_i32_f64_e32 v16, v[16:17]
	v_frexp_mant_f32_e32 v17, v19
	s_delay_alu instid0(VALU_DEP_1) | instskip(SKIP_1) | instid1(VALU_DEP_1)
	v_cmp_gt_f32_e32 vcc_lo, 0x3f2aaaab, v17
	v_add_f32_e32 v17, -1.0, v19
	v_sub_f32_e32 v21, v17, v19
	v_sub_f32_e32 v17, v18, v17
	s_delay_alu instid0(VALU_DEP_2) | instskip(NEXT) | instid1(VALU_DEP_1)
	v_add_f32_e32 v21, 1.0, v21
	v_add_f32_e32 v17, v17, v21
	v_cmp_gt_f32_e64 s14, 0x33800000, v18
	v_subrev_co_ci_u32_e32 v16, vcc_lo, 0, v16, vcc_lo
	v_cmp_eq_f32_e32 vcc_lo, 0x7f800000, v18
	s_delay_alu instid0(VALU_DEP_2) | instskip(SKIP_2) | instid1(VALU_DEP_2)
	v_sub_nc_u32_e32 v20, 0, v16
	v_cvt_f32_i32_e32 v16, v16
	s_or_b32 vcc_lo, s14, vcc_lo
	v_ldexp_f32 v19, v19, v20
	v_ldexp_f32 v17, v17, v20
	s_delay_alu instid0(VALU_DEP_2) | instskip(NEXT) | instid1(VALU_DEP_1)
	v_add_f32_e32 v22, 1.0, v19
	v_dual_add_f32 v20, -1.0, v19 :: v_dual_add_f32 v21, -1.0, v22
	s_delay_alu instid0(VALU_DEP_1) | instskip(NEXT) | instid1(VALU_DEP_2)
	v_add_f32_e32 v23, 1.0, v20
	v_sub_f32_e32 v21, v19, v21
	s_delay_alu instid0(VALU_DEP_2) | instskip(NEXT) | instid1(VALU_DEP_2)
	v_sub_f32_e32 v19, v19, v23
	v_add_f32_e32 v21, v17, v21
	s_delay_alu instid0(VALU_DEP_2) | instskip(NEXT) | instid1(VALU_DEP_1)
	v_add_f32_e32 v17, v17, v19
	v_add_f32_e32 v24, v20, v17
	s_delay_alu instid0(VALU_DEP_1) | instskip(NEXT) | instid1(VALU_DEP_1)
	v_dual_add_f32 v23, v22, v21 :: v_dual_sub_f32 v20, v20, v24
	v_rcp_f32_e32 v19, v23
	v_sub_f32_e32 v22, v22, v23
	s_delay_alu instid0(VALU_DEP_1) | instskip(SKIP_2) | instid1(VALU_DEP_1)
	v_add_f32_e32 v21, v21, v22
	s_waitcnt_depctr 0xfff
	v_mul_f32_e32 v25, v24, v19
	v_mul_f32_e32 v26, v23, v25
	s_delay_alu instid0(VALU_DEP_1) | instskip(NEXT) | instid1(VALU_DEP_1)
	v_fma_f32 v22, v25, v23, -v26
	v_fmac_f32_e32 v22, v25, v21
	s_delay_alu instid0(VALU_DEP_1) | instskip(NEXT) | instid1(VALU_DEP_1)
	v_add_f32_e32 v27, v26, v22
	v_sub_f32_e32 v28, v24, v27
	s_delay_alu instid0(VALU_DEP_1) | instskip(SKIP_1) | instid1(VALU_DEP_2)
	v_sub_f32_e32 v24, v24, v28
	v_dual_add_f32 v17, v17, v20 :: v_dual_sub_f32 v20, v27, v26
	v_sub_f32_e32 v24, v24, v27
	s_delay_alu instid0(VALU_DEP_1) | instskip(NEXT) | instid1(VALU_DEP_1)
	v_dual_sub_f32 v20, v20, v22 :: v_dual_add_f32 v17, v17, v24
	v_add_f32_e32 v17, v20, v17
	s_delay_alu instid0(VALU_DEP_1) | instskip(NEXT) | instid1(VALU_DEP_1)
	v_add_f32_e32 v20, v28, v17
	v_mul_f32_e32 v22, v19, v20
	s_delay_alu instid0(VALU_DEP_1) | instskip(NEXT) | instid1(VALU_DEP_1)
	v_dual_sub_f32 v27, v28, v20 :: v_dual_mul_f32 v24, v23, v22
	v_add_f32_e32 v17, v17, v27
	s_delay_alu instid0(VALU_DEP_2) | instskip(NEXT) | instid1(VALU_DEP_1)
	v_fma_f32 v23, v22, v23, -v24
	v_fmac_f32_e32 v23, v22, v21
	s_delay_alu instid0(VALU_DEP_1) | instskip(NEXT) | instid1(VALU_DEP_1)
	v_add_f32_e32 v21, v24, v23
	v_sub_f32_e32 v26, v20, v21
	s_delay_alu instid0(VALU_DEP_1) | instskip(NEXT) | instid1(VALU_DEP_1)
	v_sub_f32_e32 v20, v20, v26
	v_sub_f32_e32 v20, v20, v21
	s_delay_alu instid0(VALU_DEP_1) | instskip(SKIP_2) | instid1(VALU_DEP_1)
	v_add_f32_e32 v17, v17, v20
	v_add_f32_e32 v20, v25, v22
	v_sub_f32_e32 v24, v21, v24
	v_sub_f32_e32 v21, v24, v23
	s_delay_alu instid0(VALU_DEP_1) | instskip(NEXT) | instid1(VALU_DEP_4)
	v_add_f32_e32 v17, v21, v17
	v_sub_f32_e32 v21, v20, v25
	s_delay_alu instid0(VALU_DEP_2) | instskip(NEXT) | instid1(VALU_DEP_2)
	v_add_f32_e32 v17, v26, v17
	v_sub_f32_e32 v21, v22, v21
	s_delay_alu instid0(VALU_DEP_2) | instskip(NEXT) | instid1(VALU_DEP_1)
	v_mul_f32_e32 v17, v19, v17
	v_add_f32_e32 v17, v21, v17
	s_delay_alu instid0(VALU_DEP_1) | instskip(NEXT) | instid1(VALU_DEP_1)
	v_add_f32_e32 v19, v20, v17
	v_mul_f32_e32 v21, v19, v19
	s_delay_alu instid0(VALU_DEP_1) | instskip(SKIP_1) | instid1(VALU_DEP_2)
	v_fmaak_f32 v22, s54, v21, 0x3ecc95a3
	v_mul_f32_e32 v23, v19, v21
	v_fmaak_f32 v21, v21, v22, 0x3f2aaada
	v_ldexp_f32 v22, v19, 1
	s_delay_alu instid0(VALU_DEP_2) | instskip(SKIP_1) | instid1(VALU_DEP_2)
	v_mul_f32_e32 v21, v23, v21
	v_sub_f32_e32 v19, v19, v20
	v_dual_mul_f32 v23, 0x3f317218, v16 :: v_dual_add_f32 v20, v22, v21
	s_delay_alu instid0(VALU_DEP_2) | instskip(NEXT) | instid1(VALU_DEP_2)
	v_sub_f32_e32 v17, v17, v19
	v_sub_f32_e32 v19, v20, v22
	s_delay_alu instid0(VALU_DEP_3) | instskip(NEXT) | instid1(VALU_DEP_3)
	v_fma_f32 v22, 0x3f317218, v16, -v23
	v_ldexp_f32 v17, v17, 1
	s_delay_alu instid0(VALU_DEP_2) | instskip(NEXT) | instid1(VALU_DEP_1)
	v_dual_sub_f32 v19, v21, v19 :: v_dual_fmac_f32 v22, 0xb102e308, v16
	v_dual_add_f32 v16, v17, v19 :: v_dual_add_f32 v17, v23, v22
	s_delay_alu instid0(VALU_DEP_1) | instskip(NEXT) | instid1(VALU_DEP_1)
	v_add_f32_e32 v19, v20, v16
	v_dual_add_f32 v21, v17, v19 :: v_dual_sub_f32 v20, v19, v20
	s_delay_alu instid0(VALU_DEP_1) | instskip(NEXT) | instid1(VALU_DEP_2)
	v_sub_f32_e32 v24, v21, v17
	v_dual_sub_f32 v23, v17, v23 :: v_dual_sub_f32 v16, v16, v20
	s_delay_alu instid0(VALU_DEP_1) | instskip(SKIP_1) | instid1(VALU_DEP_2)
	v_dual_sub_f32 v25, v21, v24 :: v_dual_sub_f32 v22, v22, v23
	v_sub_f32_e32 v19, v19, v24
	v_dual_sub_f32 v17, v17, v25 :: v_dual_add_f32 v20, v22, v16
	s_delay_alu instid0(VALU_DEP_1) | instskip(NEXT) | instid1(VALU_DEP_2)
	v_add_f32_e32 v17, v19, v17
	v_sub_f32_e32 v19, v20, v22
	s_delay_alu instid0(VALU_DEP_2) | instskip(NEXT) | instid1(VALU_DEP_2)
	v_add_f32_e32 v17, v20, v17
	v_sub_f32_e32 v20, v20, v19
	s_delay_alu instid0(VALU_DEP_2) | instskip(NEXT) | instid1(VALU_DEP_1)
	v_dual_sub_f32 v16, v16, v19 :: v_dual_add_f32 v23, v21, v17
	v_dual_sub_f32 v20, v22, v20 :: v_dual_sub_f32 v19, v23, v21
	s_delay_alu instid0(VALU_DEP_1) | instskip(NEXT) | instid1(VALU_DEP_1)
	v_dual_add_f32 v16, v16, v20 :: v_dual_sub_f32 v17, v17, v19
	v_add_f32_e32 v16, v16, v17
	s_delay_alu instid0(VALU_DEP_1) | instskip(NEXT) | instid1(VALU_DEP_1)
	v_add_f32_e32 v16, v23, v16
	v_cndmask_b32_e32 v75, v16, v18, vcc_lo
.LBB115_46:                             ;   in Loop: Header=BB115_12 Depth=1
	s_or_b32 exec_lo, exec_lo, s15
	v_lshrrev_b32_e32 v16, 16, v2
	s_delay_alu instid0(VALU_DEP_1) | instskip(NEXT) | instid1(VALU_DEP_1)
	v_cvt_f32_f16_e32 v16, v16
	v_add_f32_e32 v76, s56, v16
	s_delay_alu instid0(VALU_DEP_1) | instskip(SKIP_1) | instid1(SALU_CYCLE_1)
	v_cmp_ge_f32_e32 vcc_lo, 0x41a00000, v76
	s_and_b32 s14, s66, vcc_lo
	s_and_saveexec_b32 s15, s14
	s_cbranch_execz .LBB115_48
; %bb.47:                               ;   in Loop: Header=BB115_12 Depth=1
	v_mul_f32_e32 v16, 0x3fb8aa3b, v76
	v_cmp_ngt_f32_e32 vcc_lo, 0xc2ce8ed0, v76
	s_delay_alu instid0(VALU_DEP_2) | instskip(SKIP_1) | instid1(VALU_DEP_2)
	v_rndne_f32_e32 v17, v16
	v_fma_f32 v18, 0x3fb8aa3b, v76, -v16
	v_sub_f32_e32 v16, v16, v17
	s_delay_alu instid0(VALU_DEP_2) | instskip(SKIP_1) | instid1(VALU_DEP_2)
	v_fmac_f32_e32 v18, 0x32a5705f, v76
	v_cvt_i32_f32_e32 v17, v17
	v_add_f32_e32 v16, v16, v18
	s_delay_alu instid0(VALU_DEP_1) | instskip(SKIP_2) | instid1(VALU_DEP_1)
	v_exp_f32_e32 v16, v16
	s_waitcnt_depctr 0xfff
	v_ldexp_f32 v16, v16, v17
	v_cndmask_b32_e32 v16, 0, v16, vcc_lo
	v_cmp_nlt_f32_e32 vcc_lo, 0x42b17218, v76
	s_delay_alu instid0(VALU_DEP_2) | instskip(NEXT) | instid1(VALU_DEP_1)
	v_cndmask_b32_e32 v18, 0x7f800000, v16, vcc_lo
	v_add_f32_e32 v19, 1.0, v18
	s_delay_alu instid0(VALU_DEP_1) | instskip(NEXT) | instid1(VALU_DEP_1)
	v_cvt_f64_f32_e32 v[16:17], v19
	v_frexp_exp_i32_f64_e32 v16, v[16:17]
	v_frexp_mant_f32_e32 v17, v19
	s_delay_alu instid0(VALU_DEP_1) | instskip(SKIP_1) | instid1(VALU_DEP_1)
	v_cmp_gt_f32_e32 vcc_lo, 0x3f2aaaab, v17
	v_add_f32_e32 v17, -1.0, v19
	v_sub_f32_e32 v21, v17, v19
	v_sub_f32_e32 v17, v18, v17
	s_delay_alu instid0(VALU_DEP_2) | instskip(NEXT) | instid1(VALU_DEP_1)
	v_add_f32_e32 v21, 1.0, v21
	v_add_f32_e32 v17, v17, v21
	v_cmp_gt_f32_e64 s14, 0x33800000, v18
	v_subrev_co_ci_u32_e32 v16, vcc_lo, 0, v16, vcc_lo
	v_cmp_eq_f32_e32 vcc_lo, 0x7f800000, v18
	s_delay_alu instid0(VALU_DEP_2) | instskip(SKIP_2) | instid1(VALU_DEP_2)
	v_sub_nc_u32_e32 v20, 0, v16
	v_cvt_f32_i32_e32 v16, v16
	s_or_b32 vcc_lo, s14, vcc_lo
	v_ldexp_f32 v19, v19, v20
	v_ldexp_f32 v17, v17, v20
	s_delay_alu instid0(VALU_DEP_2) | instskip(NEXT) | instid1(VALU_DEP_1)
	v_add_f32_e32 v22, 1.0, v19
	v_dual_add_f32 v20, -1.0, v19 :: v_dual_add_f32 v21, -1.0, v22
	s_delay_alu instid0(VALU_DEP_1) | instskip(NEXT) | instid1(VALU_DEP_2)
	v_add_f32_e32 v23, 1.0, v20
	v_sub_f32_e32 v21, v19, v21
	s_delay_alu instid0(VALU_DEP_2) | instskip(NEXT) | instid1(VALU_DEP_2)
	v_sub_f32_e32 v19, v19, v23
	v_add_f32_e32 v21, v17, v21
	s_delay_alu instid0(VALU_DEP_2) | instskip(NEXT) | instid1(VALU_DEP_1)
	v_add_f32_e32 v17, v17, v19
	v_add_f32_e32 v24, v20, v17
	s_delay_alu instid0(VALU_DEP_1) | instskip(NEXT) | instid1(VALU_DEP_1)
	v_dual_add_f32 v23, v22, v21 :: v_dual_sub_f32 v20, v20, v24
	v_rcp_f32_e32 v19, v23
	v_sub_f32_e32 v22, v22, v23
	s_delay_alu instid0(VALU_DEP_1) | instskip(SKIP_2) | instid1(VALU_DEP_1)
	v_add_f32_e32 v21, v21, v22
	s_waitcnt_depctr 0xfff
	v_mul_f32_e32 v25, v24, v19
	v_mul_f32_e32 v26, v23, v25
	s_delay_alu instid0(VALU_DEP_1) | instskip(NEXT) | instid1(VALU_DEP_1)
	v_fma_f32 v22, v25, v23, -v26
	v_fmac_f32_e32 v22, v25, v21
	s_delay_alu instid0(VALU_DEP_1) | instskip(NEXT) | instid1(VALU_DEP_1)
	v_add_f32_e32 v27, v26, v22
	v_sub_f32_e32 v28, v24, v27
	s_delay_alu instid0(VALU_DEP_1) | instskip(SKIP_1) | instid1(VALU_DEP_2)
	v_sub_f32_e32 v24, v24, v28
	v_dual_add_f32 v17, v17, v20 :: v_dual_sub_f32 v20, v27, v26
	v_sub_f32_e32 v24, v24, v27
	s_delay_alu instid0(VALU_DEP_1) | instskip(NEXT) | instid1(VALU_DEP_1)
	v_dual_sub_f32 v20, v20, v22 :: v_dual_add_f32 v17, v17, v24
	v_add_f32_e32 v17, v20, v17
	s_delay_alu instid0(VALU_DEP_1) | instskip(NEXT) | instid1(VALU_DEP_1)
	v_add_f32_e32 v20, v28, v17
	v_mul_f32_e32 v22, v19, v20
	s_delay_alu instid0(VALU_DEP_1) | instskip(NEXT) | instid1(VALU_DEP_1)
	v_dual_sub_f32 v27, v28, v20 :: v_dual_mul_f32 v24, v23, v22
	v_add_f32_e32 v17, v17, v27
	s_delay_alu instid0(VALU_DEP_2) | instskip(NEXT) | instid1(VALU_DEP_1)
	v_fma_f32 v23, v22, v23, -v24
	v_fmac_f32_e32 v23, v22, v21
	s_delay_alu instid0(VALU_DEP_1) | instskip(NEXT) | instid1(VALU_DEP_1)
	v_add_f32_e32 v21, v24, v23
	v_sub_f32_e32 v26, v20, v21
	s_delay_alu instid0(VALU_DEP_1) | instskip(NEXT) | instid1(VALU_DEP_1)
	v_sub_f32_e32 v20, v20, v26
	v_sub_f32_e32 v20, v20, v21
	s_delay_alu instid0(VALU_DEP_1) | instskip(SKIP_2) | instid1(VALU_DEP_1)
	v_add_f32_e32 v17, v17, v20
	v_add_f32_e32 v20, v25, v22
	v_sub_f32_e32 v24, v21, v24
	v_sub_f32_e32 v21, v24, v23
	s_delay_alu instid0(VALU_DEP_1) | instskip(NEXT) | instid1(VALU_DEP_4)
	v_add_f32_e32 v17, v21, v17
	v_sub_f32_e32 v21, v20, v25
	s_delay_alu instid0(VALU_DEP_2) | instskip(NEXT) | instid1(VALU_DEP_2)
	v_add_f32_e32 v17, v26, v17
	v_sub_f32_e32 v21, v22, v21
	s_delay_alu instid0(VALU_DEP_2) | instskip(NEXT) | instid1(VALU_DEP_1)
	v_mul_f32_e32 v17, v19, v17
	v_add_f32_e32 v17, v21, v17
	s_delay_alu instid0(VALU_DEP_1) | instskip(NEXT) | instid1(VALU_DEP_1)
	v_add_f32_e32 v19, v20, v17
	v_mul_f32_e32 v21, v19, v19
	s_delay_alu instid0(VALU_DEP_1) | instskip(SKIP_1) | instid1(VALU_DEP_2)
	v_fmaak_f32 v22, s54, v21, 0x3ecc95a3
	v_mul_f32_e32 v23, v19, v21
	v_fmaak_f32 v21, v21, v22, 0x3f2aaada
	v_ldexp_f32 v22, v19, 1
	s_delay_alu instid0(VALU_DEP_2) | instskip(SKIP_1) | instid1(VALU_DEP_2)
	v_mul_f32_e32 v21, v23, v21
	v_sub_f32_e32 v19, v19, v20
	v_dual_mul_f32 v23, 0x3f317218, v16 :: v_dual_add_f32 v20, v22, v21
	s_delay_alu instid0(VALU_DEP_2) | instskip(NEXT) | instid1(VALU_DEP_2)
	v_sub_f32_e32 v17, v17, v19
	v_sub_f32_e32 v19, v20, v22
	s_delay_alu instid0(VALU_DEP_3) | instskip(NEXT) | instid1(VALU_DEP_3)
	v_fma_f32 v22, 0x3f317218, v16, -v23
	v_ldexp_f32 v17, v17, 1
	s_delay_alu instid0(VALU_DEP_2) | instskip(NEXT) | instid1(VALU_DEP_1)
	v_dual_sub_f32 v19, v21, v19 :: v_dual_fmac_f32 v22, 0xb102e308, v16
	v_dual_add_f32 v16, v17, v19 :: v_dual_add_f32 v17, v23, v22
	s_delay_alu instid0(VALU_DEP_1) | instskip(NEXT) | instid1(VALU_DEP_1)
	v_add_f32_e32 v19, v20, v16
	v_dual_add_f32 v21, v17, v19 :: v_dual_sub_f32 v20, v19, v20
	s_delay_alu instid0(VALU_DEP_1) | instskip(NEXT) | instid1(VALU_DEP_2)
	v_sub_f32_e32 v24, v21, v17
	v_dual_sub_f32 v23, v17, v23 :: v_dual_sub_f32 v16, v16, v20
	s_delay_alu instid0(VALU_DEP_1) | instskip(SKIP_1) | instid1(VALU_DEP_2)
	v_dual_sub_f32 v25, v21, v24 :: v_dual_sub_f32 v22, v22, v23
	v_sub_f32_e32 v19, v19, v24
	v_dual_sub_f32 v17, v17, v25 :: v_dual_add_f32 v20, v22, v16
	s_delay_alu instid0(VALU_DEP_1) | instskip(NEXT) | instid1(VALU_DEP_2)
	v_add_f32_e32 v17, v19, v17
	v_sub_f32_e32 v19, v20, v22
	s_delay_alu instid0(VALU_DEP_2) | instskip(NEXT) | instid1(VALU_DEP_2)
	v_add_f32_e32 v17, v20, v17
	v_sub_f32_e32 v20, v20, v19
	s_delay_alu instid0(VALU_DEP_2) | instskip(NEXT) | instid1(VALU_DEP_1)
	v_dual_sub_f32 v16, v16, v19 :: v_dual_add_f32 v23, v21, v17
	v_dual_sub_f32 v20, v22, v20 :: v_dual_sub_f32 v19, v23, v21
	s_delay_alu instid0(VALU_DEP_1) | instskip(NEXT) | instid1(VALU_DEP_1)
	v_dual_add_f32 v16, v16, v20 :: v_dual_sub_f32 v17, v17, v19
	v_add_f32_e32 v16, v16, v17
	s_delay_alu instid0(VALU_DEP_1) | instskip(NEXT) | instid1(VALU_DEP_1)
	v_add_f32_e32 v16, v23, v16
	v_cndmask_b32_e32 v76, v16, v18, vcc_lo
.LBB115_48:                             ;   in Loop: Header=BB115_12 Depth=1
	s_or_b32 exec_lo, exec_lo, s15
	v_cvt_f32_f16_e32 v16, v3
	s_delay_alu instid0(VALU_DEP_1) | instskip(NEXT) | instid1(VALU_DEP_1)
	v_add_f32_e32 v77, s56, v16
	v_cmp_ge_f32_e32 vcc_lo, 0x41a00000, v77
	s_and_b32 s14, s66, vcc_lo
	s_delay_alu instid0(SALU_CYCLE_1)
	s_and_saveexec_b32 s15, s14
	s_cbranch_execz .LBB115_50
; %bb.49:                               ;   in Loop: Header=BB115_12 Depth=1
	v_mul_f32_e32 v16, 0x3fb8aa3b, v77
	v_cmp_ngt_f32_e32 vcc_lo, 0xc2ce8ed0, v77
	s_delay_alu instid0(VALU_DEP_2) | instskip(SKIP_1) | instid1(VALU_DEP_2)
	v_rndne_f32_e32 v17, v16
	v_fma_f32 v18, 0x3fb8aa3b, v77, -v16
	v_sub_f32_e32 v16, v16, v17
	s_delay_alu instid0(VALU_DEP_2) | instskip(SKIP_1) | instid1(VALU_DEP_2)
	v_fmac_f32_e32 v18, 0x32a5705f, v77
	v_cvt_i32_f32_e32 v17, v17
	v_add_f32_e32 v16, v16, v18
	s_delay_alu instid0(VALU_DEP_1) | instskip(SKIP_2) | instid1(VALU_DEP_1)
	v_exp_f32_e32 v16, v16
	s_waitcnt_depctr 0xfff
	v_ldexp_f32 v16, v16, v17
	v_cndmask_b32_e32 v16, 0, v16, vcc_lo
	v_cmp_nlt_f32_e32 vcc_lo, 0x42b17218, v77
	s_delay_alu instid0(VALU_DEP_2) | instskip(NEXT) | instid1(VALU_DEP_1)
	v_cndmask_b32_e32 v18, 0x7f800000, v16, vcc_lo
	v_add_f32_e32 v19, 1.0, v18
	s_delay_alu instid0(VALU_DEP_1) | instskip(NEXT) | instid1(VALU_DEP_1)
	v_cvt_f64_f32_e32 v[16:17], v19
	v_frexp_exp_i32_f64_e32 v16, v[16:17]
	v_frexp_mant_f32_e32 v17, v19
	s_delay_alu instid0(VALU_DEP_1) | instskip(SKIP_1) | instid1(VALU_DEP_1)
	v_cmp_gt_f32_e32 vcc_lo, 0x3f2aaaab, v17
	v_add_f32_e32 v17, -1.0, v19
	v_sub_f32_e32 v21, v17, v19
	v_sub_f32_e32 v17, v18, v17
	s_delay_alu instid0(VALU_DEP_2) | instskip(NEXT) | instid1(VALU_DEP_1)
	v_add_f32_e32 v21, 1.0, v21
	v_add_f32_e32 v17, v17, v21
	v_cmp_gt_f32_e64 s14, 0x33800000, v18
	v_subrev_co_ci_u32_e32 v16, vcc_lo, 0, v16, vcc_lo
	v_cmp_eq_f32_e32 vcc_lo, 0x7f800000, v18
	s_delay_alu instid0(VALU_DEP_2) | instskip(SKIP_2) | instid1(VALU_DEP_2)
	v_sub_nc_u32_e32 v20, 0, v16
	v_cvt_f32_i32_e32 v16, v16
	s_or_b32 vcc_lo, s14, vcc_lo
	v_ldexp_f32 v19, v19, v20
	v_ldexp_f32 v17, v17, v20
	s_delay_alu instid0(VALU_DEP_2) | instskip(NEXT) | instid1(VALU_DEP_1)
	v_add_f32_e32 v22, 1.0, v19
	v_dual_add_f32 v20, -1.0, v19 :: v_dual_add_f32 v21, -1.0, v22
	s_delay_alu instid0(VALU_DEP_1) | instskip(NEXT) | instid1(VALU_DEP_2)
	v_add_f32_e32 v23, 1.0, v20
	v_sub_f32_e32 v21, v19, v21
	s_delay_alu instid0(VALU_DEP_2) | instskip(NEXT) | instid1(VALU_DEP_2)
	v_sub_f32_e32 v19, v19, v23
	v_add_f32_e32 v21, v17, v21
	s_delay_alu instid0(VALU_DEP_2) | instskip(NEXT) | instid1(VALU_DEP_1)
	v_add_f32_e32 v17, v17, v19
	v_add_f32_e32 v24, v20, v17
	s_delay_alu instid0(VALU_DEP_1) | instskip(NEXT) | instid1(VALU_DEP_1)
	v_dual_add_f32 v23, v22, v21 :: v_dual_sub_f32 v20, v20, v24
	v_rcp_f32_e32 v19, v23
	v_sub_f32_e32 v22, v22, v23
	s_delay_alu instid0(VALU_DEP_1) | instskip(SKIP_2) | instid1(VALU_DEP_1)
	v_add_f32_e32 v21, v21, v22
	s_waitcnt_depctr 0xfff
	v_mul_f32_e32 v25, v24, v19
	v_mul_f32_e32 v26, v23, v25
	s_delay_alu instid0(VALU_DEP_1) | instskip(NEXT) | instid1(VALU_DEP_1)
	v_fma_f32 v22, v25, v23, -v26
	v_fmac_f32_e32 v22, v25, v21
	s_delay_alu instid0(VALU_DEP_1) | instskip(NEXT) | instid1(VALU_DEP_1)
	v_add_f32_e32 v27, v26, v22
	v_sub_f32_e32 v28, v24, v27
	s_delay_alu instid0(VALU_DEP_1) | instskip(SKIP_1) | instid1(VALU_DEP_2)
	v_sub_f32_e32 v24, v24, v28
	v_dual_add_f32 v17, v17, v20 :: v_dual_sub_f32 v20, v27, v26
	v_sub_f32_e32 v24, v24, v27
	s_delay_alu instid0(VALU_DEP_1) | instskip(NEXT) | instid1(VALU_DEP_1)
	v_dual_sub_f32 v20, v20, v22 :: v_dual_add_f32 v17, v17, v24
	v_add_f32_e32 v17, v20, v17
	s_delay_alu instid0(VALU_DEP_1) | instskip(NEXT) | instid1(VALU_DEP_1)
	v_add_f32_e32 v20, v28, v17
	v_mul_f32_e32 v22, v19, v20
	s_delay_alu instid0(VALU_DEP_1) | instskip(NEXT) | instid1(VALU_DEP_1)
	v_dual_sub_f32 v27, v28, v20 :: v_dual_mul_f32 v24, v23, v22
	v_add_f32_e32 v17, v17, v27
	s_delay_alu instid0(VALU_DEP_2) | instskip(NEXT) | instid1(VALU_DEP_1)
	v_fma_f32 v23, v22, v23, -v24
	v_fmac_f32_e32 v23, v22, v21
	s_delay_alu instid0(VALU_DEP_1) | instskip(NEXT) | instid1(VALU_DEP_1)
	v_add_f32_e32 v21, v24, v23
	v_sub_f32_e32 v26, v20, v21
	s_delay_alu instid0(VALU_DEP_1) | instskip(NEXT) | instid1(VALU_DEP_1)
	v_sub_f32_e32 v20, v20, v26
	v_sub_f32_e32 v20, v20, v21
	s_delay_alu instid0(VALU_DEP_1) | instskip(SKIP_2) | instid1(VALU_DEP_1)
	v_add_f32_e32 v17, v17, v20
	v_add_f32_e32 v20, v25, v22
	v_sub_f32_e32 v24, v21, v24
	v_sub_f32_e32 v21, v24, v23
	s_delay_alu instid0(VALU_DEP_1) | instskip(NEXT) | instid1(VALU_DEP_4)
	v_add_f32_e32 v17, v21, v17
	v_sub_f32_e32 v21, v20, v25
	s_delay_alu instid0(VALU_DEP_2) | instskip(NEXT) | instid1(VALU_DEP_2)
	v_add_f32_e32 v17, v26, v17
	v_sub_f32_e32 v21, v22, v21
	s_delay_alu instid0(VALU_DEP_2) | instskip(NEXT) | instid1(VALU_DEP_1)
	v_mul_f32_e32 v17, v19, v17
	v_add_f32_e32 v17, v21, v17
	s_delay_alu instid0(VALU_DEP_1) | instskip(NEXT) | instid1(VALU_DEP_1)
	v_add_f32_e32 v19, v20, v17
	v_mul_f32_e32 v21, v19, v19
	s_delay_alu instid0(VALU_DEP_1) | instskip(SKIP_1) | instid1(VALU_DEP_2)
	v_fmaak_f32 v22, s54, v21, 0x3ecc95a3
	v_mul_f32_e32 v23, v19, v21
	v_fmaak_f32 v21, v21, v22, 0x3f2aaada
	v_ldexp_f32 v22, v19, 1
	s_delay_alu instid0(VALU_DEP_2) | instskip(SKIP_1) | instid1(VALU_DEP_2)
	v_mul_f32_e32 v21, v23, v21
	v_sub_f32_e32 v19, v19, v20
	v_dual_mul_f32 v23, 0x3f317218, v16 :: v_dual_add_f32 v20, v22, v21
	s_delay_alu instid0(VALU_DEP_2) | instskip(NEXT) | instid1(VALU_DEP_2)
	v_sub_f32_e32 v17, v17, v19
	v_sub_f32_e32 v19, v20, v22
	s_delay_alu instid0(VALU_DEP_3) | instskip(NEXT) | instid1(VALU_DEP_3)
	v_fma_f32 v22, 0x3f317218, v16, -v23
	v_ldexp_f32 v17, v17, 1
	s_delay_alu instid0(VALU_DEP_2) | instskip(NEXT) | instid1(VALU_DEP_1)
	v_dual_sub_f32 v19, v21, v19 :: v_dual_fmac_f32 v22, 0xb102e308, v16
	v_dual_add_f32 v16, v17, v19 :: v_dual_add_f32 v17, v23, v22
	s_delay_alu instid0(VALU_DEP_1) | instskip(NEXT) | instid1(VALU_DEP_1)
	v_add_f32_e32 v19, v20, v16
	v_dual_add_f32 v21, v17, v19 :: v_dual_sub_f32 v20, v19, v20
	s_delay_alu instid0(VALU_DEP_1) | instskip(NEXT) | instid1(VALU_DEP_2)
	v_sub_f32_e32 v24, v21, v17
	v_dual_sub_f32 v23, v17, v23 :: v_dual_sub_f32 v16, v16, v20
	s_delay_alu instid0(VALU_DEP_1) | instskip(SKIP_1) | instid1(VALU_DEP_2)
	v_dual_sub_f32 v25, v21, v24 :: v_dual_sub_f32 v22, v22, v23
	v_sub_f32_e32 v19, v19, v24
	v_dual_sub_f32 v17, v17, v25 :: v_dual_add_f32 v20, v22, v16
	s_delay_alu instid0(VALU_DEP_1) | instskip(NEXT) | instid1(VALU_DEP_2)
	v_add_f32_e32 v17, v19, v17
	v_sub_f32_e32 v19, v20, v22
	s_delay_alu instid0(VALU_DEP_2) | instskip(NEXT) | instid1(VALU_DEP_2)
	v_add_f32_e32 v17, v20, v17
	v_sub_f32_e32 v20, v20, v19
	s_delay_alu instid0(VALU_DEP_2) | instskip(NEXT) | instid1(VALU_DEP_1)
	v_dual_sub_f32 v16, v16, v19 :: v_dual_add_f32 v23, v21, v17
	v_dual_sub_f32 v20, v22, v20 :: v_dual_sub_f32 v19, v23, v21
	s_delay_alu instid0(VALU_DEP_1) | instskip(NEXT) | instid1(VALU_DEP_1)
	v_dual_add_f32 v16, v16, v20 :: v_dual_sub_f32 v17, v17, v19
	v_add_f32_e32 v16, v16, v17
	s_delay_alu instid0(VALU_DEP_1) | instskip(NEXT) | instid1(VALU_DEP_1)
	v_add_f32_e32 v16, v23, v16
	v_cndmask_b32_e32 v77, v16, v18, vcc_lo
.LBB115_50:                             ;   in Loop: Header=BB115_12 Depth=1
	s_or_b32 exec_lo, exec_lo, s15
	v_lshrrev_b32_e32 v16, 16, v3
	s_delay_alu instid0(VALU_DEP_1) | instskip(NEXT) | instid1(VALU_DEP_1)
	v_cvt_f32_f16_e32 v16, v16
	v_add_f32_e32 v87, s56, v16
	s_delay_alu instid0(VALU_DEP_1) | instskip(SKIP_1) | instid1(SALU_CYCLE_1)
	v_cmp_ge_f32_e32 vcc_lo, 0x41a00000, v87
	s_and_b32 s14, s66, vcc_lo
	s_and_saveexec_b32 s15, s14
	s_cbranch_execz .LBB115_52
; %bb.51:                               ;   in Loop: Header=BB115_12 Depth=1
	v_mul_f32_e32 v16, 0x3fb8aa3b, v87
	v_cmp_ngt_f32_e32 vcc_lo, 0xc2ce8ed0, v87
	s_delay_alu instid0(VALU_DEP_2) | instskip(SKIP_1) | instid1(VALU_DEP_2)
	v_rndne_f32_e32 v17, v16
	v_fma_f32 v18, 0x3fb8aa3b, v87, -v16
	v_sub_f32_e32 v16, v16, v17
	s_delay_alu instid0(VALU_DEP_2) | instskip(SKIP_1) | instid1(VALU_DEP_2)
	v_fmac_f32_e32 v18, 0x32a5705f, v87
	v_cvt_i32_f32_e32 v17, v17
	v_add_f32_e32 v16, v16, v18
	s_delay_alu instid0(VALU_DEP_1) | instskip(SKIP_2) | instid1(VALU_DEP_1)
	v_exp_f32_e32 v16, v16
	s_waitcnt_depctr 0xfff
	v_ldexp_f32 v16, v16, v17
	v_cndmask_b32_e32 v16, 0, v16, vcc_lo
	v_cmp_nlt_f32_e32 vcc_lo, 0x42b17218, v87
	s_delay_alu instid0(VALU_DEP_2) | instskip(NEXT) | instid1(VALU_DEP_1)
	v_cndmask_b32_e32 v18, 0x7f800000, v16, vcc_lo
	v_add_f32_e32 v19, 1.0, v18
	s_delay_alu instid0(VALU_DEP_1) | instskip(NEXT) | instid1(VALU_DEP_1)
	v_cvt_f64_f32_e32 v[16:17], v19
	v_frexp_exp_i32_f64_e32 v16, v[16:17]
	v_frexp_mant_f32_e32 v17, v19
	s_delay_alu instid0(VALU_DEP_1) | instskip(SKIP_1) | instid1(VALU_DEP_1)
	v_cmp_gt_f32_e32 vcc_lo, 0x3f2aaaab, v17
	v_add_f32_e32 v17, -1.0, v19
	v_sub_f32_e32 v21, v17, v19
	v_sub_f32_e32 v17, v18, v17
	s_delay_alu instid0(VALU_DEP_2) | instskip(NEXT) | instid1(VALU_DEP_1)
	v_add_f32_e32 v21, 1.0, v21
	v_add_f32_e32 v17, v17, v21
	v_cmp_gt_f32_e64 s14, 0x33800000, v18
	v_subrev_co_ci_u32_e32 v16, vcc_lo, 0, v16, vcc_lo
	v_cmp_eq_f32_e32 vcc_lo, 0x7f800000, v18
	s_delay_alu instid0(VALU_DEP_2) | instskip(SKIP_2) | instid1(VALU_DEP_2)
	v_sub_nc_u32_e32 v20, 0, v16
	v_cvt_f32_i32_e32 v16, v16
	s_or_b32 vcc_lo, s14, vcc_lo
	v_ldexp_f32 v19, v19, v20
	v_ldexp_f32 v17, v17, v20
	s_delay_alu instid0(VALU_DEP_2) | instskip(NEXT) | instid1(VALU_DEP_1)
	v_add_f32_e32 v22, 1.0, v19
	v_dual_add_f32 v20, -1.0, v19 :: v_dual_add_f32 v21, -1.0, v22
	s_delay_alu instid0(VALU_DEP_1) | instskip(NEXT) | instid1(VALU_DEP_2)
	v_add_f32_e32 v23, 1.0, v20
	v_sub_f32_e32 v21, v19, v21
	s_delay_alu instid0(VALU_DEP_2) | instskip(NEXT) | instid1(VALU_DEP_2)
	v_sub_f32_e32 v19, v19, v23
	v_add_f32_e32 v21, v17, v21
	s_delay_alu instid0(VALU_DEP_2) | instskip(NEXT) | instid1(VALU_DEP_1)
	v_add_f32_e32 v17, v17, v19
	v_add_f32_e32 v24, v20, v17
	s_delay_alu instid0(VALU_DEP_1) | instskip(NEXT) | instid1(VALU_DEP_1)
	v_dual_add_f32 v23, v22, v21 :: v_dual_sub_f32 v20, v20, v24
	v_rcp_f32_e32 v19, v23
	v_sub_f32_e32 v22, v22, v23
	s_delay_alu instid0(VALU_DEP_1) | instskip(SKIP_2) | instid1(VALU_DEP_1)
	v_add_f32_e32 v21, v21, v22
	s_waitcnt_depctr 0xfff
	v_mul_f32_e32 v25, v24, v19
	v_mul_f32_e32 v26, v23, v25
	s_delay_alu instid0(VALU_DEP_1) | instskip(NEXT) | instid1(VALU_DEP_1)
	v_fma_f32 v22, v25, v23, -v26
	v_fmac_f32_e32 v22, v25, v21
	s_delay_alu instid0(VALU_DEP_1) | instskip(NEXT) | instid1(VALU_DEP_1)
	v_add_f32_e32 v27, v26, v22
	v_sub_f32_e32 v28, v24, v27
	s_delay_alu instid0(VALU_DEP_1) | instskip(SKIP_1) | instid1(VALU_DEP_2)
	v_sub_f32_e32 v24, v24, v28
	v_dual_add_f32 v17, v17, v20 :: v_dual_sub_f32 v20, v27, v26
	v_sub_f32_e32 v24, v24, v27
	s_delay_alu instid0(VALU_DEP_1) | instskip(NEXT) | instid1(VALU_DEP_1)
	v_dual_sub_f32 v20, v20, v22 :: v_dual_add_f32 v17, v17, v24
	v_add_f32_e32 v17, v20, v17
	s_delay_alu instid0(VALU_DEP_1) | instskip(NEXT) | instid1(VALU_DEP_1)
	v_add_f32_e32 v20, v28, v17
	v_mul_f32_e32 v22, v19, v20
	s_delay_alu instid0(VALU_DEP_1) | instskip(NEXT) | instid1(VALU_DEP_1)
	v_dual_sub_f32 v27, v28, v20 :: v_dual_mul_f32 v24, v23, v22
	v_add_f32_e32 v17, v17, v27
	s_delay_alu instid0(VALU_DEP_2) | instskip(NEXT) | instid1(VALU_DEP_1)
	v_fma_f32 v23, v22, v23, -v24
	v_fmac_f32_e32 v23, v22, v21
	s_delay_alu instid0(VALU_DEP_1) | instskip(NEXT) | instid1(VALU_DEP_1)
	v_add_f32_e32 v21, v24, v23
	v_sub_f32_e32 v26, v20, v21
	s_delay_alu instid0(VALU_DEP_1) | instskip(NEXT) | instid1(VALU_DEP_1)
	v_sub_f32_e32 v20, v20, v26
	v_sub_f32_e32 v20, v20, v21
	s_delay_alu instid0(VALU_DEP_1) | instskip(SKIP_2) | instid1(VALU_DEP_1)
	v_add_f32_e32 v17, v17, v20
	v_add_f32_e32 v20, v25, v22
	v_sub_f32_e32 v24, v21, v24
	v_sub_f32_e32 v21, v24, v23
	s_delay_alu instid0(VALU_DEP_1) | instskip(NEXT) | instid1(VALU_DEP_4)
	v_add_f32_e32 v17, v21, v17
	v_sub_f32_e32 v21, v20, v25
	s_delay_alu instid0(VALU_DEP_2) | instskip(NEXT) | instid1(VALU_DEP_2)
	v_add_f32_e32 v17, v26, v17
	v_sub_f32_e32 v21, v22, v21
	s_delay_alu instid0(VALU_DEP_2) | instskip(NEXT) | instid1(VALU_DEP_1)
	v_mul_f32_e32 v17, v19, v17
	v_add_f32_e32 v17, v21, v17
	s_delay_alu instid0(VALU_DEP_1) | instskip(NEXT) | instid1(VALU_DEP_1)
	v_add_f32_e32 v19, v20, v17
	v_mul_f32_e32 v21, v19, v19
	s_delay_alu instid0(VALU_DEP_1) | instskip(SKIP_1) | instid1(VALU_DEP_2)
	v_fmaak_f32 v22, s54, v21, 0x3ecc95a3
	v_mul_f32_e32 v23, v19, v21
	v_fmaak_f32 v21, v21, v22, 0x3f2aaada
	v_ldexp_f32 v22, v19, 1
	s_delay_alu instid0(VALU_DEP_2) | instskip(SKIP_1) | instid1(VALU_DEP_2)
	v_mul_f32_e32 v21, v23, v21
	v_sub_f32_e32 v19, v19, v20
	v_dual_mul_f32 v23, 0x3f317218, v16 :: v_dual_add_f32 v20, v22, v21
	s_delay_alu instid0(VALU_DEP_2) | instskip(NEXT) | instid1(VALU_DEP_2)
	v_sub_f32_e32 v17, v17, v19
	v_sub_f32_e32 v19, v20, v22
	s_delay_alu instid0(VALU_DEP_3) | instskip(NEXT) | instid1(VALU_DEP_3)
	v_fma_f32 v22, 0x3f317218, v16, -v23
	v_ldexp_f32 v17, v17, 1
	s_delay_alu instid0(VALU_DEP_2) | instskip(NEXT) | instid1(VALU_DEP_1)
	v_dual_sub_f32 v19, v21, v19 :: v_dual_fmac_f32 v22, 0xb102e308, v16
	v_dual_add_f32 v16, v17, v19 :: v_dual_add_f32 v17, v23, v22
	s_delay_alu instid0(VALU_DEP_1) | instskip(NEXT) | instid1(VALU_DEP_1)
	v_add_f32_e32 v19, v20, v16
	v_dual_add_f32 v21, v17, v19 :: v_dual_sub_f32 v20, v19, v20
	s_delay_alu instid0(VALU_DEP_1) | instskip(NEXT) | instid1(VALU_DEP_2)
	v_sub_f32_e32 v24, v21, v17
	v_dual_sub_f32 v23, v17, v23 :: v_dual_sub_f32 v16, v16, v20
	s_delay_alu instid0(VALU_DEP_1) | instskip(SKIP_1) | instid1(VALU_DEP_2)
	v_dual_sub_f32 v25, v21, v24 :: v_dual_sub_f32 v22, v22, v23
	v_sub_f32_e32 v19, v19, v24
	v_dual_sub_f32 v17, v17, v25 :: v_dual_add_f32 v20, v22, v16
	s_delay_alu instid0(VALU_DEP_1) | instskip(NEXT) | instid1(VALU_DEP_2)
	v_add_f32_e32 v17, v19, v17
	v_sub_f32_e32 v19, v20, v22
	s_delay_alu instid0(VALU_DEP_2) | instskip(NEXT) | instid1(VALU_DEP_2)
	v_add_f32_e32 v17, v20, v17
	v_sub_f32_e32 v20, v20, v19
	s_delay_alu instid0(VALU_DEP_2) | instskip(NEXT) | instid1(VALU_DEP_1)
	v_dual_sub_f32 v16, v16, v19 :: v_dual_add_f32 v23, v21, v17
	v_dual_sub_f32 v20, v22, v20 :: v_dual_sub_f32 v19, v23, v21
	s_delay_alu instid0(VALU_DEP_1) | instskip(NEXT) | instid1(VALU_DEP_1)
	v_dual_add_f32 v16, v16, v20 :: v_dual_sub_f32 v17, v17, v19
	v_add_f32_e32 v16, v16, v17
	s_delay_alu instid0(VALU_DEP_1) | instskip(NEXT) | instid1(VALU_DEP_1)
	v_add_f32_e32 v16, v23, v16
	v_cndmask_b32_e32 v87, v16, v18, vcc_lo
.LBB115_52:                             ;   in Loop: Header=BB115_12 Depth=1
	s_or_b32 exec_lo, exec_lo, s15
	v_lshrrev_b32_e32 v18, 16, v10
	v_lshrrev_b32_e32 v20, 16, v11
	;; [unrolled: 1-line block ×8, first 2 shown]
	v_cvt_f32_f16_e32 v16, v11
	v_cvt_f32_f16_e32 v17, v10
	;; [unrolled: 1-line block ×16, first 2 shown]
	v_dual_mul_f32 v78, s57, v16 :: v_dual_mul_f32 v79, s57, v18
	v_dual_mul_f32 v80, s57, v17 :: v_dual_mul_f32 v81, s57, v19
	;; [unrolled: 1-line block ×6, first 2 shown]
	v_mul_f32_e32 v90, s57, v27
	v_dual_mul_f32 v92, s57, v28 :: v_dual_mul_f32 v89, s57, v23
	v_mul_f32_e32 v94, s57, v30
	s_lshl_b32 s38, s71, 10
	s_and_b32 vcc_lo, exec_lo, s67
	s_barrier
	buffer_gl0_inv
	s_cbranch_vccz .LBB115_11
; %bb.53:                               ;   in Loop: Header=BB115_12 Depth=1
	v_dual_mul_f32 v95, v87, v23 :: v_dual_mul_f32 v100, v77, v16
	v_add_co_u32 v23, s14, s41, v61
	s_delay_alu instid0(VALU_DEP_1) | instskip(SKIP_1) | instid1(VALU_DEP_1)
	v_add_co_ci_u32_e64 v32, null, s61, 0, s14
	v_add_co_u32 v33, s14, s45, v61
	v_add_co_ci_u32_e64 v99, null, s62, 0, s14
	s_delay_alu instid0(VALU_DEP_4) | instskip(NEXT) | instid1(VALU_DEP_4)
	v_add_co_u32 v96, vcc_lo, v23, v62
	v_add_co_ci_u32_e32 v97, vcc_lo, 0, v32, vcc_lo
	s_delay_alu instid0(VALU_DEP_4)
	v_add_co_u32 v98, vcc_lo, v33, v62
	s_sub_i32 s25, s34, s38
	v_add_co_ci_u32_e32 v99, vcc_lo, 0, v99, vcc_lo
	v_cmp_gt_u32_e32 vcc_lo, s25, v40
	s_cmp_lg_u32 s71, 0
	v_cmp_gt_u32_e64 s16, s25, v47
	s_cselect_b32 s39, -1, 0
	s_cmp_eq_u32 s71, s69
	v_cmp_gt_u32_e64 s17, s25, v48
	s_cselect_b32 s72, -1, 0
	s_or_b32 s14, s68, vcc_lo
	v_cmp_gt_u32_e32 vcc_lo, s25, v46
	v_cmp_gt_u32_e64 s18, s25, v49
	v_cmp_gt_u32_e64 s19, s25, v50
	;; [unrolled: 1-line block ×4, first 2 shown]
	s_or_b32 s15, s68, vcc_lo
	v_cmp_gt_u32_e32 vcc_lo, s25, v51
	v_cmp_gt_u32_e64 s23, s25, v54
	v_cmp_gt_u32_e64 s24, s25, v55
	;; [unrolled: 1-line block ×4, first 2 shown]
	s_or_b32 s20, s68, vcc_lo
	v_cmp_gt_u32_e32 vcc_lo, s25, v56
	v_cmp_gt_u32_e64 s28, s25, v59
	v_cmp_gt_u32_e64 s29, s25, v60
	v_dual_mul_f32 v101, v76, v18 :: v_dual_mul_f32 v102, v75, v17
	v_dual_mul_f32 v103, v74, v19 :: v_dual_mul_f32 v104, v73, v20
	;; [unrolled: 1-line block ×7, first 2 shown]
	s_mov_b32 s52, 0
	s_or_b32 s16, s68, s16
	s_or_b32 s17, s68, s17
	s_or_b32 s18, s68, s18
	s_or_b32 s19, s68, s19
	s_or_b32 s21, s68, s21
	s_or_b32 s22, s68, s22
	s_or_b32 s23, s68, s23
	s_or_b32 s24, s68, s24
	s_or_b32 s25, s68, vcc_lo
	s_or_b32 s26, s68, s26
	s_or_b32 s27, s68, s27
	;; [unrolled: 1-line block ×4, first 2 shown]
	s_mov_b32 s42, s52
	s_mov_b32 s46, s52
	;; [unrolled: 1-line block ×5, first 2 shown]
	s_branch .LBB115_55
.LBB115_54:                             ;   in Loop: Header=BB115_55 Depth=2
	s_or_b32 exec_lo, exec_lo, s30
	v_cndmask_b32_e64 v25, v144, v27, s13
	v_cndmask_b32_e64 v26, v143, v26, s13
	s_add_i32 s73, s73, -1
	s_add_i32 s74, s74, 8
	s_add_i32 s48, s48, s50
	v_fma_f32 v25, v25, v115, v31
	v_mul_f32_e32 v26, v26, v115
	s_add_i32 s46, s46, s44
	s_add_i32 s42, s42, s40
	;; [unrolled: 1-line block ×3, first 2 shown]
	v_cndmask_b32_e64 v25, v25, v31, s12
	v_cndmask_b32_e64 v26, v26, v115, s12
	s_cmp_eq_u32 s73, 0
	s_waitcnt lgkmcnt(0)
	s_delay_alu instid0(VALU_DEP_1) | instskip(NEXT) | instid1(VALU_DEP_1)
	v_fmac_f32_e32 v25, v24, v26
	v_fmac_f32_e32 v28, v25, v117
	s_delay_alu instid0(VALU_DEP_1) | instskip(NEXT) | instid1(VALU_DEP_1)
	v_fmac_f32_e32 v29, v28, v119
	v_fmac_f32_e32 v30, v29, v121
	v_fma_mix_f32 v93, v25, v20, v93 op_sel_hi:[0,1,0]
	s_delay_alu instid0(VALU_DEP_2) | instskip(SKIP_1) | instid1(VALU_DEP_2)
	v_fmac_f32_e32 v116, v30, v123
	v_fma_mix_f32 v92, v30, v21, v92 op_sel:[0,1,0] op_sel_hi:[0,1,0]
	v_fmac_f32_e32 v118, v116, v124
	v_fma_mix_f32 v90, v116, v22, v90 op_sel_hi:[0,1,0]
	s_delay_alu instid0(VALU_DEP_2) | instskip(SKIP_1) | instid1(VALU_DEP_2)
	v_fmac_f32_e32 v120, v118, v126
	v_fma_mix_f32 v91, v29, v21, v91 op_sel_hi:[0,1,0]
	v_fmac_f32_e32 v122, v120, v129
	v_fma_mix_f32 v86, v120, v23, v86 op_sel_hi:[0,1,0]
	s_delay_alu instid0(VALU_DEP_2) | instskip(SKIP_1) | instid1(VALU_DEP_2)
	v_fmac_f32_e32 v125, v122, v130
	v_fma_mix_f32 v94, v28, v20, v94 op_sel:[0,1,0] op_sel_hi:[0,1,0]
	v_fmac_f32_e32 v127, v125, v131
	v_fma_mix_f32 v88, v118, v22, v88 op_sel:[0,1,0] op_sel_hi:[0,1,0]
	v_fma_mix_f32 v84, v125, v16, v84 op_sel_hi:[0,1,0]
	s_delay_alu instid0(VALU_DEP_3) | instskip(SKIP_1) | instid1(VALU_DEP_2)
	v_fmac_f32_e32 v128, v127, v132
	v_fma_mix_f32 v83, v127, v16, v83 op_sel:[0,1,0] op_sel_hi:[0,1,0]
	v_fmac_f32_e32 v133, v128, v139
	v_fma_mix_f32 v82, v128, v17, v82 op_sel_hi:[0,1,0]
	s_delay_alu instid0(VALU_DEP_2) | instskip(NEXT) | instid1(VALU_DEP_1)
	v_fmac_f32_e32 v134, v133, v136
	v_fmac_f32_e32 v135, v134, v138
	v_fma_mix_f32 v85, v122, v23, v85 op_sel:[0,1,0] op_sel_hi:[0,1,0]
	v_fma_mix_f32 v80, v134, v18, v80 op_sel_hi:[0,1,0]
	s_delay_alu instid0(VALU_DEP_3) | instskip(SKIP_1) | instid1(VALU_DEP_2)
	v_fmac_f32_e32 v137, v135, v141
	v_fma_mix_f32 v79, v135, v18, v79 op_sel:[0,1,0] op_sel_hi:[0,1,0]
	v_fmac_f32_e32 v140, v137, v142
	v_fma_mix_f32 v81, v133, v17, v81 op_sel:[0,1,0] op_sel_hi:[0,1,0]
	v_fma_mix_f32 v78, v137, v19, v78 op_sel_hi:[0,1,0]
	s_delay_alu instid0(VALU_DEP_3)
	v_fma_mix_f32 v89, v140, v19, v89 op_sel:[0,1,0] op_sel_hi:[0,1,0]
	s_cbranch_scc1 .LBB115_11
.LBB115_55:                             ;   Parent Loop BB115_12 Depth=1
                                        ; =>  This Inner Loop Header: Depth=2
	s_lshl_b64 s[30:31], s[52:53], 2
	s_mov_b32 s43, s53
	s_add_u32 s30, s60, s30
	s_addc_u32 s31, s51, s31
	s_lshl_b64 s[76:77], s[42:43], 1
	s_mov_b32 s47, s53
	v_add_co_u32 v20, vcc_lo, v96, s76
	v_add_co_ci_u32_e32 v21, vcc_lo, s77, v97, vcc_lo
	s_lshl_b64 s[76:77], s[46:47], 1
	s_clause 0x1
	global_load_b128 v[16:19], v[20:21], off
	global_load_b128 v[20:23], v[20:21], off offset:512
	v_add_co_u32 v24, vcc_lo, v98, s76
	v_add_co_ci_u32_e32 v25, vcc_lo, s77, v99, vcc_lo
	global_load_b32 v115, v34, s[30:31]
	s_and_not1_b32 vcc_lo, exec_lo, s39
	s_waitcnt vmcnt(2)
	ds_store_b128 v35, v[16:19]
	s_waitcnt vmcnt(1)
	ds_store_b128 v36, v[20:23] offset:512
	; wave barrier
	s_clause 0x1
	global_load_b128 v[16:19], v[24:25], off
	global_load_b128 v[20:23], v[24:25], off offset:512
	ds_load_b128 v[28:31], v37
	ds_load_b128 v[24:27], v37 offset:16
	s_waitcnt vmcnt(1)
	ds_store_b128 v35, v[16:19] offset:2112
	s_waitcnt vmcnt(0)
	ds_store_b128 v38, v[20:23] offset:512
	; wave barrier
	ds_load_b128 v[20:23], v37 offset:2112
	ds_load_b128 v[16:19], v39 offset:16
	s_cbranch_vccnz .LBB115_57
; %bb.56:                               ;   in Loop: Header=BB115_55 Depth=2
	v_mov_b32_e32 v32, s74
	ds_load_b64 v[32:33], v32
	s_cbranch_execz .LBB115_58
	s_branch .LBB115_61
.LBB115_57:                             ;   in Loop: Header=BB115_55 Depth=2
                                        ; implicit-def: $vgpr32
.LBB115_58:                             ;   in Loop: Header=BB115_55 Depth=2
	s_waitcnt lgkmcnt(0)
	v_mov_b32_e32 v33, 0
	s_and_not1_b32 vcc_lo, exec_lo, s33
	s_cbranch_vccnz .LBB115_60
; %bb.59:                               ;   in Loop: Header=BB115_55 Depth=2
	s_mov_b32 s49, s53
	s_delay_alu instid0(SALU_CYCLE_1) | instskip(NEXT) | instid1(SALU_CYCLE_1)
	s_lshl_b64 s[30:31], s[48:49], 2
	s_add_u32 s30, s63, s30
	s_addc_u32 s31, s64, s31
	global_load_b32 v33, v34, s[30:31]
.LBB115_60:                             ;   in Loop: Header=BB115_55 Depth=2
	v_mov_b32_e32 v32, 1.0
.LBB115_61:                             ;   in Loop: Header=BB115_55 Depth=2
	s_waitcnt lgkmcnt(5)
	v_lshrrev_b32_e32 v116, 16, v28
	v_cvt_f32_f16_e32 v28, v28
	v_mul_f32_e32 v137, 0x3fb8aa3b, v115
	v_lshrrev_b32_e32 v115, 16, v29
	v_lshrrev_b32_e32 v117, 16, v30
	v_cvt_f32_f16_e32 v120, v30
	v_mul_f32_e32 v28, v114, v28
	s_waitcnt lgkmcnt(4)
	v_lshrrev_b32_e32 v30, 16, v24
	v_cvt_f32_f16_e32 v118, v115
	v_lshrrev_b32_e32 v115, 16, v31
	v_cvt_f32_f16_e32 v125, v31
	v_cvt_f32_f16_e32 v122, v117
	;; [unrolled: 1-line block ×3, first 2 shown]
	v_lshrrev_b32_e32 v30, 16, v25
	v_cvt_f32_f16_e32 v126, v115
	v_mul_f32_e32 v115, v137, v64
	v_mul_f32_e32 v117, v137, v65
	v_cvt_f32_f16_e32 v116, v116
	v_cvt_f32_f16_e64 v133, v30
	v_lshrrev_b32_e32 v30, 16, v26
	v_cmp_gt_f32_e64 s30, 0xc2fc0000, v115
	v_cvt_f32_f16_e32 v29, v29
	v_mul_f32_e32 v124, v137, v68
	v_cvt_f32_f16_e32 v25, v25
	v_cvt_f32_f16_e64 v135, v30
	v_cndmask_b32_e64 v115, 0, 0x42800000, s30
	v_lshrrev_b32_e32 v30, 16, v27
	s_delay_alu instid0(VALU_DEP_4) | instskip(SKIP_1) | instid1(VALU_DEP_4)
	v_dual_mul_f32 v128, v137, v70 :: v_dual_mul_f32 v25, v104, v25
	v_cvt_f32_f16_e32 v24, v24
	v_fmac_f32_e32 v115, v137, v64
	s_delay_alu instid0(VALU_DEP_4) | instskip(NEXT) | instid1(VALU_DEP_4)
	v_cvt_f32_f16_e64 v140, v30
	v_cmp_gt_f32_e64 s31, 0xc2fc0000, v128
	v_cvt_f32_f16_e32 v27, v27
	v_mul_f32_e32 v122, v109, v122
	v_exp_f32_e32 v119, v115
	v_mul_f32_e32 v31, v137, v63
	v_mul_f32_e32 v115, v137, v66
	v_cndmask_b32_e64 v128, 0, 0x42800000, s31
	v_mul_f32_e32 v131, v137, v73
	v_mul_f32_e32 v138, v137, v75
	v_cmp_gt_f32_e32 vcc_lo, 0xc2fc0000, v31
	v_mul_f32_e32 v139, v137, v76
	v_fmac_f32_e32 v128, v137, v70
	v_cvt_f32_f16_e32 v26, v26
	v_mul_f32_e32 v127, v105, v127
	v_cndmask_b32_e64 v31, 0, 0x42800000, vcc_lo
	v_cndmask_b32_e64 v30, 1.0, 0x1f800000, vcc_lo
	v_cmp_gt_f32_e32 vcc_lo, 0xc2fc0000, v117
	v_mul_f32_e32 v26, v102, v26
	v_exp_f32_e32 v128, v128
	v_fmac_f32_e32 v31, v137, v63
	v_cndmask_b32_e64 v127, 0, v127, s23
	v_cndmask_b32_e64 v117, 0, 0x42800000, vcc_lo
	v_dual_mul_f32 v29, v112, v29 :: v_dual_mul_f32 v24, v106, v24
	s_delay_alu instid0(VALU_DEP_4) | instskip(SKIP_1) | instid1(VALU_DEP_3)
	v_exp_f32_e32 v31, v31
	v_mul_f32_e32 v27, v100, v27
	v_fmac_f32_e32 v117, v137, v65
	s_delay_alu instid0(VALU_DEP_3)
	v_cndmask_b32_e64 v29, 0, v29, s16
	s_waitcnt_depctr 0xfff
	v_mul_f32_e32 v30, v31, v30
	v_cndmask_b32_e64 v31, 0, v28, s14
	v_cndmask_b32_e64 v28, 1.0, 0x1f800000, s30
	v_cmp_gt_f32_e64 s30, 0xc2fc0000, v115
	s_delay_alu instid0(VALU_DEP_4) | instskip(SKIP_1) | instid1(VALU_DEP_4)
	v_cndmask_b32_e64 v115, 1.0, v30, s14
	v_mul_f32_e32 v30, v113, v116
	v_mul_f32_e32 v116, v119, v28
	v_exp_f32_e32 v119, v117
	v_mul_f32_e32 v117, v137, v67
	v_cndmask_b32_e64 v121, 0, 0x42800000, s30
	v_cndmask_b32_e64 v28, 0, v30, s15
	v_cndmask_b32_e64 v30, 1.0, 0x1f800000, vcc_lo
	s_delay_alu instid0(VALU_DEP_4) | instskip(SKIP_3) | instid1(TRANS32_DEP_1)
	v_cmp_gt_f32_e32 vcc_lo, 0xc2fc0000, v117
	v_cndmask_b32_e64 v117, 1.0, v116, s15
	v_cndmask_b32_e64 v116, 1.0, 0x1f800000, s30
	v_cmp_gt_f32_e64 s30, 0xc2fc0000, v124
	v_mul_f32_e32 v30, v119, v30
	v_cndmask_b32_e64 v123, 0, 0x42800000, vcc_lo
	s_delay_alu instid0(VALU_DEP_3) | instskip(SKIP_1) | instid1(VALU_DEP_3)
	v_cndmask_b32_e64 v129, 1.0, 0x1f800000, s30
	v_fmac_f32_e32 v121, v137, v66
	v_fmac_f32_e32 v123, v137, v67
	v_cndmask_b32_e64 v119, 1.0, v30, s16
	v_mul_f32_e32 v30, v111, v118
	v_mul_f32_e32 v124, v137, v69
	v_exp_f32_e32 v121, v121
	v_exp_f32_e32 v118, v123
	v_cndmask_b32_e64 v123, 0, 0x42800000, s30
	v_cndmask_b32_e64 v30, 0, v30, s17
	s_delay_alu instid0(VALU_DEP_2) | instskip(SKIP_2) | instid1(VALU_DEP_1)
	v_fmac_f32_e32 v123, v137, v68
	s_waitcnt_depctr 0xfff
	v_mul_f32_e32 v116, v121, v116
	v_cndmask_b32_e64 v121, 1.0, v116, s17
	v_cndmask_b32_e64 v116, 1.0, 0x1f800000, vcc_lo
	v_cmp_gt_f32_e32 vcc_lo, 0xc2fc0000, v124
	s_delay_alu instid0(VALU_DEP_2) | instskip(SKIP_3) | instid1(VALU_DEP_3)
	v_mul_f32_e32 v118, v118, v116
	v_cndmask_b32_e64 v124, 0, 0x42800000, vcc_lo
	v_mul_f32_e32 v116, v110, v120
	v_exp_f32_e32 v120, v123
	v_cndmask_b32_e64 v123, 1.0, v118, s18
	s_delay_alu instid0(VALU_DEP_3) | instskip(SKIP_3) | instid1(VALU_DEP_4)
	v_fmac_f32_e32 v124, v137, v69
	v_cndmask_b32_e64 v118, 0, v122, s19
	v_cndmask_b32_e64 v122, 1.0, 0x1f800000, vcc_lo
	v_cndmask_b32_e64 v116, 0, v116, s18
	v_exp_f32_e32 v130, v124
	s_delay_alu instid0(TRANS32_DEP_2) | instskip(NEXT) | instid1(VALU_DEP_1)
	v_dual_mul_f32 v120, v120, v129 :: v_dual_mul_f32 v129, v137, v71
	v_cndmask_b32_e64 v124, 1.0, v120, s19
	v_mul_f32_e32 v120, v108, v125
	v_cndmask_b32_e64 v125, 1.0, 0x1f800000, s31
	s_delay_alu instid0(VALU_DEP_4)
	v_cmp_gt_f32_e32 vcc_lo, 0xc2fc0000, v129
	s_waitcnt_depctr 0xfff
	v_mul_f32_e32 v122, v130, v122
	v_mul_f32_e32 v129, v107, v126
	v_cmp_gt_f32_e64 s31, 0xc2fc0000, v131
	v_mul_f32_e32 v125, v128, v125
	v_cndmask_b32_e64 v130, 0, 0x42800000, vcc_lo
	v_mul_f32_e32 v128, v137, v72
	v_mul_f32_e32 v131, v137, v74
	v_cndmask_b32_e64 v126, 1.0, v122, s20
	v_cndmask_b32_e64 v122, 0, v129, s21
	v_fmac_f32_e32 v130, v137, v71
	v_cmp_gt_f32_e64 s30, 0xc2fc0000, v128
	v_cndmask_b32_e64 v129, 1.0, v125, s21
	v_cndmask_b32_e64 v132, 1.0, 0x1f800000, vcc_lo
	v_cmp_gt_f32_e32 vcc_lo, 0xc2fc0000, v131
	v_exp_f32_e32 v125, v130
	v_cndmask_b32_e64 v128, 0, 0x42800000, s30
	v_cndmask_b32_e64 v130, 0, 0x42800000, s31
	v_cndmask_b32_e64 v134, 1.0, 0x1f800000, s30
	v_cndmask_b32_e64 v131, 0, 0x42800000, vcc_lo
	v_cmp_gt_f32_e64 s30, 0xc2fc0000, v139
	v_fmac_f32_e32 v128, v137, v72
	v_fmac_f32_e32 v130, v137, v73
	v_cndmask_b32_e64 v120, 0, v120, s20
	v_fmac_f32_e32 v131, v137, v74
	v_mul_f32_e32 v132, v125, v132
	v_exp_f32_e32 v128, v128
	v_cndmask_b32_e64 v125, 0, v24, s22
	v_exp_f32_e32 v24, v130
	v_exp_f32_e32 v136, v131
	v_cndmask_b32_e64 v130, 1.0, v132, s22
	v_cndmask_b32_e64 v132, 1.0, 0x1f800000, s31
	s_delay_alu instid0(TRANS32_DEP_3)
	v_mul_f32_e32 v128, v128, v134
	v_cndmask_b32_e64 v134, 1.0, 0x1f800000, vcc_lo
	s_waitcnt_depctr 0xfff
	v_mul_f32_e32 v24, v24, v132
	v_cmp_gt_f32_e32 vcc_lo, 0xc2fc0000, v138
	v_fma_f32 v138, v117, v31, v28
	v_cndmask_b32_e64 v131, 1.0, v128, s23
	v_cndmask_b32_e64 v128, 0, v25, s24
	v_cndmask_b32_e64 v132, 1.0, v24, s24
	v_dual_mul_f32 v24, v136, v134 :: v_dual_mul_f32 v25, v103, v133
	v_cndmask_b32_e64 v134, 0, 0x42800000, vcc_lo
	v_mul_f32_e32 v136, v117, v115
	s_delay_alu instid0(VALU_DEP_3) | instskip(NEXT) | instid1(VALU_DEP_4)
	v_cndmask_b32_e64 v139, 1.0, v24, s25
	v_cndmask_b32_e64 v133, 0, v25, s25
	s_delay_alu instid0(VALU_DEP_4) | instskip(NEXT) | instid1(VALU_DEP_4)
	v_fmac_f32_e32 v134, v137, v75
	v_mul_f32_e32 v25, v136, v119
	v_fma_f32 v136, v138, v119, v29
	v_cndmask_b32_e64 v24, 1.0, 0x1f800000, vcc_lo
	v_cndmask_b32_e64 v138, 0, 0x42800000, s30
	v_exp_f32_e32 v134, v134
	v_mul_f32_e32 v25, v25, v121
	v_fma_f32 v136, v136, v121, v30
	s_delay_alu instid0(VALU_DEP_3) | instskip(NEXT) | instid1(VALU_DEP_3)
	v_fmac_f32_e32 v138, v137, v76
	v_mul_f32_e32 v25, v25, v123
	s_delay_alu instid0(VALU_DEP_3) | instskip(NEXT) | instid1(VALU_DEP_3)
	v_fma_f32 v136, v136, v123, v116
	v_exp_f32_e32 v138, v138
	s_delay_alu instid0(TRANS32_DEP_2) | instskip(NEXT) | instid1(VALU_DEP_3)
	v_mul_f32_e32 v24, v134, v24
	v_mul_f32_e32 v25, v25, v124
	s_delay_alu instid0(VALU_DEP_3)
	v_fma_f32 v141, v136, v124, v118
	v_cndmask_b32_e64 v134, 0, v26, s26
	v_cndmask_b32_e64 v26, 1.0, 0x1f800000, s30
	v_cndmask_b32_e64 v136, 1.0, v24, s26
	v_mul_f32_e32 v24, v25, v126
	v_fma_f32 v25, v141, v126, v120
	s_delay_alu instid0(TRANS32_DEP_1) | instid1(VALU_DEP_4)
	v_mul_f32_e32 v26, v138, v26
	s_delay_alu instid0(VALU_DEP_3) | instskip(NEXT) | instid1(VALU_DEP_3)
	v_mul_f32_e32 v24, v24, v129
	v_fma_f32 v25, v25, v129, v122
	s_delay_alu instid0(VALU_DEP_2) | instskip(NEXT) | instid1(VALU_DEP_2)
	v_mul_f32_e32 v24, v24, v130
	v_fma_f32 v25, v25, v130, v125
	s_delay_alu instid0(VALU_DEP_2) | instskip(NEXT) | instid1(VALU_DEP_2)
	;; [unrolled: 3-line block ×3, first 2 shown]
	v_dual_mul_f32 v24, v24, v132 :: v_dual_mul_f32 v141, v137, v77
	v_fma_f32 v25, v25, v132, v128
	s_delay_alu instid0(VALU_DEP_2) | instskip(NEXT) | instid1(VALU_DEP_3)
	v_mul_f32_e32 v24, v24, v139
	v_cmp_gt_f32_e32 vcc_lo, 0xc2fc0000, v141
	v_mul_f32_e32 v141, v137, v87
	s_delay_alu instid0(VALU_DEP_4) | instskip(NEXT) | instid1(VALU_DEP_4)
	v_fma_f32 v25, v25, v139, v133
	v_mul_f32_e32 v24, v24, v136
	v_cndmask_b32_e64 v138, 0, 0x42800000, vcc_lo
	s_delay_alu instid0(VALU_DEP_4) | instskip(NEXT) | instid1(VALU_DEP_4)
	v_cmp_gt_f32_e64 s30, 0xc2fc0000, v141
	v_fma_f32 v25, v25, v136, v134
	s_delay_alu instid0(VALU_DEP_3) | instskip(NEXT) | instid1(VALU_DEP_3)
	v_fmac_f32_e32 v138, v137, v77
	v_cndmask_b32_e64 v141, 0, 0x42800000, s30
	s_delay_alu instid0(VALU_DEP_2) | instskip(NEXT) | instid1(VALU_DEP_1)
	v_exp_f32_e32 v142, v138
	v_fmac_f32_e32 v141, v137, v87
	v_cndmask_b32_e64 v138, 1.0, v26, s27
	v_cndmask_b32_e64 v26, 1.0, 0x1f800000, vcc_lo
	v_mul_f32_e32 v135, v101, v135
	v_cndmask_b32_e64 v137, 0, v27, s28
	v_exp_f32_e32 v143, v141
	v_cndmask_b32_e64 v27, 1.0, 0x1f800000, s30
	v_mul_f32_e32 v24, v24, v138
	s_delay_alu instid0(TRANS32_DEP_2) | instskip(SKIP_1) | instid1(VALU_DEP_2)
	v_mul_f32_e32 v26, v142, v26
	v_cndmask_b32_e64 v135, 0, v135, s27
	v_cndmask_b32_e64 v141, 1.0, v26, s28
	v_mul_f32_e32 v26, v95, v140
	s_delay_alu instid0(TRANS32_DEP_1) | instskip(NEXT) | instid1(VALU_DEP_4)
	v_mul_f32_e32 v27, v143, v27
	v_fma_f32 v25, v25, v138, v135
	s_delay_alu instid0(VALU_DEP_4) | instskip(NEXT) | instid1(VALU_DEP_4)
	v_mul_f32_e32 v24, v24, v141
	v_cndmask_b32_e64 v140, 0, v26, s29
	s_delay_alu instid0(VALU_DEP_4) | instskip(NEXT) | instid1(VALU_DEP_4)
	v_cndmask_b32_e64 v142, 1.0, v27, s29
	v_fma_f32 v25, v25, v141, v137
	s_delay_alu instid0(VALU_DEP_2) | instskip(NEXT) | instid1(VALU_DEP_2)
	v_mul_f32_e32 v24, v24, v142
	v_fma_f32 v25, v25, v142, v140
	s_delay_alu instid0(VALU_DEP_2) | instskip(NEXT) | instid1(VALU_DEP_2)
	v_mov_b32_dpp v27, v24 row_shr:1 row_mask:0xf bank_mask:0xf
	v_mov_b32_dpp v26, v25 row_shr:1 row_mask:0xf bank_mask:0xf
	s_and_saveexec_b32 s30, s2
; %bb.62:                               ;   in Loop: Header=BB115_55 Depth=2
	s_delay_alu instid0(VALU_DEP_2) | instskip(NEXT) | instid1(VALU_DEP_1)
	v_mul_f32_e32 v27, v24, v27
	v_dual_fmac_f32 v25, v24, v26 :: v_dual_mov_b32 v24, v27
; %bb.63:                               ;   in Loop: Header=BB115_55 Depth=2
	s_or_b32 exec_lo, exec_lo, s30
	s_delay_alu instid0(VALU_DEP_1) | instskip(NEXT) | instid1(VALU_DEP_2)
	v_mov_b32_dpp v26, v24 row_shr:2 row_mask:0xf bank_mask:0xf
	v_mov_b32_dpp v27, v25 row_shr:2 row_mask:0xf bank_mask:0xf
	s_and_saveexec_b32 s30, s3
; %bb.64:                               ;   in Loop: Header=BB115_55 Depth=2
	s_delay_alu instid0(VALU_DEP_1) | instskip(NEXT) | instid1(VALU_DEP_3)
	v_fmac_f32_e32 v25, v24, v27
	v_mul_f32_e32 v24, v24, v26
; %bb.65:                               ;   in Loop: Header=BB115_55 Depth=2
	s_or_b32 exec_lo, exec_lo, s30
	s_delay_alu instid0(VALU_DEP_1) | instskip(NEXT) | instid1(VALU_DEP_3)
	v_mov_b32_dpp v26, v24 row_shr:4 row_mask:0xf bank_mask:0xf
	v_mov_b32_dpp v27, v25 row_shr:4 row_mask:0xf bank_mask:0xf
	s_and_saveexec_b32 s30, s4
; %bb.66:                               ;   in Loop: Header=BB115_55 Depth=2
	s_delay_alu instid0(VALU_DEP_1) | instskip(NEXT) | instid1(VALU_DEP_3)
	v_fmac_f32_e32 v25, v24, v27
	v_mul_f32_e32 v24, v24, v26
; %bb.67:                               ;   in Loop: Header=BB115_55 Depth=2
	s_or_b32 exec_lo, exec_lo, s30
	s_delay_alu instid0(VALU_DEP_1) | instskip(NEXT) | instid1(VALU_DEP_3)
	v_mov_b32_dpp v26, v24 row_shr:8 row_mask:0xf bank_mask:0xf
	v_mov_b32_dpp v27, v25 row_shr:8 row_mask:0xf bank_mask:0xf
	s_and_saveexec_b32 s30, s5
; %bb.68:                               ;   in Loop: Header=BB115_55 Depth=2
	s_delay_alu instid0(VALU_DEP_1) | instskip(NEXT) | instid1(VALU_DEP_3)
	v_fmac_f32_e32 v25, v24, v27
	v_mul_f32_e32 v24, v24, v26
; %bb.69:                               ;   in Loop: Header=BB115_55 Depth=2
	s_or_b32 exec_lo, exec_lo, s30
	ds_swizzle_b32 v27, v24 offset:swizzle(BROADCAST,32,15)
	ds_swizzle_b32 v26, v25 offset:swizzle(BROADCAST,32,15)
	s_and_saveexec_b32 s30, s6
	s_cbranch_execz .LBB115_71
; %bb.70:                               ;   in Loop: Header=BB115_55 Depth=2
	s_waitcnt lgkmcnt(1)
	v_mul_f32_e32 v27, v24, v27
	s_waitcnt lgkmcnt(0)
	s_delay_alu instid0(VALU_DEP_1)
	v_dual_fmac_f32 v25, v24, v26 :: v_dual_mov_b32 v24, v27
.LBB115_71:                             ;   in Loop: Header=BB115_55 Depth=2
	s_or_b32 exec_lo, exec_lo, s30
	s_and_saveexec_b32 s30, s7
	s_cbranch_execz .LBB115_73
; %bb.72:                               ;   in Loop: Header=BB115_55 Depth=2
	ds_store_b64 v41, v[24:25] offset:4224
.LBB115_73:                             ;   in Loop: Header=BB115_55 Depth=2
	s_or_b32 exec_lo, exec_lo, s30
	s_waitcnt vmcnt(0) lgkmcnt(0)
	s_waitcnt_vscnt null, 0x0
	s_barrier
	buffer_gl0_inv
	s_and_saveexec_b32 s30, s8
	s_cbranch_execz .LBB115_75
; %bb.74:                               ;   in Loop: Header=BB115_55 Depth=2
	ds_load_b64 v[26:27], v42 offset:4224
	s_waitcnt lgkmcnt(0)
	v_mov_b32_dpp v143, v26 row_shr:1 row_mask:0xf bank_mask:0xf
	v_mov_b32_dpp v144, v27 row_shr:1 row_mask:0xf bank_mask:0xf
	s_delay_alu instid0(VALU_DEP_2) | instskip(NEXT) | instid1(VALU_DEP_2)
	v_mul_f32_e32 v143, v26, v143
	v_fma_f32 v144, v26, v144, v27
	s_delay_alu instid0(VALU_DEP_2) | instskip(NEXT) | instid1(VALU_DEP_2)
	v_cndmask_b32_e64 v26, v143, v26, s9
	v_cndmask_b32_e64 v27, v144, v27, s9
	ds_store_b64 v42, v[26:27] offset:4224
.LBB115_75:                             ;   in Loop: Header=BB115_55 Depth=2
	s_or_b32 exec_lo, exec_lo, s30
	s_waitcnt lgkmcnt(0)
	s_barrier
	buffer_gl0_inv
                                        ; implicit-def: $vgpr27
	s_and_saveexec_b32 s30, s11
	s_cbranch_execz .LBB115_77
; %bb.76:                               ;   in Loop: Header=BB115_55 Depth=2
	ds_load_b64 v[26:27], v41 offset:4216
	s_waitcnt lgkmcnt(0)
	v_mul_f32_e32 v143, v24, v26
	s_delay_alu instid0(VALU_DEP_1)
	v_dual_fmac_f32 v25, v24, v27 :: v_dual_mov_b32 v24, v143
.LBB115_77:                             ;   in Loop: Header=BB115_55 Depth=2
	s_or_b32 exec_lo, exec_lo, s30
	ds_bpermute_b32 v143, v43, v24
	ds_bpermute_b32 v144, v43, v25
	s_and_saveexec_b32 s30, s10
	s_cbranch_execz .LBB115_81
; %bb.78:                               ;   in Loop: Header=BB115_55 Depth=2
	ds_load_b64 v[24:25], v34 offset:4232
	s_and_saveexec_b32 s31, s12
	s_cbranch_execz .LBB115_80
; %bb.79:                               ;   in Loop: Header=BB115_55 Depth=2
	ds_store_b64 v34, v[32:33] offset:4232
.LBB115_80:                             ;   in Loop: Header=BB115_55 Depth=2
	s_or_b32 exec_lo, exec_lo, s31
	s_waitcnt lgkmcnt(0)
	v_fmac_f32_e32 v25, v33, v24
	s_delay_alu instid0(VALU_DEP_1)
	v_dual_mul_f32 v32, v32, v24 :: v_dual_mov_b32 v33, v25
.LBB115_81:                             ;   in Loop: Header=BB115_55 Depth=2
	s_or_b32 exec_lo, exec_lo, s30
	s_waitcnt lgkmcnt(0)
	s_barrier
	buffer_gl0_inv
	ds_load_b32 v24, v34 offset:4236
	s_and_saveexec_b32 s30, s12
	s_cbranch_execz .LBB115_54
; %bb.82:                               ;   in Loop: Header=BB115_55 Depth=2
	v_mov_b32_e32 v25, s74
	s_and_not1_b32 vcc_lo, exec_lo, s72
	ds_store_b64 v25, v[32:33]
	s_cbranch_vccnz .LBB115_54
; %bb.83:                               ;   in Loop: Header=BB115_55 Depth=2
	s_mov_b32 s49, s53
	s_delay_alu instid0(SALU_CYCLE_1) | instskip(NEXT) | instid1(SALU_CYCLE_1)
	s_lshl_b64 s[76:77], s[48:49], 2
	s_add_u32 s76, s63, s76
	s_addc_u32 s77, s64, s77
	global_store_b32 v34, v33, s[76:77]
	s_branch .LBB115_54
.LBB115_84:
	s_nop 0
	s_sendmsg sendmsg(MSG_DEALLOC_VGPRS)
	s_endpgm
	.section	.rodata,"a",@progbits
	.p2align	6, 0x0
	.amdhsa_kernel _Z25selective_scan_fwd_kernelI32Selective_Scan_fwd_kernel_traitsILi64ELi16ELi1ELb1ELb1ELb1ELb0ELb0EN3c104HalfEffEEv13SSMParamsBase
		.amdhsa_group_segment_fixed_size 0
		.amdhsa_private_segment_fixed_size 0
		.amdhsa_kernarg_size 248
		.amdhsa_user_sgpr_count 14
		.amdhsa_user_sgpr_dispatch_ptr 0
		.amdhsa_user_sgpr_queue_ptr 0
		.amdhsa_user_sgpr_kernarg_segment_ptr 1
		.amdhsa_user_sgpr_dispatch_id 0
		.amdhsa_user_sgpr_private_segment_size 0
		.amdhsa_wavefront_size32 1
		.amdhsa_uses_dynamic_stack 0
		.amdhsa_enable_private_segment 0
		.amdhsa_system_sgpr_workgroup_id_x 1
		.amdhsa_system_sgpr_workgroup_id_y 1
		.amdhsa_system_sgpr_workgroup_id_z 0
		.amdhsa_system_sgpr_workgroup_info 0
		.amdhsa_system_vgpr_workitem_id 0
		.amdhsa_next_free_vgpr 145
		.amdhsa_next_free_sgpr 78
		.amdhsa_reserve_vcc 1
		.amdhsa_float_round_mode_32 0
		.amdhsa_float_round_mode_16_64 0
		.amdhsa_float_denorm_mode_32 3
		.amdhsa_float_denorm_mode_16_64 3
		.amdhsa_dx10_clamp 1
		.amdhsa_ieee_mode 1
		.amdhsa_fp16_overflow 0
		.amdhsa_workgroup_processor_mode 1
		.amdhsa_memory_ordered 1
		.amdhsa_forward_progress 0
		.amdhsa_shared_vgpr_count 0
		.amdhsa_exception_fp_ieee_invalid_op 0
		.amdhsa_exception_fp_denorm_src 0
		.amdhsa_exception_fp_ieee_div_zero 0
		.amdhsa_exception_fp_ieee_overflow 0
		.amdhsa_exception_fp_ieee_underflow 0
		.amdhsa_exception_fp_ieee_inexact 0
		.amdhsa_exception_int_div_zero 0
	.end_amdhsa_kernel
	.section	.text._Z25selective_scan_fwd_kernelI32Selective_Scan_fwd_kernel_traitsILi64ELi16ELi1ELb1ELb1ELb1ELb0ELb0EN3c104HalfEffEEv13SSMParamsBase,"axG",@progbits,_Z25selective_scan_fwd_kernelI32Selective_Scan_fwd_kernel_traitsILi64ELi16ELi1ELb1ELb1ELb1ELb0ELb0EN3c104HalfEffEEv13SSMParamsBase,comdat
.Lfunc_end115:
	.size	_Z25selective_scan_fwd_kernelI32Selective_Scan_fwd_kernel_traitsILi64ELi16ELi1ELb1ELb1ELb1ELb0ELb0EN3c104HalfEffEEv13SSMParamsBase, .Lfunc_end115-_Z25selective_scan_fwd_kernelI32Selective_Scan_fwd_kernel_traitsILi64ELi16ELi1ELb1ELb1ELb1ELb0ELb0EN3c104HalfEffEEv13SSMParamsBase
                                        ; -- End function
	.section	.AMDGPU.csdata,"",@progbits
; Kernel info:
; codeLenInByte = 17716
; NumSgprs: 80
; NumVgprs: 145
; ScratchSize: 0
; MemoryBound: 1
; FloatMode: 240
; IeeeMode: 1
; LDSByteSize: 0 bytes/workgroup (compile time only)
; SGPRBlocks: 9
; VGPRBlocks: 18
; NumSGPRsForWavesPerEU: 80
; NumVGPRsForWavesPerEU: 145
; Occupancy: 9
; WaveLimiterHint : 1
; COMPUTE_PGM_RSRC2:SCRATCH_EN: 0
; COMPUTE_PGM_RSRC2:USER_SGPR: 14
; COMPUTE_PGM_RSRC2:TRAP_HANDLER: 0
; COMPUTE_PGM_RSRC2:TGID_X_EN: 1
; COMPUTE_PGM_RSRC2:TGID_Y_EN: 1
; COMPUTE_PGM_RSRC2:TGID_Z_EN: 0
; COMPUTE_PGM_RSRC2:TIDIG_COMP_CNT: 0
	.section	.text._Z25selective_scan_fwd_kernelI32Selective_Scan_fwd_kernel_traitsILi64ELi16ELi1ELb0ELb1ELb1ELb1ELb1EN3c104HalfEffEEv13SSMParamsBase,"axG",@progbits,_Z25selective_scan_fwd_kernelI32Selective_Scan_fwd_kernel_traitsILi64ELi16ELi1ELb0ELb1ELb1ELb1ELb1EN3c104HalfEffEEv13SSMParamsBase,comdat
	.protected	_Z25selective_scan_fwd_kernelI32Selective_Scan_fwd_kernel_traitsILi64ELi16ELi1ELb0ELb1ELb1ELb1ELb1EN3c104HalfEffEEv13SSMParamsBase ; -- Begin function _Z25selective_scan_fwd_kernelI32Selective_Scan_fwd_kernel_traitsILi64ELi16ELi1ELb0ELb1ELb1ELb1ELb1EN3c104HalfEffEEv13SSMParamsBase
	.globl	_Z25selective_scan_fwd_kernelI32Selective_Scan_fwd_kernel_traitsILi64ELi16ELi1ELb0ELb1ELb1ELb1ELb1EN3c104HalfEffEEv13SSMParamsBase
	.p2align	8
	.type	_Z25selective_scan_fwd_kernelI32Selective_Scan_fwd_kernel_traitsILi64ELi16ELi1ELb0ELb1ELb1ELb1ELb1EN3c104HalfEffEEv13SSMParamsBase,@function
_Z25selective_scan_fwd_kernelI32Selective_Scan_fwd_kernel_traitsILi64ELi16ELi1ELb0ELb1ELb1ELb1ELb1EN3c104HalfEffEEv13SSMParamsBase: ; @_Z25selective_scan_fwd_kernelI32Selective_Scan_fwd_kernel_traitsILi64ELi16ELi1ELb0ELb1ELb1ELb1ELb1EN3c104HalfEffEEv13SSMParamsBase
; %bb.0:
	s_clause 0x2
	s_load_b32 s11, s[0:1], 0x18
	s_load_b256 s[36:43], s[0:1], 0xc8
	s_load_b128 s[4:7], s[0:1], 0xe8
	s_mov_b32 s12, s15
	s_ashr_i32 s15, s14, 31
	s_mov_b32 s47, 0
	s_lshl_b64 s[8:9], s[14:15], 2
	s_waitcnt lgkmcnt(0)
	s_abs_i32 s10, s11
	s_add_u32 s2, s42, s8
	v_cvt_f32_u32_e32 v1, s10
	s_addc_u32 s3, s43, s9
	s_cmp_eq_u64 s[6:7], 0
	s_delay_alu instid0(VALU_DEP_1) | instskip(SKIP_2) | instid1(VALU_DEP_1)
	v_rcp_iflag_f32_e32 v1, v1
	s_waitcnt_depctr 0xfff
	v_mul_f32_e32 v1, 0x4f7ffffe, v1
	v_cvt_u32_f32_e32 v1, v1
	s_delay_alu instid0(VALU_DEP_1)
	v_readfirstlane_b32 s33, v1
	s_cbranch_scc1 .LBB116_2
; %bb.1:
	v_mov_b32_e32 v1, 0
	s_add_u32 s6, s6, s14
	s_addc_u32 s7, s7, s15
	global_load_u8 v1, v1, s[6:7]
	s_waitcnt vmcnt(0)
	v_and_b32_e32 v1, 1, v1
	s_delay_alu instid0(VALU_DEP_1)
	v_cmp_eq_u32_e64 s47, 1, v1
.LBB116_2:
	s_load_b64 s[6:7], s[0:1], 0x20
	s_cmp_eq_u64 s[4:5], 0
	s_cbranch_scc1 .LBB116_4
; %bb.3:
	s_add_u32 s4, s4, s8
	s_addc_u32 s5, s5, s9
	s_load_b32 s14, s[4:5], 0x0
	s_waitcnt lgkmcnt(0)
	s_ashr_i32 s15, s14, 31
.LBB116_4:
	s_waitcnt lgkmcnt(0)
	s_cmp_eq_u64 s[6:7], s[14:15]
	s_cbranch_scc1 .LBB116_300
; %bb.5:
	s_load_b512 s[16:31], s[0:1], 0x88
	s_load_b64 s[34:35], s[2:3], 0x0
	s_mov_b32 s66, 0
	s_mov_b32 s67, 0
	s_waitcnt lgkmcnt(0)
	s_cmp_eq_u64 s[22:23], 0
	s_cbranch_scc1 .LBB116_7
; %bb.6:
	s_ashr_i32 s13, s12, 31
	s_delay_alu instid0(SALU_CYCLE_1) | instskip(NEXT) | instid1(SALU_CYCLE_1)
	s_lshl_b64 s[2:3], s[12:13], 2
	s_add_u32 s2, s22, s2
	s_addc_u32 s3, s23, s3
	s_load_b32 s67, s[2:3], 0x0
.LBB116_7:
	s_cmp_eq_u64 s[28:29], 0
	s_cbranch_scc1 .LBB116_9
; %bb.8:
	s_ashr_i32 s13, s12, 31
	s_delay_alu instid0(SALU_CYCLE_1) | instskip(NEXT) | instid1(SALU_CYCLE_1)
	s_lshl_b64 s[2:3], s[12:13], 2
	s_add_u32 s2, s28, s2
	s_addc_u32 s3, s29, s3
	s_load_b32 s66, s[2:3], 0x0
.LBB116_9:
	s_sub_i32 s68, s35, s34
	s_delay_alu instid0(SALU_CYCLE_1)
	s_cmp_lt_i32 s68, 1
	s_cbranch_scc1 .LBB116_300
; %bb.10:
	s_sub_i32 s2, 0, s10
	s_load_b256 s[48:55], s[0:1], 0x4c
	s_mul_i32 s2, s2, s33
	s_abs_i32 s3, s12
	s_mul_hi_u32 s2, s33, s2
	s_ashr_i32 s5, s11, 31
	s_add_i32 s33, s33, s2
	s_ashr_i32 s2, s12, 31
	s_mul_hi_u32 s4, s3, s33
	s_xor_b32 s5, s2, s5
	s_mul_i32 s6, s4, s10
	s_load_b256 s[56:63], s[0:1], 0x2c
	s_sub_i32 s2, s3, s6
	s_add_i32 s3, s4, 1
	s_sub_i32 s6, s2, s10
	s_cmp_ge_u32 s2, s10
	s_mov_b32 s65, 0
	s_cselect_b32 s3, s3, s4
	s_cselect_b32 s2, s6, s2
	s_add_i32 s4, s3, 1
	s_cmp_ge_u32 s2, s10
	s_waitcnt lgkmcnt(0)
	s_mul_i32 s64, s34, s50
	s_cselect_b32 s4, s4, s3
	s_lshl_b64 s[2:3], s[64:65], 1
	s_xor_b32 s4, s4, s5
	s_mul_i32 s64, s51, s12
	s_sub_i32 s6, s4, s5
	s_add_u32 s4, s24, s2
	s_addc_u32 s5, s25, s3
	s_lshl_b64 s[2:3], s[64:65], 1
	s_mul_i32 s64, s34, s52
	s_add_u32 s63, s4, s2
	s_addc_u32 s69, s5, s3
	s_lshl_b64 s[2:3], s[64:65], 1
	s_mul_i32 s64, s53, s12
	;; [unrolled: 4-line block ×3, first 2 shown]
	s_add_u32 s70, s4, s2
	s_addc_u32 s56, s5, s3
	s_load_b64 s[4:5], s[0:1], 0x7c
	v_dual_mov_b32 v21, 0 :: v_dual_lshlrev_b32 v18, 4, v0
	s_lshl_b64 s[2:3], s[64:65], 2
	s_mul_i32 s64, s34, s58
	s_add_u32 s71, s16, s2
	v_mbcnt_lo_u32_b32 v19, -1, 0
	v_and_b32_e32 v1, 0x200, v18
	s_addc_u32 s72, s17, s3
	s_lshl_b64 s[2:3], s[64:65], 1
	s_mul_i32 s64, s6, s61
	s_add_u32 s7, s18, s2
	s_addc_u32 s8, s19, s3
	s_clause 0x3
	s_load_b128 s[16:19], s[0:1], 0x6c
	s_load_b32 s74, s[0:1], 0x84
	s_load_b32 s77, s[0:1], 0xc
	;; [unrolled: 1-line block ×3, first 2 shown]
	v_or_b32_e32 v20, v19, v1
	s_lshl_b64 s[2:3], s[64:65], 1
	s_mul_i32 s64, s34, s62
	s_add_u32 s61, s7, s2
	s_addc_u32 s62, s8, s3
	s_lshl_b64 s[2:3], s[64:65], 1
	s_mul_i32 s64, s6, s49
	v_or_b32_e32 v24, 0x60, v20
	v_and_b32_e32 v14, 32, v0
	s_add_u32 s7, s20, s2
	s_addc_u32 s6, s21, s3
	s_lshl_b64 s[2:3], s[64:65], 1
	s_waitcnt lgkmcnt(0)
	s_mul_i32 s64, s14, s4
	s_add_u32 s49, s7, s2
	s_addc_u32 s73, s6, s3
	s_lshl_b64 s[2:3], s[64:65], 2
	v_or_b32_e32 v26, 0xa0, v20
	v_or_b32_e32 v28, 0xe0, v20
	;; [unrolled: 1-line block ×5, first 2 shown]
	v_lshrrev_b32_e32 v2, 5, v24
	v_or_b32_e32 v36, 0x1e0, v20
	v_or_b32_e32 v16, v19, v14
	s_mul_i32 s64, s5, s12
	s_add_u32 s4, s36, s2
	s_addc_u32 s5, s37, s3
	s_lshl_b64 s[2:3], s[64:65], 2
	v_or_b32_e32 v23, 64, v20
	s_add_u32 s75, s4, s2
	v_or_b32_e32 v25, 0x80, v20
	v_or_b32_e32 v27, 0xc0, v20
	;; [unrolled: 1-line block ×6, first 2 shown]
	v_and_b32_e32 v2, 18, v2
	v_lshrrev_b32_e32 v5, 5, v26
	v_lshrrev_b32_e32 v8, 5, v28
	;; [unrolled: 1-line block ×6, first 2 shown]
	v_lshrrev_b16 v50, 1, v16
	s_addc_u32 s76, s5, s3
	s_add_i32 s2, s68, 0x7ff
	v_lshrrev_b32_e32 v3, 5, v1
	s_lshr_b32 s78, s2, 11
	s_bitcmp1_b32 s0, 0
	v_lshrrev_b32_e32 v4, 5, v23
	v_lshrrev_b32_e32 v6, 5, v25
	v_add_lshl_u32 v2, v2, v20, 1
	v_and_b32_e32 v5, 20, v5
	v_lshrrev_b32_e32 v7, 5, v27
	v_and_b32_e32 v8, 22, v8
	v_lshrrev_b32_e32 v10, 5, v29
	;; [unrolled: 2-line block ×5, first 2 shown]
	v_and_b32_e32 v51, 30, v49
	v_lshlrev_b32_e32 v16, 4, v16
	v_and_b32_e32 v52, 30, v50
	s_cselect_b32 s79, -1, 0
	s_cmp_gt_i32 s77, 0
	v_add_lshl_u32 v3, v3, v20, 1
	s_cselect_b32 s80, -1, 0
	s_add_i32 s0, 0, 0x840
	v_add_lshl_u32 v4, v4, v20, 1
	v_add_lshl_u32 v6, v6, v20, 1
	v_add_nc_u32_e32 v39, 0, v2
	v_add_lshl_u32 v5, v5, v20, 1
	v_add_lshl_u32 v7, v7, v20, 1
	;; [unrolled: 1-line block ×12, first 2 shown]
	v_add_nc_u32_e32 v55, s0, v2
	v_and_b32_e32 v2, 15, v19
	s_and_b32 s1, s68, 0x3ff
	v_add_nc_u32_e32 v51, 0, v67
	v_add_nc_u32_e32 v53, s0, v3
	;; [unrolled: 1-line block ×15, first 2 shown]
	s_cmp_eq_u32 s1, 0
	v_add_nc_u32_e32 v68, s0, v16
	v_cmp_ne_u32_e64 s0, 0, v2
	v_cmp_lt_u32_e64 s1, 1, v2
	v_cmp_lt_u32_e64 s2, 3, v2
	;; [unrolled: 1-line block ×3, first 2 shown]
	v_add_nc_u32_e32 v2, -1, v19
	v_add_nc_u32_e32 v37, 0, v3
	v_lshrrev_b32_e32 v3, 2, v0
	s_mul_i32 s64, s34, s16
	v_add_nc_u32_e32 v41, 0, v5
	v_or_b32_e32 v5, 31, v14
	v_cmp_gt_i32_e32 vcc_lo, 0, v2
	s_cselect_b32 s81, -1, 0
	s_lshl_b64 s[14:15], s[64:65], 1
	v_and_b32_e32 v3, 8, v3
	s_add_i32 s82, s78, -1
	v_cndmask_b32_e32 v2, v2, v19, vcc_lo
	s_mul_i32 s64, s17, s12
	s_add_u32 s13, s30, s14
	s_addc_u32 s16, s31, s15
	s_lshl_b64 s[14:15], s[64:65], 1
	v_cmp_eq_u32_e64 s5, v5, v0
	v_cmp_gt_u32_e64 s6, 2, v0
	v_lshl_add_u32 v70, v0, 3, 0
	v_cmp_gt_u32_e64 s8, 32, v0
	v_cmp_lt_u32_e64 s9, 31, v0
	v_cmp_eq_u32_e64 s10, 0, v0
	s_mul_i32 s64, s34, s54
	v_lshlrev_b32_e32 v0, 1, v19
	s_add_u32 s13, s13, s14
	v_add_nc_u32_e32 v69, 0, v3
	v_and_b32_e32 v3, 1, v19
	s_addc_u32 s16, s16, s15
	s_lshl_b64 s[14:15], s[64:65], 1
	v_add_nc_u32_e32 v38, 0, v4
	v_and_b32_e32 v4, 16, v19
	s_mul_i32 s64, s55, s12
	s_add_u32 s17, s38, s14
	v_lshlrev_b32_e32 v71, 2, v2
	s_addc_u32 s20, s39, s15
	s_lshl_b64 s[14:15], s[64:65], 1
	v_add_co_u32 v2, s13, s13, v0
	s_mul_i32 s64, s34, s18
	v_cmp_eq_u32_e64 s7, 0, v3
	v_add_co_ci_u32_e64 v3, null, s16, 0, s13
	s_add_u32 s16, s17, s14
	v_cmp_ne_u32_e64 s4, 0, v4
	s_addc_u32 s17, s20, s15
	s_lshl_b64 s[14:15], s[64:65], 1
	v_lshlrev_b32_e32 v4, 1, v1
	s_mul_i32 s64, s19, s12
	s_add_u32 s14, s40, s14
	s_addc_u32 s15, s41, s15
	s_lshl_b64 s[12:13], s[64:65], 1
	v_add_co_u32 v72, vcc_lo, v2, v4
	s_add_u32 s12, s14, s12
	v_add_co_u32 v2, s14, s16, v0
	v_add_co_ci_u32_e32 v73, vcc_lo, 0, v3, vcc_lo
	v_add_co_ci_u32_e64 v3, null, s17, 0, s14
	s_addc_u32 s13, s15, s13
	v_add_co_u32 v0, s12, s12, v0
	s_delay_alu instid0(VALU_DEP_1) | instskip(SKIP_2) | instid1(VALU_DEP_4)
	v_add_co_ci_u32_e64 v5, null, s13, 0, s12
	v_add_co_u32 v74, vcc_lo, v2, v4
	v_add_co_ci_u32_e32 v75, vcc_lo, 0, v3, vcc_lo
	v_add_co_u32 v76, vcc_lo, v0, v4
	v_or_b32_e32 v22, 32, v20
	v_add_nc_u32_e32 v40, 0, v6
	v_add_nc_u32_e32 v42, 0, v7
	;; [unrolled: 1-line block ×11, first 2 shown]
	v_cmp_eq_u32_e64 s11, 0, v19
	v_add_co_ci_u32_e32 v77, vcc_lo, 0, v5, vcc_lo
	v_or_b32_e32 v78, 1, v18
	v_or_b32_e32 v79, 2, v18
	;; [unrolled: 1-line block ×15, first 2 shown]
	v_lshlrev_b32_e32 v93, 1, v1
	s_mov_b32 s83, 0x3e9b6dac
	s_add_i32 s84, 0, 0x1090
	s_mov_b32 s85, 0xbfb8aa3b
	s_mov_b32 s86, 0xb2a5705f
	s_mov_b32 s87, 0
	s_branch .LBB116_12
.LBB116_11:                             ;   in Loop: Header=BB116_12 Depth=1
	s_or_b32 exec_lo, exec_lo, s12
	s_add_u32 s70, s70, 0x800
	s_addc_u32 s56, s56, 0
	s_add_u32 s63, s63, 0x800
	s_addc_u32 s69, s69, 0
	;; [unrolled: 2-line block ×4, first 2 shown]
	s_add_i32 s87, s87, 1
	s_delay_alu instid0(SALU_CYCLE_1)
	s_cmp_lg_u32 s87, s78
	s_cbranch_scc0 .LBB116_300
.LBB116_12:                             ; =>This Loop Header: Depth=1
                                        ;     Child Loop BB116_109 Depth 2
	s_waitcnt lgkmcnt(14)
	v_lshlrev_b32_e32 v16, 1, v19
	s_lshl_b32 s50, s87, 10
	s_waitcnt lgkmcnt(0)
	v_mov_b32_e32 v2, 0
	s_sub_i32 s40, s68, s50
	v_add_co_u32 v0, s12, s63, v16
	s_delay_alu instid0(VALU_DEP_1) | instskip(SKIP_1) | instid1(VALU_DEP_3)
	v_add_co_ci_u32_e64 v1, null, s69, 0, s12
	v_cmp_gt_u32_e64 s12, s40, v20
	v_add_co_u32 v0, vcc_lo, v0, v93
	s_delay_alu instid0(VALU_DEP_3)
	v_add_co_ci_u32_e32 v1, vcc_lo, 0, v1, vcc_lo
	s_waitcnt_vscnt null, 0x0
	s_barrier
	buffer_gl0_inv
	s_and_saveexec_b32 s13, s12
	s_cbranch_execz .LBB116_14
; %bb.13:                               ;   in Loop: Header=BB116_12 Depth=1
	global_load_u16 v2, v[0:1], off
.LBB116_14:                             ;   in Loop: Header=BB116_12 Depth=1
	s_or_b32 exec_lo, exec_lo, s13
	v_cmp_gt_u32_e64 s13, s40, v22
	v_dual_mov_b32 v3, 0 :: v_dual_mov_b32 v4, 0
	s_delay_alu instid0(VALU_DEP_2)
	s_and_saveexec_b32 s14, s13
	s_cbranch_execz .LBB116_16
; %bb.15:                               ;   in Loop: Header=BB116_12 Depth=1
	global_load_u16 v4, v[0:1], off offset:64
.LBB116_16:                             ;   in Loop: Header=BB116_12 Depth=1
	s_or_b32 exec_lo, exec_lo, s14
	v_cmp_gt_u32_e64 s14, s40, v23
	s_delay_alu instid0(VALU_DEP_1)
	s_and_saveexec_b32 s15, s14
	s_cbranch_execz .LBB116_18
; %bb.17:                               ;   in Loop: Header=BB116_12 Depth=1
	global_load_u16 v3, v[0:1], off offset:128
.LBB116_18:                             ;   in Loop: Header=BB116_12 Depth=1
	s_or_b32 exec_lo, exec_lo, s15
	v_cmp_gt_u32_e64 s15, s40, v24
	v_dual_mov_b32 v5, 0 :: v_dual_mov_b32 v6, 0
	s_delay_alu instid0(VALU_DEP_2)
	s_and_saveexec_b32 s16, s15
	s_cbranch_execz .LBB116_20
; %bb.19:                               ;   in Loop: Header=BB116_12 Depth=1
	global_load_u16 v6, v[0:1], off offset:192
.LBB116_20:                             ;   in Loop: Header=BB116_12 Depth=1
	s_or_b32 exec_lo, exec_lo, s16
	v_cmp_gt_u32_e64 s16, s40, v25
	s_delay_alu instid0(VALU_DEP_1)
	s_and_saveexec_b32 s17, s16
	s_cbranch_execz .LBB116_22
; %bb.21:                               ;   in Loop: Header=BB116_12 Depth=1
	global_load_u16 v5, v[0:1], off offset:256
.LBB116_22:                             ;   in Loop: Header=BB116_12 Depth=1
	;; [unrolled: 17-line block ×3, first 2 shown]
	s_or_b32 exec_lo, exec_lo, s19
	v_cmp_gt_u32_e64 s19, s40, v28
	v_mov_b32_e32 v9, 0
	v_mov_b32_e32 v11, 0
	s_delay_alu instid0(VALU_DEP_3)
	s_and_saveexec_b32 s20, s19
	s_cbranch_execz .LBB116_28
; %bb.27:                               ;   in Loop: Header=BB116_12 Depth=1
	global_load_u16 v11, v[0:1], off offset:448
.LBB116_28:                             ;   in Loop: Header=BB116_12 Depth=1
	s_or_b32 exec_lo, exec_lo, s20
	v_cmp_gt_u32_e64 s20, s40, v29
	s_delay_alu instid0(VALU_DEP_1)
	s_and_saveexec_b32 s21, s20
	s_cbranch_execz .LBB116_30
; %bb.29:                               ;   in Loop: Header=BB116_12 Depth=1
	global_load_u16 v9, v[0:1], off offset:512
.LBB116_30:                             ;   in Loop: Header=BB116_12 Depth=1
	s_or_b32 exec_lo, exec_lo, s21
	v_cmp_gt_u32_e64 s21, s40, v30
	v_dual_mov_b32 v12, 0 :: v_dual_mov_b32 v13, 0
	s_delay_alu instid0(VALU_DEP_2)
	s_and_saveexec_b32 s22, s21
	s_cbranch_execz .LBB116_32
; %bb.31:                               ;   in Loop: Header=BB116_12 Depth=1
	global_load_u16 v13, v[0:1], off offset:576
.LBB116_32:                             ;   in Loop: Header=BB116_12 Depth=1
	s_or_b32 exec_lo, exec_lo, s22
	v_cmp_gt_u32_e64 s22, s40, v31
	s_delay_alu instid0(VALU_DEP_1)
	s_and_saveexec_b32 s23, s22
	s_cbranch_execz .LBB116_34
; %bb.33:                               ;   in Loop: Header=BB116_12 Depth=1
	global_load_u16 v12, v[0:1], off offset:640
.LBB116_34:                             ;   in Loop: Header=BB116_12 Depth=1
	s_or_b32 exec_lo, exec_lo, s23
	v_cmp_gt_u32_e64 s23, s40, v32
	v_dual_mov_b32 v14, 0 :: v_dual_mov_b32 v15, 0
	s_delay_alu instid0(VALU_DEP_2)
	s_and_saveexec_b32 s24, s23
	s_cbranch_execz .LBB116_36
; %bb.35:                               ;   in Loop: Header=BB116_12 Depth=1
	global_load_u16 v15, v[0:1], off offset:704
.LBB116_36:                             ;   in Loop: Header=BB116_12 Depth=1
	s_or_b32 exec_lo, exec_lo, s24
	v_cmp_gt_u32_e64 s24, s40, v33
	s_delay_alu instid0(VALU_DEP_1)
	s_and_saveexec_b32 s25, s24
	s_cbranch_execz .LBB116_38
; %bb.37:                               ;   in Loop: Header=BB116_12 Depth=1
	global_load_u16 v14, v[0:1], off offset:768
.LBB116_38:                             ;   in Loop: Header=BB116_12 Depth=1
	s_or_b32 exec_lo, exec_lo, s25
	v_cmp_gt_u32_e64 s25, s40, v34
	v_dual_mov_b32 v17, 0 :: v_dual_mov_b32 v94, 0
	s_delay_alu instid0(VALU_DEP_2)
	s_and_saveexec_b32 s26, s25
	s_cbranch_execz .LBB116_40
; %bb.39:                               ;   in Loop: Header=BB116_12 Depth=1
	global_load_u16 v94, v[0:1], off offset:832
.LBB116_40:                             ;   in Loop: Header=BB116_12 Depth=1
	s_or_b32 exec_lo, exec_lo, s26
	v_cmp_gt_u32_e64 s26, s40, v35
	s_delay_alu instid0(VALU_DEP_1)
	s_and_saveexec_b32 s27, s26
	s_cbranch_execz .LBB116_42
; %bb.41:                               ;   in Loop: Header=BB116_12 Depth=1
	global_load_u16 v17, v[0:1], off offset:896
.LBB116_42:                             ;   in Loop: Header=BB116_12 Depth=1
	s_or_b32 exec_lo, exec_lo, s27
	v_cmp_gt_u32_e64 s27, s40, v36
	v_dual_mov_b32 v10, 0 :: v_dual_mov_b32 v95, 0
	s_delay_alu instid0(VALU_DEP_2)
	s_and_saveexec_b32 s28, s27
	s_cbranch_execz .LBB116_44
; %bb.43:                               ;   in Loop: Header=BB116_12 Depth=1
	global_load_u16 v95, v[0:1], off offset:960
.LBB116_44:                             ;   in Loop: Header=BB116_12 Depth=1
	s_or_b32 exec_lo, exec_lo, s28
	s_waitcnt vmcnt(0)
	ds_store_b16 v37, v2
	ds_store_b16 v37, v4 offset:64
	ds_store_b16 v38, v3 offset:128
	;; [unrolled: 1-line block ×15, first 2 shown]
	; wave barrier
	ds_load_b128 v[0:3], v52
	ds_load_b128 v[4:7], v52 offset:16
	v_add_co_u32 v8, s28, s70, v16
	s_delay_alu instid0(VALU_DEP_1) | instskip(SKIP_1) | instid1(VALU_DEP_2)
	v_add_co_ci_u32_e64 v9, null, s56, 0, s28
	s_waitcnt lgkmcnt(0)
	v_add_co_u32 v8, vcc_lo, v8, v93
	s_delay_alu instid0(VALU_DEP_2)
	v_add_co_ci_u32_e32 v9, vcc_lo, 0, v9, vcc_lo
	s_barrier
	buffer_gl0_inv
	s_and_saveexec_b32 s28, s12
	s_cbranch_execz .LBB116_46
; %bb.45:                               ;   in Loop: Header=BB116_12 Depth=1
	global_load_u16 v10, v[8:9], off
.LBB116_46:                             ;   in Loop: Header=BB116_12 Depth=1
	s_or_b32 exec_lo, exec_lo, s28
	v_dual_mov_b32 v11, 0 :: v_dual_mov_b32 v12, 0
	s_and_saveexec_b32 s28, s13
	s_cbranch_execz .LBB116_48
; %bb.47:                               ;   in Loop: Header=BB116_12 Depth=1
	global_load_u16 v12, v[8:9], off offset:64
.LBB116_48:                             ;   in Loop: Header=BB116_12 Depth=1
	s_or_b32 exec_lo, exec_lo, s28
	s_and_saveexec_b32 s28, s14
	s_cbranch_execz .LBB116_50
; %bb.49:                               ;   in Loop: Header=BB116_12 Depth=1
	global_load_u16 v11, v[8:9], off offset:128
.LBB116_50:                             ;   in Loop: Header=BB116_12 Depth=1
	s_or_b32 exec_lo, exec_lo, s28
	v_dual_mov_b32 v13, 0 :: v_dual_mov_b32 v14, 0
	s_and_saveexec_b32 s28, s15
	s_cbranch_execz .LBB116_52
; %bb.51:                               ;   in Loop: Header=BB116_12 Depth=1
	global_load_u16 v14, v[8:9], off offset:192
.LBB116_52:                             ;   in Loop: Header=BB116_12 Depth=1
	s_or_b32 exec_lo, exec_lo, s28
	s_and_saveexec_b32 s28, s16
	s_cbranch_execz .LBB116_54
; %bb.53:                               ;   in Loop: Header=BB116_12 Depth=1
	global_load_u16 v13, v[8:9], off offset:256
.LBB116_54:                             ;   in Loop: Header=BB116_12 Depth=1
	s_or_b32 exec_lo, exec_lo, s28
	v_mov_b32_e32 v15, 0
	v_mov_b32_e32 v17, 0
	s_and_saveexec_b32 s28, s17
	s_cbranch_execz .LBB116_56
; %bb.55:                               ;   in Loop: Header=BB116_12 Depth=1
	global_load_u16 v17, v[8:9], off offset:320
.LBB116_56:                             ;   in Loop: Header=BB116_12 Depth=1
	s_or_b32 exec_lo, exec_lo, s28
	s_and_saveexec_b32 s28, s18
	s_cbranch_execz .LBB116_58
; %bb.57:                               ;   in Loop: Header=BB116_12 Depth=1
	global_load_u16 v15, v[8:9], off offset:384
.LBB116_58:                             ;   in Loop: Header=BB116_12 Depth=1
	s_or_b32 exec_lo, exec_lo, s28
	v_dual_mov_b32 v94, 0 :: v_dual_mov_b32 v95, 0
	s_and_saveexec_b32 s28, s19
	s_cbranch_execz .LBB116_60
; %bb.59:                               ;   in Loop: Header=BB116_12 Depth=1
	global_load_u16 v95, v[8:9], off offset:448
.LBB116_60:                             ;   in Loop: Header=BB116_12 Depth=1
	s_or_b32 exec_lo, exec_lo, s28
	s_and_saveexec_b32 s28, s20
	s_cbranch_execz .LBB116_62
; %bb.61:                               ;   in Loop: Header=BB116_12 Depth=1
	global_load_u16 v94, v[8:9], off offset:512
.LBB116_62:                             ;   in Loop: Header=BB116_12 Depth=1
	s_or_b32 exec_lo, exec_lo, s28
	v_dual_mov_b32 v96, 0 :: v_dual_mov_b32 v97, 0
	s_and_saveexec_b32 s28, s21
	s_cbranch_execz .LBB116_64
; %bb.63:                               ;   in Loop: Header=BB116_12 Depth=1
	global_load_u16 v97, v[8:9], off offset:576
.LBB116_64:                             ;   in Loop: Header=BB116_12 Depth=1
	s_or_b32 exec_lo, exec_lo, s28
	s_and_saveexec_b32 s28, s22
	s_cbranch_execz .LBB116_66
; %bb.65:                               ;   in Loop: Header=BB116_12 Depth=1
	global_load_u16 v96, v[8:9], off offset:640
.LBB116_66:                             ;   in Loop: Header=BB116_12 Depth=1
	s_or_b32 exec_lo, exec_lo, s28
	v_dual_mov_b32 v98, 0 :: v_dual_mov_b32 v99, 0
	s_and_saveexec_b32 s28, s23
	s_cbranch_execz .LBB116_68
; %bb.67:                               ;   in Loop: Header=BB116_12 Depth=1
	global_load_u16 v99, v[8:9], off offset:704
.LBB116_68:                             ;   in Loop: Header=BB116_12 Depth=1
	s_or_b32 exec_lo, exec_lo, s28
	s_and_saveexec_b32 s28, s24
	s_cbranch_execz .LBB116_70
; %bb.69:                               ;   in Loop: Header=BB116_12 Depth=1
	global_load_u16 v98, v[8:9], off offset:768
.LBB116_70:                             ;   in Loop: Header=BB116_12 Depth=1
	s_or_b32 exec_lo, exec_lo, s28
	v_dual_mov_b32 v100, 0 :: v_dual_mov_b32 v101, 0
	s_and_saveexec_b32 s28, s25
	s_cbranch_execnz .LBB116_267
; %bb.71:                               ;   in Loop: Header=BB116_12 Depth=1
	s_or_b32 exec_lo, exec_lo, s28
	s_and_saveexec_b32 s28, s26
	s_cbranch_execnz .LBB116_268
.LBB116_72:                             ;   in Loop: Header=BB116_12 Depth=1
	s_or_b32 exec_lo, exec_lo, s28
	v_mov_b32_e32 v102, 0
	s_and_saveexec_b32 s28, s27
	s_cbranch_execz .LBB116_74
.LBB116_73:                             ;   in Loop: Header=BB116_12 Depth=1
	global_load_u16 v102, v[8:9], off offset:960
.LBB116_74:                             ;   in Loop: Header=BB116_12 Depth=1
	s_or_b32 exec_lo, exec_lo, s28
	s_waitcnt vmcnt(0)
	ds_store_b16 v37, v10
	ds_store_b16 v37, v12 offset:64
	ds_store_b16 v38, v11 offset:128
	;; [unrolled: 1-line block ×15, first 2 shown]
	; wave barrier
	ds_load_b128 v[12:15], v52
	ds_load_b128 v[8:11], v52 offset:16
	s_waitcnt lgkmcnt(1)
	v_cvt_f32_f16_e32 v17, v12
	s_delay_alu instid0(VALU_DEP_1) | instskip(NEXT) | instid1(VALU_DEP_1)
	v_add_f32_e32 v94, s66, v17
	v_cmp_ge_f32_e32 vcc_lo, 0x41a00000, v94
	s_and_b32 s28, s79, vcc_lo
	s_delay_alu instid0(SALU_CYCLE_1)
	s_and_saveexec_b32 s29, s28
	s_cbranch_execz .LBB116_76
; %bb.75:                               ;   in Loop: Header=BB116_12 Depth=1
	v_mul_f32_e32 v17, 0x3fb8aa3b, v94
	v_cmp_ngt_f32_e32 vcc_lo, 0xc2ce8ed0, v94
	s_delay_alu instid0(VALU_DEP_2) | instskip(SKIP_1) | instid1(VALU_DEP_1)
	v_rndne_f32_e32 v95, v17
	v_fma_f32 v96, 0x3fb8aa3b, v94, -v17
	v_dual_sub_f32 v17, v17, v95 :: v_dual_fmac_f32 v96, 0x32a5705f, v94
	v_cvt_i32_f32_e32 v95, v95
	s_delay_alu instid0(VALU_DEP_2) | instskip(NEXT) | instid1(VALU_DEP_1)
	v_add_f32_e32 v17, v17, v96
	v_exp_f32_e32 v17, v17
	s_waitcnt_depctr 0xfff
	v_ldexp_f32 v17, v17, v95
	s_delay_alu instid0(VALU_DEP_1) | instskip(SKIP_1) | instid1(VALU_DEP_2)
	v_cndmask_b32_e32 v17, 0, v17, vcc_lo
	v_cmp_nlt_f32_e32 vcc_lo, 0x42b17218, v94
	v_cndmask_b32_e32 v17, 0x7f800000, v17, vcc_lo
	s_delay_alu instid0(VALU_DEP_1) | instskip(NEXT) | instid1(VALU_DEP_1)
	v_add_f32_e32 v96, 1.0, v17
	v_cvt_f64_f32_e32 v[94:95], v96
	s_delay_alu instid0(VALU_DEP_1) | instskip(SKIP_1) | instid1(VALU_DEP_1)
	v_frexp_exp_i32_f64_e32 v94, v[94:95]
	v_frexp_mant_f32_e32 v95, v96
	v_cmp_gt_f32_e32 vcc_lo, 0x3f2aaaab, v95
	v_add_f32_e32 v95, -1.0, v96
	s_delay_alu instid0(VALU_DEP_1) | instskip(NEXT) | instid1(VALU_DEP_1)
	v_dual_sub_f32 v98, v95, v96 :: v_dual_sub_f32 v95, v17, v95
	v_add_f32_e32 v98, 1.0, v98
	v_subrev_co_ci_u32_e32 v94, vcc_lo, 0, v94, vcc_lo
	s_delay_alu instid0(VALU_DEP_1) | instskip(SKIP_1) | instid1(VALU_DEP_2)
	v_sub_nc_u32_e32 v97, 0, v94
	v_cvt_f32_i32_e32 v94, v94
	v_ldexp_f32 v96, v96, v97
	v_add_f32_e32 v95, v95, v98
	s_delay_alu instid0(VALU_DEP_1) | instskip(NEXT) | instid1(VALU_DEP_3)
	v_ldexp_f32 v95, v95, v97
	v_add_f32_e32 v99, 1.0, v96
	s_delay_alu instid0(VALU_DEP_1) | instskip(NEXT) | instid1(VALU_DEP_1)
	v_add_f32_e32 v98, -1.0, v99
	v_sub_f32_e32 v98, v96, v98
	v_cmp_eq_f32_e32 vcc_lo, 0x7f800000, v17
	v_cmp_gt_f32_e64 s28, 0x33800000, v17
	s_delay_alu instid0(VALU_DEP_3) | instskip(NEXT) | instid1(VALU_DEP_2)
	v_dual_add_f32 v98, v95, v98 :: v_dual_add_f32 v97, -1.0, v96
	s_or_b32 vcc_lo, s28, vcc_lo
	s_delay_alu instid0(VALU_DEP_1) | instskip(NEXT) | instid1(VALU_DEP_1)
	v_add_f32_e32 v100, 1.0, v97
	v_sub_f32_e32 v96, v96, v100
	s_delay_alu instid0(VALU_DEP_3) | instskip(NEXT) | instid1(VALU_DEP_1)
	v_add_f32_e32 v100, v99, v98
	v_sub_f32_e32 v99, v99, v100
	s_delay_alu instid0(VALU_DEP_3) | instskip(SKIP_1) | instid1(VALU_DEP_2)
	v_add_f32_e32 v95, v95, v96
	v_rcp_f32_e32 v96, v100
	v_add_f32_e32 v98, v98, v99
	s_delay_alu instid0(VALU_DEP_2) | instskip(NEXT) | instid1(VALU_DEP_1)
	v_add_f32_e32 v101, v97, v95
	v_sub_f32_e32 v97, v97, v101
	s_waitcnt_depctr 0xfff
	v_dual_mul_f32 v102, v101, v96 :: v_dual_add_f32 v95, v95, v97
	s_delay_alu instid0(VALU_DEP_1) | instskip(NEXT) | instid1(VALU_DEP_1)
	v_mul_f32_e32 v103, v100, v102
	v_fma_f32 v99, v102, v100, -v103
	s_delay_alu instid0(VALU_DEP_1) | instskip(NEXT) | instid1(VALU_DEP_1)
	v_fmac_f32_e32 v99, v102, v98
	v_add_f32_e32 v104, v103, v99
	s_delay_alu instid0(VALU_DEP_1) | instskip(NEXT) | instid1(VALU_DEP_1)
	v_sub_f32_e32 v105, v101, v104
	v_sub_f32_e32 v101, v101, v105
	;; [unrolled: 1-line block ×3, first 2 shown]
	s_delay_alu instid0(VALU_DEP_2) | instskip(NEXT) | instid1(VALU_DEP_2)
	v_sub_f32_e32 v101, v101, v104
	v_sub_f32_e32 v97, v97, v99
	s_delay_alu instid0(VALU_DEP_2) | instskip(NEXT) | instid1(VALU_DEP_1)
	v_add_f32_e32 v95, v95, v101
	v_add_f32_e32 v95, v97, v95
	s_delay_alu instid0(VALU_DEP_1) | instskip(NEXT) | instid1(VALU_DEP_1)
	v_add_f32_e32 v97, v105, v95
	v_mul_f32_e32 v99, v96, v97
	s_delay_alu instid0(VALU_DEP_1) | instskip(NEXT) | instid1(VALU_DEP_1)
	v_dual_sub_f32 v104, v105, v97 :: v_dual_mul_f32 v101, v100, v99
	v_add_f32_e32 v95, v95, v104
	s_delay_alu instid0(VALU_DEP_2) | instskip(NEXT) | instid1(VALU_DEP_1)
	v_fma_f32 v100, v99, v100, -v101
	v_fmac_f32_e32 v100, v99, v98
	s_delay_alu instid0(VALU_DEP_1) | instskip(NEXT) | instid1(VALU_DEP_1)
	v_add_f32_e32 v98, v101, v100
	v_sub_f32_e32 v103, v97, v98
	v_sub_f32_e32 v101, v98, v101
	s_delay_alu instid0(VALU_DEP_2) | instskip(NEXT) | instid1(VALU_DEP_1)
	v_sub_f32_e32 v97, v97, v103
	v_sub_f32_e32 v97, v97, v98
	s_delay_alu instid0(VALU_DEP_1) | instskip(SKIP_1) | instid1(VALU_DEP_1)
	v_dual_sub_f32 v98, v101, v100 :: v_dual_add_f32 v95, v95, v97
	v_add_f32_e32 v97, v102, v99
	v_dual_add_f32 v95, v98, v95 :: v_dual_sub_f32 v98, v97, v102
	s_delay_alu instid0(VALU_DEP_1) | instskip(NEXT) | instid1(VALU_DEP_1)
	v_add_f32_e32 v95, v103, v95
	v_dual_sub_f32 v98, v99, v98 :: v_dual_mul_f32 v95, v96, v95
	s_delay_alu instid0(VALU_DEP_1) | instskip(NEXT) | instid1(VALU_DEP_1)
	v_add_f32_e32 v95, v98, v95
	v_add_f32_e32 v96, v97, v95
	s_delay_alu instid0(VALU_DEP_1) | instskip(NEXT) | instid1(VALU_DEP_1)
	v_mul_f32_e32 v98, v96, v96
	v_fmaak_f32 v99, s83, v98, 0x3ecc95a3
	v_mul_f32_e32 v100, v96, v98
	s_delay_alu instid0(VALU_DEP_2) | instskip(SKIP_2) | instid1(VALU_DEP_3)
	v_fmaak_f32 v98, v98, v99, 0x3f2aaada
	v_ldexp_f32 v99, v96, 1
	v_sub_f32_e32 v96, v96, v97
	v_mul_f32_e32 v98, v100, v98
	s_delay_alu instid0(VALU_DEP_2) | instskip(NEXT) | instid1(VALU_DEP_2)
	v_dual_mul_f32 v100, 0x3f317218, v94 :: v_dual_sub_f32 v95, v95, v96
	v_add_f32_e32 v97, v99, v98
	s_delay_alu instid0(VALU_DEP_2) | instskip(NEXT) | instid1(VALU_DEP_2)
	v_ldexp_f32 v95, v95, 1
	v_sub_f32_e32 v96, v97, v99
	s_delay_alu instid0(VALU_DEP_4) | instskip(NEXT) | instid1(VALU_DEP_1)
	v_fma_f32 v99, 0x3f317218, v94, -v100
	v_dual_sub_f32 v96, v98, v96 :: v_dual_fmac_f32 v99, 0xb102e308, v94
	s_delay_alu instid0(VALU_DEP_1) | instskip(NEXT) | instid1(VALU_DEP_1)
	v_dual_add_f32 v94, v95, v96 :: v_dual_add_f32 v95, v100, v99
	v_add_f32_e32 v96, v97, v94
	s_delay_alu instid0(VALU_DEP_2) | instskip(NEXT) | instid1(VALU_DEP_2)
	v_sub_f32_e32 v100, v95, v100
	v_dual_add_f32 v98, v95, v96 :: v_dual_sub_f32 v97, v96, v97
	s_delay_alu instid0(VALU_DEP_2) | instskip(NEXT) | instid1(VALU_DEP_2)
	v_sub_f32_e32 v99, v99, v100
	v_sub_f32_e32 v101, v98, v95
	s_delay_alu instid0(VALU_DEP_3) | instskip(NEXT) | instid1(VALU_DEP_2)
	v_sub_f32_e32 v94, v94, v97
	v_sub_f32_e32 v102, v98, v101
	s_delay_alu instid0(VALU_DEP_2) | instskip(NEXT) | instid1(VALU_DEP_2)
	v_dual_sub_f32 v96, v96, v101 :: v_dual_add_f32 v97, v99, v94
	v_sub_f32_e32 v95, v95, v102
	s_delay_alu instid0(VALU_DEP_1) | instskip(NEXT) | instid1(VALU_DEP_3)
	v_add_f32_e32 v95, v96, v95
	v_sub_f32_e32 v96, v97, v99
	s_delay_alu instid0(VALU_DEP_2) | instskip(NEXT) | instid1(VALU_DEP_2)
	v_add_f32_e32 v95, v97, v95
	v_sub_f32_e32 v97, v97, v96
	v_sub_f32_e32 v94, v94, v96
	s_delay_alu instid0(VALU_DEP_2) | instskip(NEXT) | instid1(VALU_DEP_1)
	v_dual_add_f32 v100, v98, v95 :: v_dual_sub_f32 v97, v99, v97
	v_sub_f32_e32 v96, v100, v98
	s_delay_alu instid0(VALU_DEP_1) | instskip(NEXT) | instid1(VALU_DEP_1)
	v_dual_add_f32 v94, v94, v97 :: v_dual_sub_f32 v95, v95, v96
	v_add_f32_e32 v94, v94, v95
	s_delay_alu instid0(VALU_DEP_1) | instskip(NEXT) | instid1(VALU_DEP_1)
	v_add_f32_e32 v94, v100, v94
	v_cndmask_b32_e32 v94, v94, v17, vcc_lo
.LBB116_76:                             ;   in Loop: Header=BB116_12 Depth=1
	s_or_b32 exec_lo, exec_lo, s29
	v_lshrrev_b32_e32 v12, 16, v12
	s_delay_alu instid0(VALU_DEP_1) | instskip(NEXT) | instid1(VALU_DEP_1)
	v_cvt_f32_f16_e32 v12, v12
	v_add_f32_e32 v95, s66, v12
	s_delay_alu instid0(VALU_DEP_1) | instskip(SKIP_1) | instid1(SALU_CYCLE_1)
	v_cmp_ge_f32_e32 vcc_lo, 0x41a00000, v95
	s_and_b32 s28, s79, vcc_lo
	s_and_saveexec_b32 s29, s28
	s_cbranch_execz .LBB116_78
; %bb.77:                               ;   in Loop: Header=BB116_12 Depth=1
	v_mul_f32_e32 v12, 0x3fb8aa3b, v95
	v_cmp_ngt_f32_e32 vcc_lo, 0xc2ce8ed0, v95
	s_delay_alu instid0(VALU_DEP_2) | instskip(SKIP_1) | instid1(VALU_DEP_2)
	v_rndne_f32_e32 v17, v12
	v_fma_f32 v96, 0x3fb8aa3b, v95, -v12
	v_sub_f32_e32 v12, v12, v17
	s_delay_alu instid0(VALU_DEP_2) | instskip(SKIP_1) | instid1(VALU_DEP_2)
	v_fmac_f32_e32 v96, 0x32a5705f, v95
	v_cvt_i32_f32_e32 v17, v17
	v_add_f32_e32 v12, v12, v96
	s_delay_alu instid0(VALU_DEP_1) | instskip(SKIP_2) | instid1(VALU_DEP_1)
	v_exp_f32_e32 v12, v12
	s_waitcnt_depctr 0xfff
	v_ldexp_f32 v12, v12, v17
	v_cndmask_b32_e32 v12, 0, v12, vcc_lo
	v_cmp_nlt_f32_e32 vcc_lo, 0x42b17218, v95
	s_delay_alu instid0(VALU_DEP_2) | instskip(NEXT) | instid1(VALU_DEP_1)
	v_cndmask_b32_e32 v12, 0x7f800000, v12, vcc_lo
	v_add_f32_e32 v17, 1.0, v12
	s_delay_alu instid0(VALU_DEP_1) | instskip(NEXT) | instid1(VALU_DEP_1)
	v_cvt_f64_f32_e32 v[95:96], v17
	v_frexp_exp_i32_f64_e32 v95, v[95:96]
	v_frexp_mant_f32_e32 v96, v17
	s_delay_alu instid0(VALU_DEP_1) | instskip(SKIP_1) | instid1(VALU_DEP_1)
	v_cmp_gt_f32_e32 vcc_lo, 0x3f2aaaab, v96
	v_add_f32_e32 v96, -1.0, v17
	v_sub_f32_e32 v98, v96, v17
	v_sub_f32_e32 v96, v12, v96
	s_delay_alu instid0(VALU_DEP_2) | instskip(NEXT) | instid1(VALU_DEP_1)
	v_add_f32_e32 v98, 1.0, v98
	v_add_f32_e32 v96, v96, v98
	v_subrev_co_ci_u32_e32 v95, vcc_lo, 0, v95, vcc_lo
	s_delay_alu instid0(VALU_DEP_1) | instskip(SKIP_1) | instid1(VALU_DEP_2)
	v_sub_nc_u32_e32 v97, 0, v95
	v_cvt_f32_i32_e32 v95, v95
	v_ldexp_f32 v17, v17, v97
	v_ldexp_f32 v96, v96, v97
	s_delay_alu instid0(VALU_DEP_2) | instskip(NEXT) | instid1(VALU_DEP_1)
	v_add_f32_e32 v99, 1.0, v17
	v_dual_add_f32 v97, -1.0, v17 :: v_dual_add_f32 v98, -1.0, v99
	s_delay_alu instid0(VALU_DEP_1) | instskip(NEXT) | instid1(VALU_DEP_2)
	v_add_f32_e32 v100, 1.0, v97
	v_sub_f32_e32 v98, v17, v98
	s_delay_alu instid0(VALU_DEP_2) | instskip(NEXT) | instid1(VALU_DEP_1)
	v_sub_f32_e32 v17, v17, v100
	v_add_f32_e32 v17, v96, v17
	s_delay_alu instid0(VALU_DEP_1) | instskip(SKIP_2) | instid1(VALU_DEP_3)
	v_add_f32_e32 v101, v97, v17
	v_cmp_eq_f32_e32 vcc_lo, 0x7f800000, v12
	v_cmp_gt_f32_e64 s28, 0x33800000, v12
	v_dual_sub_f32 v97, v97, v101 :: v_dual_add_f32 v98, v96, v98
	s_delay_alu instid0(VALU_DEP_2) | instskip(NEXT) | instid1(VALU_DEP_1)
	s_or_b32 vcc_lo, s28, vcc_lo
	v_dual_add_f32 v17, v17, v97 :: v_dual_add_f32 v100, v99, v98
	s_delay_alu instid0(VALU_DEP_1) | instskip(SKIP_1) | instid1(VALU_DEP_1)
	v_rcp_f32_e32 v96, v100
	v_sub_f32_e32 v99, v99, v100
	v_add_f32_e32 v98, v98, v99
	s_waitcnt_depctr 0xfff
	v_mul_f32_e32 v102, v101, v96
	s_delay_alu instid0(VALU_DEP_1) | instskip(NEXT) | instid1(VALU_DEP_1)
	v_mul_f32_e32 v103, v100, v102
	v_fma_f32 v99, v102, v100, -v103
	s_delay_alu instid0(VALU_DEP_1) | instskip(NEXT) | instid1(VALU_DEP_1)
	v_fmac_f32_e32 v99, v102, v98
	v_add_f32_e32 v104, v103, v99
	s_delay_alu instid0(VALU_DEP_1) | instskip(SKIP_1) | instid1(VALU_DEP_2)
	v_sub_f32_e32 v105, v101, v104
	v_sub_f32_e32 v97, v104, v103
	;; [unrolled: 1-line block ×3, first 2 shown]
	s_delay_alu instid0(VALU_DEP_2) | instskip(NEXT) | instid1(VALU_DEP_2)
	v_sub_f32_e32 v97, v97, v99
	v_sub_f32_e32 v101, v101, v104
	s_delay_alu instid0(VALU_DEP_1) | instskip(NEXT) | instid1(VALU_DEP_1)
	v_add_f32_e32 v17, v17, v101
	v_add_f32_e32 v17, v97, v17
	s_delay_alu instid0(VALU_DEP_1) | instskip(NEXT) | instid1(VALU_DEP_1)
	v_add_f32_e32 v97, v105, v17
	v_mul_f32_e32 v99, v96, v97
	s_delay_alu instid0(VALU_DEP_1) | instskip(NEXT) | instid1(VALU_DEP_1)
	v_mul_f32_e32 v101, v100, v99
	v_fma_f32 v100, v99, v100, -v101
	s_delay_alu instid0(VALU_DEP_1) | instskip(SKIP_1) | instid1(VALU_DEP_2)
	v_fmac_f32_e32 v100, v99, v98
	v_sub_f32_e32 v104, v105, v97
	v_add_f32_e32 v98, v101, v100
	s_delay_alu instid0(VALU_DEP_2) | instskip(NEXT) | instid1(VALU_DEP_2)
	v_add_f32_e32 v17, v17, v104
	v_sub_f32_e32 v103, v97, v98
	s_delay_alu instid0(VALU_DEP_1) | instskip(NEXT) | instid1(VALU_DEP_1)
	v_sub_f32_e32 v97, v97, v103
	v_sub_f32_e32 v97, v97, v98
	s_delay_alu instid0(VALU_DEP_1) | instskip(SKIP_2) | instid1(VALU_DEP_1)
	v_add_f32_e32 v17, v17, v97
	v_add_f32_e32 v97, v102, v99
	v_sub_f32_e32 v101, v98, v101
	v_sub_f32_e32 v98, v101, v100
	s_delay_alu instid0(VALU_DEP_1) | instskip(NEXT) | instid1(VALU_DEP_1)
	v_dual_add_f32 v17, v98, v17 :: v_dual_sub_f32 v98, v97, v102
	v_add_f32_e32 v17, v103, v17
	s_delay_alu instid0(VALU_DEP_1) | instskip(NEXT) | instid1(VALU_DEP_1)
	v_dual_sub_f32 v98, v99, v98 :: v_dual_mul_f32 v17, v96, v17
	v_add_f32_e32 v17, v98, v17
	s_delay_alu instid0(VALU_DEP_1) | instskip(NEXT) | instid1(VALU_DEP_1)
	v_add_f32_e32 v96, v97, v17
	v_mul_f32_e32 v98, v96, v96
	s_delay_alu instid0(VALU_DEP_1) | instskip(SKIP_1) | instid1(VALU_DEP_2)
	v_fmaak_f32 v99, s83, v98, 0x3ecc95a3
	v_mul_f32_e32 v100, v96, v98
	v_fmaak_f32 v98, v98, v99, 0x3f2aaada
	v_ldexp_f32 v99, v96, 1
	s_delay_alu instid0(VALU_DEP_2) | instskip(SKIP_1) | instid1(VALU_DEP_2)
	v_mul_f32_e32 v98, v100, v98
	v_sub_f32_e32 v96, v96, v97
	v_dual_mul_f32 v100, 0x3f317218, v95 :: v_dual_add_f32 v97, v99, v98
	s_delay_alu instid0(VALU_DEP_2) | instskip(NEXT) | instid1(VALU_DEP_2)
	v_sub_f32_e32 v17, v17, v96
	v_sub_f32_e32 v96, v97, v99
	s_delay_alu instid0(VALU_DEP_3) | instskip(NEXT) | instid1(VALU_DEP_3)
	v_fma_f32 v99, 0x3f317218, v95, -v100
	v_ldexp_f32 v17, v17, 1
	s_delay_alu instid0(VALU_DEP_2) | instskip(NEXT) | instid1(VALU_DEP_1)
	v_dual_sub_f32 v96, v98, v96 :: v_dual_fmac_f32 v99, 0xb102e308, v95
	v_add_f32_e32 v17, v17, v96
	s_delay_alu instid0(VALU_DEP_1) | instskip(NEXT) | instid1(VALU_DEP_1)
	v_dual_add_f32 v95, v100, v99 :: v_dual_add_f32 v96, v97, v17
	v_sub_f32_e32 v100, v95, v100
	s_delay_alu instid0(VALU_DEP_2) | instskip(NEXT) | instid1(VALU_DEP_2)
	v_dual_add_f32 v98, v95, v96 :: v_dual_sub_f32 v97, v96, v97
	v_sub_f32_e32 v99, v99, v100
	s_delay_alu instid0(VALU_DEP_2) | instskip(NEXT) | instid1(VALU_DEP_1)
	v_sub_f32_e32 v101, v98, v95
	v_sub_f32_e32 v102, v98, v101
	;; [unrolled: 1-line block ×4, first 2 shown]
	s_delay_alu instid0(VALU_DEP_1) | instskip(NEXT) | instid1(VALU_DEP_4)
	v_add_f32_e32 v97, v99, v17
	v_sub_f32_e32 v95, v95, v102
	s_delay_alu instid0(VALU_DEP_1) | instskip(NEXT) | instid1(VALU_DEP_3)
	v_add_f32_e32 v95, v96, v95
	v_sub_f32_e32 v96, v97, v99
	s_delay_alu instid0(VALU_DEP_2) | instskip(NEXT) | instid1(VALU_DEP_2)
	v_add_f32_e32 v95, v97, v95
	v_sub_f32_e32 v97, v97, v96
	s_delay_alu instid0(VALU_DEP_2) | instskip(NEXT) | instid1(VALU_DEP_1)
	v_dual_sub_f32 v17, v17, v96 :: v_dual_add_f32 v100, v98, v95
	v_dual_sub_f32 v96, v100, v98 :: v_dual_sub_f32 v97, v99, v97
	s_delay_alu instid0(VALU_DEP_1) | instskip(NEXT) | instid1(VALU_DEP_2)
	v_sub_f32_e32 v95, v95, v96
	v_add_f32_e32 v17, v17, v97
	s_delay_alu instid0(VALU_DEP_1) | instskip(NEXT) | instid1(VALU_DEP_1)
	v_add_f32_e32 v17, v17, v95
	v_add_f32_e32 v17, v100, v17
	s_delay_alu instid0(VALU_DEP_1)
	v_cndmask_b32_e32 v95, v17, v12, vcc_lo
.LBB116_78:                             ;   in Loop: Header=BB116_12 Depth=1
	s_or_b32 exec_lo, exec_lo, s29
	v_cvt_f32_f16_e32 v12, v13
	s_delay_alu instid0(VALU_DEP_1) | instskip(NEXT) | instid1(VALU_DEP_1)
	v_add_f32_e32 v96, s66, v12
	v_cmp_ge_f32_e32 vcc_lo, 0x41a00000, v96
	s_and_b32 s28, s79, vcc_lo
	s_delay_alu instid0(SALU_CYCLE_1)
	s_and_saveexec_b32 s29, s28
	s_cbranch_execz .LBB116_80
; %bb.79:                               ;   in Loop: Header=BB116_12 Depth=1
	v_mul_f32_e32 v12, 0x3fb8aa3b, v96
	v_cmp_ngt_f32_e32 vcc_lo, 0xc2ce8ed0, v96
	s_delay_alu instid0(VALU_DEP_2) | instskip(SKIP_1) | instid1(VALU_DEP_1)
	v_rndne_f32_e32 v17, v12
	v_fma_f32 v97, 0x3fb8aa3b, v96, -v12
	v_dual_sub_f32 v12, v12, v17 :: v_dual_fmac_f32 v97, 0x32a5705f, v96
	v_cvt_i32_f32_e32 v17, v17
	s_delay_alu instid0(VALU_DEP_2) | instskip(NEXT) | instid1(VALU_DEP_1)
	v_add_f32_e32 v12, v12, v97
	v_exp_f32_e32 v12, v12
	s_waitcnt_depctr 0xfff
	v_ldexp_f32 v12, v12, v17
	s_delay_alu instid0(VALU_DEP_1) | instskip(SKIP_1) | instid1(VALU_DEP_2)
	v_cndmask_b32_e32 v12, 0, v12, vcc_lo
	v_cmp_nlt_f32_e32 vcc_lo, 0x42b17218, v96
	v_cndmask_b32_e32 v12, 0x7f800000, v12, vcc_lo
	s_delay_alu instid0(VALU_DEP_1) | instskip(NEXT) | instid1(VALU_DEP_1)
	v_add_f32_e32 v17, 1.0, v12
	v_cvt_f64_f32_e32 v[96:97], v17
	s_delay_alu instid0(VALU_DEP_1) | instskip(SKIP_1) | instid1(VALU_DEP_1)
	v_frexp_exp_i32_f64_e32 v96, v[96:97]
	v_frexp_mant_f32_e32 v97, v17
	v_cmp_gt_f32_e32 vcc_lo, 0x3f2aaaab, v97
	v_add_f32_e32 v97, -1.0, v17
	s_delay_alu instid0(VALU_DEP_1) | instskip(SKIP_1) | instid1(VALU_DEP_2)
	v_sub_f32_e32 v99, v97, v17
	v_sub_f32_e32 v97, v12, v97
	v_add_f32_e32 v99, 1.0, v99
	s_delay_alu instid0(VALU_DEP_1) | instskip(SKIP_3) | instid1(VALU_DEP_2)
	v_add_f32_e32 v97, v97, v99
	v_cmp_gt_f32_e64 s28, 0x33800000, v12
	v_subrev_co_ci_u32_e32 v96, vcc_lo, 0, v96, vcc_lo
	v_cmp_eq_f32_e32 vcc_lo, 0x7f800000, v12
	v_sub_nc_u32_e32 v98, 0, v96
	v_cvt_f32_i32_e32 v96, v96
	s_or_b32 vcc_lo, s28, vcc_lo
	s_delay_alu instid0(VALU_DEP_2) | instskip(SKIP_1) | instid1(VALU_DEP_2)
	v_ldexp_f32 v17, v17, v98
	v_ldexp_f32 v97, v97, v98
	v_add_f32_e32 v100, 1.0, v17
	s_delay_alu instid0(VALU_DEP_1) | instskip(NEXT) | instid1(VALU_DEP_1)
	v_dual_add_f32 v98, -1.0, v17 :: v_dual_add_f32 v99, -1.0, v100
	v_add_f32_e32 v101, 1.0, v98
	s_delay_alu instid0(VALU_DEP_2) | instskip(NEXT) | instid1(VALU_DEP_2)
	v_sub_f32_e32 v99, v17, v99
	v_sub_f32_e32 v17, v17, v101
	s_delay_alu instid0(VALU_DEP_1) | instskip(NEXT) | instid1(VALU_DEP_1)
	v_add_f32_e32 v17, v97, v17
	v_dual_add_f32 v102, v98, v17 :: v_dual_add_f32 v99, v97, v99
	s_delay_alu instid0(VALU_DEP_1) | instskip(NEXT) | instid1(VALU_DEP_1)
	v_dual_sub_f32 v98, v98, v102 :: v_dual_add_f32 v101, v100, v99
	v_rcp_f32_e32 v97, v101
	v_sub_f32_e32 v100, v100, v101
	s_delay_alu instid0(VALU_DEP_1) | instskip(SKIP_2) | instid1(VALU_DEP_1)
	v_add_f32_e32 v99, v99, v100
	s_waitcnt_depctr 0xfff
	v_mul_f32_e32 v103, v102, v97
	v_mul_f32_e32 v104, v101, v103
	s_delay_alu instid0(VALU_DEP_1) | instskip(NEXT) | instid1(VALU_DEP_1)
	v_fma_f32 v100, v103, v101, -v104
	v_fmac_f32_e32 v100, v103, v99
	s_delay_alu instid0(VALU_DEP_1) | instskip(NEXT) | instid1(VALU_DEP_1)
	v_add_f32_e32 v105, v104, v100
	v_sub_f32_e32 v106, v102, v105
	s_delay_alu instid0(VALU_DEP_1) | instskip(SKIP_2) | instid1(VALU_DEP_3)
	v_sub_f32_e32 v102, v102, v106
	v_add_f32_e32 v17, v17, v98
	v_sub_f32_e32 v98, v105, v104
	v_sub_f32_e32 v102, v102, v105
	s_delay_alu instid0(VALU_DEP_1) | instskip(NEXT) | instid1(VALU_DEP_1)
	v_dual_sub_f32 v98, v98, v100 :: v_dual_add_f32 v17, v17, v102
	v_add_f32_e32 v17, v98, v17
	s_delay_alu instid0(VALU_DEP_1) | instskip(NEXT) | instid1(VALU_DEP_1)
	v_add_f32_e32 v98, v106, v17
	v_mul_f32_e32 v100, v97, v98
	s_delay_alu instid0(VALU_DEP_1) | instskip(NEXT) | instid1(VALU_DEP_1)
	v_dual_sub_f32 v105, v106, v98 :: v_dual_mul_f32 v102, v101, v100
	v_add_f32_e32 v17, v17, v105
	s_delay_alu instid0(VALU_DEP_2) | instskip(NEXT) | instid1(VALU_DEP_1)
	v_fma_f32 v101, v100, v101, -v102
	v_fmac_f32_e32 v101, v100, v99
	s_delay_alu instid0(VALU_DEP_1) | instskip(NEXT) | instid1(VALU_DEP_1)
	v_add_f32_e32 v99, v102, v101
	v_sub_f32_e32 v104, v98, v99
	s_delay_alu instid0(VALU_DEP_1) | instskip(NEXT) | instid1(VALU_DEP_1)
	v_sub_f32_e32 v98, v98, v104
	v_sub_f32_e32 v98, v98, v99
	s_delay_alu instid0(VALU_DEP_1) | instskip(SKIP_1) | instid1(VALU_DEP_1)
	v_dual_add_f32 v17, v17, v98 :: v_dual_add_f32 v98, v103, v100
	v_sub_f32_e32 v102, v99, v102
	v_sub_f32_e32 v99, v102, v101
	s_delay_alu instid0(VALU_DEP_1) | instskip(NEXT) | instid1(VALU_DEP_4)
	v_add_f32_e32 v17, v99, v17
	v_sub_f32_e32 v99, v98, v103
	s_delay_alu instid0(VALU_DEP_2) | instskip(NEXT) | instid1(VALU_DEP_2)
	v_add_f32_e32 v17, v104, v17
	v_sub_f32_e32 v99, v100, v99
	s_delay_alu instid0(VALU_DEP_2) | instskip(NEXT) | instid1(VALU_DEP_1)
	v_mul_f32_e32 v17, v97, v17
	v_add_f32_e32 v17, v99, v17
	s_delay_alu instid0(VALU_DEP_1) | instskip(NEXT) | instid1(VALU_DEP_1)
	v_add_f32_e32 v97, v98, v17
	v_mul_f32_e32 v99, v97, v97
	s_delay_alu instid0(VALU_DEP_1) | instskip(SKIP_1) | instid1(VALU_DEP_2)
	v_fmaak_f32 v100, s83, v99, 0x3ecc95a3
	v_mul_f32_e32 v101, v97, v99
	v_fmaak_f32 v99, v99, v100, 0x3f2aaada
	v_ldexp_f32 v100, v97, 1
	v_sub_f32_e32 v97, v97, v98
	s_delay_alu instid0(VALU_DEP_3) | instskip(SKIP_1) | instid1(VALU_DEP_2)
	v_mul_f32_e32 v99, v101, v99
	v_mul_f32_e32 v101, 0x3f317218, v96
	v_dual_sub_f32 v17, v17, v97 :: v_dual_add_f32 v98, v100, v99
	s_delay_alu instid0(VALU_DEP_1) | instskip(NEXT) | instid1(VALU_DEP_2)
	v_ldexp_f32 v17, v17, 1
	v_sub_f32_e32 v97, v98, v100
	s_delay_alu instid0(VALU_DEP_4) | instskip(NEXT) | instid1(VALU_DEP_1)
	v_fma_f32 v100, 0x3f317218, v96, -v101
	v_dual_sub_f32 v97, v99, v97 :: v_dual_fmac_f32 v100, 0xb102e308, v96
	s_delay_alu instid0(VALU_DEP_1) | instskip(NEXT) | instid1(VALU_DEP_1)
	v_add_f32_e32 v17, v17, v97
	v_dual_add_f32 v96, v101, v100 :: v_dual_add_f32 v97, v98, v17
	s_delay_alu instid0(VALU_DEP_1) | instskip(NEXT) | instid1(VALU_DEP_2)
	v_sub_f32_e32 v101, v96, v101
	v_dual_add_f32 v99, v96, v97 :: v_dual_sub_f32 v98, v97, v98
	s_delay_alu instid0(VALU_DEP_2) | instskip(NEXT) | instid1(VALU_DEP_2)
	v_sub_f32_e32 v100, v100, v101
	v_dual_sub_f32 v102, v99, v96 :: v_dual_sub_f32 v17, v17, v98
	s_delay_alu instid0(VALU_DEP_1) | instskip(NEXT) | instid1(VALU_DEP_2)
	v_sub_f32_e32 v103, v99, v102
	v_dual_sub_f32 v97, v97, v102 :: v_dual_add_f32 v98, v100, v17
	s_delay_alu instid0(VALU_DEP_2) | instskip(NEXT) | instid1(VALU_DEP_1)
	v_sub_f32_e32 v96, v96, v103
	v_add_f32_e32 v96, v97, v96
	s_delay_alu instid0(VALU_DEP_3) | instskip(NEXT) | instid1(VALU_DEP_2)
	v_sub_f32_e32 v97, v98, v100
	v_add_f32_e32 v96, v98, v96
	s_delay_alu instid0(VALU_DEP_2) | instskip(SKIP_1) | instid1(VALU_DEP_2)
	v_sub_f32_e32 v98, v98, v97
	v_sub_f32_e32 v17, v17, v97
	v_dual_add_f32 v101, v99, v96 :: v_dual_sub_f32 v98, v100, v98
	s_delay_alu instid0(VALU_DEP_1) | instskip(NEXT) | instid1(VALU_DEP_1)
	v_sub_f32_e32 v97, v101, v99
	v_dual_add_f32 v17, v17, v98 :: v_dual_sub_f32 v96, v96, v97
	s_delay_alu instid0(VALU_DEP_1) | instskip(NEXT) | instid1(VALU_DEP_1)
	v_add_f32_e32 v17, v17, v96
	v_add_f32_e32 v17, v101, v17
	s_delay_alu instid0(VALU_DEP_1)
	v_cndmask_b32_e32 v96, v17, v12, vcc_lo
.LBB116_80:                             ;   in Loop: Header=BB116_12 Depth=1
	s_or_b32 exec_lo, exec_lo, s29
	v_lshrrev_b32_e32 v12, 16, v13
	s_delay_alu instid0(VALU_DEP_1) | instskip(NEXT) | instid1(VALU_DEP_1)
	v_cvt_f32_f16_e32 v12, v12
	v_add_f32_e32 v97, s66, v12
	s_delay_alu instid0(VALU_DEP_1) | instskip(SKIP_1) | instid1(SALU_CYCLE_1)
	v_cmp_ge_f32_e32 vcc_lo, 0x41a00000, v97
	s_and_b32 s28, s79, vcc_lo
	s_and_saveexec_b32 s29, s28
	s_cbranch_execz .LBB116_82
; %bb.81:                               ;   in Loop: Header=BB116_12 Depth=1
	v_mul_f32_e32 v12, 0x3fb8aa3b, v97
	v_cmp_ngt_f32_e32 vcc_lo, 0xc2ce8ed0, v97
	s_delay_alu instid0(VALU_DEP_2) | instskip(SKIP_1) | instid1(VALU_DEP_2)
	v_rndne_f32_e32 v13, v12
	v_fma_f32 v17, 0x3fb8aa3b, v97, -v12
	v_sub_f32_e32 v12, v12, v13
	s_delay_alu instid0(VALU_DEP_2) | instskip(SKIP_1) | instid1(VALU_DEP_2)
	v_fmac_f32_e32 v17, 0x32a5705f, v97
	v_cvt_i32_f32_e32 v13, v13
	v_add_f32_e32 v12, v12, v17
	s_delay_alu instid0(VALU_DEP_1) | instskip(SKIP_2) | instid1(VALU_DEP_1)
	v_exp_f32_e32 v12, v12
	s_waitcnt_depctr 0xfff
	v_ldexp_f32 v12, v12, v13
	v_cndmask_b32_e32 v12, 0, v12, vcc_lo
	v_cmp_nlt_f32_e32 vcc_lo, 0x42b17218, v97
	s_delay_alu instid0(VALU_DEP_2) | instskip(NEXT) | instid1(VALU_DEP_1)
	v_cndmask_b32_e32 v17, 0x7f800000, v12, vcc_lo
	v_add_f32_e32 v97, 1.0, v17
	s_delay_alu instid0(VALU_DEP_1) | instskip(NEXT) | instid1(VALU_DEP_1)
	v_cvt_f64_f32_e32 v[12:13], v97
	v_frexp_exp_i32_f64_e32 v12, v[12:13]
	v_frexp_mant_f32_e32 v13, v97
	s_delay_alu instid0(VALU_DEP_1) | instskip(SKIP_1) | instid1(VALU_DEP_1)
	v_cmp_gt_f32_e32 vcc_lo, 0x3f2aaaab, v13
	v_add_f32_e32 v13, -1.0, v97
	v_sub_f32_e32 v99, v13, v97
	s_delay_alu instid0(VALU_DEP_1) | instskip(SKIP_1) | instid1(VALU_DEP_1)
	v_add_f32_e32 v99, 1.0, v99
	v_subrev_co_ci_u32_e32 v12, vcc_lo, 0, v12, vcc_lo
	v_sub_nc_u32_e32 v98, 0, v12
	v_cvt_f32_i32_e32 v12, v12
	s_delay_alu instid0(VALU_DEP_2) | instskip(NEXT) | instid1(VALU_DEP_1)
	v_ldexp_f32 v97, v97, v98
	v_add_f32_e32 v100, 1.0, v97
	v_sub_f32_e32 v13, v17, v13
	v_cmp_eq_f32_e32 vcc_lo, 0x7f800000, v17
	v_cmp_gt_f32_e64 s28, 0x33800000, v17
	s_delay_alu instid0(VALU_DEP_3) | instskip(SKIP_1) | instid1(VALU_DEP_3)
	v_add_f32_e32 v13, v13, v99
	v_add_f32_e32 v99, -1.0, v100
	s_or_b32 vcc_lo, s28, vcc_lo
	s_delay_alu instid0(VALU_DEP_2) | instskip(NEXT) | instid1(VALU_DEP_2)
	v_ldexp_f32 v13, v13, v98
	v_dual_add_f32 v98, -1.0, v97 :: v_dual_sub_f32 v99, v97, v99
	s_delay_alu instid0(VALU_DEP_1) | instskip(NEXT) | instid1(VALU_DEP_2)
	v_add_f32_e32 v101, 1.0, v98
	v_add_f32_e32 v99, v13, v99
	s_delay_alu instid0(VALU_DEP_2) | instskip(NEXT) | instid1(VALU_DEP_1)
	v_sub_f32_e32 v97, v97, v101
	v_add_f32_e32 v13, v13, v97
	s_delay_alu instid0(VALU_DEP_1) | instskip(NEXT) | instid1(VALU_DEP_1)
	v_dual_add_f32 v102, v98, v13 :: v_dual_add_f32 v101, v100, v99
	v_sub_f32_e32 v98, v98, v102
	s_delay_alu instid0(VALU_DEP_2) | instskip(NEXT) | instid1(VALU_DEP_1)
	v_rcp_f32_e32 v97, v101
	v_dual_sub_f32 v100, v100, v101 :: v_dual_add_f32 v13, v13, v98
	s_delay_alu instid0(VALU_DEP_1) | instskip(SKIP_2) | instid1(VALU_DEP_1)
	v_add_f32_e32 v99, v99, v100
	s_waitcnt_depctr 0xfff
	v_mul_f32_e32 v103, v102, v97
	v_mul_f32_e32 v104, v101, v103
	s_delay_alu instid0(VALU_DEP_1) | instskip(NEXT) | instid1(VALU_DEP_1)
	v_fma_f32 v100, v103, v101, -v104
	v_fmac_f32_e32 v100, v103, v99
	s_delay_alu instid0(VALU_DEP_1) | instskip(NEXT) | instid1(VALU_DEP_1)
	v_add_f32_e32 v105, v104, v100
	v_sub_f32_e32 v106, v102, v105
	v_sub_f32_e32 v98, v105, v104
	s_delay_alu instid0(VALU_DEP_2) | instskip(NEXT) | instid1(VALU_DEP_2)
	v_sub_f32_e32 v102, v102, v106
	v_sub_f32_e32 v98, v98, v100
	s_delay_alu instid0(VALU_DEP_2) | instskip(NEXT) | instid1(VALU_DEP_1)
	v_sub_f32_e32 v102, v102, v105
	v_add_f32_e32 v13, v13, v102
	s_delay_alu instid0(VALU_DEP_1) | instskip(NEXT) | instid1(VALU_DEP_1)
	v_add_f32_e32 v13, v98, v13
	v_add_f32_e32 v98, v106, v13
	s_delay_alu instid0(VALU_DEP_1) | instskip(NEXT) | instid1(VALU_DEP_1)
	v_mul_f32_e32 v100, v97, v98
	v_dual_sub_f32 v105, v106, v98 :: v_dual_mul_f32 v102, v101, v100
	s_delay_alu instid0(VALU_DEP_1) | instskip(NEXT) | instid1(VALU_DEP_1)
	v_fma_f32 v101, v100, v101, -v102
	v_fmac_f32_e32 v101, v100, v99
	s_delay_alu instid0(VALU_DEP_1) | instskip(NEXT) | instid1(VALU_DEP_1)
	v_add_f32_e32 v99, v102, v101
	v_dual_add_f32 v13, v13, v105 :: v_dual_sub_f32 v104, v98, v99
	s_delay_alu instid0(VALU_DEP_1) | instskip(NEXT) | instid1(VALU_DEP_1)
	v_sub_f32_e32 v98, v98, v104
	v_sub_f32_e32 v98, v98, v99
	s_delay_alu instid0(VALU_DEP_1) | instskip(SKIP_1) | instid1(VALU_DEP_1)
	v_dual_add_f32 v13, v13, v98 :: v_dual_add_f32 v98, v103, v100
	v_sub_f32_e32 v102, v99, v102
	v_sub_f32_e32 v99, v102, v101
	s_delay_alu instid0(VALU_DEP_1) | instskip(NEXT) | instid1(VALU_DEP_4)
	v_add_f32_e32 v13, v99, v13
	v_sub_f32_e32 v99, v98, v103
	s_delay_alu instid0(VALU_DEP_2) | instskip(NEXT) | instid1(VALU_DEP_2)
	v_add_f32_e32 v13, v104, v13
	v_sub_f32_e32 v99, v100, v99
	s_delay_alu instid0(VALU_DEP_2) | instskip(NEXT) | instid1(VALU_DEP_1)
	v_mul_f32_e32 v13, v97, v13
	v_add_f32_e32 v13, v99, v13
	s_delay_alu instid0(VALU_DEP_1) | instskip(NEXT) | instid1(VALU_DEP_1)
	v_add_f32_e32 v97, v98, v13
	v_mul_f32_e32 v99, v97, v97
	s_delay_alu instid0(VALU_DEP_1) | instskip(SKIP_1) | instid1(VALU_DEP_2)
	v_fmaak_f32 v100, s83, v99, 0x3ecc95a3
	v_mul_f32_e32 v101, v97, v99
	v_fmaak_f32 v99, v99, v100, 0x3f2aaada
	v_ldexp_f32 v100, v97, 1
	v_sub_f32_e32 v97, v97, v98
	s_delay_alu instid0(VALU_DEP_3) | instskip(SKIP_1) | instid1(VALU_DEP_2)
	v_mul_f32_e32 v99, v101, v99
	v_mul_f32_e32 v101, 0x3f317218, v12
	v_dual_sub_f32 v13, v13, v97 :: v_dual_add_f32 v98, v100, v99
	s_delay_alu instid0(VALU_DEP_1) | instskip(NEXT) | instid1(VALU_DEP_2)
	v_ldexp_f32 v13, v13, 1
	v_sub_f32_e32 v97, v98, v100
	s_delay_alu instid0(VALU_DEP_4) | instskip(NEXT) | instid1(VALU_DEP_1)
	v_fma_f32 v100, 0x3f317218, v12, -v101
	v_dual_sub_f32 v97, v99, v97 :: v_dual_fmac_f32 v100, 0xb102e308, v12
	s_delay_alu instid0(VALU_DEP_1) | instskip(NEXT) | instid1(VALU_DEP_2)
	v_add_f32_e32 v12, v13, v97
	v_add_f32_e32 v13, v101, v100
	s_delay_alu instid0(VALU_DEP_2) | instskip(NEXT) | instid1(VALU_DEP_2)
	v_add_f32_e32 v97, v98, v12
	v_sub_f32_e32 v101, v13, v101
	s_delay_alu instid0(VALU_DEP_2) | instskip(SKIP_1) | instid1(VALU_DEP_3)
	v_add_f32_e32 v99, v13, v97
	v_sub_f32_e32 v98, v97, v98
	v_sub_f32_e32 v100, v100, v101
	s_delay_alu instid0(VALU_DEP_3) | instskip(NEXT) | instid1(VALU_DEP_3)
	v_sub_f32_e32 v102, v99, v13
	v_sub_f32_e32 v12, v12, v98
	s_delay_alu instid0(VALU_DEP_2) | instskip(NEXT) | instid1(VALU_DEP_2)
	v_sub_f32_e32 v103, v99, v102
	v_dual_sub_f32 v97, v97, v102 :: v_dual_add_f32 v98, v100, v12
	s_delay_alu instid0(VALU_DEP_2) | instskip(NEXT) | instid1(VALU_DEP_1)
	v_sub_f32_e32 v13, v13, v103
	v_add_f32_e32 v13, v97, v13
	s_delay_alu instid0(VALU_DEP_3) | instskip(NEXT) | instid1(VALU_DEP_2)
	v_sub_f32_e32 v97, v98, v100
	v_add_f32_e32 v13, v98, v13
	s_delay_alu instid0(VALU_DEP_2) | instskip(SKIP_1) | instid1(VALU_DEP_1)
	v_sub_f32_e32 v12, v12, v97
	v_sub_f32_e32 v98, v98, v97
	v_dual_add_f32 v101, v99, v13 :: v_dual_sub_f32 v98, v100, v98
	s_delay_alu instid0(VALU_DEP_1) | instskip(NEXT) | instid1(VALU_DEP_1)
	v_dual_sub_f32 v97, v101, v99 :: v_dual_add_f32 v12, v12, v98
	v_sub_f32_e32 v13, v13, v97
	s_delay_alu instid0(VALU_DEP_1) | instskip(NEXT) | instid1(VALU_DEP_1)
	v_add_f32_e32 v12, v12, v13
	v_add_f32_e32 v12, v101, v12
	s_delay_alu instid0(VALU_DEP_1)
	v_cndmask_b32_e32 v97, v12, v17, vcc_lo
.LBB116_82:                             ;   in Loop: Header=BB116_12 Depth=1
	s_or_b32 exec_lo, exec_lo, s29
	v_cvt_f32_f16_e32 v12, v14
	s_delay_alu instid0(VALU_DEP_1) | instskip(NEXT) | instid1(VALU_DEP_1)
	v_add_f32_e32 v98, s66, v12
	v_cmp_ge_f32_e32 vcc_lo, 0x41a00000, v98
	s_and_b32 s28, s79, vcc_lo
	s_delay_alu instid0(SALU_CYCLE_1)
	s_and_saveexec_b32 s29, s28
	s_cbranch_execz .LBB116_84
; %bb.83:                               ;   in Loop: Header=BB116_12 Depth=1
	v_mul_f32_e32 v12, 0x3fb8aa3b, v98
	v_cmp_ngt_f32_e32 vcc_lo, 0xc2ce8ed0, v98
	s_delay_alu instid0(VALU_DEP_2) | instskip(SKIP_1) | instid1(VALU_DEP_1)
	v_rndne_f32_e32 v13, v12
	v_fma_f32 v17, 0x3fb8aa3b, v98, -v12
	v_dual_sub_f32 v12, v12, v13 :: v_dual_fmac_f32 v17, 0x32a5705f, v98
	v_cvt_i32_f32_e32 v13, v13
	s_delay_alu instid0(VALU_DEP_2) | instskip(NEXT) | instid1(VALU_DEP_1)
	v_add_f32_e32 v12, v12, v17
	v_exp_f32_e32 v12, v12
	s_waitcnt_depctr 0xfff
	v_ldexp_f32 v12, v12, v13
	s_delay_alu instid0(VALU_DEP_1) | instskip(SKIP_1) | instid1(VALU_DEP_2)
	v_cndmask_b32_e32 v12, 0, v12, vcc_lo
	v_cmp_nlt_f32_e32 vcc_lo, 0x42b17218, v98
	v_cndmask_b32_e32 v17, 0x7f800000, v12, vcc_lo
	s_delay_alu instid0(VALU_DEP_1) | instskip(NEXT) | instid1(VALU_DEP_1)
	v_add_f32_e32 v98, 1.0, v17
	v_cvt_f64_f32_e32 v[12:13], v98
	s_delay_alu instid0(VALU_DEP_1) | instskip(SKIP_1) | instid1(VALU_DEP_1)
	v_frexp_exp_i32_f64_e32 v12, v[12:13]
	v_frexp_mant_f32_e32 v13, v98
	v_cmp_gt_f32_e32 vcc_lo, 0x3f2aaaab, v13
	v_add_f32_e32 v13, -1.0, v98
	s_delay_alu instid0(VALU_DEP_1) | instskip(SKIP_2) | instid1(VALU_DEP_3)
	v_sub_f32_e32 v100, v13, v98
	v_sub_f32_e32 v13, v17, v13
	v_cmp_gt_f32_e64 s28, 0x33800000, v17
	v_add_f32_e32 v100, 1.0, v100
	s_delay_alu instid0(VALU_DEP_1) | instskip(SKIP_2) | instid1(VALU_DEP_2)
	v_add_f32_e32 v13, v13, v100
	v_subrev_co_ci_u32_e32 v12, vcc_lo, 0, v12, vcc_lo
	v_cmp_eq_f32_e32 vcc_lo, 0x7f800000, v17
	v_sub_nc_u32_e32 v99, 0, v12
	v_cvt_f32_i32_e32 v12, v12
	s_or_b32 vcc_lo, s28, vcc_lo
	s_delay_alu instid0(VALU_DEP_2) | instskip(SKIP_1) | instid1(VALU_DEP_2)
	v_ldexp_f32 v98, v98, v99
	v_ldexp_f32 v13, v13, v99
	v_add_f32_e32 v99, -1.0, v98
	s_delay_alu instid0(VALU_DEP_1) | instskip(NEXT) | instid1(VALU_DEP_1)
	v_dual_add_f32 v101, 1.0, v98 :: v_dual_add_f32 v102, 1.0, v99
	v_add_f32_e32 v100, -1.0, v101
	s_delay_alu instid0(VALU_DEP_1) | instskip(NEXT) | instid1(VALU_DEP_3)
	v_sub_f32_e32 v100, v98, v100
	v_sub_f32_e32 v98, v98, v102
	s_delay_alu instid0(VALU_DEP_2) | instskip(NEXT) | instid1(VALU_DEP_2)
	v_add_f32_e32 v100, v13, v100
	v_add_f32_e32 v13, v13, v98
	s_delay_alu instid0(VALU_DEP_1) | instskip(NEXT) | instid1(VALU_DEP_1)
	v_dual_add_f32 v103, v99, v13 :: v_dual_add_f32 v102, v101, v100
	v_sub_f32_e32 v99, v99, v103
	s_delay_alu instid0(VALU_DEP_2) | instskip(SKIP_1) | instid1(VALU_DEP_1)
	v_rcp_f32_e32 v98, v102
	v_sub_f32_e32 v101, v101, v102
	v_dual_add_f32 v13, v13, v99 :: v_dual_add_f32 v100, v100, v101
	s_waitcnt_depctr 0xfff
	v_mul_f32_e32 v104, v103, v98
	s_delay_alu instid0(VALU_DEP_1) | instskip(NEXT) | instid1(VALU_DEP_1)
	v_mul_f32_e32 v105, v102, v104
	v_fma_f32 v101, v104, v102, -v105
	s_delay_alu instid0(VALU_DEP_1) | instskip(NEXT) | instid1(VALU_DEP_1)
	v_fmac_f32_e32 v101, v104, v100
	v_add_f32_e32 v106, v105, v101
	s_delay_alu instid0(VALU_DEP_1) | instskip(SKIP_1) | instid1(VALU_DEP_2)
	v_sub_f32_e32 v107, v103, v106
	v_sub_f32_e32 v99, v106, v105
	;; [unrolled: 1-line block ×3, first 2 shown]
	s_delay_alu instid0(VALU_DEP_2) | instskip(NEXT) | instid1(VALU_DEP_2)
	v_sub_f32_e32 v99, v99, v101
	v_sub_f32_e32 v103, v103, v106
	s_delay_alu instid0(VALU_DEP_1) | instskip(NEXT) | instid1(VALU_DEP_1)
	v_add_f32_e32 v13, v13, v103
	v_add_f32_e32 v13, v99, v13
	s_delay_alu instid0(VALU_DEP_1) | instskip(NEXT) | instid1(VALU_DEP_1)
	v_add_f32_e32 v99, v107, v13
	v_mul_f32_e32 v101, v98, v99
	s_delay_alu instid0(VALU_DEP_1) | instskip(NEXT) | instid1(VALU_DEP_1)
	v_dual_sub_f32 v106, v107, v99 :: v_dual_mul_f32 v103, v102, v101
	v_add_f32_e32 v13, v13, v106
	s_delay_alu instid0(VALU_DEP_2) | instskip(NEXT) | instid1(VALU_DEP_1)
	v_fma_f32 v102, v101, v102, -v103
	v_fmac_f32_e32 v102, v101, v100
	s_delay_alu instid0(VALU_DEP_1) | instskip(NEXT) | instid1(VALU_DEP_1)
	v_add_f32_e32 v100, v103, v102
	v_sub_f32_e32 v105, v99, v100
	s_delay_alu instid0(VALU_DEP_1) | instskip(NEXT) | instid1(VALU_DEP_1)
	v_sub_f32_e32 v99, v99, v105
	v_sub_f32_e32 v99, v99, v100
	s_delay_alu instid0(VALU_DEP_1) | instskip(SKIP_2) | instid1(VALU_DEP_1)
	v_add_f32_e32 v13, v13, v99
	v_add_f32_e32 v99, v104, v101
	v_sub_f32_e32 v103, v100, v103
	v_sub_f32_e32 v100, v103, v102
	s_delay_alu instid0(VALU_DEP_1) | instskip(NEXT) | instid1(VALU_DEP_1)
	v_dual_add_f32 v13, v100, v13 :: v_dual_sub_f32 v100, v99, v104
	v_add_f32_e32 v13, v105, v13
	s_delay_alu instid0(VALU_DEP_1) | instskip(NEXT) | instid1(VALU_DEP_1)
	v_dual_sub_f32 v100, v101, v100 :: v_dual_mul_f32 v13, v98, v13
	v_add_f32_e32 v13, v100, v13
	s_delay_alu instid0(VALU_DEP_1) | instskip(NEXT) | instid1(VALU_DEP_1)
	v_add_f32_e32 v98, v99, v13
	v_mul_f32_e32 v100, v98, v98
	s_delay_alu instid0(VALU_DEP_1) | instskip(SKIP_1) | instid1(VALU_DEP_2)
	v_fmaak_f32 v101, s83, v100, 0x3ecc95a3
	v_mul_f32_e32 v102, v98, v100
	v_fmaak_f32 v100, v100, v101, 0x3f2aaada
	v_ldexp_f32 v101, v98, 1
	v_sub_f32_e32 v98, v98, v99
	s_delay_alu instid0(VALU_DEP_3) | instskip(NEXT) | instid1(VALU_DEP_2)
	v_mul_f32_e32 v100, v102, v100
	v_dual_mul_f32 v102, 0x3f317218, v12 :: v_dual_sub_f32 v13, v13, v98
	s_delay_alu instid0(VALU_DEP_2) | instskip(NEXT) | instid1(VALU_DEP_2)
	v_add_f32_e32 v99, v101, v100
	v_ldexp_f32 v13, v13, 1
	s_delay_alu instid0(VALU_DEP_2) | instskip(NEXT) | instid1(VALU_DEP_4)
	v_sub_f32_e32 v98, v99, v101
	v_fma_f32 v101, 0x3f317218, v12, -v102
	s_delay_alu instid0(VALU_DEP_1) | instskip(NEXT) | instid1(VALU_DEP_1)
	v_dual_sub_f32 v98, v100, v98 :: v_dual_fmac_f32 v101, 0xb102e308, v12
	v_add_f32_e32 v12, v13, v98
	s_delay_alu instid0(VALU_DEP_1) | instskip(NEXT) | instid1(VALU_DEP_1)
	v_add_f32_e32 v98, v99, v12
	v_sub_f32_e32 v99, v98, v99
	s_delay_alu instid0(VALU_DEP_1) | instskip(NEXT) | instid1(VALU_DEP_1)
	v_dual_sub_f32 v12, v12, v99 :: v_dual_add_f32 v13, v102, v101
	v_add_f32_e32 v100, v13, v98
	s_delay_alu instid0(VALU_DEP_1) | instskip(NEXT) | instid1(VALU_DEP_1)
	v_dual_sub_f32 v102, v13, v102 :: v_dual_sub_f32 v103, v100, v13
	v_dual_sub_f32 v101, v101, v102 :: v_dual_sub_f32 v104, v100, v103
	s_delay_alu instid0(VALU_DEP_1) | instskip(NEXT) | instid1(VALU_DEP_2)
	v_dual_sub_f32 v98, v98, v103 :: v_dual_add_f32 v99, v101, v12
	v_sub_f32_e32 v13, v13, v104
	s_delay_alu instid0(VALU_DEP_1) | instskip(NEXT) | instid1(VALU_DEP_3)
	v_add_f32_e32 v13, v98, v13
	v_sub_f32_e32 v98, v99, v101
	s_delay_alu instid0(VALU_DEP_2) | instskip(NEXT) | instid1(VALU_DEP_2)
	v_add_f32_e32 v13, v99, v13
	v_sub_f32_e32 v99, v99, v98
	v_sub_f32_e32 v12, v12, v98
	s_delay_alu instid0(VALU_DEP_2) | instskip(NEXT) | instid1(VALU_DEP_1)
	v_dual_add_f32 v102, v100, v13 :: v_dual_sub_f32 v99, v101, v99
	v_sub_f32_e32 v98, v102, v100
	s_delay_alu instid0(VALU_DEP_1) | instskip(NEXT) | instid1(VALU_DEP_1)
	v_dual_add_f32 v12, v12, v99 :: v_dual_sub_f32 v13, v13, v98
	v_add_f32_e32 v12, v12, v13
	s_delay_alu instid0(VALU_DEP_1) | instskip(NEXT) | instid1(VALU_DEP_1)
	v_add_f32_e32 v12, v102, v12
	v_cndmask_b32_e32 v98, v12, v17, vcc_lo
.LBB116_84:                             ;   in Loop: Header=BB116_12 Depth=1
	s_or_b32 exec_lo, exec_lo, s29
	v_lshrrev_b32_e32 v12, 16, v14
	s_delay_alu instid0(VALU_DEP_1) | instskip(NEXT) | instid1(VALU_DEP_1)
	v_cvt_f32_f16_e32 v12, v12
	v_add_f32_e32 v99, s66, v12
	s_delay_alu instid0(VALU_DEP_1) | instskip(SKIP_1) | instid1(SALU_CYCLE_1)
	v_cmp_ge_f32_e32 vcc_lo, 0x41a00000, v99
	s_and_b32 s28, s79, vcc_lo
	s_and_saveexec_b32 s29, s28
	s_cbranch_execz .LBB116_86
; %bb.85:                               ;   in Loop: Header=BB116_12 Depth=1
	v_mul_f32_e32 v12, 0x3fb8aa3b, v99
	v_cmp_ngt_f32_e32 vcc_lo, 0xc2ce8ed0, v99
	s_delay_alu instid0(VALU_DEP_2) | instskip(SKIP_1) | instid1(VALU_DEP_2)
	v_rndne_f32_e32 v13, v12
	v_fma_f32 v14, 0x3fb8aa3b, v99, -v12
	v_sub_f32_e32 v12, v12, v13
	s_delay_alu instid0(VALU_DEP_2) | instskip(SKIP_1) | instid1(VALU_DEP_2)
	v_fmac_f32_e32 v14, 0x32a5705f, v99
	v_cvt_i32_f32_e32 v13, v13
	v_add_f32_e32 v12, v12, v14
	s_delay_alu instid0(VALU_DEP_1) | instskip(SKIP_2) | instid1(VALU_DEP_1)
	v_exp_f32_e32 v12, v12
	s_waitcnt_depctr 0xfff
	v_ldexp_f32 v12, v12, v13
	v_cndmask_b32_e32 v12, 0, v12, vcc_lo
	v_cmp_nlt_f32_e32 vcc_lo, 0x42b17218, v99
	s_delay_alu instid0(VALU_DEP_2) | instskip(NEXT) | instid1(VALU_DEP_1)
	v_cndmask_b32_e32 v14, 0x7f800000, v12, vcc_lo
	v_add_f32_e32 v17, 1.0, v14
	s_delay_alu instid0(VALU_DEP_1) | instskip(NEXT) | instid1(VALU_DEP_1)
	v_cvt_f64_f32_e32 v[12:13], v17
	v_frexp_exp_i32_f64_e32 v12, v[12:13]
	v_frexp_mant_f32_e32 v13, v17
	s_delay_alu instid0(VALU_DEP_1) | instskip(SKIP_1) | instid1(VALU_DEP_1)
	v_cmp_gt_f32_e32 vcc_lo, 0x3f2aaaab, v13
	v_add_f32_e32 v13, -1.0, v17
	v_sub_f32_e32 v100, v13, v17
	v_sub_f32_e32 v13, v14, v13
	v_subrev_co_ci_u32_e32 v12, vcc_lo, 0, v12, vcc_lo
	s_delay_alu instid0(VALU_DEP_1) | instskip(SKIP_1) | instid1(VALU_DEP_2)
	v_sub_nc_u32_e32 v99, 0, v12
	v_cvt_f32_i32_e32 v12, v12
	v_ldexp_f32 v17, v17, v99
	s_delay_alu instid0(VALU_DEP_1) | instskip(NEXT) | instid1(VALU_DEP_1)
	v_dual_add_f32 v100, 1.0, v100 :: v_dual_add_f32 v101, 1.0, v17
	v_dual_add_f32 v13, v13, v100 :: v_dual_add_f32 v100, -1.0, v101
	s_delay_alu instid0(VALU_DEP_1) | instskip(SKIP_4) | instid1(VALU_DEP_4)
	v_ldexp_f32 v13, v13, v99
	v_add_f32_e32 v99, -1.0, v17
	v_cmp_eq_f32_e32 vcc_lo, 0x7f800000, v14
	v_cmp_gt_f32_e64 s28, 0x33800000, v14
	v_sub_f32_e32 v100, v17, v100
	v_add_f32_e32 v102, 1.0, v99
	s_delay_alu instid0(VALU_DEP_3) | instskip(NEXT) | instid1(VALU_DEP_2)
	s_or_b32 vcc_lo, s28, vcc_lo
	v_add_f32_e32 v100, v13, v100
	s_delay_alu instid0(VALU_DEP_2) | instskip(NEXT) | instid1(VALU_DEP_1)
	v_sub_f32_e32 v17, v17, v102
	v_add_f32_e32 v13, v13, v17
	s_delay_alu instid0(VALU_DEP_1) | instskip(NEXT) | instid1(VALU_DEP_1)
	v_dual_add_f32 v103, v99, v13 :: v_dual_add_f32 v102, v101, v100
	v_sub_f32_e32 v99, v99, v103
	s_delay_alu instid0(VALU_DEP_2) | instskip(SKIP_1) | instid1(VALU_DEP_1)
	v_rcp_f32_e32 v17, v102
	v_sub_f32_e32 v101, v101, v102
	v_dual_add_f32 v13, v13, v99 :: v_dual_add_f32 v100, v100, v101
	s_waitcnt_depctr 0xfff
	v_mul_f32_e32 v104, v103, v17
	s_delay_alu instid0(VALU_DEP_1) | instskip(NEXT) | instid1(VALU_DEP_1)
	v_mul_f32_e32 v105, v102, v104
	v_fma_f32 v101, v104, v102, -v105
	s_delay_alu instid0(VALU_DEP_1) | instskip(NEXT) | instid1(VALU_DEP_1)
	v_fmac_f32_e32 v101, v104, v100
	v_add_f32_e32 v106, v105, v101
	s_delay_alu instid0(VALU_DEP_1) | instskip(NEXT) | instid1(VALU_DEP_1)
	v_sub_f32_e32 v107, v103, v106
	v_sub_f32_e32 v103, v103, v107
	;; [unrolled: 1-line block ×3, first 2 shown]
	s_delay_alu instid0(VALU_DEP_2) | instskip(NEXT) | instid1(VALU_DEP_2)
	v_sub_f32_e32 v103, v103, v106
	v_sub_f32_e32 v99, v99, v101
	s_delay_alu instid0(VALU_DEP_2) | instskip(NEXT) | instid1(VALU_DEP_1)
	v_add_f32_e32 v13, v13, v103
	v_add_f32_e32 v13, v99, v13
	s_delay_alu instid0(VALU_DEP_1) | instskip(NEXT) | instid1(VALU_DEP_1)
	v_add_f32_e32 v99, v107, v13
	v_mul_f32_e32 v101, v17, v99
	s_delay_alu instid0(VALU_DEP_1) | instskip(NEXT) | instid1(VALU_DEP_1)
	v_dual_sub_f32 v106, v107, v99 :: v_dual_mul_f32 v103, v102, v101
	v_add_f32_e32 v13, v13, v106
	s_delay_alu instid0(VALU_DEP_2) | instskip(NEXT) | instid1(VALU_DEP_1)
	v_fma_f32 v102, v101, v102, -v103
	v_fmac_f32_e32 v102, v101, v100
	s_delay_alu instid0(VALU_DEP_1) | instskip(NEXT) | instid1(VALU_DEP_1)
	v_add_f32_e32 v100, v103, v102
	v_sub_f32_e32 v105, v99, v100
	v_sub_f32_e32 v103, v100, v103
	s_delay_alu instid0(VALU_DEP_2) | instskip(NEXT) | instid1(VALU_DEP_1)
	v_sub_f32_e32 v99, v99, v105
	v_sub_f32_e32 v99, v99, v100
	s_delay_alu instid0(VALU_DEP_1) | instskip(SKIP_1) | instid1(VALU_DEP_1)
	v_dual_sub_f32 v100, v103, v102 :: v_dual_add_f32 v13, v13, v99
	v_add_f32_e32 v99, v104, v101
	v_dual_add_f32 v13, v100, v13 :: v_dual_sub_f32 v100, v99, v104
	s_delay_alu instid0(VALU_DEP_1) | instskip(NEXT) | instid1(VALU_DEP_2)
	v_add_f32_e32 v13, v105, v13
	v_sub_f32_e32 v100, v101, v100
	s_delay_alu instid0(VALU_DEP_2) | instskip(NEXT) | instid1(VALU_DEP_1)
	v_mul_f32_e32 v13, v17, v13
	v_add_f32_e32 v13, v100, v13
	s_delay_alu instid0(VALU_DEP_1) | instskip(NEXT) | instid1(VALU_DEP_1)
	v_add_f32_e32 v17, v99, v13
	v_mul_f32_e32 v100, v17, v17
	s_delay_alu instid0(VALU_DEP_1) | instskip(SKIP_1) | instid1(VALU_DEP_2)
	v_fmaak_f32 v101, s83, v100, 0x3ecc95a3
	v_mul_f32_e32 v102, v17, v100
	v_fmaak_f32 v100, v100, v101, 0x3f2aaada
	v_ldexp_f32 v101, v17, 1
	s_delay_alu instid0(VALU_DEP_2) | instskip(NEXT) | instid1(VALU_DEP_1)
	v_dual_sub_f32 v17, v17, v99 :: v_dual_mul_f32 v100, v102, v100
	v_dual_mul_f32 v102, 0x3f317218, v12 :: v_dual_sub_f32 v13, v13, v17
	s_delay_alu instid0(VALU_DEP_2) | instskip(NEXT) | instid1(VALU_DEP_2)
	v_add_f32_e32 v99, v101, v100
	v_ldexp_f32 v13, v13, 1
	s_delay_alu instid0(VALU_DEP_2) | instskip(NEXT) | instid1(VALU_DEP_4)
	v_sub_f32_e32 v17, v99, v101
	v_fma_f32 v101, 0x3f317218, v12, -v102
	s_delay_alu instid0(VALU_DEP_2) | instskip(NEXT) | instid1(VALU_DEP_1)
	v_sub_f32_e32 v17, v100, v17
	v_dual_fmac_f32 v101, 0xb102e308, v12 :: v_dual_add_f32 v12, v13, v17
	s_delay_alu instid0(VALU_DEP_1) | instskip(NEXT) | instid1(VALU_DEP_1)
	v_add_f32_e32 v13, v102, v101
	v_dual_add_f32 v17, v99, v12 :: v_dual_sub_f32 v102, v13, v102
	s_delay_alu instid0(VALU_DEP_1) | instskip(SKIP_1) | instid1(VALU_DEP_3)
	v_add_f32_e32 v100, v13, v17
	v_sub_f32_e32 v99, v17, v99
	v_sub_f32_e32 v101, v101, v102
	s_delay_alu instid0(VALU_DEP_3) | instskip(NEXT) | instid1(VALU_DEP_3)
	v_sub_f32_e32 v103, v100, v13
	v_sub_f32_e32 v12, v12, v99
	s_delay_alu instid0(VALU_DEP_2) | instskip(SKIP_1) | instid1(VALU_DEP_3)
	v_sub_f32_e32 v104, v100, v103
	v_sub_f32_e32 v17, v17, v103
	v_add_f32_e32 v99, v101, v12
	s_delay_alu instid0(VALU_DEP_3) | instskip(NEXT) | instid1(VALU_DEP_1)
	v_sub_f32_e32 v13, v13, v104
	v_add_f32_e32 v13, v17, v13
	s_delay_alu instid0(VALU_DEP_3) | instskip(NEXT) | instid1(VALU_DEP_2)
	v_sub_f32_e32 v17, v99, v101
	v_add_f32_e32 v13, v99, v13
	s_delay_alu instid0(VALU_DEP_2) | instskip(SKIP_1) | instid1(VALU_DEP_2)
	v_sub_f32_e32 v99, v99, v17
	v_sub_f32_e32 v12, v12, v17
	v_dual_add_f32 v102, v100, v13 :: v_dual_sub_f32 v99, v101, v99
	s_delay_alu instid0(VALU_DEP_1) | instskip(NEXT) | instid1(VALU_DEP_1)
	v_dual_sub_f32 v17, v102, v100 :: v_dual_add_f32 v12, v12, v99
	v_sub_f32_e32 v13, v13, v17
	s_delay_alu instid0(VALU_DEP_1) | instskip(NEXT) | instid1(VALU_DEP_1)
	v_add_f32_e32 v12, v12, v13
	v_add_f32_e32 v12, v102, v12
	s_delay_alu instid0(VALU_DEP_1)
	v_cndmask_b32_e32 v99, v12, v14, vcc_lo
.LBB116_86:                             ;   in Loop: Header=BB116_12 Depth=1
	s_or_b32 exec_lo, exec_lo, s29
	v_cvt_f32_f16_e32 v12, v15
	s_delay_alu instid0(VALU_DEP_1) | instskip(NEXT) | instid1(VALU_DEP_1)
	v_add_f32_e32 v100, s66, v12
	v_cmp_ge_f32_e32 vcc_lo, 0x41a00000, v100
	s_and_b32 s28, s79, vcc_lo
	s_delay_alu instid0(SALU_CYCLE_1)
	s_and_saveexec_b32 s29, s28
	s_cbranch_execz .LBB116_88
; %bb.87:                               ;   in Loop: Header=BB116_12 Depth=1
	v_mul_f32_e32 v12, 0x3fb8aa3b, v100
	v_cmp_ngt_f32_e32 vcc_lo, 0xc2ce8ed0, v100
	s_delay_alu instid0(VALU_DEP_2) | instskip(SKIP_1) | instid1(VALU_DEP_2)
	v_rndne_f32_e32 v13, v12
	v_fma_f32 v14, 0x3fb8aa3b, v100, -v12
	v_sub_f32_e32 v12, v12, v13
	s_delay_alu instid0(VALU_DEP_2) | instskip(SKIP_1) | instid1(VALU_DEP_2)
	v_fmac_f32_e32 v14, 0x32a5705f, v100
	v_cvt_i32_f32_e32 v13, v13
	v_add_f32_e32 v12, v12, v14
	s_delay_alu instid0(VALU_DEP_1) | instskip(SKIP_2) | instid1(VALU_DEP_1)
	v_exp_f32_e32 v12, v12
	s_waitcnt_depctr 0xfff
	v_ldexp_f32 v12, v12, v13
	v_cndmask_b32_e32 v12, 0, v12, vcc_lo
	v_cmp_nlt_f32_e32 vcc_lo, 0x42b17218, v100
	s_delay_alu instid0(VALU_DEP_2) | instskip(NEXT) | instid1(VALU_DEP_1)
	v_cndmask_b32_e32 v14, 0x7f800000, v12, vcc_lo
	v_add_f32_e32 v17, 1.0, v14
	s_delay_alu instid0(VALU_DEP_1) | instskip(NEXT) | instid1(VALU_DEP_1)
	v_cvt_f64_f32_e32 v[12:13], v17
	v_frexp_exp_i32_f64_e32 v12, v[12:13]
	v_frexp_mant_f32_e32 v13, v17
	s_delay_alu instid0(VALU_DEP_1) | instskip(SKIP_1) | instid1(VALU_DEP_1)
	v_cmp_gt_f32_e32 vcc_lo, 0x3f2aaaab, v13
	v_add_f32_e32 v13, -1.0, v17
	v_sub_f32_e32 v101, v13, v17
	s_delay_alu instid0(VALU_DEP_1) | instskip(SKIP_2) | instid1(VALU_DEP_2)
	v_add_f32_e32 v101, 1.0, v101
	v_sub_f32_e32 v13, v14, v13
	v_cmp_gt_f32_e64 s28, 0x33800000, v14
	v_add_f32_e32 v13, v13, v101
	v_subrev_co_ci_u32_e32 v12, vcc_lo, 0, v12, vcc_lo
	v_cmp_eq_f32_e32 vcc_lo, 0x7f800000, v14
	s_delay_alu instid0(VALU_DEP_2) | instskip(SKIP_2) | instid1(VALU_DEP_2)
	v_sub_nc_u32_e32 v100, 0, v12
	v_cvt_f32_i32_e32 v12, v12
	s_or_b32 vcc_lo, s28, vcc_lo
	v_ldexp_f32 v17, v17, v100
	v_ldexp_f32 v13, v13, v100
	s_delay_alu instid0(VALU_DEP_2) | instskip(NEXT) | instid1(VALU_DEP_1)
	v_add_f32_e32 v100, -1.0, v17
	v_dual_add_f32 v102, 1.0, v17 :: v_dual_add_f32 v103, 1.0, v100
	s_delay_alu instid0(VALU_DEP_1) | instskip(NEXT) | instid1(VALU_DEP_1)
	v_add_f32_e32 v101, -1.0, v102
	v_sub_f32_e32 v101, v17, v101
	s_delay_alu instid0(VALU_DEP_3) | instskip(NEXT) | instid1(VALU_DEP_2)
	v_sub_f32_e32 v17, v17, v103
	v_add_f32_e32 v101, v13, v101
	s_delay_alu instid0(VALU_DEP_2) | instskip(NEXT) | instid1(VALU_DEP_1)
	v_add_f32_e32 v13, v13, v17
	v_add_f32_e32 v104, v100, v13
	s_delay_alu instid0(VALU_DEP_1) | instskip(NEXT) | instid1(VALU_DEP_1)
	v_dual_sub_f32 v100, v100, v104 :: v_dual_add_f32 v103, v102, v101
	v_add_f32_e32 v13, v13, v100
	s_delay_alu instid0(VALU_DEP_2) | instskip(SKIP_1) | instid1(VALU_DEP_1)
	v_rcp_f32_e32 v17, v103
	v_sub_f32_e32 v102, v102, v103
	v_add_f32_e32 v101, v101, v102
	s_waitcnt_depctr 0xfff
	v_mul_f32_e32 v105, v104, v17
	s_delay_alu instid0(VALU_DEP_1) | instskip(NEXT) | instid1(VALU_DEP_1)
	v_mul_f32_e32 v106, v103, v105
	v_fma_f32 v102, v105, v103, -v106
	s_delay_alu instid0(VALU_DEP_1) | instskip(NEXT) | instid1(VALU_DEP_1)
	v_fmac_f32_e32 v102, v105, v101
	v_add_f32_e32 v107, v106, v102
	s_delay_alu instid0(VALU_DEP_1) | instskip(SKIP_1) | instid1(VALU_DEP_2)
	v_sub_f32_e32 v108, v104, v107
	v_sub_f32_e32 v100, v107, v106
	;; [unrolled: 1-line block ×3, first 2 shown]
	s_delay_alu instid0(VALU_DEP_1) | instskip(NEXT) | instid1(VALU_DEP_1)
	v_sub_f32_e32 v104, v104, v107
	v_dual_sub_f32 v100, v100, v102 :: v_dual_add_f32 v13, v13, v104
	s_delay_alu instid0(VALU_DEP_1) | instskip(NEXT) | instid1(VALU_DEP_1)
	v_add_f32_e32 v13, v100, v13
	v_add_f32_e32 v100, v108, v13
	s_delay_alu instid0(VALU_DEP_1) | instskip(NEXT) | instid1(VALU_DEP_1)
	v_mul_f32_e32 v102, v17, v100
	v_dual_sub_f32 v107, v108, v100 :: v_dual_mul_f32 v104, v103, v102
	s_delay_alu instid0(VALU_DEP_1) | instskip(NEXT) | instid1(VALU_DEP_2)
	v_add_f32_e32 v13, v13, v107
	v_fma_f32 v103, v102, v103, -v104
	s_delay_alu instid0(VALU_DEP_1) | instskip(NEXT) | instid1(VALU_DEP_1)
	v_fmac_f32_e32 v103, v102, v101
	v_add_f32_e32 v101, v104, v103
	s_delay_alu instid0(VALU_DEP_1) | instskip(NEXT) | instid1(VALU_DEP_1)
	v_sub_f32_e32 v106, v100, v101
	v_sub_f32_e32 v100, v100, v106
	s_delay_alu instid0(VALU_DEP_1) | instskip(NEXT) | instid1(VALU_DEP_1)
	v_sub_f32_e32 v100, v100, v101
	v_add_f32_e32 v13, v13, v100
	v_add_f32_e32 v100, v105, v102
	v_sub_f32_e32 v104, v101, v104
	s_delay_alu instid0(VALU_DEP_1) | instskip(NEXT) | instid1(VALU_DEP_1)
	v_sub_f32_e32 v101, v104, v103
	v_add_f32_e32 v13, v101, v13
	s_delay_alu instid0(VALU_DEP_4) | instskip(NEXT) | instid1(VALU_DEP_2)
	v_sub_f32_e32 v101, v100, v105
	v_add_f32_e32 v13, v106, v13
	s_delay_alu instid0(VALU_DEP_2) | instskip(NEXT) | instid1(VALU_DEP_2)
	v_sub_f32_e32 v101, v102, v101
	v_mul_f32_e32 v13, v17, v13
	s_delay_alu instid0(VALU_DEP_1) | instskip(NEXT) | instid1(VALU_DEP_1)
	v_add_f32_e32 v13, v101, v13
	v_add_f32_e32 v17, v100, v13
	s_delay_alu instid0(VALU_DEP_1) | instskip(NEXT) | instid1(VALU_DEP_1)
	v_mul_f32_e32 v101, v17, v17
	v_fmaak_f32 v102, s83, v101, 0x3ecc95a3
	v_mul_f32_e32 v103, v17, v101
	s_delay_alu instid0(VALU_DEP_2) | instskip(SKIP_1) | instid1(VALU_DEP_2)
	v_fmaak_f32 v101, v101, v102, 0x3f2aaada
	v_ldexp_f32 v102, v17, 1
	v_mul_f32_e32 v101, v103, v101
	s_delay_alu instid0(VALU_DEP_1) | instskip(NEXT) | instid1(VALU_DEP_1)
	v_dual_sub_f32 v17, v17, v100 :: v_dual_add_f32 v100, v102, v101
	v_sub_f32_e32 v13, v13, v17
	s_delay_alu instid0(VALU_DEP_2) | instskip(NEXT) | instid1(VALU_DEP_2)
	v_sub_f32_e32 v17, v100, v102
	v_ldexp_f32 v13, v13, 1
	s_delay_alu instid0(VALU_DEP_2) | instskip(SKIP_1) | instid1(VALU_DEP_1)
	v_sub_f32_e32 v17, v101, v17
	v_mul_f32_e32 v103, 0x3f317218, v12
	v_fma_f32 v102, 0x3f317218, v12, -v103
	s_delay_alu instid0(VALU_DEP_1) | instskip(NEXT) | instid1(VALU_DEP_1)
	v_fmac_f32_e32 v102, 0xb102e308, v12
	v_dual_add_f32 v12, v13, v17 :: v_dual_add_f32 v13, v103, v102
	s_delay_alu instid0(VALU_DEP_1) | instskip(NEXT) | instid1(VALU_DEP_1)
	v_add_f32_e32 v17, v100, v12
	v_add_f32_e32 v101, v13, v17
	v_sub_f32_e32 v100, v17, v100
	s_delay_alu instid0(VALU_DEP_2) | instskip(NEXT) | instid1(VALU_DEP_2)
	v_sub_f32_e32 v104, v101, v13
	v_dual_sub_f32 v12, v12, v100 :: v_dual_sub_f32 v103, v13, v103
	s_delay_alu instid0(VALU_DEP_2) | instskip(NEXT) | instid1(VALU_DEP_2)
	v_sub_f32_e32 v105, v101, v104
	v_dual_sub_f32 v17, v17, v104 :: v_dual_sub_f32 v102, v102, v103
	s_delay_alu instid0(VALU_DEP_1) | instskip(NEXT) | instid1(VALU_DEP_1)
	v_dual_sub_f32 v13, v13, v105 :: v_dual_add_f32 v100, v102, v12
	v_add_f32_e32 v13, v17, v13
	s_delay_alu instid0(VALU_DEP_2) | instskip(NEXT) | instid1(VALU_DEP_2)
	v_sub_f32_e32 v17, v100, v102
	v_add_f32_e32 v13, v100, v13
	s_delay_alu instid0(VALU_DEP_2) | instskip(SKIP_1) | instid1(VALU_DEP_2)
	v_sub_f32_e32 v100, v100, v17
	v_sub_f32_e32 v12, v12, v17
	v_dual_add_f32 v103, v101, v13 :: v_dual_sub_f32 v100, v102, v100
	s_delay_alu instid0(VALU_DEP_1) | instskip(NEXT) | instid1(VALU_DEP_1)
	v_dual_sub_f32 v17, v103, v101 :: v_dual_add_f32 v12, v12, v100
	v_sub_f32_e32 v13, v13, v17
	s_delay_alu instid0(VALU_DEP_1) | instskip(NEXT) | instid1(VALU_DEP_1)
	v_add_f32_e32 v12, v12, v13
	v_add_f32_e32 v12, v103, v12
	s_delay_alu instid0(VALU_DEP_1)
	v_cndmask_b32_e32 v100, v12, v14, vcc_lo
.LBB116_88:                             ;   in Loop: Header=BB116_12 Depth=1
	s_or_b32 exec_lo, exec_lo, s29
	v_lshrrev_b32_e32 v12, 16, v15
	s_delay_alu instid0(VALU_DEP_1) | instskip(NEXT) | instid1(VALU_DEP_1)
	v_cvt_f32_f16_e32 v12, v12
	v_add_f32_e32 v101, s66, v12
	s_delay_alu instid0(VALU_DEP_1) | instskip(SKIP_1) | instid1(SALU_CYCLE_1)
	v_cmp_ge_f32_e32 vcc_lo, 0x41a00000, v101
	s_and_b32 s28, s79, vcc_lo
	s_and_saveexec_b32 s29, s28
	s_cbranch_execz .LBB116_90
; %bb.89:                               ;   in Loop: Header=BB116_12 Depth=1
	v_mul_f32_e32 v12, 0x3fb8aa3b, v101
	v_cmp_ngt_f32_e32 vcc_lo, 0xc2ce8ed0, v101
	s_delay_alu instid0(VALU_DEP_2) | instskip(SKIP_1) | instid1(VALU_DEP_2)
	v_rndne_f32_e32 v13, v12
	v_fma_f32 v14, 0x3fb8aa3b, v101, -v12
	v_sub_f32_e32 v12, v12, v13
	s_delay_alu instid0(VALU_DEP_2) | instskip(SKIP_1) | instid1(VALU_DEP_2)
	v_fmac_f32_e32 v14, 0x32a5705f, v101
	v_cvt_i32_f32_e32 v13, v13
	v_add_f32_e32 v12, v12, v14
	s_delay_alu instid0(VALU_DEP_1) | instskip(SKIP_2) | instid1(VALU_DEP_1)
	v_exp_f32_e32 v12, v12
	s_waitcnt_depctr 0xfff
	v_ldexp_f32 v12, v12, v13
	v_cndmask_b32_e32 v12, 0, v12, vcc_lo
	v_cmp_nlt_f32_e32 vcc_lo, 0x42b17218, v101
	s_delay_alu instid0(VALU_DEP_2) | instskip(NEXT) | instid1(VALU_DEP_1)
	v_cndmask_b32_e32 v14, 0x7f800000, v12, vcc_lo
	v_add_f32_e32 v15, 1.0, v14
	s_delay_alu instid0(VALU_DEP_1) | instskip(NEXT) | instid1(VALU_DEP_1)
	v_cvt_f64_f32_e32 v[12:13], v15
	v_frexp_exp_i32_f64_e32 v12, v[12:13]
	v_frexp_mant_f32_e32 v13, v15
	s_delay_alu instid0(VALU_DEP_1) | instskip(SKIP_1) | instid1(VALU_DEP_1)
	v_cmp_gt_f32_e32 vcc_lo, 0x3f2aaaab, v13
	v_add_f32_e32 v13, -1.0, v15
	v_sub_f32_e32 v101, v13, v15
	v_sub_f32_e32 v13, v14, v13
	s_delay_alu instid0(VALU_DEP_2) | instskip(NEXT) | instid1(VALU_DEP_1)
	v_add_f32_e32 v101, 1.0, v101
	v_add_f32_e32 v13, v13, v101
	v_cmp_gt_f32_e64 s28, 0x33800000, v14
	v_subrev_co_ci_u32_e32 v12, vcc_lo, 0, v12, vcc_lo
	v_cmp_eq_f32_e32 vcc_lo, 0x7f800000, v14
	s_delay_alu instid0(VALU_DEP_2) | instskip(SKIP_2) | instid1(VALU_DEP_2)
	v_sub_nc_u32_e32 v17, 0, v12
	v_cvt_f32_i32_e32 v12, v12
	s_or_b32 vcc_lo, s28, vcc_lo
	v_ldexp_f32 v15, v15, v17
	v_ldexp_f32 v13, v13, v17
	s_delay_alu instid0(VALU_DEP_2) | instskip(SKIP_1) | instid1(VALU_DEP_2)
	v_add_f32_e32 v102, 1.0, v15
	v_add_f32_e32 v17, -1.0, v15
	v_add_f32_e32 v101, -1.0, v102
	s_delay_alu instid0(VALU_DEP_2) | instskip(NEXT) | instid1(VALU_DEP_2)
	v_add_f32_e32 v103, 1.0, v17
	v_sub_f32_e32 v101, v15, v101
	s_delay_alu instid0(VALU_DEP_2) | instskip(NEXT) | instid1(VALU_DEP_2)
	v_sub_f32_e32 v15, v15, v103
	v_add_f32_e32 v101, v13, v101
	s_delay_alu instid0(VALU_DEP_2) | instskip(NEXT) | instid1(VALU_DEP_1)
	v_add_f32_e32 v13, v13, v15
	v_add_f32_e32 v104, v17, v13
	s_delay_alu instid0(VALU_DEP_3) | instskip(NEXT) | instid1(VALU_DEP_1)
	v_add_f32_e32 v103, v102, v101
	v_rcp_f32_e32 v15, v103
	v_sub_f32_e32 v102, v102, v103
	s_delay_alu instid0(VALU_DEP_1) | instskip(SKIP_2) | instid1(VALU_DEP_1)
	v_add_f32_e32 v101, v101, v102
	s_waitcnt_depctr 0xfff
	v_mul_f32_e32 v105, v104, v15
	v_dual_mul_f32 v106, v103, v105 :: v_dual_sub_f32 v17, v17, v104
	s_delay_alu instid0(VALU_DEP_1) | instskip(NEXT) | instid1(VALU_DEP_2)
	v_fma_f32 v102, v105, v103, -v106
	v_add_f32_e32 v13, v13, v17
	s_delay_alu instid0(VALU_DEP_2) | instskip(NEXT) | instid1(VALU_DEP_1)
	v_fmac_f32_e32 v102, v105, v101
	v_add_f32_e32 v107, v106, v102
	s_delay_alu instid0(VALU_DEP_1) | instskip(NEXT) | instid1(VALU_DEP_1)
	v_dual_sub_f32 v108, v104, v107 :: v_dual_sub_f32 v17, v107, v106
	v_dual_sub_f32 v104, v104, v108 :: v_dual_sub_f32 v17, v17, v102
	s_delay_alu instid0(VALU_DEP_1) | instskip(NEXT) | instid1(VALU_DEP_1)
	v_sub_f32_e32 v104, v104, v107
	v_add_f32_e32 v13, v13, v104
	s_delay_alu instid0(VALU_DEP_1) | instskip(NEXT) | instid1(VALU_DEP_1)
	v_add_f32_e32 v13, v17, v13
	v_add_f32_e32 v17, v108, v13
	s_delay_alu instid0(VALU_DEP_1) | instskip(NEXT) | instid1(VALU_DEP_1)
	v_mul_f32_e32 v102, v15, v17
	v_dual_sub_f32 v107, v108, v17 :: v_dual_mul_f32 v104, v103, v102
	s_delay_alu instid0(VALU_DEP_1) | instskip(NEXT) | instid1(VALU_DEP_2)
	v_add_f32_e32 v13, v13, v107
	v_fma_f32 v103, v102, v103, -v104
	s_delay_alu instid0(VALU_DEP_1) | instskip(NEXT) | instid1(VALU_DEP_1)
	v_fmac_f32_e32 v103, v102, v101
	v_add_f32_e32 v101, v104, v103
	s_delay_alu instid0(VALU_DEP_1) | instskip(SKIP_1) | instid1(VALU_DEP_2)
	v_sub_f32_e32 v106, v17, v101
	v_sub_f32_e32 v104, v101, v104
	;; [unrolled: 1-line block ×3, first 2 shown]
	s_delay_alu instid0(VALU_DEP_1) | instskip(NEXT) | instid1(VALU_DEP_3)
	v_sub_f32_e32 v17, v17, v101
	v_sub_f32_e32 v101, v104, v103
	s_delay_alu instid0(VALU_DEP_2) | instskip(SKIP_1) | instid1(VALU_DEP_2)
	v_add_f32_e32 v13, v13, v17
	v_add_f32_e32 v17, v105, v102
	;; [unrolled: 1-line block ×3, first 2 shown]
	s_delay_alu instid0(VALU_DEP_2) | instskip(NEXT) | instid1(VALU_DEP_2)
	v_sub_f32_e32 v101, v17, v105
	v_add_f32_e32 v13, v106, v13
	s_delay_alu instid0(VALU_DEP_2) | instskip(NEXT) | instid1(VALU_DEP_2)
	v_sub_f32_e32 v101, v102, v101
	v_mul_f32_e32 v13, v15, v13
	s_delay_alu instid0(VALU_DEP_1) | instskip(NEXT) | instid1(VALU_DEP_1)
	v_add_f32_e32 v13, v101, v13
	v_add_f32_e32 v15, v17, v13
	s_delay_alu instid0(VALU_DEP_1) | instskip(NEXT) | instid1(VALU_DEP_1)
	v_mul_f32_e32 v101, v15, v15
	v_fmaak_f32 v102, s83, v101, 0x3ecc95a3
	v_mul_f32_e32 v103, v15, v101
	s_delay_alu instid0(VALU_DEP_2) | instskip(SKIP_2) | instid1(VALU_DEP_3)
	v_fmaak_f32 v101, v101, v102, 0x3f2aaada
	v_ldexp_f32 v102, v15, 1
	v_sub_f32_e32 v15, v15, v17
	v_mul_f32_e32 v101, v103, v101
	v_mul_f32_e32 v103, 0x3f317218, v12
	s_delay_alu instid0(VALU_DEP_3) | instskip(NEXT) | instid1(VALU_DEP_3)
	v_sub_f32_e32 v13, v13, v15
	v_add_f32_e32 v17, v102, v101
	s_delay_alu instid0(VALU_DEP_2) | instskip(NEXT) | instid1(VALU_DEP_2)
	v_ldexp_f32 v13, v13, 1
	v_sub_f32_e32 v15, v17, v102
	v_fma_f32 v102, 0x3f317218, v12, -v103
	s_delay_alu instid0(VALU_DEP_1) | instskip(NEXT) | instid1(VALU_DEP_1)
	v_dual_sub_f32 v15, v101, v15 :: v_dual_fmac_f32 v102, 0xb102e308, v12
	v_dual_add_f32 v12, v13, v15 :: v_dual_add_f32 v13, v103, v102
	s_delay_alu instid0(VALU_DEP_1) | instskip(NEXT) | instid1(VALU_DEP_1)
	v_add_f32_e32 v15, v17, v12
	v_add_f32_e32 v101, v13, v15
	v_sub_f32_e32 v17, v15, v17
	s_delay_alu instid0(VALU_DEP_2) | instskip(NEXT) | instid1(VALU_DEP_2)
	v_sub_f32_e32 v104, v101, v13
	v_dual_sub_f32 v103, v13, v103 :: v_dual_sub_f32 v12, v12, v17
	s_delay_alu instid0(VALU_DEP_1) | instskip(SKIP_1) | instid1(VALU_DEP_2)
	v_dual_sub_f32 v105, v101, v104 :: v_dual_sub_f32 v102, v102, v103
	v_sub_f32_e32 v15, v15, v104
	v_sub_f32_e32 v13, v13, v105
	s_delay_alu instid0(VALU_DEP_3) | instskip(NEXT) | instid1(VALU_DEP_2)
	v_add_f32_e32 v17, v102, v12
	v_add_f32_e32 v13, v15, v13
	s_delay_alu instid0(VALU_DEP_2) | instskip(NEXT) | instid1(VALU_DEP_2)
	v_sub_f32_e32 v15, v17, v102
	v_add_f32_e32 v13, v17, v13
	s_delay_alu instid0(VALU_DEP_2) | instskip(NEXT) | instid1(VALU_DEP_2)
	v_sub_f32_e32 v17, v17, v15
	v_dual_sub_f32 v12, v12, v15 :: v_dual_add_f32 v103, v101, v13
	s_delay_alu instid0(VALU_DEP_2) | instskip(NEXT) | instid1(VALU_DEP_2)
	v_sub_f32_e32 v17, v102, v17
	v_sub_f32_e32 v15, v103, v101
	s_delay_alu instid0(VALU_DEP_1) | instskip(NEXT) | instid1(VALU_DEP_1)
	v_dual_add_f32 v12, v12, v17 :: v_dual_sub_f32 v13, v13, v15
	v_add_f32_e32 v12, v12, v13
	s_delay_alu instid0(VALU_DEP_1) | instskip(NEXT) | instid1(VALU_DEP_1)
	v_add_f32_e32 v12, v103, v12
	v_cndmask_b32_e32 v101, v12, v14, vcc_lo
.LBB116_90:                             ;   in Loop: Header=BB116_12 Depth=1
	s_or_b32 exec_lo, exec_lo, s29
	s_waitcnt lgkmcnt(0)
	v_cvt_f32_f16_e32 v12, v8
	s_delay_alu instid0(VALU_DEP_1) | instskip(NEXT) | instid1(VALU_DEP_1)
	v_add_f32_e32 v104, s66, v12
	v_cmp_ge_f32_e32 vcc_lo, 0x41a00000, v104
	s_and_b32 s28, s79, vcc_lo
	s_delay_alu instid0(SALU_CYCLE_1)
	s_and_saveexec_b32 s29, s28
	s_cbranch_execz .LBB116_92
; %bb.91:                               ;   in Loop: Header=BB116_12 Depth=1
	v_mul_f32_e32 v12, 0x3fb8aa3b, v104
	v_cmp_ngt_f32_e32 vcc_lo, 0xc2ce8ed0, v104
	s_delay_alu instid0(VALU_DEP_2) | instskip(SKIP_1) | instid1(VALU_DEP_2)
	v_rndne_f32_e32 v13, v12
	v_fma_f32 v14, 0x3fb8aa3b, v104, -v12
	v_sub_f32_e32 v12, v12, v13
	s_delay_alu instid0(VALU_DEP_2) | instskip(SKIP_1) | instid1(VALU_DEP_2)
	v_fmac_f32_e32 v14, 0x32a5705f, v104
	v_cvt_i32_f32_e32 v13, v13
	v_add_f32_e32 v12, v12, v14
	s_delay_alu instid0(VALU_DEP_1) | instskip(SKIP_2) | instid1(VALU_DEP_1)
	v_exp_f32_e32 v12, v12
	s_waitcnt_depctr 0xfff
	v_ldexp_f32 v12, v12, v13
	v_cndmask_b32_e32 v12, 0, v12, vcc_lo
	v_cmp_nlt_f32_e32 vcc_lo, 0x42b17218, v104
	s_delay_alu instid0(VALU_DEP_2) | instskip(NEXT) | instid1(VALU_DEP_1)
	v_cndmask_b32_e32 v14, 0x7f800000, v12, vcc_lo
	v_add_f32_e32 v15, 1.0, v14
	s_delay_alu instid0(VALU_DEP_1) | instskip(NEXT) | instid1(VALU_DEP_1)
	v_cvt_f64_f32_e32 v[12:13], v15
	v_frexp_exp_i32_f64_e32 v12, v[12:13]
	v_frexp_mant_f32_e32 v13, v15
	s_delay_alu instid0(VALU_DEP_1) | instskip(SKIP_1) | instid1(VALU_DEP_1)
	v_cmp_gt_f32_e32 vcc_lo, 0x3f2aaaab, v13
	v_add_f32_e32 v13, -1.0, v15
	v_dual_sub_f32 v102, v13, v15 :: v_dual_sub_f32 v13, v14, v13
	s_delay_alu instid0(VALU_DEP_1) | instskip(NEXT) | instid1(VALU_DEP_1)
	v_add_f32_e32 v102, 1.0, v102
	v_add_f32_e32 v13, v13, v102
	v_subrev_co_ci_u32_e32 v12, vcc_lo, 0, v12, vcc_lo
	s_delay_alu instid0(VALU_DEP_1) | instskip(SKIP_1) | instid1(VALU_DEP_2)
	v_sub_nc_u32_e32 v17, 0, v12
	v_cvt_f32_i32_e32 v12, v12
	v_ldexp_f32 v15, v15, v17
	v_ldexp_f32 v13, v13, v17
	s_delay_alu instid0(VALU_DEP_2) | instskip(SKIP_3) | instid1(VALU_DEP_4)
	v_add_f32_e32 v103, 1.0, v15
	v_add_f32_e32 v17, -1.0, v15
	v_cmp_eq_f32_e32 vcc_lo, 0x7f800000, v14
	v_cmp_gt_f32_e64 s28, 0x33800000, v14
	v_add_f32_e32 v102, -1.0, v103
	s_delay_alu instid0(VALU_DEP_4) | instskip(NEXT) | instid1(VALU_DEP_3)
	v_add_f32_e32 v104, 1.0, v17
	s_or_b32 vcc_lo, s28, vcc_lo
	s_delay_alu instid0(VALU_DEP_2) | instskip(NEXT) | instid1(VALU_DEP_1)
	v_sub_f32_e32 v102, v15, v102
	v_dual_sub_f32 v15, v15, v104 :: v_dual_add_f32 v102, v13, v102
	s_delay_alu instid0(VALU_DEP_1) | instskip(NEXT) | instid1(VALU_DEP_1)
	v_add_f32_e32 v13, v13, v15
	v_dual_add_f32 v105, v17, v13 :: v_dual_add_f32 v104, v103, v102
	s_delay_alu instid0(VALU_DEP_1) | instskip(NEXT) | instid1(VALU_DEP_2)
	v_sub_f32_e32 v17, v17, v105
	v_rcp_f32_e32 v15, v104
	v_sub_f32_e32 v103, v103, v104
	s_delay_alu instid0(VALU_DEP_1) | instskip(SKIP_2) | instid1(VALU_DEP_1)
	v_dual_add_f32 v102, v102, v103 :: v_dual_add_f32 v13, v13, v17
	s_waitcnt_depctr 0xfff
	v_mul_f32_e32 v106, v105, v15
	v_mul_f32_e32 v107, v104, v106
	s_delay_alu instid0(VALU_DEP_1) | instskip(NEXT) | instid1(VALU_DEP_1)
	v_fma_f32 v103, v106, v104, -v107
	v_fmac_f32_e32 v103, v106, v102
	s_delay_alu instid0(VALU_DEP_1) | instskip(NEXT) | instid1(VALU_DEP_1)
	v_add_f32_e32 v108, v107, v103
	v_sub_f32_e32 v109, v105, v108
	s_delay_alu instid0(VALU_DEP_1) | instskip(SKIP_1) | instid1(VALU_DEP_2)
	v_sub_f32_e32 v105, v105, v109
	v_sub_f32_e32 v17, v108, v107
	;; [unrolled: 1-line block ×3, first 2 shown]
	s_delay_alu instid0(VALU_DEP_2) | instskip(NEXT) | instid1(VALU_DEP_2)
	v_sub_f32_e32 v17, v17, v103
	v_add_f32_e32 v13, v13, v105
	s_delay_alu instid0(VALU_DEP_1) | instskip(NEXT) | instid1(VALU_DEP_1)
	v_add_f32_e32 v13, v17, v13
	v_add_f32_e32 v17, v109, v13
	s_delay_alu instid0(VALU_DEP_1) | instskip(NEXT) | instid1(VALU_DEP_1)
	v_mul_f32_e32 v103, v15, v17
	v_dual_sub_f32 v108, v109, v17 :: v_dual_mul_f32 v105, v104, v103
	s_delay_alu instid0(VALU_DEP_1) | instskip(NEXT) | instid1(VALU_DEP_2)
	v_add_f32_e32 v13, v13, v108
	v_fma_f32 v104, v103, v104, -v105
	s_delay_alu instid0(VALU_DEP_1) | instskip(NEXT) | instid1(VALU_DEP_1)
	v_fmac_f32_e32 v104, v103, v102
	v_add_f32_e32 v102, v105, v104
	s_delay_alu instid0(VALU_DEP_1) | instskip(NEXT) | instid1(VALU_DEP_1)
	v_sub_f32_e32 v107, v17, v102
	v_sub_f32_e32 v17, v17, v107
	s_delay_alu instid0(VALU_DEP_1) | instskip(NEXT) | instid1(VALU_DEP_1)
	v_sub_f32_e32 v17, v17, v102
	v_add_f32_e32 v13, v13, v17
	v_add_f32_e32 v17, v106, v103
	v_sub_f32_e32 v105, v102, v105
	s_delay_alu instid0(VALU_DEP_1) | instskip(NEXT) | instid1(VALU_DEP_1)
	v_sub_f32_e32 v102, v105, v104
	v_dual_add_f32 v13, v102, v13 :: v_dual_sub_f32 v102, v17, v106
	s_delay_alu instid0(VALU_DEP_1) | instskip(NEXT) | instid1(VALU_DEP_2)
	v_add_f32_e32 v13, v107, v13
	v_sub_f32_e32 v102, v103, v102
	s_delay_alu instid0(VALU_DEP_2) | instskip(NEXT) | instid1(VALU_DEP_1)
	v_mul_f32_e32 v13, v15, v13
	v_add_f32_e32 v13, v102, v13
	s_delay_alu instid0(VALU_DEP_1) | instskip(NEXT) | instid1(VALU_DEP_1)
	v_add_f32_e32 v15, v17, v13
	v_mul_f32_e32 v102, v15, v15
	s_delay_alu instid0(VALU_DEP_1) | instskip(SKIP_1) | instid1(VALU_DEP_2)
	v_fmaak_f32 v103, s83, v102, 0x3ecc95a3
	v_mul_f32_e32 v104, v15, v102
	v_fmaak_f32 v102, v102, v103, 0x3f2aaada
	v_ldexp_f32 v103, v15, 1
	s_delay_alu instid0(VALU_DEP_2) | instskip(NEXT) | instid1(VALU_DEP_1)
	v_dual_sub_f32 v15, v15, v17 :: v_dual_mul_f32 v102, v104, v102
	v_dual_mul_f32 v104, 0x3f317218, v12 :: v_dual_sub_f32 v13, v13, v15
	s_delay_alu instid0(VALU_DEP_2) | instskip(NEXT) | instid1(VALU_DEP_2)
	v_add_f32_e32 v17, v103, v102
	v_ldexp_f32 v13, v13, 1
	s_delay_alu instid0(VALU_DEP_2) | instskip(NEXT) | instid1(VALU_DEP_4)
	v_sub_f32_e32 v15, v17, v103
	v_fma_f32 v103, 0x3f317218, v12, -v104
	s_delay_alu instid0(VALU_DEP_2) | instskip(NEXT) | instid1(VALU_DEP_1)
	v_sub_f32_e32 v15, v102, v15
	v_dual_fmac_f32 v103, 0xb102e308, v12 :: v_dual_add_f32 v12, v13, v15
	s_delay_alu instid0(VALU_DEP_1) | instskip(NEXT) | instid1(VALU_DEP_2)
	v_add_f32_e32 v13, v104, v103
	v_add_f32_e32 v15, v17, v12
	s_delay_alu instid0(VALU_DEP_2) | instskip(NEXT) | instid1(VALU_DEP_2)
	v_sub_f32_e32 v104, v13, v104
	v_dual_add_f32 v102, v13, v15 :: v_dual_sub_f32 v17, v15, v17
	s_delay_alu instid0(VALU_DEP_2) | instskip(NEXT) | instid1(VALU_DEP_2)
	v_sub_f32_e32 v103, v103, v104
	v_sub_f32_e32 v105, v102, v13
	s_delay_alu instid0(VALU_DEP_3) | instskip(NEXT) | instid1(VALU_DEP_2)
	v_sub_f32_e32 v12, v12, v17
	v_sub_f32_e32 v106, v102, v105
	;; [unrolled: 1-line block ×3, first 2 shown]
	s_delay_alu instid0(VALU_DEP_3) | instskip(NEXT) | instid1(VALU_DEP_3)
	v_add_f32_e32 v17, v103, v12
	v_sub_f32_e32 v13, v13, v106
	s_delay_alu instid0(VALU_DEP_1) | instskip(NEXT) | instid1(VALU_DEP_3)
	v_add_f32_e32 v13, v15, v13
	v_sub_f32_e32 v15, v17, v103
	s_delay_alu instid0(VALU_DEP_2) | instskip(NEXT) | instid1(VALU_DEP_2)
	v_add_f32_e32 v13, v17, v13
	v_sub_f32_e32 v17, v17, v15
	v_sub_f32_e32 v12, v12, v15
	s_delay_alu instid0(VALU_DEP_3) | instskip(NEXT) | instid1(VALU_DEP_3)
	v_add_f32_e32 v104, v102, v13
	v_sub_f32_e32 v17, v103, v17
	s_delay_alu instid0(VALU_DEP_2) | instskip(NEXT) | instid1(VALU_DEP_1)
	v_sub_f32_e32 v15, v104, v102
	v_dual_add_f32 v12, v12, v17 :: v_dual_sub_f32 v13, v13, v15
	s_delay_alu instid0(VALU_DEP_1) | instskip(NEXT) | instid1(VALU_DEP_1)
	v_add_f32_e32 v12, v12, v13
	v_add_f32_e32 v12, v104, v12
	s_delay_alu instid0(VALU_DEP_1)
	v_cndmask_b32_e32 v104, v12, v14, vcc_lo
.LBB116_92:                             ;   in Loop: Header=BB116_12 Depth=1
	s_or_b32 exec_lo, exec_lo, s29
	v_lshrrev_b32_e32 v8, 16, v8
	s_delay_alu instid0(VALU_DEP_1) | instskip(NEXT) | instid1(VALU_DEP_1)
	v_cvt_f32_f16_e32 v8, v8
	v_add_f32_e32 v115, s66, v8
	s_delay_alu instid0(VALU_DEP_1) | instskip(SKIP_1) | instid1(SALU_CYCLE_1)
	v_cmp_ge_f32_e32 vcc_lo, 0x41a00000, v115
	s_and_b32 s28, s79, vcc_lo
	s_and_saveexec_b32 s29, s28
	s_cbranch_execz .LBB116_94
; %bb.93:                               ;   in Loop: Header=BB116_12 Depth=1
	v_mul_f32_e32 v8, 0x3fb8aa3b, v115
	v_cmp_ngt_f32_e32 vcc_lo, 0xc2ce8ed0, v115
	s_delay_alu instid0(VALU_DEP_2) | instskip(SKIP_1) | instid1(VALU_DEP_1)
	v_rndne_f32_e32 v12, v8
	v_fma_f32 v13, 0x3fb8aa3b, v115, -v8
	v_dual_sub_f32 v8, v8, v12 :: v_dual_fmac_f32 v13, 0x32a5705f, v115
	v_cvt_i32_f32_e32 v12, v12
	s_delay_alu instid0(VALU_DEP_2) | instskip(NEXT) | instid1(VALU_DEP_1)
	v_add_f32_e32 v8, v8, v13
	v_exp_f32_e32 v8, v8
	s_waitcnt_depctr 0xfff
	v_ldexp_f32 v8, v8, v12
	s_delay_alu instid0(VALU_DEP_1) | instskip(SKIP_1) | instid1(VALU_DEP_2)
	v_cndmask_b32_e32 v8, 0, v8, vcc_lo
	v_cmp_nlt_f32_e32 vcc_lo, 0x42b17218, v115
	v_cndmask_b32_e32 v8, 0x7f800000, v8, vcc_lo
	s_delay_alu instid0(VALU_DEP_1) | instskip(NEXT) | instid1(VALU_DEP_1)
	v_add_f32_e32 v14, 1.0, v8
	v_cvt_f64_f32_e32 v[12:13], v14
	s_delay_alu instid0(VALU_DEP_1) | instskip(SKIP_1) | instid1(VALU_DEP_1)
	v_frexp_exp_i32_f64_e32 v12, v[12:13]
	v_frexp_mant_f32_e32 v13, v14
	v_cmp_gt_f32_e32 vcc_lo, 0x3f2aaaab, v13
	v_add_f32_e32 v13, -1.0, v14
	s_delay_alu instid0(VALU_DEP_1) | instskip(SKIP_1) | instid1(VALU_DEP_2)
	v_sub_f32_e32 v17, v13, v14
	v_sub_f32_e32 v13, v8, v13
	v_add_f32_e32 v17, 1.0, v17
	s_delay_alu instid0(VALU_DEP_1) | instskip(SKIP_3) | instid1(VALU_DEP_2)
	v_add_f32_e32 v13, v13, v17
	v_cmp_gt_f32_e64 s28, 0x33800000, v8
	v_subrev_co_ci_u32_e32 v12, vcc_lo, 0, v12, vcc_lo
	v_cmp_eq_f32_e32 vcc_lo, 0x7f800000, v8
	v_sub_nc_u32_e32 v15, 0, v12
	v_cvt_f32_i32_e32 v12, v12
	s_or_b32 vcc_lo, s28, vcc_lo
	s_delay_alu instid0(VALU_DEP_2) | instskip(SKIP_1) | instid1(VALU_DEP_2)
	v_ldexp_f32 v14, v14, v15
	v_ldexp_f32 v13, v13, v15
	v_add_f32_e32 v102, 1.0, v14
	v_add_f32_e32 v15, -1.0, v14
	s_delay_alu instid0(VALU_DEP_1) | instskip(NEXT) | instid1(VALU_DEP_3)
	v_add_f32_e32 v103, 1.0, v15
	v_add_f32_e32 v17, -1.0, v102
	s_delay_alu instid0(VALU_DEP_1) | instskip(NEXT) | instid1(VALU_DEP_1)
	v_sub_f32_e32 v17, v14, v17
	v_dual_sub_f32 v14, v14, v103 :: v_dual_add_f32 v17, v13, v17
	s_delay_alu instid0(VALU_DEP_1) | instskip(NEXT) | instid1(VALU_DEP_1)
	v_add_f32_e32 v103, v102, v17
	v_sub_f32_e32 v102, v102, v103
	s_delay_alu instid0(VALU_DEP_1) | instskip(NEXT) | instid1(VALU_DEP_4)
	v_add_f32_e32 v17, v17, v102
	v_add_f32_e32 v13, v13, v14
	v_rcp_f32_e32 v14, v103
	s_delay_alu instid0(VALU_DEP_1) | instskip(SKIP_2) | instid1(VALU_DEP_1)
	v_add_f32_e32 v105, v15, v13
	s_waitcnt_depctr 0xfff
	v_dual_sub_f32 v15, v15, v105 :: v_dual_mul_f32 v106, v105, v14
	v_mul_f32_e32 v107, v103, v106
	s_delay_alu instid0(VALU_DEP_1) | instskip(NEXT) | instid1(VALU_DEP_1)
	v_fma_f32 v102, v106, v103, -v107
	v_dual_fmac_f32 v102, v106, v17 :: v_dual_add_f32 v13, v13, v15
	s_delay_alu instid0(VALU_DEP_1) | instskip(NEXT) | instid1(VALU_DEP_1)
	v_add_f32_e32 v108, v107, v102
	v_sub_f32_e32 v109, v105, v108
	v_sub_f32_e32 v15, v108, v107
	s_delay_alu instid0(VALU_DEP_2) | instskip(NEXT) | instid1(VALU_DEP_2)
	v_sub_f32_e32 v105, v105, v109
	v_sub_f32_e32 v15, v15, v102
	s_delay_alu instid0(VALU_DEP_2) | instskip(NEXT) | instid1(VALU_DEP_1)
	v_sub_f32_e32 v105, v105, v108
	v_add_f32_e32 v13, v13, v105
	s_delay_alu instid0(VALU_DEP_1) | instskip(NEXT) | instid1(VALU_DEP_1)
	v_add_f32_e32 v13, v15, v13
	v_add_f32_e32 v15, v109, v13
	s_delay_alu instid0(VALU_DEP_1) | instskip(NEXT) | instid1(VALU_DEP_1)
	v_mul_f32_e32 v102, v14, v15
	v_dual_sub_f32 v108, v109, v15 :: v_dual_mul_f32 v105, v103, v102
	s_delay_alu instid0(VALU_DEP_1) | instskip(NEXT) | instid1(VALU_DEP_2)
	v_add_f32_e32 v13, v13, v108
	v_fma_f32 v103, v102, v103, -v105
	s_delay_alu instid0(VALU_DEP_1) | instskip(NEXT) | instid1(VALU_DEP_1)
	v_fmac_f32_e32 v103, v102, v17
	v_add_f32_e32 v17, v105, v103
	s_delay_alu instid0(VALU_DEP_1) | instskip(SKIP_1) | instid1(VALU_DEP_2)
	v_sub_f32_e32 v107, v15, v17
	v_sub_f32_e32 v105, v17, v105
	;; [unrolled: 1-line block ×3, first 2 shown]
	s_delay_alu instid0(VALU_DEP_1) | instskip(NEXT) | instid1(VALU_DEP_3)
	v_sub_f32_e32 v15, v15, v17
	v_sub_f32_e32 v17, v105, v103
	s_delay_alu instid0(VALU_DEP_2) | instskip(SKIP_1) | instid1(VALU_DEP_2)
	v_add_f32_e32 v13, v13, v15
	v_add_f32_e32 v15, v106, v102
	;; [unrolled: 1-line block ×3, first 2 shown]
	s_delay_alu instid0(VALU_DEP_2) | instskip(NEXT) | instid1(VALU_DEP_2)
	v_sub_f32_e32 v17, v15, v106
	v_add_f32_e32 v13, v107, v13
	s_delay_alu instid0(VALU_DEP_2) | instskip(NEXT) | instid1(VALU_DEP_2)
	v_sub_f32_e32 v17, v102, v17
	v_mul_f32_e32 v13, v14, v13
	s_delay_alu instid0(VALU_DEP_1) | instskip(NEXT) | instid1(VALU_DEP_1)
	v_add_f32_e32 v13, v17, v13
	v_add_f32_e32 v14, v15, v13
	s_delay_alu instid0(VALU_DEP_1) | instskip(NEXT) | instid1(VALU_DEP_1)
	v_mul_f32_e32 v17, v14, v14
	v_fmaak_f32 v102, s83, v17, 0x3ecc95a3
	v_mul_f32_e32 v103, v14, v17
	s_delay_alu instid0(VALU_DEP_2) | instskip(SKIP_1) | instid1(VALU_DEP_2)
	v_fmaak_f32 v17, v17, v102, 0x3f2aaada
	v_ldexp_f32 v102, v14, 1
	v_dual_sub_f32 v14, v14, v15 :: v_dual_mul_f32 v17, v103, v17
	v_mul_f32_e32 v103, 0x3f317218, v12
	s_delay_alu instid0(VALU_DEP_2) | instskip(NEXT) | instid1(VALU_DEP_3)
	v_sub_f32_e32 v13, v13, v14
	v_add_f32_e32 v15, v102, v17
	s_delay_alu instid0(VALU_DEP_2) | instskip(NEXT) | instid1(VALU_DEP_2)
	v_ldexp_f32 v13, v13, 1
	v_sub_f32_e32 v14, v15, v102
	v_fma_f32 v102, 0x3f317218, v12, -v103
	s_delay_alu instid0(VALU_DEP_2) | instskip(NEXT) | instid1(VALU_DEP_2)
	v_sub_f32_e32 v14, v17, v14
	v_fmac_f32_e32 v102, 0xb102e308, v12
	s_delay_alu instid0(VALU_DEP_2) | instskip(NEXT) | instid1(VALU_DEP_2)
	v_add_f32_e32 v12, v13, v14
	v_add_f32_e32 v13, v103, v102
	s_delay_alu instid0(VALU_DEP_1) | instskip(NEXT) | instid1(VALU_DEP_1)
	v_dual_add_f32 v14, v15, v12 :: v_dual_sub_f32 v103, v13, v103
	v_add_f32_e32 v17, v13, v14
	v_sub_f32_e32 v15, v14, v15
	s_delay_alu instid0(VALU_DEP_2) | instskip(NEXT) | instid1(VALU_DEP_2)
	v_dual_sub_f32 v102, v102, v103 :: v_dual_sub_f32 v105, v17, v13
	v_sub_f32_e32 v12, v12, v15
	s_delay_alu instid0(VALU_DEP_2) | instskip(SKIP_1) | instid1(VALU_DEP_3)
	v_sub_f32_e32 v106, v17, v105
	v_sub_f32_e32 v14, v14, v105
	v_add_f32_e32 v15, v102, v12
	s_delay_alu instid0(VALU_DEP_3) | instskip(NEXT) | instid1(VALU_DEP_1)
	v_sub_f32_e32 v13, v13, v106
	v_dual_add_f32 v13, v14, v13 :: v_dual_sub_f32 v14, v15, v102
	s_delay_alu instid0(VALU_DEP_1) | instskip(NEXT) | instid1(VALU_DEP_2)
	v_add_f32_e32 v13, v15, v13
	v_sub_f32_e32 v15, v15, v14
	s_delay_alu instid0(VALU_DEP_2) | instskip(NEXT) | instid1(VALU_DEP_1)
	v_dual_sub_f32 v12, v12, v14 :: v_dual_add_f32 v103, v17, v13
	v_dual_sub_f32 v15, v102, v15 :: v_dual_sub_f32 v14, v103, v17
	s_delay_alu instid0(VALU_DEP_1) | instskip(NEXT) | instid1(VALU_DEP_1)
	v_dual_add_f32 v12, v12, v15 :: v_dual_sub_f32 v13, v13, v14
	v_add_f32_e32 v12, v12, v13
	s_delay_alu instid0(VALU_DEP_1) | instskip(NEXT) | instid1(VALU_DEP_1)
	v_add_f32_e32 v12, v103, v12
	v_cndmask_b32_e32 v115, v12, v8, vcc_lo
.LBB116_94:                             ;   in Loop: Header=BB116_12 Depth=1
	s_or_b32 exec_lo, exec_lo, s29
	v_cvt_f32_f16_e32 v8, v9
	s_delay_alu instid0(VALU_DEP_1) | instskip(NEXT) | instid1(VALU_DEP_1)
	v_add_f32_e32 v118, s66, v8
	v_cmp_ge_f32_e32 vcc_lo, 0x41a00000, v118
	s_and_b32 s28, s79, vcc_lo
	s_delay_alu instid0(SALU_CYCLE_1)
	s_and_saveexec_b32 s29, s28
	s_cbranch_execz .LBB116_96
; %bb.95:                               ;   in Loop: Header=BB116_12 Depth=1
	v_mul_f32_e32 v8, 0x3fb8aa3b, v118
	v_cmp_ngt_f32_e32 vcc_lo, 0xc2ce8ed0, v118
	s_delay_alu instid0(VALU_DEP_2) | instskip(SKIP_1) | instid1(VALU_DEP_1)
	v_rndne_f32_e32 v12, v8
	v_fma_f32 v13, 0x3fb8aa3b, v118, -v8
	v_dual_sub_f32 v8, v8, v12 :: v_dual_fmac_f32 v13, 0x32a5705f, v118
	v_cvt_i32_f32_e32 v12, v12
	s_delay_alu instid0(VALU_DEP_2) | instskip(NEXT) | instid1(VALU_DEP_1)
	v_add_f32_e32 v8, v8, v13
	v_exp_f32_e32 v8, v8
	s_waitcnt_depctr 0xfff
	v_ldexp_f32 v8, v8, v12
	s_delay_alu instid0(VALU_DEP_1) | instskip(SKIP_1) | instid1(VALU_DEP_2)
	v_cndmask_b32_e32 v8, 0, v8, vcc_lo
	v_cmp_nlt_f32_e32 vcc_lo, 0x42b17218, v118
	v_cndmask_b32_e32 v8, 0x7f800000, v8, vcc_lo
	s_delay_alu instid0(VALU_DEP_1) | instskip(NEXT) | instid1(VALU_DEP_1)
	v_add_f32_e32 v14, 1.0, v8
	v_cvt_f64_f32_e32 v[12:13], v14
	s_delay_alu instid0(VALU_DEP_1) | instskip(SKIP_1) | instid1(VALU_DEP_1)
	v_frexp_exp_i32_f64_e32 v12, v[12:13]
	v_frexp_mant_f32_e32 v13, v14
	v_cmp_gt_f32_e32 vcc_lo, 0x3f2aaaab, v13
	v_add_f32_e32 v13, -1.0, v14
	s_delay_alu instid0(VALU_DEP_1) | instskip(SKIP_1) | instid1(VALU_DEP_2)
	v_sub_f32_e32 v17, v13, v14
	v_sub_f32_e32 v13, v8, v13
	v_add_f32_e32 v17, 1.0, v17
	s_delay_alu instid0(VALU_DEP_1) | instskip(SKIP_3) | instid1(VALU_DEP_2)
	v_add_f32_e32 v13, v13, v17
	v_cmp_gt_f32_e64 s28, 0x33800000, v8
	v_subrev_co_ci_u32_e32 v12, vcc_lo, 0, v12, vcc_lo
	v_cmp_eq_f32_e32 vcc_lo, 0x7f800000, v8
	v_sub_nc_u32_e32 v15, 0, v12
	v_cvt_f32_i32_e32 v12, v12
	s_or_b32 vcc_lo, s28, vcc_lo
	s_delay_alu instid0(VALU_DEP_2) | instskip(SKIP_1) | instid1(VALU_DEP_2)
	v_ldexp_f32 v14, v14, v15
	v_ldexp_f32 v13, v13, v15
	v_add_f32_e32 v102, 1.0, v14
	v_add_f32_e32 v15, -1.0, v14
	s_delay_alu instid0(VALU_DEP_1) | instskip(NEXT) | instid1(VALU_DEP_3)
	v_add_f32_e32 v103, 1.0, v15
	v_add_f32_e32 v17, -1.0, v102
	s_delay_alu instid0(VALU_DEP_1) | instskip(NEXT) | instid1(VALU_DEP_1)
	v_sub_f32_e32 v17, v14, v17
	v_dual_sub_f32 v14, v14, v103 :: v_dual_add_f32 v17, v13, v17
	s_delay_alu instid0(VALU_DEP_1) | instskip(NEXT) | instid1(VALU_DEP_1)
	v_add_f32_e32 v103, v102, v17
	v_sub_f32_e32 v102, v102, v103
	s_delay_alu instid0(VALU_DEP_1) | instskip(NEXT) | instid1(VALU_DEP_4)
	v_add_f32_e32 v17, v17, v102
	v_add_f32_e32 v13, v13, v14
	v_rcp_f32_e32 v14, v103
	s_delay_alu instid0(VALU_DEP_1) | instskip(SKIP_2) | instid1(VALU_DEP_1)
	v_add_f32_e32 v105, v15, v13
	s_waitcnt_depctr 0xfff
	v_dual_sub_f32 v15, v15, v105 :: v_dual_mul_f32 v106, v105, v14
	v_mul_f32_e32 v107, v103, v106
	s_delay_alu instid0(VALU_DEP_1) | instskip(NEXT) | instid1(VALU_DEP_1)
	v_fma_f32 v102, v106, v103, -v107
	v_dual_fmac_f32 v102, v106, v17 :: v_dual_add_f32 v13, v13, v15
	s_delay_alu instid0(VALU_DEP_1) | instskip(NEXT) | instid1(VALU_DEP_1)
	v_add_f32_e32 v108, v107, v102
	v_sub_f32_e32 v109, v105, v108
	v_sub_f32_e32 v15, v108, v107
	s_delay_alu instid0(VALU_DEP_2) | instskip(NEXT) | instid1(VALU_DEP_2)
	v_sub_f32_e32 v105, v105, v109
	v_sub_f32_e32 v15, v15, v102
	s_delay_alu instid0(VALU_DEP_2) | instskip(NEXT) | instid1(VALU_DEP_1)
	v_sub_f32_e32 v105, v105, v108
	v_add_f32_e32 v13, v13, v105
	s_delay_alu instid0(VALU_DEP_1) | instskip(NEXT) | instid1(VALU_DEP_1)
	v_add_f32_e32 v13, v15, v13
	v_add_f32_e32 v15, v109, v13
	s_delay_alu instid0(VALU_DEP_1) | instskip(NEXT) | instid1(VALU_DEP_1)
	v_mul_f32_e32 v102, v14, v15
	v_dual_sub_f32 v108, v109, v15 :: v_dual_mul_f32 v105, v103, v102
	s_delay_alu instid0(VALU_DEP_1) | instskip(NEXT) | instid1(VALU_DEP_2)
	v_add_f32_e32 v13, v13, v108
	v_fma_f32 v103, v102, v103, -v105
	s_delay_alu instid0(VALU_DEP_1) | instskip(NEXT) | instid1(VALU_DEP_1)
	v_fmac_f32_e32 v103, v102, v17
	v_add_f32_e32 v17, v105, v103
	s_delay_alu instid0(VALU_DEP_1) | instskip(SKIP_1) | instid1(VALU_DEP_2)
	v_sub_f32_e32 v107, v15, v17
	v_sub_f32_e32 v105, v17, v105
	;; [unrolled: 1-line block ×3, first 2 shown]
	s_delay_alu instid0(VALU_DEP_1) | instskip(NEXT) | instid1(VALU_DEP_3)
	v_sub_f32_e32 v15, v15, v17
	v_sub_f32_e32 v17, v105, v103
	s_delay_alu instid0(VALU_DEP_2) | instskip(SKIP_1) | instid1(VALU_DEP_2)
	v_add_f32_e32 v13, v13, v15
	v_add_f32_e32 v15, v106, v102
	;; [unrolled: 1-line block ×3, first 2 shown]
	s_delay_alu instid0(VALU_DEP_2) | instskip(NEXT) | instid1(VALU_DEP_2)
	v_sub_f32_e32 v17, v15, v106
	v_add_f32_e32 v13, v107, v13
	s_delay_alu instid0(VALU_DEP_2) | instskip(NEXT) | instid1(VALU_DEP_2)
	v_sub_f32_e32 v17, v102, v17
	v_mul_f32_e32 v13, v14, v13
	s_delay_alu instid0(VALU_DEP_1) | instskip(NEXT) | instid1(VALU_DEP_1)
	v_add_f32_e32 v13, v17, v13
	v_add_f32_e32 v14, v15, v13
	s_delay_alu instid0(VALU_DEP_1) | instskip(NEXT) | instid1(VALU_DEP_1)
	v_mul_f32_e32 v17, v14, v14
	v_fmaak_f32 v102, s83, v17, 0x3ecc95a3
	v_mul_f32_e32 v103, v14, v17
	s_delay_alu instid0(VALU_DEP_2) | instskip(SKIP_1) | instid1(VALU_DEP_2)
	v_fmaak_f32 v17, v17, v102, 0x3f2aaada
	v_ldexp_f32 v102, v14, 1
	v_dual_sub_f32 v14, v14, v15 :: v_dual_mul_f32 v17, v103, v17
	v_mul_f32_e32 v103, 0x3f317218, v12
	s_delay_alu instid0(VALU_DEP_2) | instskip(NEXT) | instid1(VALU_DEP_3)
	v_sub_f32_e32 v13, v13, v14
	v_add_f32_e32 v15, v102, v17
	s_delay_alu instid0(VALU_DEP_2) | instskip(NEXT) | instid1(VALU_DEP_2)
	v_ldexp_f32 v13, v13, 1
	v_sub_f32_e32 v14, v15, v102
	v_fma_f32 v102, 0x3f317218, v12, -v103
	s_delay_alu instid0(VALU_DEP_2) | instskip(NEXT) | instid1(VALU_DEP_2)
	v_sub_f32_e32 v14, v17, v14
	v_fmac_f32_e32 v102, 0xb102e308, v12
	s_delay_alu instid0(VALU_DEP_2) | instskip(NEXT) | instid1(VALU_DEP_2)
	v_add_f32_e32 v12, v13, v14
	v_add_f32_e32 v13, v103, v102
	s_delay_alu instid0(VALU_DEP_1) | instskip(NEXT) | instid1(VALU_DEP_1)
	v_dual_add_f32 v14, v15, v12 :: v_dual_sub_f32 v103, v13, v103
	v_add_f32_e32 v17, v13, v14
	v_sub_f32_e32 v15, v14, v15
	s_delay_alu instid0(VALU_DEP_2) | instskip(NEXT) | instid1(VALU_DEP_2)
	v_dual_sub_f32 v102, v102, v103 :: v_dual_sub_f32 v105, v17, v13
	v_sub_f32_e32 v12, v12, v15
	s_delay_alu instid0(VALU_DEP_2) | instskip(SKIP_1) | instid1(VALU_DEP_3)
	v_sub_f32_e32 v106, v17, v105
	v_sub_f32_e32 v14, v14, v105
	v_add_f32_e32 v15, v102, v12
	s_delay_alu instid0(VALU_DEP_3) | instskip(NEXT) | instid1(VALU_DEP_1)
	v_sub_f32_e32 v13, v13, v106
	v_dual_add_f32 v13, v14, v13 :: v_dual_sub_f32 v14, v15, v102
	s_delay_alu instid0(VALU_DEP_1) | instskip(NEXT) | instid1(VALU_DEP_2)
	v_add_f32_e32 v13, v15, v13
	v_sub_f32_e32 v15, v15, v14
	s_delay_alu instid0(VALU_DEP_2) | instskip(NEXT) | instid1(VALU_DEP_1)
	v_dual_sub_f32 v12, v12, v14 :: v_dual_add_f32 v103, v17, v13
	v_dual_sub_f32 v15, v102, v15 :: v_dual_sub_f32 v14, v103, v17
	s_delay_alu instid0(VALU_DEP_1) | instskip(NEXT) | instid1(VALU_DEP_1)
	v_dual_add_f32 v12, v12, v15 :: v_dual_sub_f32 v13, v13, v14
	v_add_f32_e32 v12, v12, v13
	s_delay_alu instid0(VALU_DEP_1) | instskip(NEXT) | instid1(VALU_DEP_1)
	v_add_f32_e32 v12, v103, v12
	v_cndmask_b32_e32 v118, v12, v8, vcc_lo
.LBB116_96:                             ;   in Loop: Header=BB116_12 Depth=1
	s_or_b32 exec_lo, exec_lo, s29
	v_lshrrev_b32_e32 v8, 16, v9
	s_delay_alu instid0(VALU_DEP_1) | instskip(NEXT) | instid1(VALU_DEP_1)
	v_cvt_f32_f16_e32 v8, v8
	v_add_f32_e32 v121, s66, v8
	s_delay_alu instid0(VALU_DEP_1) | instskip(SKIP_1) | instid1(SALU_CYCLE_1)
	v_cmp_ge_f32_e32 vcc_lo, 0x41a00000, v121
	s_and_b32 s28, s79, vcc_lo
	s_and_saveexec_b32 s29, s28
	s_cbranch_execz .LBB116_98
; %bb.97:                               ;   in Loop: Header=BB116_12 Depth=1
	v_mul_f32_e32 v8, 0x3fb8aa3b, v121
	v_cmp_ngt_f32_e32 vcc_lo, 0xc2ce8ed0, v121
	s_delay_alu instid0(VALU_DEP_2) | instskip(SKIP_1) | instid1(VALU_DEP_2)
	v_rndne_f32_e32 v9, v8
	v_fma_f32 v12, 0x3fb8aa3b, v121, -v8
	v_sub_f32_e32 v8, v8, v9
	s_delay_alu instid0(VALU_DEP_2) | instskip(SKIP_1) | instid1(VALU_DEP_2)
	v_fmac_f32_e32 v12, 0x32a5705f, v121
	v_cvt_i32_f32_e32 v9, v9
	v_add_f32_e32 v8, v8, v12
	s_delay_alu instid0(VALU_DEP_1) | instskip(SKIP_2) | instid1(VALU_DEP_1)
	v_exp_f32_e32 v8, v8
	s_waitcnt_depctr 0xfff
	v_ldexp_f32 v8, v8, v9
	v_cndmask_b32_e32 v8, 0, v8, vcc_lo
	v_cmp_nlt_f32_e32 vcc_lo, 0x42b17218, v121
	s_delay_alu instid0(VALU_DEP_2) | instskip(NEXT) | instid1(VALU_DEP_1)
	v_cndmask_b32_e32 v12, 0x7f800000, v8, vcc_lo
	v_add_f32_e32 v13, 1.0, v12
	s_delay_alu instid0(VALU_DEP_1) | instskip(NEXT) | instid1(VALU_DEP_1)
	v_cvt_f64_f32_e32 v[8:9], v13
	v_frexp_exp_i32_f64_e32 v8, v[8:9]
	v_frexp_mant_f32_e32 v9, v13
	s_delay_alu instid0(VALU_DEP_1) | instskip(SKIP_1) | instid1(VALU_DEP_1)
	v_cmp_gt_f32_e32 vcc_lo, 0x3f2aaaab, v9
	v_add_f32_e32 v9, -1.0, v13
	v_sub_f32_e32 v15, v9, v13
	s_delay_alu instid0(VALU_DEP_1) | instskip(SKIP_1) | instid1(VALU_DEP_1)
	v_add_f32_e32 v15, 1.0, v15
	v_subrev_co_ci_u32_e32 v8, vcc_lo, 0, v8, vcc_lo
	v_sub_nc_u32_e32 v14, 0, v8
	v_cvt_f32_i32_e32 v8, v8
	s_delay_alu instid0(VALU_DEP_2) | instskip(NEXT) | instid1(VALU_DEP_1)
	v_ldexp_f32 v13, v13, v14
	v_add_f32_e32 v17, 1.0, v13
	v_sub_f32_e32 v9, v12, v9
	v_cmp_eq_f32_e32 vcc_lo, 0x7f800000, v12
	v_cmp_gt_f32_e64 s28, 0x33800000, v12
	s_delay_alu instid0(VALU_DEP_3) | instskip(SKIP_1) | instid1(VALU_DEP_3)
	v_add_f32_e32 v9, v9, v15
	v_add_f32_e32 v15, -1.0, v17
	s_or_b32 vcc_lo, s28, vcc_lo
	s_delay_alu instid0(VALU_DEP_2) | instskip(NEXT) | instid1(VALU_DEP_2)
	v_ldexp_f32 v9, v9, v14
	v_dual_add_f32 v14, -1.0, v13 :: v_dual_sub_f32 v15, v13, v15
	s_delay_alu instid0(VALU_DEP_1) | instskip(NEXT) | instid1(VALU_DEP_1)
	v_dual_add_f32 v102, 1.0, v14 :: v_dual_add_f32 v15, v9, v15
	v_sub_f32_e32 v13, v13, v102
	s_delay_alu instid0(VALU_DEP_1) | instskip(NEXT) | instid1(VALU_DEP_1)
	v_add_f32_e32 v9, v9, v13
	v_dual_add_f32 v102, v17, v15 :: v_dual_add_f32 v103, v14, v9
	s_delay_alu instid0(VALU_DEP_1) | instskip(NEXT) | instid1(VALU_DEP_1)
	v_rcp_f32_e32 v13, v102
	v_dual_sub_f32 v17, v17, v102 :: v_dual_sub_f32 v14, v14, v103
	s_delay_alu instid0(VALU_DEP_1) | instskip(SKIP_2) | instid1(VALU_DEP_1)
	v_add_f32_e32 v9, v9, v14
	s_waitcnt_depctr 0xfff
	v_mul_f32_e32 v105, v103, v13
	v_mul_f32_e32 v106, v102, v105
	v_add_f32_e32 v15, v15, v17
	s_delay_alu instid0(VALU_DEP_2) | instskip(NEXT) | instid1(VALU_DEP_1)
	v_fma_f32 v17, v105, v102, -v106
	v_fmac_f32_e32 v17, v105, v15
	s_delay_alu instid0(VALU_DEP_1) | instskip(NEXT) | instid1(VALU_DEP_1)
	v_add_f32_e32 v107, v106, v17
	v_sub_f32_e32 v108, v103, v107
	v_sub_f32_e32 v14, v107, v106
	s_delay_alu instid0(VALU_DEP_1) | instskip(NEXT) | instid1(VALU_DEP_1)
	v_dual_sub_f32 v103, v103, v108 :: v_dual_sub_f32 v14, v14, v17
	v_sub_f32_e32 v103, v103, v107
	s_delay_alu instid0(VALU_DEP_1) | instskip(NEXT) | instid1(VALU_DEP_1)
	v_add_f32_e32 v9, v9, v103
	v_add_f32_e32 v9, v14, v9
	s_delay_alu instid0(VALU_DEP_1) | instskip(NEXT) | instid1(VALU_DEP_1)
	v_add_f32_e32 v14, v108, v9
	v_mul_f32_e32 v17, v13, v14
	v_sub_f32_e32 v107, v108, v14
	s_delay_alu instid0(VALU_DEP_2) | instskip(NEXT) | instid1(VALU_DEP_2)
	v_mul_f32_e32 v103, v102, v17
	v_add_f32_e32 v9, v9, v107
	s_delay_alu instid0(VALU_DEP_2) | instskip(NEXT) | instid1(VALU_DEP_1)
	v_fma_f32 v102, v17, v102, -v103
	v_fmac_f32_e32 v102, v17, v15
	s_delay_alu instid0(VALU_DEP_1) | instskip(NEXT) | instid1(VALU_DEP_1)
	v_add_f32_e32 v15, v103, v102
	v_sub_f32_e32 v106, v14, v15
	s_delay_alu instid0(VALU_DEP_1) | instskip(NEXT) | instid1(VALU_DEP_1)
	v_dual_sub_f32 v103, v15, v103 :: v_dual_sub_f32 v14, v14, v106
	v_dual_sub_f32 v14, v14, v15 :: v_dual_sub_f32 v15, v103, v102
	s_delay_alu instid0(VALU_DEP_1) | instskip(SKIP_1) | instid1(VALU_DEP_2)
	v_add_f32_e32 v9, v9, v14
	v_add_f32_e32 v14, v105, v17
	;; [unrolled: 1-line block ×3, first 2 shown]
	s_delay_alu instid0(VALU_DEP_2) | instskip(NEXT) | instid1(VALU_DEP_2)
	v_sub_f32_e32 v15, v14, v105
	v_add_f32_e32 v9, v106, v9
	s_delay_alu instid0(VALU_DEP_2) | instskip(NEXT) | instid1(VALU_DEP_2)
	v_sub_f32_e32 v15, v17, v15
	v_mul_f32_e32 v9, v13, v9
	s_delay_alu instid0(VALU_DEP_1) | instskip(NEXT) | instid1(VALU_DEP_1)
	v_add_f32_e32 v9, v15, v9
	v_add_f32_e32 v13, v14, v9
	s_delay_alu instid0(VALU_DEP_1) | instskip(NEXT) | instid1(VALU_DEP_1)
	v_mul_f32_e32 v15, v13, v13
	v_fmaak_f32 v17, s83, v15, 0x3ecc95a3
	s_delay_alu instid0(VALU_DEP_1) | instskip(SKIP_2) | instid1(VALU_DEP_3)
	v_dual_mul_f32 v102, v13, v15 :: v_dual_fmaak_f32 v15, v15, v17, 0x3f2aaada
	v_ldexp_f32 v17, v13, 1
	v_sub_f32_e32 v13, v13, v14
	v_dual_mul_f32 v15, v102, v15 :: v_dual_mul_f32 v102, 0x3f317218, v8
	s_delay_alu instid0(VALU_DEP_2) | instskip(NEXT) | instid1(VALU_DEP_2)
	v_sub_f32_e32 v9, v9, v13
	v_add_f32_e32 v14, v17, v15
	s_delay_alu instid0(VALU_DEP_2) | instskip(NEXT) | instid1(VALU_DEP_2)
	v_ldexp_f32 v9, v9, 1
	v_sub_f32_e32 v13, v14, v17
	v_fma_f32 v17, 0x3f317218, v8, -v102
	s_delay_alu instid0(VALU_DEP_2) | instskip(NEXT) | instid1(VALU_DEP_1)
	v_sub_f32_e32 v13, v15, v13
	v_dual_fmac_f32 v17, 0xb102e308, v8 :: v_dual_add_f32 v8, v9, v13
	s_delay_alu instid0(VALU_DEP_1) | instskip(NEXT) | instid1(VALU_DEP_1)
	v_add_f32_e32 v9, v102, v17
	v_dual_add_f32 v13, v14, v8 :: v_dual_sub_f32 v102, v9, v102
	s_delay_alu instid0(VALU_DEP_1) | instskip(SKIP_1) | instid1(VALU_DEP_3)
	v_add_f32_e32 v15, v9, v13
	v_sub_f32_e32 v14, v13, v14
	v_sub_f32_e32 v17, v17, v102
	s_delay_alu instid0(VALU_DEP_2) | instskip(NEXT) | instid1(VALU_DEP_1)
	v_dual_sub_f32 v103, v15, v9 :: v_dual_sub_f32 v8, v8, v14
	v_sub_f32_e32 v105, v15, v103
	v_sub_f32_e32 v13, v13, v103
	s_delay_alu instid0(VALU_DEP_3) | instskip(NEXT) | instid1(VALU_DEP_3)
	v_add_f32_e32 v14, v17, v8
	v_sub_f32_e32 v9, v9, v105
	s_delay_alu instid0(VALU_DEP_1) | instskip(NEXT) | instid1(VALU_DEP_3)
	v_add_f32_e32 v9, v13, v9
	v_sub_f32_e32 v13, v14, v17
	s_delay_alu instid0(VALU_DEP_2) | instskip(NEXT) | instid1(VALU_DEP_2)
	v_add_f32_e32 v9, v14, v9
	v_sub_f32_e32 v14, v14, v13
	v_sub_f32_e32 v8, v8, v13
	s_delay_alu instid0(VALU_DEP_3) | instskip(NEXT) | instid1(VALU_DEP_1)
	v_add_f32_e32 v102, v15, v9
	v_dual_sub_f32 v14, v17, v14 :: v_dual_sub_f32 v13, v102, v15
	s_delay_alu instid0(VALU_DEP_1) | instskip(NEXT) | instid1(VALU_DEP_1)
	v_dual_add_f32 v8, v8, v14 :: v_dual_sub_f32 v9, v9, v13
	v_add_f32_e32 v8, v8, v9
	s_delay_alu instid0(VALU_DEP_1) | instskip(NEXT) | instid1(VALU_DEP_1)
	v_add_f32_e32 v8, v102, v8
	v_cndmask_b32_e32 v121, v8, v12, vcc_lo
.LBB116_98:                             ;   in Loop: Header=BB116_12 Depth=1
	s_or_b32 exec_lo, exec_lo, s29
	v_cvt_f32_f16_e32 v8, v10
	s_delay_alu instid0(VALU_DEP_1) | instskip(NEXT) | instid1(VALU_DEP_1)
	v_add_f32_e32 v122, s66, v8
	v_cmp_ge_f32_e32 vcc_lo, 0x41a00000, v122
	s_and_b32 s28, s79, vcc_lo
	s_delay_alu instid0(SALU_CYCLE_1)
	s_and_saveexec_b32 s29, s28
	s_cbranch_execz .LBB116_100
; %bb.99:                               ;   in Loop: Header=BB116_12 Depth=1
	v_mul_f32_e32 v8, 0x3fb8aa3b, v122
	v_cmp_ngt_f32_e32 vcc_lo, 0xc2ce8ed0, v122
	s_delay_alu instid0(VALU_DEP_2) | instskip(SKIP_1) | instid1(VALU_DEP_2)
	v_rndne_f32_e32 v9, v8
	v_fma_f32 v12, 0x3fb8aa3b, v122, -v8
	v_sub_f32_e32 v8, v8, v9
	s_delay_alu instid0(VALU_DEP_2) | instskip(SKIP_1) | instid1(VALU_DEP_2)
	v_fmac_f32_e32 v12, 0x32a5705f, v122
	v_cvt_i32_f32_e32 v9, v9
	v_add_f32_e32 v8, v8, v12
	s_delay_alu instid0(VALU_DEP_1) | instskip(SKIP_2) | instid1(VALU_DEP_1)
	v_exp_f32_e32 v8, v8
	s_waitcnt_depctr 0xfff
	v_ldexp_f32 v8, v8, v9
	v_cndmask_b32_e32 v8, 0, v8, vcc_lo
	v_cmp_nlt_f32_e32 vcc_lo, 0x42b17218, v122
	s_delay_alu instid0(VALU_DEP_2) | instskip(NEXT) | instid1(VALU_DEP_1)
	v_cndmask_b32_e32 v12, 0x7f800000, v8, vcc_lo
	v_add_f32_e32 v13, 1.0, v12
	s_delay_alu instid0(VALU_DEP_1) | instskip(NEXT) | instid1(VALU_DEP_1)
	v_cvt_f64_f32_e32 v[8:9], v13
	v_frexp_exp_i32_f64_e32 v8, v[8:9]
	v_frexp_mant_f32_e32 v9, v13
	s_delay_alu instid0(VALU_DEP_1) | instskip(SKIP_1) | instid1(VALU_DEP_1)
	v_cmp_gt_f32_e32 vcc_lo, 0x3f2aaaab, v9
	v_add_f32_e32 v9, -1.0, v13
	v_sub_f32_e32 v15, v9, v13
	s_delay_alu instid0(VALU_DEP_1) | instskip(SKIP_1) | instid1(VALU_DEP_1)
	v_add_f32_e32 v15, 1.0, v15
	v_subrev_co_ci_u32_e32 v8, vcc_lo, 0, v8, vcc_lo
	v_sub_nc_u32_e32 v14, 0, v8
	v_cvt_f32_i32_e32 v8, v8
	s_delay_alu instid0(VALU_DEP_2) | instskip(NEXT) | instid1(VALU_DEP_1)
	v_ldexp_f32 v13, v13, v14
	v_add_f32_e32 v17, 1.0, v13
	v_sub_f32_e32 v9, v12, v9
	v_cmp_eq_f32_e32 vcc_lo, 0x7f800000, v12
	v_cmp_gt_f32_e64 s28, 0x33800000, v12
	s_delay_alu instid0(VALU_DEP_3) | instskip(NEXT) | instid1(VALU_DEP_2)
	v_add_f32_e32 v9, v9, v15
	s_or_b32 vcc_lo, s28, vcc_lo
	s_delay_alu instid0(VALU_DEP_1) | instskip(SKIP_1) | instid1(VALU_DEP_1)
	v_ldexp_f32 v9, v9, v14
	v_add_f32_e32 v14, -1.0, v13
	v_dual_add_f32 v15, -1.0, v17 :: v_dual_add_f32 v102, 1.0, v14
	s_delay_alu instid0(VALU_DEP_1) | instskip(NEXT) | instid1(VALU_DEP_2)
	v_sub_f32_e32 v15, v13, v15
	v_sub_f32_e32 v13, v13, v102
	s_delay_alu instid0(VALU_DEP_2) | instskip(NEXT) | instid1(VALU_DEP_2)
	v_add_f32_e32 v15, v9, v15
	v_add_f32_e32 v9, v9, v13
	s_delay_alu instid0(VALU_DEP_1) | instskip(NEXT) | instid1(VALU_DEP_1)
	v_dual_add_f32 v102, v17, v15 :: v_dual_add_f32 v103, v14, v9
	v_rcp_f32_e32 v13, v102
	s_delay_alu instid0(VALU_DEP_1) | instskip(NEXT) | instid1(VALU_DEP_1)
	v_dual_sub_f32 v17, v17, v102 :: v_dual_sub_f32 v14, v14, v103
	v_add_f32_e32 v15, v15, v17
	s_delay_alu instid0(VALU_DEP_2) | instskip(SKIP_2) | instid1(VALU_DEP_1)
	v_add_f32_e32 v9, v9, v14
	s_waitcnt_depctr 0xfff
	v_mul_f32_e32 v105, v103, v13
	v_mul_f32_e32 v106, v102, v105
	s_delay_alu instid0(VALU_DEP_1) | instskip(NEXT) | instid1(VALU_DEP_1)
	v_fma_f32 v17, v105, v102, -v106
	v_fmac_f32_e32 v17, v105, v15
	s_delay_alu instid0(VALU_DEP_1) | instskip(NEXT) | instid1(VALU_DEP_1)
	v_add_f32_e32 v107, v106, v17
	v_sub_f32_e32 v108, v103, v107
	v_sub_f32_e32 v14, v107, v106
	s_delay_alu instid0(VALU_DEP_1) | instskip(NEXT) | instid1(VALU_DEP_1)
	v_dual_sub_f32 v103, v103, v108 :: v_dual_sub_f32 v14, v14, v17
	v_sub_f32_e32 v103, v103, v107
	s_delay_alu instid0(VALU_DEP_1) | instskip(NEXT) | instid1(VALU_DEP_1)
	v_add_f32_e32 v9, v9, v103
	v_add_f32_e32 v9, v14, v9
	s_delay_alu instid0(VALU_DEP_1) | instskip(NEXT) | instid1(VALU_DEP_1)
	v_add_f32_e32 v14, v108, v9
	v_mul_f32_e32 v17, v13, v14
	v_sub_f32_e32 v107, v108, v14
	s_delay_alu instid0(VALU_DEP_2) | instskip(NEXT) | instid1(VALU_DEP_2)
	v_mul_f32_e32 v103, v102, v17
	v_add_f32_e32 v9, v9, v107
	s_delay_alu instid0(VALU_DEP_2) | instskip(NEXT) | instid1(VALU_DEP_1)
	v_fma_f32 v102, v17, v102, -v103
	v_fmac_f32_e32 v102, v17, v15
	s_delay_alu instid0(VALU_DEP_1) | instskip(NEXT) | instid1(VALU_DEP_1)
	v_add_f32_e32 v15, v103, v102
	v_sub_f32_e32 v106, v14, v15
	s_delay_alu instid0(VALU_DEP_1) | instskip(NEXT) | instid1(VALU_DEP_1)
	v_dual_sub_f32 v103, v15, v103 :: v_dual_sub_f32 v14, v14, v106
	v_dual_sub_f32 v14, v14, v15 :: v_dual_sub_f32 v15, v103, v102
	s_delay_alu instid0(VALU_DEP_1) | instskip(SKIP_1) | instid1(VALU_DEP_2)
	v_add_f32_e32 v9, v9, v14
	v_add_f32_e32 v14, v105, v17
	;; [unrolled: 1-line block ×3, first 2 shown]
	s_delay_alu instid0(VALU_DEP_2) | instskip(NEXT) | instid1(VALU_DEP_2)
	v_sub_f32_e32 v15, v14, v105
	v_add_f32_e32 v9, v106, v9
	s_delay_alu instid0(VALU_DEP_2) | instskip(NEXT) | instid1(VALU_DEP_2)
	v_sub_f32_e32 v15, v17, v15
	v_mul_f32_e32 v9, v13, v9
	s_delay_alu instid0(VALU_DEP_1) | instskip(NEXT) | instid1(VALU_DEP_1)
	v_add_f32_e32 v9, v15, v9
	v_add_f32_e32 v13, v14, v9
	s_delay_alu instid0(VALU_DEP_1) | instskip(NEXT) | instid1(VALU_DEP_1)
	v_mul_f32_e32 v15, v13, v13
	v_fmaak_f32 v17, s83, v15, 0x3ecc95a3
	s_delay_alu instid0(VALU_DEP_1) | instskip(SKIP_2) | instid1(VALU_DEP_3)
	v_dual_mul_f32 v102, v13, v15 :: v_dual_fmaak_f32 v15, v15, v17, 0x3f2aaada
	v_ldexp_f32 v17, v13, 1
	v_sub_f32_e32 v13, v13, v14
	v_dual_mul_f32 v15, v102, v15 :: v_dual_mul_f32 v102, 0x3f317218, v8
	s_delay_alu instid0(VALU_DEP_2) | instskip(NEXT) | instid1(VALU_DEP_2)
	v_sub_f32_e32 v9, v9, v13
	v_add_f32_e32 v14, v17, v15
	s_delay_alu instid0(VALU_DEP_2) | instskip(NEXT) | instid1(VALU_DEP_2)
	v_ldexp_f32 v9, v9, 1
	v_sub_f32_e32 v13, v14, v17
	v_fma_f32 v17, 0x3f317218, v8, -v102
	s_delay_alu instid0(VALU_DEP_2) | instskip(NEXT) | instid1(VALU_DEP_1)
	v_sub_f32_e32 v13, v15, v13
	v_dual_fmac_f32 v17, 0xb102e308, v8 :: v_dual_add_f32 v8, v9, v13
	s_delay_alu instid0(VALU_DEP_1) | instskip(NEXT) | instid1(VALU_DEP_1)
	v_add_f32_e32 v9, v102, v17
	v_dual_add_f32 v13, v14, v8 :: v_dual_sub_f32 v102, v9, v102
	s_delay_alu instid0(VALU_DEP_1) | instskip(SKIP_1) | instid1(VALU_DEP_3)
	v_add_f32_e32 v15, v9, v13
	v_sub_f32_e32 v14, v13, v14
	v_sub_f32_e32 v17, v17, v102
	s_delay_alu instid0(VALU_DEP_2) | instskip(NEXT) | instid1(VALU_DEP_1)
	v_dual_sub_f32 v103, v15, v9 :: v_dual_sub_f32 v8, v8, v14
	v_sub_f32_e32 v105, v15, v103
	v_sub_f32_e32 v13, v13, v103
	s_delay_alu instid0(VALU_DEP_3) | instskip(NEXT) | instid1(VALU_DEP_3)
	v_add_f32_e32 v14, v17, v8
	v_sub_f32_e32 v9, v9, v105
	s_delay_alu instid0(VALU_DEP_1) | instskip(NEXT) | instid1(VALU_DEP_3)
	v_add_f32_e32 v9, v13, v9
	v_sub_f32_e32 v13, v14, v17
	s_delay_alu instid0(VALU_DEP_2) | instskip(NEXT) | instid1(VALU_DEP_2)
	v_add_f32_e32 v9, v14, v9
	v_sub_f32_e32 v14, v14, v13
	v_sub_f32_e32 v8, v8, v13
	s_delay_alu instid0(VALU_DEP_3) | instskip(NEXT) | instid1(VALU_DEP_1)
	v_add_f32_e32 v102, v15, v9
	v_dual_sub_f32 v14, v17, v14 :: v_dual_sub_f32 v13, v102, v15
	s_delay_alu instid0(VALU_DEP_1) | instskip(NEXT) | instid1(VALU_DEP_1)
	v_dual_add_f32 v8, v8, v14 :: v_dual_sub_f32 v9, v9, v13
	v_add_f32_e32 v8, v8, v9
	s_delay_alu instid0(VALU_DEP_1) | instskip(NEXT) | instid1(VALU_DEP_1)
	v_add_f32_e32 v8, v102, v8
	v_cndmask_b32_e32 v122, v8, v12, vcc_lo
.LBB116_100:                            ;   in Loop: Header=BB116_12 Depth=1
	s_or_b32 exec_lo, exec_lo, s29
	v_lshrrev_b32_e32 v8, 16, v10
	s_delay_alu instid0(VALU_DEP_1) | instskip(NEXT) | instid1(VALU_DEP_1)
	v_cvt_f32_f16_e32 v8, v8
	v_add_f32_e32 v123, s66, v8
	s_delay_alu instid0(VALU_DEP_1) | instskip(SKIP_1) | instid1(SALU_CYCLE_1)
	v_cmp_ge_f32_e32 vcc_lo, 0x41a00000, v123
	s_and_b32 s28, s79, vcc_lo
	s_and_saveexec_b32 s29, s28
	s_cbranch_execz .LBB116_102
; %bb.101:                              ;   in Loop: Header=BB116_12 Depth=1
	v_mul_f32_e32 v8, 0x3fb8aa3b, v123
	v_cmp_ngt_f32_e32 vcc_lo, 0xc2ce8ed0, v123
	s_delay_alu instid0(VALU_DEP_2) | instskip(SKIP_1) | instid1(VALU_DEP_2)
	v_rndne_f32_e32 v9, v8
	v_fma_f32 v10, 0x3fb8aa3b, v123, -v8
	v_sub_f32_e32 v8, v8, v9
	s_delay_alu instid0(VALU_DEP_2) | instskip(SKIP_1) | instid1(VALU_DEP_2)
	v_fmac_f32_e32 v10, 0x32a5705f, v123
	v_cvt_i32_f32_e32 v9, v9
	v_add_f32_e32 v8, v8, v10
	s_delay_alu instid0(VALU_DEP_1) | instskip(SKIP_2) | instid1(VALU_DEP_1)
	v_exp_f32_e32 v8, v8
	s_waitcnt_depctr 0xfff
	v_ldexp_f32 v8, v8, v9
	v_cndmask_b32_e32 v8, 0, v8, vcc_lo
	v_cmp_nlt_f32_e32 vcc_lo, 0x42b17218, v123
	s_delay_alu instid0(VALU_DEP_2) | instskip(NEXT) | instid1(VALU_DEP_1)
	v_cndmask_b32_e32 v10, 0x7f800000, v8, vcc_lo
	v_add_f32_e32 v12, 1.0, v10
	s_delay_alu instid0(VALU_DEP_1) | instskip(NEXT) | instid1(VALU_DEP_1)
	v_cvt_f64_f32_e32 v[8:9], v12
	v_frexp_exp_i32_f64_e32 v8, v[8:9]
	v_frexp_mant_f32_e32 v9, v12
	s_delay_alu instid0(VALU_DEP_1) | instskip(SKIP_1) | instid1(VALU_DEP_1)
	v_cmp_gt_f32_e32 vcc_lo, 0x3f2aaaab, v9
	v_add_f32_e32 v9, -1.0, v12
	v_dual_sub_f32 v14, v9, v12 :: v_dual_sub_f32 v9, v10, v9
	v_subrev_co_ci_u32_e32 v8, vcc_lo, 0, v8, vcc_lo
	s_delay_alu instid0(VALU_DEP_1) | instskip(SKIP_1) | instid1(VALU_DEP_2)
	v_sub_nc_u32_e32 v13, 0, v8
	v_cvt_f32_i32_e32 v8, v8
	v_ldexp_f32 v12, v12, v13
	s_delay_alu instid0(VALU_DEP_1) | instskip(NEXT) | instid1(VALU_DEP_1)
	v_dual_add_f32 v14, 1.0, v14 :: v_dual_add_f32 v15, 1.0, v12
	v_add_f32_e32 v9, v9, v14
	s_delay_alu instid0(VALU_DEP_1) | instskip(NEXT) | instid1(VALU_DEP_3)
	v_ldexp_f32 v9, v9, v13
	v_dual_add_f32 v13, -1.0, v12 :: v_dual_add_f32 v14, -1.0, v15
	s_delay_alu instid0(VALU_DEP_1) | instskip(NEXT) | instid1(VALU_DEP_1)
	v_dual_add_f32 v17, 1.0, v13 :: v_dual_sub_f32 v14, v12, v14
	v_sub_f32_e32 v12, v12, v17
	s_delay_alu instid0(VALU_DEP_2) | instskip(NEXT) | instid1(VALU_DEP_2)
	v_add_f32_e32 v14, v9, v14
	v_add_f32_e32 v9, v9, v12
	s_delay_alu instid0(VALU_DEP_2) | instskip(SKIP_2) | instid1(VALU_DEP_3)
	v_add_f32_e32 v17, v15, v14
	v_cmp_eq_f32_e32 vcc_lo, 0x7f800000, v10
	v_cmp_gt_f32_e64 s28, 0x33800000, v10
	v_rcp_f32_e32 v12, v17
	v_sub_f32_e32 v15, v15, v17
	s_delay_alu instid0(VALU_DEP_2) | instskip(NEXT) | instid1(VALU_DEP_1)
	s_or_b32 vcc_lo, s28, vcc_lo
	v_add_f32_e32 v14, v14, v15
	v_add_f32_e32 v102, v13, v9
	s_waitcnt_depctr 0xfff
	v_mul_f32_e32 v103, v102, v12
	s_delay_alu instid0(VALU_DEP_1) | instskip(NEXT) | instid1(VALU_DEP_1)
	v_mul_f32_e32 v105, v17, v103
	v_fma_f32 v15, v103, v17, -v105
	s_delay_alu instid0(VALU_DEP_1) | instskip(SKIP_1) | instid1(VALU_DEP_2)
	v_fmac_f32_e32 v15, v103, v14
	v_sub_f32_e32 v13, v13, v102
	v_add_f32_e32 v106, v105, v15
	s_delay_alu instid0(VALU_DEP_2) | instskip(NEXT) | instid1(VALU_DEP_2)
	v_add_f32_e32 v9, v9, v13
	v_sub_f32_e32 v107, v102, v106
	v_sub_f32_e32 v13, v106, v105
	s_delay_alu instid0(VALU_DEP_2) | instskip(NEXT) | instid1(VALU_DEP_1)
	v_sub_f32_e32 v102, v102, v107
	v_dual_sub_f32 v13, v13, v15 :: v_dual_sub_f32 v102, v102, v106
	s_delay_alu instid0(VALU_DEP_1) | instskip(NEXT) | instid1(VALU_DEP_1)
	v_add_f32_e32 v9, v9, v102
	v_add_f32_e32 v9, v13, v9
	s_delay_alu instid0(VALU_DEP_1) | instskip(NEXT) | instid1(VALU_DEP_1)
	v_add_f32_e32 v13, v107, v9
	v_mul_f32_e32 v15, v12, v13
	v_sub_f32_e32 v106, v107, v13
	s_delay_alu instid0(VALU_DEP_2) | instskip(NEXT) | instid1(VALU_DEP_1)
	v_mul_f32_e32 v102, v17, v15
	v_fma_f32 v17, v15, v17, -v102
	s_delay_alu instid0(VALU_DEP_1) | instskip(NEXT) | instid1(VALU_DEP_1)
	v_fmac_f32_e32 v17, v15, v14
	v_add_f32_e32 v14, v102, v17
	s_delay_alu instid0(VALU_DEP_1) | instskip(SKIP_2) | instid1(VALU_DEP_3)
	v_sub_f32_e32 v105, v13, v14
	v_sub_f32_e32 v102, v14, v102
	v_add_f32_e32 v9, v9, v106
	v_sub_f32_e32 v13, v13, v105
	s_delay_alu instid0(VALU_DEP_1) | instskip(NEXT) | instid1(VALU_DEP_1)
	v_dual_sub_f32 v13, v13, v14 :: v_dual_sub_f32 v14, v102, v17
	v_add_f32_e32 v9, v9, v13
	v_add_f32_e32 v13, v103, v15
	s_delay_alu instid0(VALU_DEP_1) | instskip(NEXT) | instid1(VALU_DEP_1)
	v_dual_add_f32 v9, v14, v9 :: v_dual_sub_f32 v14, v13, v103
	v_dual_add_f32 v9, v105, v9 :: v_dual_sub_f32 v14, v15, v14
	s_delay_alu instid0(VALU_DEP_1) | instskip(NEXT) | instid1(VALU_DEP_1)
	v_mul_f32_e32 v9, v12, v9
	v_add_f32_e32 v9, v14, v9
	s_delay_alu instid0(VALU_DEP_1) | instskip(NEXT) | instid1(VALU_DEP_1)
	v_add_f32_e32 v12, v13, v9
	v_mul_f32_e32 v14, v12, v12
	s_delay_alu instid0(VALU_DEP_1) | instskip(NEXT) | instid1(VALU_DEP_1)
	v_fmaak_f32 v15, s83, v14, 0x3ecc95a3
	v_dual_mul_f32 v17, v12, v14 :: v_dual_fmaak_f32 v14, v14, v15, 0x3f2aaada
	v_ldexp_f32 v15, v12, 1
	s_delay_alu instid0(VALU_DEP_2) | instskip(SKIP_1) | instid1(VALU_DEP_2)
	v_mul_f32_e32 v14, v17, v14
	v_dual_sub_f32 v12, v12, v13 :: v_dual_mul_f32 v17, 0x3f317218, v8
	v_add_f32_e32 v13, v15, v14
	s_delay_alu instid0(VALU_DEP_2) | instskip(NEXT) | instid1(VALU_DEP_2)
	v_sub_f32_e32 v9, v9, v12
	v_sub_f32_e32 v12, v13, v15
	s_delay_alu instid0(VALU_DEP_4) | instskip(NEXT) | instid1(VALU_DEP_3)
	v_fma_f32 v15, 0x3f317218, v8, -v17
	v_ldexp_f32 v9, v9, 1
	s_delay_alu instid0(VALU_DEP_3) | instskip(NEXT) | instid1(VALU_DEP_3)
	v_sub_f32_e32 v12, v14, v12
	v_fmac_f32_e32 v15, 0xb102e308, v8
	s_delay_alu instid0(VALU_DEP_2) | instskip(NEXT) | instid1(VALU_DEP_1)
	v_add_f32_e32 v8, v9, v12
	v_add_f32_e32 v12, v13, v8
	s_delay_alu instid0(VALU_DEP_1) | instskip(NEXT) | instid1(VALU_DEP_1)
	v_sub_f32_e32 v13, v12, v13
	v_dual_sub_f32 v8, v8, v13 :: v_dual_add_f32 v9, v17, v15
	s_delay_alu instid0(VALU_DEP_1) | instskip(NEXT) | instid1(VALU_DEP_1)
	v_add_f32_e32 v14, v9, v12
	v_sub_f32_e32 v102, v14, v9
	s_delay_alu instid0(VALU_DEP_1) | instskip(NEXT) | instid1(VALU_DEP_1)
	v_dual_sub_f32 v17, v9, v17 :: v_dual_sub_f32 v12, v12, v102
	v_sub_f32_e32 v15, v15, v17
	s_delay_alu instid0(VALU_DEP_1) | instskip(SKIP_1) | instid1(VALU_DEP_1)
	v_add_f32_e32 v13, v15, v8
	v_sub_f32_e32 v103, v14, v102
	v_sub_f32_e32 v9, v9, v103
	s_delay_alu instid0(VALU_DEP_1) | instskip(NEXT) | instid1(VALU_DEP_1)
	v_dual_add_f32 v9, v12, v9 :: v_dual_sub_f32 v12, v13, v15
	v_add_f32_e32 v9, v13, v9
	s_delay_alu instid0(VALU_DEP_2) | instskip(NEXT) | instid1(VALU_DEP_2)
	v_sub_f32_e32 v13, v13, v12
	v_dual_sub_f32 v8, v8, v12 :: v_dual_add_f32 v17, v14, v9
	s_delay_alu instid0(VALU_DEP_1) | instskip(NEXT) | instid1(VALU_DEP_1)
	v_dual_sub_f32 v13, v15, v13 :: v_dual_sub_f32 v12, v17, v14
	v_dual_add_f32 v8, v8, v13 :: v_dual_sub_f32 v9, v9, v12
	s_delay_alu instid0(VALU_DEP_1) | instskip(NEXT) | instid1(VALU_DEP_1)
	v_add_f32_e32 v8, v8, v9
	v_add_f32_e32 v8, v17, v8
	s_delay_alu instid0(VALU_DEP_1)
	v_cndmask_b32_e32 v123, v8, v10, vcc_lo
.LBB116_102:                            ;   in Loop: Header=BB116_12 Depth=1
	s_or_b32 exec_lo, exec_lo, s29
	v_cvt_f32_f16_e32 v8, v11
	s_delay_alu instid0(VALU_DEP_1) | instskip(NEXT) | instid1(VALU_DEP_1)
	v_add_f32_e32 v124, s66, v8
	v_cmp_ge_f32_e32 vcc_lo, 0x41a00000, v124
	s_and_b32 s28, s79, vcc_lo
	s_delay_alu instid0(SALU_CYCLE_1)
	s_and_saveexec_b32 s29, s28
	s_cbranch_execz .LBB116_104
; %bb.103:                              ;   in Loop: Header=BB116_12 Depth=1
	v_mul_f32_e32 v8, 0x3fb8aa3b, v124
	v_cmp_ngt_f32_e32 vcc_lo, 0xc2ce8ed0, v124
	s_delay_alu instid0(VALU_DEP_2) | instskip(SKIP_1) | instid1(VALU_DEP_2)
	v_rndne_f32_e32 v9, v8
	v_fma_f32 v10, 0x3fb8aa3b, v124, -v8
	v_sub_f32_e32 v8, v8, v9
	s_delay_alu instid0(VALU_DEP_2) | instskip(SKIP_1) | instid1(VALU_DEP_2)
	v_fmac_f32_e32 v10, 0x32a5705f, v124
	v_cvt_i32_f32_e32 v9, v9
	v_add_f32_e32 v8, v8, v10
	s_delay_alu instid0(VALU_DEP_1) | instskip(SKIP_2) | instid1(VALU_DEP_1)
	v_exp_f32_e32 v8, v8
	s_waitcnt_depctr 0xfff
	v_ldexp_f32 v8, v8, v9
	v_cndmask_b32_e32 v8, 0, v8, vcc_lo
	v_cmp_nlt_f32_e32 vcc_lo, 0x42b17218, v124
	s_delay_alu instid0(VALU_DEP_2) | instskip(NEXT) | instid1(VALU_DEP_1)
	v_cndmask_b32_e32 v10, 0x7f800000, v8, vcc_lo
	v_add_f32_e32 v12, 1.0, v10
	s_delay_alu instid0(VALU_DEP_1) | instskip(NEXT) | instid1(VALU_DEP_1)
	v_cvt_f64_f32_e32 v[8:9], v12
	v_frexp_exp_i32_f64_e32 v8, v[8:9]
	v_frexp_mant_f32_e32 v9, v12
	s_delay_alu instid0(VALU_DEP_1) | instskip(SKIP_1) | instid1(VALU_DEP_1)
	v_cmp_gt_f32_e32 vcc_lo, 0x3f2aaaab, v9
	v_add_f32_e32 v9, -1.0, v12
	v_dual_sub_f32 v14, v9, v12 :: v_dual_sub_f32 v9, v10, v9
	v_subrev_co_ci_u32_e32 v8, vcc_lo, 0, v8, vcc_lo
	s_delay_alu instid0(VALU_DEP_1) | instskip(SKIP_1) | instid1(VALU_DEP_2)
	v_sub_nc_u32_e32 v13, 0, v8
	v_cvt_f32_i32_e32 v8, v8
	v_ldexp_f32 v12, v12, v13
	s_delay_alu instid0(VALU_DEP_1) | instskip(NEXT) | instid1(VALU_DEP_1)
	v_dual_add_f32 v14, 1.0, v14 :: v_dual_add_f32 v15, 1.0, v12
	v_add_f32_e32 v9, v9, v14
	s_delay_alu instid0(VALU_DEP_1) | instskip(NEXT) | instid1(VALU_DEP_3)
	v_ldexp_f32 v9, v9, v13
	v_dual_add_f32 v13, -1.0, v12 :: v_dual_add_f32 v14, -1.0, v15
	s_delay_alu instid0(VALU_DEP_1) | instskip(NEXT) | instid1(VALU_DEP_1)
	v_dual_add_f32 v17, 1.0, v13 :: v_dual_sub_f32 v14, v12, v14
	v_sub_f32_e32 v12, v12, v17
	s_delay_alu instid0(VALU_DEP_2) | instskip(NEXT) | instid1(VALU_DEP_2)
	v_add_f32_e32 v14, v9, v14
	v_add_f32_e32 v9, v9, v12
	s_delay_alu instid0(VALU_DEP_2) | instskip(SKIP_2) | instid1(VALU_DEP_3)
	v_add_f32_e32 v17, v15, v14
	v_cmp_eq_f32_e32 vcc_lo, 0x7f800000, v10
	v_cmp_gt_f32_e64 s28, 0x33800000, v10
	v_rcp_f32_e32 v12, v17
	v_sub_f32_e32 v15, v15, v17
	s_delay_alu instid0(VALU_DEP_2) | instskip(NEXT) | instid1(VALU_DEP_1)
	s_or_b32 vcc_lo, s28, vcc_lo
	v_add_f32_e32 v14, v14, v15
	v_add_f32_e32 v102, v13, v9
	s_waitcnt_depctr 0xfff
	v_mul_f32_e32 v103, v102, v12
	s_delay_alu instid0(VALU_DEP_1) | instskip(NEXT) | instid1(VALU_DEP_1)
	v_mul_f32_e32 v105, v17, v103
	v_fma_f32 v15, v103, v17, -v105
	s_delay_alu instid0(VALU_DEP_1) | instskip(SKIP_1) | instid1(VALU_DEP_2)
	v_fmac_f32_e32 v15, v103, v14
	v_sub_f32_e32 v13, v13, v102
	v_add_f32_e32 v106, v105, v15
	s_delay_alu instid0(VALU_DEP_2) | instskip(NEXT) | instid1(VALU_DEP_2)
	v_add_f32_e32 v9, v9, v13
	v_sub_f32_e32 v107, v102, v106
	v_sub_f32_e32 v13, v106, v105
	s_delay_alu instid0(VALU_DEP_2) | instskip(NEXT) | instid1(VALU_DEP_1)
	v_sub_f32_e32 v102, v102, v107
	v_dual_sub_f32 v13, v13, v15 :: v_dual_sub_f32 v102, v102, v106
	s_delay_alu instid0(VALU_DEP_1) | instskip(NEXT) | instid1(VALU_DEP_1)
	v_add_f32_e32 v9, v9, v102
	v_add_f32_e32 v9, v13, v9
	s_delay_alu instid0(VALU_DEP_1) | instskip(NEXT) | instid1(VALU_DEP_1)
	v_add_f32_e32 v13, v107, v9
	v_mul_f32_e32 v15, v12, v13
	v_sub_f32_e32 v106, v107, v13
	s_delay_alu instid0(VALU_DEP_2) | instskip(NEXT) | instid1(VALU_DEP_1)
	v_mul_f32_e32 v102, v17, v15
	v_fma_f32 v17, v15, v17, -v102
	s_delay_alu instid0(VALU_DEP_1) | instskip(NEXT) | instid1(VALU_DEP_1)
	v_fmac_f32_e32 v17, v15, v14
	v_add_f32_e32 v14, v102, v17
	s_delay_alu instid0(VALU_DEP_1) | instskip(SKIP_2) | instid1(VALU_DEP_3)
	v_sub_f32_e32 v105, v13, v14
	v_sub_f32_e32 v102, v14, v102
	v_add_f32_e32 v9, v9, v106
	v_sub_f32_e32 v13, v13, v105
	s_delay_alu instid0(VALU_DEP_1) | instskip(NEXT) | instid1(VALU_DEP_1)
	v_dual_sub_f32 v13, v13, v14 :: v_dual_sub_f32 v14, v102, v17
	v_add_f32_e32 v9, v9, v13
	v_add_f32_e32 v13, v103, v15
	s_delay_alu instid0(VALU_DEP_1) | instskip(NEXT) | instid1(VALU_DEP_1)
	v_dual_add_f32 v9, v14, v9 :: v_dual_sub_f32 v14, v13, v103
	v_dual_add_f32 v9, v105, v9 :: v_dual_sub_f32 v14, v15, v14
	s_delay_alu instid0(VALU_DEP_1) | instskip(NEXT) | instid1(VALU_DEP_1)
	v_mul_f32_e32 v9, v12, v9
	v_add_f32_e32 v9, v14, v9
	s_delay_alu instid0(VALU_DEP_1) | instskip(NEXT) | instid1(VALU_DEP_1)
	v_add_f32_e32 v12, v13, v9
	v_mul_f32_e32 v14, v12, v12
	s_delay_alu instid0(VALU_DEP_1) | instskip(NEXT) | instid1(VALU_DEP_1)
	v_fmaak_f32 v15, s83, v14, 0x3ecc95a3
	v_dual_mul_f32 v17, v12, v14 :: v_dual_fmaak_f32 v14, v14, v15, 0x3f2aaada
	v_ldexp_f32 v15, v12, 1
	s_delay_alu instid0(VALU_DEP_2) | instskip(SKIP_1) | instid1(VALU_DEP_2)
	v_mul_f32_e32 v14, v17, v14
	v_dual_sub_f32 v12, v12, v13 :: v_dual_mul_f32 v17, 0x3f317218, v8
	v_add_f32_e32 v13, v15, v14
	s_delay_alu instid0(VALU_DEP_2) | instskip(NEXT) | instid1(VALU_DEP_2)
	v_sub_f32_e32 v9, v9, v12
	v_sub_f32_e32 v12, v13, v15
	s_delay_alu instid0(VALU_DEP_4) | instskip(NEXT) | instid1(VALU_DEP_3)
	v_fma_f32 v15, 0x3f317218, v8, -v17
	v_ldexp_f32 v9, v9, 1
	s_delay_alu instid0(VALU_DEP_3) | instskip(NEXT) | instid1(VALU_DEP_3)
	v_sub_f32_e32 v12, v14, v12
	v_fmac_f32_e32 v15, 0xb102e308, v8
	s_delay_alu instid0(VALU_DEP_2) | instskip(NEXT) | instid1(VALU_DEP_1)
	v_add_f32_e32 v8, v9, v12
	v_add_f32_e32 v12, v13, v8
	s_delay_alu instid0(VALU_DEP_1) | instskip(NEXT) | instid1(VALU_DEP_1)
	v_sub_f32_e32 v13, v12, v13
	v_dual_sub_f32 v8, v8, v13 :: v_dual_add_f32 v9, v17, v15
	s_delay_alu instid0(VALU_DEP_1) | instskip(NEXT) | instid1(VALU_DEP_1)
	v_add_f32_e32 v14, v9, v12
	v_sub_f32_e32 v102, v14, v9
	s_delay_alu instid0(VALU_DEP_1) | instskip(NEXT) | instid1(VALU_DEP_1)
	v_dual_sub_f32 v17, v9, v17 :: v_dual_sub_f32 v12, v12, v102
	v_sub_f32_e32 v15, v15, v17
	s_delay_alu instid0(VALU_DEP_1) | instskip(SKIP_1) | instid1(VALU_DEP_1)
	v_add_f32_e32 v13, v15, v8
	v_sub_f32_e32 v103, v14, v102
	v_sub_f32_e32 v9, v9, v103
	s_delay_alu instid0(VALU_DEP_1) | instskip(NEXT) | instid1(VALU_DEP_1)
	v_dual_add_f32 v9, v12, v9 :: v_dual_sub_f32 v12, v13, v15
	v_add_f32_e32 v9, v13, v9
	s_delay_alu instid0(VALU_DEP_2) | instskip(NEXT) | instid1(VALU_DEP_2)
	v_sub_f32_e32 v13, v13, v12
	v_dual_sub_f32 v8, v8, v12 :: v_dual_add_f32 v17, v14, v9
	s_delay_alu instid0(VALU_DEP_1) | instskip(NEXT) | instid1(VALU_DEP_1)
	v_dual_sub_f32 v13, v15, v13 :: v_dual_sub_f32 v12, v17, v14
	v_dual_add_f32 v8, v8, v13 :: v_dual_sub_f32 v9, v9, v12
	s_delay_alu instid0(VALU_DEP_1) | instskip(NEXT) | instid1(VALU_DEP_1)
	v_add_f32_e32 v8, v8, v9
	v_add_f32_e32 v8, v17, v8
	s_delay_alu instid0(VALU_DEP_1)
	v_cndmask_b32_e32 v124, v8, v10, vcc_lo
.LBB116_104:                            ;   in Loop: Header=BB116_12 Depth=1
	s_or_b32 exec_lo, exec_lo, s29
	v_lshrrev_b32_e32 v8, 16, v11
	s_delay_alu instid0(VALU_DEP_1) | instskip(NEXT) | instid1(VALU_DEP_1)
	v_cvt_f32_f16_e32 v8, v8
	v_add_f32_e32 v125, s66, v8
	s_delay_alu instid0(VALU_DEP_1) | instskip(SKIP_1) | instid1(SALU_CYCLE_1)
	v_cmp_ge_f32_e32 vcc_lo, 0x41a00000, v125
	s_and_b32 s28, s79, vcc_lo
	s_and_saveexec_b32 s29, s28
	s_cbranch_execz .LBB116_106
; %bb.105:                              ;   in Loop: Header=BB116_12 Depth=1
	v_mul_f32_e32 v8, 0x3fb8aa3b, v125
	v_cmp_ngt_f32_e32 vcc_lo, 0xc2ce8ed0, v125
	s_delay_alu instid0(VALU_DEP_2) | instskip(SKIP_1) | instid1(VALU_DEP_2)
	v_rndne_f32_e32 v9, v8
	v_fma_f32 v10, 0x3fb8aa3b, v125, -v8
	v_sub_f32_e32 v8, v8, v9
	s_delay_alu instid0(VALU_DEP_2) | instskip(SKIP_1) | instid1(VALU_DEP_2)
	v_fmac_f32_e32 v10, 0x32a5705f, v125
	v_cvt_i32_f32_e32 v9, v9
	v_add_f32_e32 v8, v8, v10
	s_delay_alu instid0(VALU_DEP_1) | instskip(SKIP_2) | instid1(VALU_DEP_1)
	v_exp_f32_e32 v8, v8
	s_waitcnt_depctr 0xfff
	v_ldexp_f32 v8, v8, v9
	v_cndmask_b32_e32 v8, 0, v8, vcc_lo
	v_cmp_nlt_f32_e32 vcc_lo, 0x42b17218, v125
	s_delay_alu instid0(VALU_DEP_2) | instskip(NEXT) | instid1(VALU_DEP_1)
	v_cndmask_b32_e32 v10, 0x7f800000, v8, vcc_lo
	v_add_f32_e32 v11, 1.0, v10
	s_delay_alu instid0(VALU_DEP_1) | instskip(NEXT) | instid1(VALU_DEP_1)
	v_cvt_f64_f32_e32 v[8:9], v11
	v_frexp_exp_i32_f64_e32 v8, v[8:9]
	v_frexp_mant_f32_e32 v9, v11
	s_delay_alu instid0(VALU_DEP_1) | instskip(SKIP_1) | instid1(VALU_DEP_1)
	v_cmp_gt_f32_e32 vcc_lo, 0x3f2aaaab, v9
	v_add_f32_e32 v9, -1.0, v11
	v_sub_f32_e32 v13, v9, v11
	v_sub_f32_e32 v9, v10, v9
	s_delay_alu instid0(VALU_DEP_2) | instskip(NEXT) | instid1(VALU_DEP_1)
	v_add_f32_e32 v13, 1.0, v13
	v_add_f32_e32 v9, v9, v13
	v_cmp_gt_f32_e64 s28, 0x33800000, v10
	v_subrev_co_ci_u32_e32 v8, vcc_lo, 0, v8, vcc_lo
	v_cmp_eq_f32_e32 vcc_lo, 0x7f800000, v10
	s_delay_alu instid0(VALU_DEP_2) | instskip(SKIP_2) | instid1(VALU_DEP_2)
	v_sub_nc_u32_e32 v12, 0, v8
	v_cvt_f32_i32_e32 v8, v8
	s_or_b32 vcc_lo, s28, vcc_lo
	v_ldexp_f32 v11, v11, v12
	v_ldexp_f32 v9, v9, v12
	s_delay_alu instid0(VALU_DEP_2) | instskip(NEXT) | instid1(VALU_DEP_1)
	v_add_f32_e32 v14, 1.0, v11
	v_dual_add_f32 v12, -1.0, v11 :: v_dual_add_f32 v13, -1.0, v14
	s_delay_alu instid0(VALU_DEP_1) | instskip(NEXT) | instid1(VALU_DEP_2)
	v_add_f32_e32 v15, 1.0, v12
	v_sub_f32_e32 v13, v11, v13
	s_delay_alu instid0(VALU_DEP_2) | instskip(NEXT) | instid1(VALU_DEP_2)
	v_sub_f32_e32 v11, v11, v15
	v_add_f32_e32 v13, v9, v13
	s_delay_alu instid0(VALU_DEP_2) | instskip(NEXT) | instid1(VALU_DEP_2)
	v_add_f32_e32 v9, v9, v11
	v_add_f32_e32 v15, v14, v13
	s_delay_alu instid0(VALU_DEP_1) | instskip(NEXT) | instid1(VALU_DEP_2)
	v_rcp_f32_e32 v11, v15
	v_dual_add_f32 v17, v12, v9 :: v_dual_sub_f32 v14, v14, v15
	s_delay_alu instid0(VALU_DEP_1) | instskip(SKIP_2) | instid1(VALU_DEP_1)
	v_dual_sub_f32 v12, v12, v17 :: v_dual_add_f32 v13, v13, v14
	s_waitcnt_depctr 0xfff
	v_mul_f32_e32 v102, v17, v11
	v_mul_f32_e32 v103, v15, v102
	s_delay_alu instid0(VALU_DEP_1) | instskip(NEXT) | instid1(VALU_DEP_1)
	v_fma_f32 v14, v102, v15, -v103
	v_dual_fmac_f32 v14, v102, v13 :: v_dual_add_f32 v9, v9, v12
	s_delay_alu instid0(VALU_DEP_1) | instskip(NEXT) | instid1(VALU_DEP_1)
	v_add_f32_e32 v105, v103, v14
	v_sub_f32_e32 v106, v17, v105
	v_sub_f32_e32 v12, v105, v103
	s_delay_alu instid0(VALU_DEP_2) | instskip(NEXT) | instid1(VALU_DEP_1)
	v_sub_f32_e32 v17, v17, v106
	v_dual_sub_f32 v12, v12, v14 :: v_dual_sub_f32 v17, v17, v105
	s_delay_alu instid0(VALU_DEP_1) | instskip(NEXT) | instid1(VALU_DEP_1)
	v_add_f32_e32 v9, v9, v17
	v_add_f32_e32 v9, v12, v9
	s_delay_alu instid0(VALU_DEP_1) | instskip(NEXT) | instid1(VALU_DEP_1)
	v_add_f32_e32 v12, v106, v9
	v_mul_f32_e32 v14, v11, v12
	v_sub_f32_e32 v105, v106, v12
	s_delay_alu instid0(VALU_DEP_2) | instskip(NEXT) | instid1(VALU_DEP_2)
	v_mul_f32_e32 v17, v15, v14
	v_add_f32_e32 v9, v9, v105
	s_delay_alu instid0(VALU_DEP_2) | instskip(NEXT) | instid1(VALU_DEP_1)
	v_fma_f32 v15, v14, v15, -v17
	v_fmac_f32_e32 v15, v14, v13
	s_delay_alu instid0(VALU_DEP_1) | instskip(NEXT) | instid1(VALU_DEP_1)
	v_add_f32_e32 v13, v17, v15
	v_sub_f32_e32 v103, v12, v13
	s_delay_alu instid0(VALU_DEP_1) | instskip(NEXT) | instid1(VALU_DEP_1)
	v_dual_sub_f32 v17, v13, v17 :: v_dual_sub_f32 v12, v12, v103
	v_dual_sub_f32 v12, v12, v13 :: v_dual_sub_f32 v13, v17, v15
	s_delay_alu instid0(VALU_DEP_1) | instskip(NEXT) | instid1(VALU_DEP_1)
	v_dual_add_f32 v9, v9, v12 :: v_dual_add_f32 v12, v102, v14
	v_add_f32_e32 v9, v13, v9
	s_delay_alu instid0(VALU_DEP_2) | instskip(NEXT) | instid1(VALU_DEP_2)
	v_sub_f32_e32 v13, v12, v102
	v_add_f32_e32 v9, v103, v9
	s_delay_alu instid0(VALU_DEP_2) | instskip(NEXT) | instid1(VALU_DEP_2)
	v_sub_f32_e32 v13, v14, v13
	v_mul_f32_e32 v9, v11, v9
	s_delay_alu instid0(VALU_DEP_1) | instskip(NEXT) | instid1(VALU_DEP_1)
	v_add_f32_e32 v9, v13, v9
	v_add_f32_e32 v11, v12, v9
	s_delay_alu instid0(VALU_DEP_1) | instskip(NEXT) | instid1(VALU_DEP_1)
	v_mul_f32_e32 v13, v11, v11
	v_fmaak_f32 v14, s83, v13, 0x3ecc95a3
	v_mul_f32_e32 v15, v11, v13
	s_delay_alu instid0(VALU_DEP_2) | instskip(SKIP_2) | instid1(VALU_DEP_3)
	v_fmaak_f32 v13, v13, v14, 0x3f2aaada
	v_ldexp_f32 v14, v11, 1
	v_sub_f32_e32 v11, v11, v12
	v_mul_f32_e32 v13, v15, v13
	v_mul_f32_e32 v15, 0x3f317218, v8
	s_delay_alu instid0(VALU_DEP_2) | instskip(NEXT) | instid1(VALU_DEP_1)
	v_dual_sub_f32 v9, v9, v11 :: v_dual_add_f32 v12, v14, v13
	v_ldexp_f32 v9, v9, 1
	s_delay_alu instid0(VALU_DEP_2) | instskip(NEXT) | instid1(VALU_DEP_4)
	v_sub_f32_e32 v11, v12, v14
	v_fma_f32 v14, 0x3f317218, v8, -v15
	s_delay_alu instid0(VALU_DEP_1) | instskip(NEXT) | instid1(VALU_DEP_1)
	v_dual_sub_f32 v11, v13, v11 :: v_dual_fmac_f32 v14, 0xb102e308, v8
	v_dual_add_f32 v8, v9, v11 :: v_dual_add_f32 v9, v15, v14
	s_delay_alu instid0(VALU_DEP_1) | instskip(NEXT) | instid1(VALU_DEP_2)
	v_add_f32_e32 v11, v12, v8
	v_sub_f32_e32 v15, v9, v15
	s_delay_alu instid0(VALU_DEP_2) | instskip(NEXT) | instid1(VALU_DEP_1)
	v_dual_add_f32 v13, v9, v11 :: v_dual_sub_f32 v12, v11, v12
	v_dual_sub_f32 v14, v14, v15 :: v_dual_sub_f32 v17, v13, v9
	s_delay_alu instid0(VALU_DEP_2) | instskip(NEXT) | instid1(VALU_DEP_2)
	v_sub_f32_e32 v8, v8, v12
	v_sub_f32_e32 v102, v13, v17
	s_delay_alu instid0(VALU_DEP_2) | instskip(NEXT) | instid1(VALU_DEP_2)
	v_dual_sub_f32 v11, v11, v17 :: v_dual_add_f32 v12, v14, v8
	v_sub_f32_e32 v9, v9, v102
	s_delay_alu instid0(VALU_DEP_1) | instskip(NEXT) | instid1(VALU_DEP_3)
	v_add_f32_e32 v9, v11, v9
	v_sub_f32_e32 v11, v12, v14
	s_delay_alu instid0(VALU_DEP_2) | instskip(NEXT) | instid1(VALU_DEP_2)
	v_add_f32_e32 v9, v12, v9
	v_sub_f32_e32 v12, v12, v11
	s_delay_alu instid0(VALU_DEP_2) | instskip(NEXT) | instid1(VALU_DEP_1)
	v_dual_sub_f32 v8, v8, v11 :: v_dual_add_f32 v15, v13, v9
	v_dual_sub_f32 v12, v14, v12 :: v_dual_sub_f32 v11, v15, v13
	s_delay_alu instid0(VALU_DEP_1) | instskip(NEXT) | instid1(VALU_DEP_1)
	v_dual_add_f32 v8, v8, v12 :: v_dual_sub_f32 v9, v9, v11
	v_add_f32_e32 v8, v8, v9
	s_delay_alu instid0(VALU_DEP_1) | instskip(NEXT) | instid1(VALU_DEP_1)
	v_add_f32_e32 v8, v15, v8
	v_cndmask_b32_e32 v125, v8, v10, vcc_lo
.LBB116_106:                            ;   in Loop: Header=BB116_12 Depth=1
	s_or_b32 exec_lo, exec_lo, s29
	v_lshrrev_b32_e32 v9, 16, v6
	v_lshrrev_b32_e32 v10, 16, v7
	;; [unrolled: 1-line block ×6, first 2 shown]
	v_cvt_f32_f16_e32 v8, v7
	v_cvt_f32_f16_e32 v7, v9
	;; [unrolled: 1-line block ×7, first 2 shown]
	v_lshrrev_b32_e32 v14, 16, v1
	v_lshrrev_b32_e32 v15, 16, v0
	v_cvt_f32_f16_e32 v6, v6
	v_cvt_f32_f16_e32 v5, v5
	;; [unrolled: 1-line block ×9, first 2 shown]
	v_dual_mul_f32 v106, s67, v8 :: v_dual_mul_f32 v107, s67, v6
	v_dual_mul_f32 v102, s67, v7 :: v_dual_mul_f32 v103, s67, v9
	;; [unrolled: 1-line block ×7, first 2 shown]
	v_mul_f32_e32 v113, s67, v15
	v_mul_f32_e32 v112, s67, v11
	s_and_b32 vcc_lo, exec_lo, s80
	s_barrier
	buffer_gl0_inv
	s_cbranch_vccz .LBB116_202
; %bb.107:                              ;   in Loop: Header=BB116_12 Depth=1
	v_dual_mul_f32 v126, v125, v11 :: v_dual_mul_f32 v131, v124, v8
	v_add_co_u32 v11, s28, s61, v16
	s_delay_alu instid0(VALU_DEP_1) | instskip(SKIP_1) | instid1(VALU_DEP_1)
	v_add_co_ci_u32_e64 v17, null, s62, 0, s28
	v_add_co_u32 v16, s28, s49, v16
	v_add_co_ci_u32_e64 v130, null, s73, 0, s28
	s_delay_alu instid0(VALU_DEP_4) | instskip(NEXT) | instid1(VALU_DEP_4)
	v_add_co_u32 v127, vcc_lo, v11, v93
	v_add_co_ci_u32_e32 v128, vcc_lo, 0, v17, vcc_lo
	s_delay_alu instid0(VALU_DEP_4) | instskip(NEXT) | instid1(VALU_DEP_4)
	v_add_co_u32 v129, vcc_lo, v16, v93
	v_add_co_ci_u32_e32 v130, vcc_lo, 0, v130, vcc_lo
	v_cmp_gt_u32_e32 vcc_lo, s40, v18
	s_cmp_lg_u32 s87, 0
	v_cmp_gt_u32_e64 s30, s40, v79
	s_cselect_b32 s51, -1, 0
	s_cmp_eq_u32 s87, s82
	v_cmp_gt_u32_e64 s31, s40, v80
	s_cselect_b32 s88, -1, 0
	s_or_b32 s28, s81, vcc_lo
	v_cmp_gt_u32_e32 vcc_lo, s40, v78
	v_cmp_gt_u32_e64 s33, s40, v81
	v_cmp_gt_u32_e64 s34, s40, v82
	;; [unrolled: 1-line block ×4, first 2 shown]
	s_or_b32 s29, s81, vcc_lo
	v_cmp_gt_u32_e32 vcc_lo, s40, v83
	v_cmp_gt_u32_e64 s38, s40, v86
	v_cmp_gt_u32_e64 s39, s40, v87
	;; [unrolled: 1-line block ×4, first 2 shown]
	s_or_b32 s35, s81, vcc_lo
	v_cmp_gt_u32_e32 vcc_lo, s40, v88
	v_cmp_gt_u32_e64 s43, s40, v91
	v_cmp_gt_u32_e64 s44, s40, v92
	v_dual_mul_f32 v132, v123, v7 :: v_dual_mul_f32 v133, v122, v6
	v_dual_mul_f32 v134, v121, v9 :: v_dual_mul_f32 v137, v104, v4
	;; [unrolled: 1-line block ×7, first 2 shown]
	s_mov_b32 s64, 0
	s_or_b32 s30, s81, s30
	s_or_b32 s31, s81, s31
	;; [unrolled: 1-line block ×8, first 2 shown]
	s_or_b32 s40, s81, vcc_lo
	s_or_b32 s41, s81, s41
	s_or_b32 s42, s81, s42
	;; [unrolled: 1-line block ×4, first 2 shown]
	s_mov_b32 s52, s64
	s_mov_b32 s54, s64
	;; [unrolled: 1-line block ×5, first 2 shown]
	s_branch .LBB116_109
.LBB116_108:                            ;   in Loop: Header=BB116_109 Depth=2
	s_or_b32 exec_lo, exec_lo, s45
	v_cndmask_b32_e64 v9, v175, v11, s11
	v_cndmask_b32_e64 v10, v174, v10, s11
	s_add_i32 s89, s89, -1
	s_add_i32 s90, s90, 8
	s_add_i32 s58, s58, s74
	v_fma_f32 v9, v9, v146, v15
	v_mul_f32_e32 v10, v10, v146
	s_add_i32 s54, s54, s48
	s_add_i32 s52, s52, s60
	;; [unrolled: 1-line block ×3, first 2 shown]
	v_cndmask_b32_e64 v9, v9, v15, s10
	v_cndmask_b32_e64 v10, v10, v146, s10
	s_cmp_eq_u32 s89, 0
	s_waitcnt lgkmcnt(0)
	s_delay_alu instid0(VALU_DEP_1) | instskip(NEXT) | instid1(VALU_DEP_1)
	v_fmac_f32_e32 v9, v8, v10
	v_fmac_f32_e32 v12, v9, v148
	s_delay_alu instid0(VALU_DEP_1) | instskip(NEXT) | instid1(VALU_DEP_1)
	v_fmac_f32_e32 v13, v12, v150
	v_fmac_f32_e32 v14, v13, v152
	v_fma_mix_f32 v120, v9, v4, v120 op_sel_hi:[0,1,0]
	s_delay_alu instid0(VALU_DEP_2) | instskip(SKIP_2) | instid1(VALU_DEP_3)
	v_fmac_f32_e32 v147, v14, v154
	v_fma_mix_f32 v113, v12, v4, v113 op_sel:[0,1,0] op_sel_hi:[0,1,0]
	v_fma_mix_f32 v114, v14, v5, v114 op_sel:[0,1,0] op_sel_hi:[0,1,0]
	v_fmac_f32_e32 v149, v147, v155
	v_fma_mix_f32 v117, v147, v6, v117 op_sel_hi:[0,1,0]
	s_delay_alu instid0(VALU_DEP_2) | instskip(SKIP_1) | instid1(VALU_DEP_2)
	v_fmac_f32_e32 v151, v149, v157
	v_fma_mix_f32 v110, v149, v6, v110 op_sel:[0,1,0] op_sel_hi:[0,1,0]
	v_fmac_f32_e32 v153, v151, v160
	s_delay_alu instid0(VALU_DEP_1) | instskip(SKIP_1) | instid1(VALU_DEP_2)
	v_fmac_f32_e32 v156, v153, v161
	v_fma_mix_f32 v119, v13, v5, v119 op_sel_hi:[0,1,0]
	v_fmac_f32_e32 v158, v156, v162
	v_fma_mix_f32 v116, v151, v7, v116 op_sel_hi:[0,1,0]
	v_fma_mix_f32 v111, v156, v0, v111 op_sel_hi:[0,1,0]
	s_delay_alu instid0(VALU_DEP_3) | instskip(SKIP_1) | instid1(VALU_DEP_2)
	v_fmac_f32_e32 v159, v158, v163
	v_fma_mix_f32 v105, v158, v0, v105 op_sel:[0,1,0] op_sel_hi:[0,1,0]
	v_fmac_f32_e32 v164, v159, v170
	v_fma_mix_f32 v108, v159, v1, v108 op_sel_hi:[0,1,0]
	s_delay_alu instid0(VALU_DEP_2) | instskip(NEXT) | instid1(VALU_DEP_1)
	v_fmac_f32_e32 v165, v164, v167
	v_fmac_f32_e32 v166, v165, v169
	v_fma_mix_f32 v109, v153, v7, v109 op_sel:[0,1,0] op_sel_hi:[0,1,0]
	s_delay_alu instid0(VALU_DEP_2) | instskip(SKIP_2) | instid1(VALU_DEP_3)
	v_fmac_f32_e32 v168, v166, v172
	v_fma_mix_f32 v107, v165, v2, v107 op_sel_hi:[0,1,0]
	v_fma_mix_f32 v102, v166, v2, v102 op_sel:[0,1,0] op_sel_hi:[0,1,0]
	v_fmac_f32_e32 v171, v168, v173
	v_fma_mix_f32 v103, v164, v1, v103 op_sel:[0,1,0] op_sel_hi:[0,1,0]
	v_fma_mix_f32 v106, v168, v3, v106 op_sel_hi:[0,1,0]
	s_delay_alu instid0(VALU_DEP_3)
	v_fma_mix_f32 v112, v171, v3, v112 op_sel:[0,1,0] op_sel_hi:[0,1,0]
	s_cbranch_scc1 .LBB116_202
.LBB116_109:                            ;   Parent Loop BB116_12 Depth=1
                                        ; =>  This Inner Loop Header: Depth=2
	s_lshl_b64 s[92:93], s[64:65], 2
	s_mov_b32 s53, s65
	s_add_u32 s92, s71, s92
	s_addc_u32 s93, s72, s93
	v_dual_mov_b32 v2, 0 :: v_dual_mov_b32 v3, 0
	global_load_b32 v146, v21, s[92:93]
	s_lshl_b64 s[92:93], s[52:53], 1
	s_delay_alu instid0(SALU_CYCLE_1)
	v_add_co_u32 v0, vcc_lo, v127, s92
	v_add_co_ci_u32_e32 v1, vcc_lo, s93, v128, vcc_lo
	s_and_saveexec_b32 s45, s12
	s_cbranch_execnz .LBB116_145
; %bb.110:                              ;   in Loop: Header=BB116_109 Depth=2
	s_or_b32 exec_lo, exec_lo, s45
	s_and_saveexec_b32 s45, s13
	s_cbranch_execnz .LBB116_146
.LBB116_111:                            ;   in Loop: Header=BB116_109 Depth=2
	s_or_b32 exec_lo, exec_lo, s45
	v_mov_b32_e32 v4, 0
	s_and_saveexec_b32 s45, s14
	s_cbranch_execnz .LBB116_147
.LBB116_112:                            ;   in Loop: Header=BB116_109 Depth=2
	s_or_b32 exec_lo, exec_lo, s45
	s_and_saveexec_b32 s45, s15
	s_cbranch_execnz .LBB116_148
.LBB116_113:                            ;   in Loop: Header=BB116_109 Depth=2
	s_or_b32 exec_lo, exec_lo, s45
	v_mov_b32_e32 v5, 0
	s_and_saveexec_b32 s45, s16
	s_cbranch_execnz .LBB116_149
.LBB116_114:                            ;   in Loop: Header=BB116_109 Depth=2
	s_or_b32 exec_lo, exec_lo, s45
	s_and_saveexec_b32 s45, s17
	s_cbranch_execnz .LBB116_150
.LBB116_115:                            ;   in Loop: Header=BB116_109 Depth=2
	s_or_b32 exec_lo, exec_lo, s45
	v_mov_b32_e32 v6, 0
	s_and_saveexec_b32 s45, s18
	s_cbranch_execnz .LBB116_151
.LBB116_116:                            ;   in Loop: Header=BB116_109 Depth=2
	s_or_b32 exec_lo, exec_lo, s45
	s_and_saveexec_b32 s45, s19
	s_cbranch_execnz .LBB116_152
.LBB116_117:                            ;   in Loop: Header=BB116_109 Depth=2
	s_or_b32 exec_lo, exec_lo, s45
	v_mov_b32_e32 v7, 0
	s_and_saveexec_b32 s45, s20
	s_cbranch_execnz .LBB116_153
.LBB116_118:                            ;   in Loop: Header=BB116_109 Depth=2
	s_or_b32 exec_lo, exec_lo, s45
	s_and_saveexec_b32 s45, s21
	s_cbranch_execnz .LBB116_154
.LBB116_119:                            ;   in Loop: Header=BB116_109 Depth=2
	s_or_b32 exec_lo, exec_lo, s45
	v_mov_b32_e32 v8, 0
	s_and_saveexec_b32 s45, s22
	s_cbranch_execnz .LBB116_155
.LBB116_120:                            ;   in Loop: Header=BB116_109 Depth=2
	s_or_b32 exec_lo, exec_lo, s45
	s_and_saveexec_b32 s45, s23
	s_cbranch_execnz .LBB116_156
.LBB116_121:                            ;   in Loop: Header=BB116_109 Depth=2
	s_or_b32 exec_lo, exec_lo, s45
	v_mov_b32_e32 v9, 0
	s_and_saveexec_b32 s45, s24
	s_cbranch_execnz .LBB116_157
.LBB116_122:                            ;   in Loop: Header=BB116_109 Depth=2
	s_or_b32 exec_lo, exec_lo, s45
	s_and_saveexec_b32 s45, s25
	s_cbranch_execnz .LBB116_158
.LBB116_123:                            ;   in Loop: Header=BB116_109 Depth=2
	s_or_b32 exec_lo, exec_lo, s45
	v_mov_b32_e32 v10, 0
	s_and_saveexec_b32 s45, s26
	s_cbranch_execnz .LBB116_159
.LBB116_124:                            ;   in Loop: Header=BB116_109 Depth=2
	s_or_b32 exec_lo, exec_lo, s45
	s_and_saveexec_b32 s45, s27
	s_cbranch_execz .LBB116_126
.LBB116_125:                            ;   in Loop: Header=BB116_109 Depth=2
	global_load_u16 v0, v[0:1], off offset:960
	s_waitcnt vmcnt(0)
	v_lshl_or_b32 v10, v0, 16, v10
.LBB116_126:                            ;   in Loop: Header=BB116_109 Depth=2
	s_or_b32 exec_lo, exec_lo, s45
	s_waitcnt vmcnt(0)
	ds_store_b16 v37, v3
	ds_store_b16 v37, v2 offset:64
	ds_store_b16 v38, v4 offset:128
	ds_store_b16_d16_hi v39, v4 offset:192
	ds_store_b16 v40, v5 offset:256
	ds_store_b16_d16_hi v41, v5 offset:320
	;; [unrolled: 2-line block ×7, first 2 shown]
	; wave barrier
	ds_load_b128 v[12:15], v52
	ds_load_b128 v[8:11], v52 offset:16
	s_mov_b32 s55, s65
	v_dual_mov_b32 v2, 0 :: v_dual_mov_b32 v3, 0
	s_lshl_b64 s[92:93], s[54:55], 1
	s_delay_alu instid0(SALU_CYCLE_1)
	v_add_co_u32 v0, vcc_lo, v129, s92
	v_add_co_ci_u32_e32 v1, vcc_lo, s93, v130, vcc_lo
	s_and_saveexec_b32 s45, s12
	s_cbranch_execnz .LBB116_160
; %bb.127:                              ;   in Loop: Header=BB116_109 Depth=2
	s_or_b32 exec_lo, exec_lo, s45
	s_and_saveexec_b32 s45, s13
	s_cbranch_execnz .LBB116_161
.LBB116_128:                            ;   in Loop: Header=BB116_109 Depth=2
	s_or_b32 exec_lo, exec_lo, s45
	v_mov_b32_e32 v4, 0
	s_and_saveexec_b32 s45, s14
	s_cbranch_execnz .LBB116_162
.LBB116_129:                            ;   in Loop: Header=BB116_109 Depth=2
	s_or_b32 exec_lo, exec_lo, s45
	s_and_saveexec_b32 s45, s15
	s_cbranch_execnz .LBB116_163
.LBB116_130:                            ;   in Loop: Header=BB116_109 Depth=2
	s_or_b32 exec_lo, exec_lo, s45
	v_mov_b32_e32 v5, 0
	s_and_saveexec_b32 s45, s16
	s_cbranch_execnz .LBB116_164
.LBB116_131:                            ;   in Loop: Header=BB116_109 Depth=2
	s_or_b32 exec_lo, exec_lo, s45
	s_and_saveexec_b32 s45, s17
	s_cbranch_execnz .LBB116_165
.LBB116_132:                            ;   in Loop: Header=BB116_109 Depth=2
	s_or_b32 exec_lo, exec_lo, s45
	v_mov_b32_e32 v6, 0
	s_and_saveexec_b32 s45, s18
	s_cbranch_execnz .LBB116_166
.LBB116_133:                            ;   in Loop: Header=BB116_109 Depth=2
	s_or_b32 exec_lo, exec_lo, s45
	s_and_saveexec_b32 s45, s19
	s_cbranch_execnz .LBB116_167
.LBB116_134:                            ;   in Loop: Header=BB116_109 Depth=2
	s_or_b32 exec_lo, exec_lo, s45
	v_mov_b32_e32 v7, 0
	s_and_saveexec_b32 s45, s20
	s_cbranch_execnz .LBB116_168
.LBB116_135:                            ;   in Loop: Header=BB116_109 Depth=2
	s_or_b32 exec_lo, exec_lo, s45
	s_and_saveexec_b32 s45, s21
	s_cbranch_execnz .LBB116_169
.LBB116_136:                            ;   in Loop: Header=BB116_109 Depth=2
	s_or_b32 exec_lo, exec_lo, s45
	v_mov_b32_e32 v16, 0
	s_and_saveexec_b32 s45, s22
	s_cbranch_execnz .LBB116_170
.LBB116_137:                            ;   in Loop: Header=BB116_109 Depth=2
	s_or_b32 exec_lo, exec_lo, s45
	s_and_saveexec_b32 s45, s23
	s_cbranch_execnz .LBB116_171
.LBB116_138:                            ;   in Loop: Header=BB116_109 Depth=2
	s_or_b32 exec_lo, exec_lo, s45
	v_mov_b32_e32 v17, 0
	s_and_saveexec_b32 s45, s24
	s_cbranch_execnz .LBB116_172
.LBB116_139:                            ;   in Loop: Header=BB116_109 Depth=2
	s_or_b32 exec_lo, exec_lo, s45
	s_and_saveexec_b32 s45, s25
	s_cbranch_execnz .LBB116_173
.LBB116_140:                            ;   in Loop: Header=BB116_109 Depth=2
	s_or_b32 exec_lo, exec_lo, s45
	v_mov_b32_e32 v147, 0
	s_and_saveexec_b32 s45, s26
	s_cbranch_execnz .LBB116_174
.LBB116_141:                            ;   in Loop: Header=BB116_109 Depth=2
	s_or_b32 exec_lo, exec_lo, s45
	s_and_saveexec_b32 s45, s27
	s_cbranch_execz .LBB116_143
.LBB116_142:                            ;   in Loop: Header=BB116_109 Depth=2
	global_load_u16 v0, v[0:1], off offset:960
	s_waitcnt vmcnt(0)
	v_lshl_or_b32 v147, v0, 16, v147
.LBB116_143:                            ;   in Loop: Header=BB116_109 Depth=2
	s_or_b32 exec_lo, exec_lo, s45
	s_waitcnt vmcnt(0)
	ds_store_b16 v37, v3 offset:2112
	ds_store_b16 v53, v2 offset:64
	ds_store_b16 v54, v4 offset:128
	ds_store_b16_d16_hi v55, v4 offset:192
	ds_store_b16 v56, v5 offset:256
	ds_store_b16_d16_hi v57, v5 offset:320
	ds_store_b16 v58, v6 offset:384
	;; [unrolled: 2-line block ×6, first 2 shown]
	ds_store_b16_d16_hi v67, v147 offset:960
	; wave barrier
	ds_load_b128 v[4:7], v52 offset:2112
	ds_load_b128 v[0:3], v68 offset:16
	s_and_not1_b32 vcc_lo, exec_lo, s51
	s_cbranch_vccnz .LBB116_175
; %bb.144:                              ;   in Loop: Header=BB116_109 Depth=2
	v_mov_b32_e32 v16, s90
	ds_load_b64 v[16:17], v16
	s_cbranch_execz .LBB116_176
	s_branch .LBB116_179
.LBB116_145:                            ;   in Loop: Header=BB116_109 Depth=2
	global_load_u16 v3, v[0:1], off
	s_or_b32 exec_lo, exec_lo, s45
	s_and_saveexec_b32 s45, s13
	s_cbranch_execz .LBB116_111
.LBB116_146:                            ;   in Loop: Header=BB116_109 Depth=2
	global_load_u16 v2, v[0:1], off offset:64
	s_or_b32 exec_lo, exec_lo, s45
	v_mov_b32_e32 v4, 0
	s_and_saveexec_b32 s45, s14
	s_cbranch_execz .LBB116_112
.LBB116_147:                            ;   in Loop: Header=BB116_109 Depth=2
	global_load_u16 v4, v[0:1], off offset:128
	s_or_b32 exec_lo, exec_lo, s45
	s_and_saveexec_b32 s45, s15
	s_cbranch_execz .LBB116_113
.LBB116_148:                            ;   in Loop: Header=BB116_109 Depth=2
	global_load_u16 v5, v[0:1], off offset:192
	s_waitcnt vmcnt(0)
	v_lshl_or_b32 v4, v5, 16, v4
	s_or_b32 exec_lo, exec_lo, s45
	v_mov_b32_e32 v5, 0
	s_and_saveexec_b32 s45, s16
	s_cbranch_execz .LBB116_114
.LBB116_149:                            ;   in Loop: Header=BB116_109 Depth=2
	global_load_u16 v5, v[0:1], off offset:256
	s_or_b32 exec_lo, exec_lo, s45
	s_and_saveexec_b32 s45, s17
	s_cbranch_execz .LBB116_115
.LBB116_150:                            ;   in Loop: Header=BB116_109 Depth=2
	global_load_u16 v6, v[0:1], off offset:320
	s_waitcnt vmcnt(0)
	v_lshl_or_b32 v5, v6, 16, v5
	s_or_b32 exec_lo, exec_lo, s45
	v_mov_b32_e32 v6, 0
	s_and_saveexec_b32 s45, s18
	s_cbranch_execz .LBB116_116
.LBB116_151:                            ;   in Loop: Header=BB116_109 Depth=2
	global_load_u16 v6, v[0:1], off offset:384
	s_or_b32 exec_lo, exec_lo, s45
	s_and_saveexec_b32 s45, s19
	s_cbranch_execz .LBB116_117
.LBB116_152:                            ;   in Loop: Header=BB116_109 Depth=2
	global_load_u16 v7, v[0:1], off offset:448
	s_waitcnt vmcnt(0)
	v_lshl_or_b32 v6, v7, 16, v6
	s_or_b32 exec_lo, exec_lo, s45
	v_mov_b32_e32 v7, 0
	s_and_saveexec_b32 s45, s20
	s_cbranch_execz .LBB116_118
.LBB116_153:                            ;   in Loop: Header=BB116_109 Depth=2
	global_load_u16 v7, v[0:1], off offset:512
	s_or_b32 exec_lo, exec_lo, s45
	s_and_saveexec_b32 s45, s21
	s_cbranch_execz .LBB116_119
.LBB116_154:                            ;   in Loop: Header=BB116_109 Depth=2
	global_load_u16 v8, v[0:1], off offset:576
	s_waitcnt vmcnt(0)
	v_lshl_or_b32 v7, v8, 16, v7
	s_or_b32 exec_lo, exec_lo, s45
	v_mov_b32_e32 v8, 0
	s_and_saveexec_b32 s45, s22
	s_cbranch_execz .LBB116_120
.LBB116_155:                            ;   in Loop: Header=BB116_109 Depth=2
	global_load_u16 v8, v[0:1], off offset:640
	s_or_b32 exec_lo, exec_lo, s45
	s_and_saveexec_b32 s45, s23
	s_cbranch_execz .LBB116_121
.LBB116_156:                            ;   in Loop: Header=BB116_109 Depth=2
	global_load_u16 v9, v[0:1], off offset:704
	s_waitcnt vmcnt(0)
	v_lshl_or_b32 v8, v9, 16, v8
	s_or_b32 exec_lo, exec_lo, s45
	v_mov_b32_e32 v9, 0
	s_and_saveexec_b32 s45, s24
	s_cbranch_execz .LBB116_122
.LBB116_157:                            ;   in Loop: Header=BB116_109 Depth=2
	global_load_u16 v9, v[0:1], off offset:768
	s_or_b32 exec_lo, exec_lo, s45
	s_and_saveexec_b32 s45, s25
	s_cbranch_execz .LBB116_123
.LBB116_158:                            ;   in Loop: Header=BB116_109 Depth=2
	global_load_u16 v10, v[0:1], off offset:832
	s_waitcnt vmcnt(0)
	v_lshl_or_b32 v9, v10, 16, v9
	s_or_b32 exec_lo, exec_lo, s45
	v_mov_b32_e32 v10, 0
	s_and_saveexec_b32 s45, s26
	s_cbranch_execz .LBB116_124
.LBB116_159:                            ;   in Loop: Header=BB116_109 Depth=2
	global_load_u16 v10, v[0:1], off offset:896
	s_or_b32 exec_lo, exec_lo, s45
	s_and_saveexec_b32 s45, s27
	s_cbranch_execnz .LBB116_125
	s_branch .LBB116_126
.LBB116_160:                            ;   in Loop: Header=BB116_109 Depth=2
	global_load_u16 v3, v[0:1], off
	s_or_b32 exec_lo, exec_lo, s45
	s_and_saveexec_b32 s45, s13
	s_cbranch_execz .LBB116_128
.LBB116_161:                            ;   in Loop: Header=BB116_109 Depth=2
	global_load_u16 v2, v[0:1], off offset:64
	s_or_b32 exec_lo, exec_lo, s45
	v_mov_b32_e32 v4, 0
	s_and_saveexec_b32 s45, s14
	s_cbranch_execz .LBB116_129
.LBB116_162:                            ;   in Loop: Header=BB116_109 Depth=2
	global_load_u16 v4, v[0:1], off offset:128
	s_or_b32 exec_lo, exec_lo, s45
	s_and_saveexec_b32 s45, s15
	s_cbranch_execz .LBB116_130
.LBB116_163:                            ;   in Loop: Header=BB116_109 Depth=2
	global_load_u16 v5, v[0:1], off offset:192
	s_waitcnt vmcnt(0)
	v_lshl_or_b32 v4, v5, 16, v4
	s_or_b32 exec_lo, exec_lo, s45
	v_mov_b32_e32 v5, 0
	s_and_saveexec_b32 s45, s16
	s_cbranch_execz .LBB116_131
.LBB116_164:                            ;   in Loop: Header=BB116_109 Depth=2
	global_load_u16 v5, v[0:1], off offset:256
	s_or_b32 exec_lo, exec_lo, s45
	s_and_saveexec_b32 s45, s17
	s_cbranch_execz .LBB116_132
.LBB116_165:                            ;   in Loop: Header=BB116_109 Depth=2
	global_load_u16 v6, v[0:1], off offset:320
	s_waitcnt vmcnt(0)
	v_lshl_or_b32 v5, v6, 16, v5
	s_or_b32 exec_lo, exec_lo, s45
	v_mov_b32_e32 v6, 0
	s_and_saveexec_b32 s45, s18
	s_cbranch_execz .LBB116_133
.LBB116_166:                            ;   in Loop: Header=BB116_109 Depth=2
	global_load_u16 v6, v[0:1], off offset:384
	s_or_b32 exec_lo, exec_lo, s45
	s_and_saveexec_b32 s45, s19
	s_cbranch_execz .LBB116_134
.LBB116_167:                            ;   in Loop: Header=BB116_109 Depth=2
	global_load_u16 v7, v[0:1], off offset:448
	s_waitcnt vmcnt(0)
	v_lshl_or_b32 v6, v7, 16, v6
	s_or_b32 exec_lo, exec_lo, s45
	v_mov_b32_e32 v7, 0
	s_and_saveexec_b32 s45, s20
	s_cbranch_execz .LBB116_135
.LBB116_168:                            ;   in Loop: Header=BB116_109 Depth=2
	global_load_u16 v7, v[0:1], off offset:512
	s_or_b32 exec_lo, exec_lo, s45
	s_and_saveexec_b32 s45, s21
	s_cbranch_execz .LBB116_136
.LBB116_169:                            ;   in Loop: Header=BB116_109 Depth=2
	global_load_u16 v16, v[0:1], off offset:576
	s_waitcnt vmcnt(0)
	v_lshl_or_b32 v7, v16, 16, v7
	s_or_b32 exec_lo, exec_lo, s45
	v_mov_b32_e32 v16, 0
	s_and_saveexec_b32 s45, s22
	s_cbranch_execz .LBB116_137
.LBB116_170:                            ;   in Loop: Header=BB116_109 Depth=2
	global_load_u16 v16, v[0:1], off offset:640
	s_or_b32 exec_lo, exec_lo, s45
	s_and_saveexec_b32 s45, s23
	s_cbranch_execz .LBB116_138
.LBB116_171:                            ;   in Loop: Header=BB116_109 Depth=2
	global_load_u16 v17, v[0:1], off offset:704
	s_waitcnt vmcnt(0)
	v_lshl_or_b32 v16, v17, 16, v16
	s_or_b32 exec_lo, exec_lo, s45
	v_mov_b32_e32 v17, 0
	s_and_saveexec_b32 s45, s24
	s_cbranch_execz .LBB116_139
.LBB116_172:                            ;   in Loop: Header=BB116_109 Depth=2
	global_load_u16 v17, v[0:1], off offset:768
	s_or_b32 exec_lo, exec_lo, s45
	s_and_saveexec_b32 s45, s25
	s_cbranch_execz .LBB116_140
.LBB116_173:                            ;   in Loop: Header=BB116_109 Depth=2
	global_load_u16 v147, v[0:1], off offset:832
	s_waitcnt vmcnt(0)
	v_lshl_or_b32 v17, v147, 16, v17
	s_or_b32 exec_lo, exec_lo, s45
	v_mov_b32_e32 v147, 0
	s_and_saveexec_b32 s45, s26
	s_cbranch_execz .LBB116_141
.LBB116_174:                            ;   in Loop: Header=BB116_109 Depth=2
	global_load_u16 v147, v[0:1], off offset:896
	s_or_b32 exec_lo, exec_lo, s45
	s_and_saveexec_b32 s45, s27
	s_cbranch_execnz .LBB116_142
	s_branch .LBB116_143
.LBB116_175:                            ;   in Loop: Header=BB116_109 Depth=2
                                        ; implicit-def: $vgpr16
.LBB116_176:                            ;   in Loop: Header=BB116_109 Depth=2
	s_waitcnt lgkmcnt(0)
	v_mov_b32_e32 v17, 0
	s_and_not1_b32 vcc_lo, exec_lo, s47
	s_cbranch_vccnz .LBB116_178
; %bb.177:                              ;   in Loop: Header=BB116_109 Depth=2
	s_mov_b32 s59, s65
	s_delay_alu instid0(SALU_CYCLE_1) | instskip(NEXT) | instid1(SALU_CYCLE_1)
	s_lshl_b64 s[92:93], s[58:59], 2
	s_add_u32 s92, s75, s92
	s_addc_u32 s93, s76, s93
	global_load_b32 v17, v21, s[92:93]
.LBB116_178:                            ;   in Loop: Header=BB116_109 Depth=2
	v_mov_b32_e32 v16, 1.0
.LBB116_179:                            ;   in Loop: Header=BB116_109 Depth=2
	v_mul_f32_e32 v168, 0x3fb8aa3b, v146
	s_waitcnt lgkmcnt(19)
	v_lshrrev_b32_e32 v148, 16, v13
	v_lshrrev_b32_e32 v149, 16, v14
	v_cvt_f32_f16_e32 v13, v13
	v_cvt_f32_f16_e64 v156, v14
	v_mul_f32_e32 v14, v168, v94
	v_lshrrev_b32_e32 v147, 16, v12
	v_lshrrev_b32_e32 v150, 16, v15
	v_mul_f32_e32 v13, v143, v13
	v_cvt_f32_f16_e32 v12, v12
	v_cmp_gt_f32_e32 vcc_lo, 0xc2fc0000, v14
	v_cvt_f32_f16_e64 v157, v15
	v_mul_f32_e32 v15, v168, v95
	v_cvt_f32_f16_e64 v155, v148
	v_mul_f32_e32 v12, v145, v12
	v_cndmask_b32_e64 v14, 0, 0x42800000, vcc_lo
	v_mul_f32_e32 v146, v168, v96
	v_cmp_gt_f32_e64 s45, 0xc2fc0000, v15
	v_cndmask_b32_e64 v148, 1.0, 0x1f800000, vcc_lo
	s_waitcnt lgkmcnt(18)
	v_lshrrev_b32_e32 v151, 16, v8
	v_fmac_f32_e32 v14, v168, v94
	v_cvt_f32_f16_e64 v147, v147
	v_cndmask_b32_e64 v15, 0, 0x42800000, s45
	v_cvt_f32_f16_e64 v158, v150
	v_cmp_gt_f32_e32 vcc_lo, 0xc2fc0000, v146
	v_exp_f32_e32 v14, v14
	v_mul_f32_e32 v146, v168, v97
	v_fmac_f32_e32 v15, v168, v95
	v_cvt_f32_f16_e64 v159, v151
	v_cndmask_b32_e64 v151, 0, 0x42800000, vcc_lo
	v_lshrrev_b32_e32 v152, 16, v9
	v_lshrrev_b32_e32 v153, 16, v10
	;; [unrolled: 1-line block ×3, first 2 shown]
	v_cvt_f32_f16_e32 v9, v9
	v_cvt_f32_f16_e32 v8, v8
	v_mul_f32_e32 v14, v14, v148
	v_exp_f32_e32 v150, v15
	v_cndmask_b32_e64 v15, 0, v12, s28
	v_cndmask_b32_e64 v12, 1.0, 0x1f800000, s45
	v_cmp_gt_f32_e64 s45, 0xc2fc0000, v146
	v_cndmask_b32_e64 v146, 1.0, v14, s28
	v_mul_f32_e32 v14, v144, v147
	v_cvt_f32_f16_e64 v164, v152
	v_cvt_f32_f16_e64 v166, v153
	v_cndmask_b32_e64 v148, 0, 0x42800000, s45
	v_cvt_f32_f16_e64 v171, v154
	v_mul_f32_e32 v147, v150, v12
	v_cndmask_b32_e64 v12, 0, v14, s29
	v_cndmask_b32_e64 v14, 1.0, 0x1f800000, vcc_lo
	v_fmac_f32_e32 v151, v168, v96
	v_fmac_f32_e32 v148, v168, v97
	v_dual_mul_f32 v153, v168, v99 :: v_dual_mul_f32 v158, v138, v158
	v_dual_mul_f32 v154, v168, v100 :: v_dual_mul_f32 v9, v135, v9
	s_delay_alu instid0(VALU_DEP_4)
	v_exp_f32_e32 v150, v151
	v_mul_f32_e32 v151, v168, v98
	v_exp_f32_e32 v152, v148
	v_cndmask_b32_e64 v148, 1.0, v147, s29
	v_cndmask_b32_e64 v147, 1.0, 0x1f800000, s45
	v_cmp_gt_f32_e64 s45, 0xc2fc0000, v153
	v_cvt_f32_f16_e32 v10, v10
	v_cvt_f32_f16_e32 v11, v11
	v_mul_f32_e32 v169, v168, v122
	s_delay_alu instid0(TRANS32_DEP_2) | instskip(SKIP_1) | instid1(TRANS32_DEP_1)
	v_dual_mul_f32 v159, v136, v159 :: v_dual_mul_f32 v14, v150, v14
	v_cndmask_b32_e64 v153, 0, 0x42800000, s45
	v_dual_mul_f32 v147, v152, v147 :: v_dual_mul_f32 v10, v133, v10
	v_cndmask_b32_e64 v13, 0, v13, s30
	s_delay_alu instid0(VALU_DEP_4)
	v_cndmask_b32_e64 v150, 1.0, v14, s30
	v_mul_f32_e32 v14, v142, v155
	v_cmp_gt_f32_e32 vcc_lo, 0xc2fc0000, v151
	v_cndmask_b32_e64 v152, 1.0, v147, s31
	v_dual_fmac_f32 v153, v168, v99 :: v_dual_mul_f32 v8, v137, v8
	v_mul_f32_e32 v155, v168, v101
	v_cndmask_b32_e64 v151, 0, 0x42800000, vcc_lo
	v_cndmask_b32_e64 v147, 1.0, 0x1f800000, vcc_lo
	v_cmp_gt_f32_e32 vcc_lo, 0xc2fc0000, v154
	v_exp_f32_e32 v153, v153
	v_cmp_gt_f32_e64 s46, 0xc2fc0000, v155
	v_fmac_f32_e32 v151, v168, v98
	v_mul_f32_e32 v162, v168, v115
	v_cndmask_b32_e64 v154, 0, 0x42800000, vcc_lo
	v_cvt_f32_f16_e64 v149, v149
	v_cndmask_b32_e64 v155, 0, 0x42800000, s46
	v_exp_f32_e32 v151, v151
	v_cndmask_b32_e64 v14, 0, v14, s31
	v_dual_fmac_f32 v154, v168, v100 :: v_dual_mul_f32 v11, v131, v11
	s_delay_alu instid0(VALU_DEP_3) | instskip(SKIP_2) | instid1(VALU_DEP_4)
	v_fmac_f32_e32 v155, v168, v101
	v_mul_f32_e32 v170, v168, v123
	v_mul_f32_e32 v166, v132, v166
	v_exp_f32_e32 v160, v154
	s_delay_alu instid0(TRANS32_DEP_2)
	v_mul_f32_e32 v151, v151, v147
	v_mul_f32_e32 v147, v141, v156
	v_cndmask_b32_e64 v156, 1.0, 0x1f800000, s45
	v_cmp_gt_f32_e64 s45, 0xc2fc0000, v162
	v_mul_f32_e32 v162, v168, v121
	v_cndmask_b32_e64 v154, 1.0, v151, s33
	v_cndmask_b32_e64 v147, 0, v147, s33
	v_mul_f32_e32 v151, v153, v156
	v_cndmask_b32_e64 v153, 1.0, 0x1f800000, vcc_lo
	v_exp_f32_e32 v156, v155
	v_cndmask_b32_e64 v166, 0, v166, s42
	s_delay_alu instid0(VALU_DEP_3) | instskip(NEXT) | instid1(VALU_DEP_3)
	v_cndmask_b32_e64 v155, 1.0, v151, s34
	v_mul_f32_e32 v153, v160, v153
	v_mul_f32_e32 v151, v139, v157
	v_cndmask_b32_e64 v160, 1.0, 0x1f800000, s46
	s_delay_alu instid0(VALU_DEP_3)
	v_cndmask_b32_e64 v157, 1.0, v153, s35
	v_mul_f32_e32 v161, v168, v104
	v_cndmask_b32_e64 v153, 0, v158, s36
	v_mul_f32_e32 v158, v168, v118
	v_mul_f32_e32 v156, v156, v160
	v_cndmask_b32_e64 v151, 0, v151, s35
	v_cmp_gt_f32_e32 vcc_lo, 0xc2fc0000, v161
	s_delay_alu instid0(VALU_DEP_4) | instskip(NEXT) | instid1(VALU_DEP_4)
	v_cmp_gt_f32_e64 s46, 0xc2fc0000, v158
	v_cndmask_b32_e64 v160, 1.0, v156, s36
	v_cndmask_b32_e64 v161, 0, 0x42800000, vcc_lo
	v_cndmask_b32_e64 v163, 1.0, 0x1f800000, vcc_lo
	s_delay_alu instid0(VALU_DEP_4) | instskip(SKIP_1) | instid1(VALU_DEP_4)
	v_cndmask_b32_e64 v158, 0, 0x42800000, s46
	v_cmp_gt_f32_e32 vcc_lo, 0xc2fc0000, v162
	v_fmac_f32_e32 v161, v168, v104
	s_delay_alu instid0(VALU_DEP_3) | instskip(SKIP_1) | instid1(VALU_DEP_3)
	v_fmac_f32_e32 v158, v168, v118
	v_cndmask_b32_e64 v162, 0, 0x42800000, vcc_lo
	v_exp_f32_e32 v156, v161
	v_cndmask_b32_e64 v161, 0, 0x42800000, s45
	s_delay_alu instid0(VALU_DEP_2) | instskip(NEXT) | instid1(VALU_DEP_2)
	v_fmac_f32_e32 v162, v168, v121
	v_fmac_f32_e32 v161, v168, v115
	s_delay_alu instid0(VALU_DEP_2) | instskip(NEXT) | instid1(VALU_DEP_1)
	v_exp_f32_e32 v167, v162
	v_exp_f32_e32 v165, v161
	s_delay_alu instid0(TRANS32_DEP_3)
	v_mul_f32_e32 v161, v156, v163
	v_cndmask_b32_e64 v156, 0, v8, s37
	v_exp_f32_e32 v8, v158
	v_cndmask_b32_e64 v158, 1.0, 0x1f800000, s45
	v_cndmask_b32_e64 v163, 1.0, 0x1f800000, s46
	v_cmp_gt_f32_e64 s45, 0xc2fc0000, v170
	v_cndmask_b32_e64 v161, 1.0, v161, s37
	s_delay_alu instid0(TRANS32_DEP_2) | instid1(VALU_DEP_4)
	v_mul_f32_e32 v162, v165, v158
	v_cndmask_b32_e64 v165, 1.0, 0x1f800000, vcc_lo
	v_cmp_gt_f32_e32 vcc_lo, 0xc2fc0000, v169
	s_delay_alu instid0(TRANS32_DEP_1)
	v_mul_f32_e32 v8, v8, v163
	v_cndmask_b32_e64 v158, 0, v159, s38
	v_cndmask_b32_e64 v159, 0, v9, s39
	v_mul_f32_e32 v9, v134, v164
	v_fma_f32 v169, v148, v15, v12
	v_cndmask_b32_e64 v163, 1.0, v8, s39
	v_mul_f32_e32 v8, v167, v165
	v_cndmask_b32_e64 v165, 0, 0x42800000, vcc_lo
	v_mul_f32_e32 v167, v148, v146
	v_cndmask_b32_e64 v164, 0, v9, s40
	v_cndmask_b32_e64 v162, 1.0, v162, s38
	v_cndmask_b32_e64 v170, 1.0, v8, s40
	v_fmac_f32_e32 v165, v168, v122
	v_mul_f32_e32 v9, v167, v150
	v_fma_f32 v167, v169, v150, v13
	v_cndmask_b32_e64 v8, 1.0, 0x1f800000, vcc_lo
	v_cndmask_b32_e64 v169, 0, 0x42800000, s45
	v_exp_f32_e32 v165, v165
	v_mul_f32_e32 v149, v140, v149
	v_mul_f32_e32 v9, v9, v152
	v_fma_f32 v167, v167, v152, v14
	v_fmac_f32_e32 v169, v168, v123
	s_delay_alu instid0(VALU_DEP_3) | instskip(NEXT) | instid1(VALU_DEP_3)
	v_mul_f32_e32 v9, v9, v154
	v_fma_f32 v167, v167, v154, v147
	s_delay_alu instid0(VALU_DEP_3) | instskip(NEXT) | instid1(TRANS32_DEP_2)
	v_exp_f32_e32 v169, v169
	v_mul_f32_e32 v8, v165, v8
	v_cndmask_b32_e64 v149, 0, v149, s34
	v_mul_f32_e32 v9, v9, v155
	v_cndmask_b32_e64 v165, 0, v10, s41
	v_cndmask_b32_e64 v10, 1.0, 0x1f800000, s45
	s_delay_alu instid0(VALU_DEP_4)
	v_fma_f32 v172, v167, v155, v149
	v_cndmask_b32_e64 v167, 1.0, v8, s41
	v_mul_f32_e32 v8, v9, v157
	s_delay_alu instid0(TRANS32_DEP_1) | instid1(VALU_DEP_4)
	v_mul_f32_e32 v10, v169, v10
	s_delay_alu instid0(VALU_DEP_4) | instskip(SKIP_1) | instid1(VALU_DEP_4)
	v_fma_f32 v9, v172, v157, v151
	v_mul_f32_e32 v172, v168, v124
	v_mul_f32_e32 v8, v8, v160
	s_delay_alu instid0(VALU_DEP_3) | instskip(NEXT) | instid1(VALU_DEP_3)
	v_fma_f32 v9, v9, v160, v153
	v_cmp_gt_f32_e32 vcc_lo, 0xc2fc0000, v172
	v_mul_f32_e32 v172, v168, v125
	s_delay_alu instid0(VALU_DEP_4) | instskip(NEXT) | instid1(VALU_DEP_4)
	v_mul_f32_e32 v8, v8, v161
	v_fma_f32 v9, v9, v161, v156
	v_cndmask_b32_e64 v169, 0, 0x42800000, vcc_lo
	s_delay_alu instid0(VALU_DEP_4) | instskip(NEXT) | instid1(VALU_DEP_4)
	v_cmp_gt_f32_e64 s45, 0xc2fc0000, v172
	v_mul_f32_e32 v8, v8, v162
	s_delay_alu instid0(VALU_DEP_4) | instskip(NEXT) | instid1(VALU_DEP_4)
	v_fma_f32 v9, v9, v162, v158
	v_fmac_f32_e32 v169, v168, v124
	s_delay_alu instid0(VALU_DEP_4) | instskip(NEXT) | instid1(VALU_DEP_4)
	v_cndmask_b32_e64 v172, 0, 0x42800000, s45
	v_mul_f32_e32 v8, v8, v163
	s_delay_alu instid0(VALU_DEP_4) | instskip(NEXT) | instid1(VALU_DEP_4)
	v_fma_f32 v9, v9, v163, v159
	v_exp_f32_e32 v173, v169
	s_delay_alu instid0(VALU_DEP_3)
	v_fmac_f32_e32 v172, v168, v125
	v_cndmask_b32_e64 v169, 1.0, v10, s42
	v_cndmask_b32_e64 v10, 1.0, 0x1f800000, vcc_lo
	v_mul_f32_e32 v8, v8, v170
	v_fma_f32 v9, v9, v170, v164
	v_exp_f32_e32 v174, v172
	v_cndmask_b32_e64 v168, 0, v11, s43
	v_cndmask_b32_e64 v11, 1.0, 0x1f800000, s45
	v_mul_f32_e32 v8, v8, v167
	v_mul_f32_e32 v10, v173, v10
	v_fma_f32 v9, v9, v167, v165
	s_delay_alu instid0(VALU_DEP_3) | instskip(NEXT) | instid1(VALU_DEP_3)
	v_mul_f32_e32 v8, v8, v169
	v_cndmask_b32_e64 v172, 1.0, v10, s43
	v_mul_f32_e32 v10, v126, v171
	s_delay_alu instid0(TRANS32_DEP_1) | instskip(SKIP_1) | instid1(VALU_DEP_4)
	v_mul_f32_e32 v11, v174, v11
	v_fma_f32 v9, v9, v169, v166
	v_mul_f32_e32 v8, v8, v172
	s_delay_alu instid0(VALU_DEP_4) | instskip(NEXT) | instid1(VALU_DEP_4)
	v_cndmask_b32_e64 v171, 0, v10, s44
	v_cndmask_b32_e64 v173, 1.0, v11, s44
	s_delay_alu instid0(VALU_DEP_4) | instskip(NEXT) | instid1(VALU_DEP_2)
	v_fma_f32 v9, v9, v172, v168
	v_mul_f32_e32 v8, v8, v173
	s_delay_alu instid0(VALU_DEP_2) | instskip(NEXT) | instid1(VALU_DEP_2)
	v_fma_f32 v9, v9, v173, v171
	v_mov_b32_dpp v11, v8 row_shr:1 row_mask:0xf bank_mask:0xf
	s_delay_alu instid0(VALU_DEP_2)
	v_mov_b32_dpp v10, v9 row_shr:1 row_mask:0xf bank_mask:0xf
	s_and_saveexec_b32 s45, s0
; %bb.180:                              ;   in Loop: Header=BB116_109 Depth=2
	s_delay_alu instid0(VALU_DEP_2) | instskip(NEXT) | instid1(VALU_DEP_1)
	v_mul_f32_e32 v11, v8, v11
	v_dual_fmac_f32 v9, v8, v10 :: v_dual_mov_b32 v8, v11
; %bb.181:                              ;   in Loop: Header=BB116_109 Depth=2
	s_or_b32 exec_lo, exec_lo, s45
	s_delay_alu instid0(VALU_DEP_1) | instskip(NEXT) | instid1(VALU_DEP_2)
	v_mov_b32_dpp v10, v8 row_shr:2 row_mask:0xf bank_mask:0xf
	v_mov_b32_dpp v11, v9 row_shr:2 row_mask:0xf bank_mask:0xf
	s_and_saveexec_b32 s45, s1
; %bb.182:                              ;   in Loop: Header=BB116_109 Depth=2
	s_delay_alu instid0(VALU_DEP_1) | instskip(NEXT) | instid1(VALU_DEP_3)
	v_fmac_f32_e32 v9, v8, v11
	v_mul_f32_e32 v8, v8, v10
; %bb.183:                              ;   in Loop: Header=BB116_109 Depth=2
	s_or_b32 exec_lo, exec_lo, s45
	s_delay_alu instid0(VALU_DEP_1) | instskip(NEXT) | instid1(VALU_DEP_3)
	v_mov_b32_dpp v10, v8 row_shr:4 row_mask:0xf bank_mask:0xf
	v_mov_b32_dpp v11, v9 row_shr:4 row_mask:0xf bank_mask:0xf
	s_and_saveexec_b32 s45, s2
; %bb.184:                              ;   in Loop: Header=BB116_109 Depth=2
	s_delay_alu instid0(VALU_DEP_1) | instskip(NEXT) | instid1(VALU_DEP_3)
	v_fmac_f32_e32 v9, v8, v11
	v_mul_f32_e32 v8, v8, v10
; %bb.185:                              ;   in Loop: Header=BB116_109 Depth=2
	s_or_b32 exec_lo, exec_lo, s45
	s_delay_alu instid0(VALU_DEP_1) | instskip(NEXT) | instid1(VALU_DEP_3)
	v_mov_b32_dpp v10, v8 row_shr:8 row_mask:0xf bank_mask:0xf
	v_mov_b32_dpp v11, v9 row_shr:8 row_mask:0xf bank_mask:0xf
	s_and_saveexec_b32 s45, s3
; %bb.186:                              ;   in Loop: Header=BB116_109 Depth=2
	s_delay_alu instid0(VALU_DEP_1) | instskip(NEXT) | instid1(VALU_DEP_3)
	v_fmac_f32_e32 v9, v8, v11
	v_mul_f32_e32 v8, v8, v10
; %bb.187:                              ;   in Loop: Header=BB116_109 Depth=2
	s_or_b32 exec_lo, exec_lo, s45
	ds_swizzle_b32 v11, v8 offset:swizzle(BROADCAST,32,15)
	ds_swizzle_b32 v10, v9 offset:swizzle(BROADCAST,32,15)
	s_and_saveexec_b32 s45, s4
	s_cbranch_execz .LBB116_189
; %bb.188:                              ;   in Loop: Header=BB116_109 Depth=2
	s_waitcnt lgkmcnt(1)
	v_mul_f32_e32 v11, v8, v11
	s_waitcnt lgkmcnt(0)
	s_delay_alu instid0(VALU_DEP_1)
	v_dual_fmac_f32 v9, v8, v10 :: v_dual_mov_b32 v8, v11
.LBB116_189:                            ;   in Loop: Header=BB116_109 Depth=2
	s_or_b32 exec_lo, exec_lo, s45
	s_and_saveexec_b32 s45, s5
	s_cbranch_execz .LBB116_191
; %bb.190:                              ;   in Loop: Header=BB116_109 Depth=2
	ds_store_b64 v69, v[8:9] offset:4224
.LBB116_191:                            ;   in Loop: Header=BB116_109 Depth=2
	s_or_b32 exec_lo, exec_lo, s45
	s_waitcnt vmcnt(0) lgkmcnt(0)
	s_waitcnt_vscnt null, 0x0
	s_barrier
	buffer_gl0_inv
	s_and_saveexec_b32 s45, s6
	s_cbranch_execz .LBB116_193
; %bb.192:                              ;   in Loop: Header=BB116_109 Depth=2
	ds_load_b64 v[10:11], v70 offset:4224
	s_waitcnt lgkmcnt(0)
	v_mov_b32_dpp v174, v10 row_shr:1 row_mask:0xf bank_mask:0xf
	v_mov_b32_dpp v175, v11 row_shr:1 row_mask:0xf bank_mask:0xf
	s_delay_alu instid0(VALU_DEP_2) | instskip(NEXT) | instid1(VALU_DEP_2)
	v_mul_f32_e32 v174, v10, v174
	v_fma_f32 v175, v10, v175, v11
	s_delay_alu instid0(VALU_DEP_2) | instskip(NEXT) | instid1(VALU_DEP_2)
	v_cndmask_b32_e64 v10, v174, v10, s7
	v_cndmask_b32_e64 v11, v175, v11, s7
	ds_store_b64 v70, v[10:11] offset:4224
.LBB116_193:                            ;   in Loop: Header=BB116_109 Depth=2
	s_or_b32 exec_lo, exec_lo, s45
	s_waitcnt lgkmcnt(0)
	s_barrier
	buffer_gl0_inv
                                        ; implicit-def: $vgpr11
	s_and_saveexec_b32 s45, s9
	s_cbranch_execz .LBB116_195
; %bb.194:                              ;   in Loop: Header=BB116_109 Depth=2
	ds_load_b64 v[10:11], v69 offset:4216
	s_waitcnt lgkmcnt(0)
	v_mul_f32_e32 v174, v8, v10
	s_delay_alu instid0(VALU_DEP_1)
	v_dual_fmac_f32 v9, v8, v11 :: v_dual_mov_b32 v8, v174
.LBB116_195:                            ;   in Loop: Header=BB116_109 Depth=2
	s_or_b32 exec_lo, exec_lo, s45
	ds_bpermute_b32 v174, v71, v8
	ds_bpermute_b32 v175, v71, v9
	s_and_saveexec_b32 s45, s8
	s_cbranch_execz .LBB116_199
; %bb.196:                              ;   in Loop: Header=BB116_109 Depth=2
	ds_load_b64 v[8:9], v21 offset:4232
	s_and_saveexec_b32 s46, s10
	s_cbranch_execz .LBB116_198
; %bb.197:                              ;   in Loop: Header=BB116_109 Depth=2
	ds_store_b64 v21, v[16:17] offset:4232
.LBB116_198:                            ;   in Loop: Header=BB116_109 Depth=2
	s_or_b32 exec_lo, exec_lo, s46
	s_waitcnt lgkmcnt(0)
	v_fmac_f32_e32 v9, v17, v8
	s_delay_alu instid0(VALU_DEP_1)
	v_dual_mul_f32 v16, v16, v8 :: v_dual_mov_b32 v17, v9
.LBB116_199:                            ;   in Loop: Header=BB116_109 Depth=2
	s_or_b32 exec_lo, exec_lo, s45
	s_waitcnt lgkmcnt(0)
	s_barrier
	buffer_gl0_inv
	ds_load_b32 v8, v21 offset:4236
	s_and_saveexec_b32 s45, s10
	s_cbranch_execz .LBB116_108
; %bb.200:                              ;   in Loop: Header=BB116_109 Depth=2
	v_mov_b32_e32 v9, s90
	s_and_not1_b32 vcc_lo, exec_lo, s88
	ds_store_b64 v9, v[16:17]
	s_cbranch_vccnz .LBB116_108
; %bb.201:                              ;   in Loop: Header=BB116_109 Depth=2
	s_mov_b32 s59, s65
	s_delay_alu instid0(SALU_CYCLE_1) | instskip(NEXT) | instid1(SALU_CYCLE_1)
	s_lshl_b64 s[92:93], s[58:59], 2
	s_add_u32 s92, s75, s92
	s_addc_u32 s93, s76, s93
	global_store_b32 v21, v17, s[92:93]
	s_branch .LBB116_108
.LBB116_202:                            ;   in Loop: Header=BB116_12 Depth=1
	v_cvt_f16_f32_e32 v0, v120
	v_cvt_f16_f32_e32 v4, v113
	;; [unrolled: 1-line block ×16, first 2 shown]
	v_pack_b32_f16 v3, v3, v7
	v_pack_b32_f16 v2, v2, v6
	;; [unrolled: 1-line block ×8, first 2 shown]
	s_waitcnt_vscnt null, 0x0
	s_barrier
	buffer_gl0_inv
	ds_store_b128 v52, v[0:3]
	ds_store_b128 v52, v[4:7] offset:16
	; wave barrier
	ds_load_u16 v16, v37 offset:64
	ds_load_u16 v15, v38 offset:128
	;; [unrolled: 1-line block ×15, first 2 shown]
	s_mov_b32 s51, s65
	s_delay_alu instid0(SALU_CYCLE_1) | instskip(NEXT) | instid1(SALU_CYCLE_1)
	s_lshl_b64 s[34:35], s[50:51], 1
	v_add_co_u32 v0, vcc_lo, v72, s34
	v_add_co_ci_u32_e32 v1, vcc_lo, s35, v73, vcc_lo
	s_and_saveexec_b32 s28, s12
	s_cbranch_execnz .LBB116_269
; %bb.203:                              ;   in Loop: Header=BB116_12 Depth=1
	s_or_b32 exec_lo, exec_lo, s28
	s_and_saveexec_b32 s28, s13
	s_cbranch_execnz .LBB116_270
.LBB116_204:                            ;   in Loop: Header=BB116_12 Depth=1
	s_or_b32 exec_lo, exec_lo, s28
	s_and_saveexec_b32 s28, s14
	s_cbranch_execnz .LBB116_271
.LBB116_205:                            ;   in Loop: Header=BB116_12 Depth=1
	s_or_b32 exec_lo, exec_lo, s28
	s_and_saveexec_b32 s28, s15
	s_cbranch_execnz .LBB116_272
.LBB116_206:                            ;   in Loop: Header=BB116_12 Depth=1
	s_or_b32 exec_lo, exec_lo, s28
	s_and_saveexec_b32 s28, s16
	s_cbranch_execnz .LBB116_273
.LBB116_207:                            ;   in Loop: Header=BB116_12 Depth=1
	s_or_b32 exec_lo, exec_lo, s28
	s_and_saveexec_b32 s28, s17
	s_cbranch_execnz .LBB116_274
.LBB116_208:                            ;   in Loop: Header=BB116_12 Depth=1
	s_or_b32 exec_lo, exec_lo, s28
	s_and_saveexec_b32 s28, s18
	s_cbranch_execnz .LBB116_275
.LBB116_209:                            ;   in Loop: Header=BB116_12 Depth=1
	s_or_b32 exec_lo, exec_lo, s28
	s_and_saveexec_b32 s28, s19
	s_cbranch_execnz .LBB116_276
.LBB116_210:                            ;   in Loop: Header=BB116_12 Depth=1
	s_or_b32 exec_lo, exec_lo, s28
	s_and_saveexec_b32 s28, s20
	s_cbranch_execnz .LBB116_277
.LBB116_211:                            ;   in Loop: Header=BB116_12 Depth=1
	s_or_b32 exec_lo, exec_lo, s28
	s_and_saveexec_b32 s28, s21
	s_cbranch_execnz .LBB116_278
.LBB116_212:                            ;   in Loop: Header=BB116_12 Depth=1
	s_or_b32 exec_lo, exec_lo, s28
	s_and_saveexec_b32 s28, s22
	s_cbranch_execnz .LBB116_279
.LBB116_213:                            ;   in Loop: Header=BB116_12 Depth=1
	s_or_b32 exec_lo, exec_lo, s28
	s_and_saveexec_b32 s28, s23
	s_cbranch_execnz .LBB116_280
.LBB116_214:                            ;   in Loop: Header=BB116_12 Depth=1
	s_or_b32 exec_lo, exec_lo, s28
	s_and_saveexec_b32 s28, s24
	s_cbranch_execnz .LBB116_281
.LBB116_215:                            ;   in Loop: Header=BB116_12 Depth=1
	s_or_b32 exec_lo, exec_lo, s28
	s_and_saveexec_b32 s28, s25
	s_cbranch_execnz .LBB116_282
.LBB116_216:                            ;   in Loop: Header=BB116_12 Depth=1
	s_or_b32 exec_lo, exec_lo, s28
	s_and_saveexec_b32 s28, s26
	s_cbranch_execnz .LBB116_283
.LBB116_217:                            ;   in Loop: Header=BB116_12 Depth=1
	s_or_b32 exec_lo, exec_lo, s28
	s_and_saveexec_b32 s28, s27
	s_cbranch_execz .LBB116_219
.LBB116_218:                            ;   in Loop: Header=BB116_12 Depth=1
	s_waitcnt lgkmcnt(0)
	global_store_b16 v[0:1], v2, off offset:960
.LBB116_219:                            ;   in Loop: Header=BB116_12 Depth=1
	s_or_b32 exec_lo, exec_lo, s28
	v_add_co_u32 v0, vcc_lo, v74, s34
	v_add_co_ci_u32_e32 v1, vcc_lo, s35, v75, vcc_lo
	s_waitcnt lgkmcnt(0)
	v_dual_mov_b32 v2, 0 :: v_dual_mov_b32 v3, 0
	s_waitcnt_vscnt null, 0x0
	s_barrier
	buffer_gl0_inv
	s_and_saveexec_b32 s28, s12
	s_cbranch_execz .LBB116_221
; %bb.220:                              ;   in Loop: Header=BB116_12 Depth=1
	global_load_u16 v3, v[0:1], off
.LBB116_221:                            ;   in Loop: Header=BB116_12 Depth=1
	s_or_b32 exec_lo, exec_lo, s28
	s_and_saveexec_b32 s28, s13
	s_cbranch_execz .LBB116_223
; %bb.222:                              ;   in Loop: Header=BB116_12 Depth=1
	global_load_u16 v2, v[0:1], off offset:64
.LBB116_223:                            ;   in Loop: Header=BB116_12 Depth=1
	s_or_b32 exec_lo, exec_lo, s28
	v_dual_mov_b32 v4, 0 :: v_dual_mov_b32 v5, 0
	s_and_saveexec_b32 s28, s14
	s_cbranch_execz .LBB116_225
; %bb.224:                              ;   in Loop: Header=BB116_12 Depth=1
	global_load_u16 v5, v[0:1], off offset:128
.LBB116_225:                            ;   in Loop: Header=BB116_12 Depth=1
	s_or_b32 exec_lo, exec_lo, s28
	s_and_saveexec_b32 s28, s15
	s_cbranch_execz .LBB116_227
; %bb.226:                              ;   in Loop: Header=BB116_12 Depth=1
	global_load_u16 v4, v[0:1], off offset:192
.LBB116_227:                            ;   in Loop: Header=BB116_12 Depth=1
	s_or_b32 exec_lo, exec_lo, s28
	v_dual_mov_b32 v6, 0 :: v_dual_mov_b32 v7, 0
	s_and_saveexec_b32 s28, s16
	s_cbranch_execz .LBB116_229
; %bb.228:                              ;   in Loop: Header=BB116_12 Depth=1
	global_load_u16 v7, v[0:1], off offset:256
.LBB116_229:                            ;   in Loop: Header=BB116_12 Depth=1
	;; [unrolled: 13-line block ×7, first 2 shown]
	s_or_b32 exec_lo, exec_lo, s28
	s_and_saveexec_b32 s28, s27
	s_cbranch_execz .LBB116_251
; %bb.250:                              ;   in Loop: Header=BB116_12 Depth=1
	global_load_u16 v16, v[0:1], off offset:960
.LBB116_251:                            ;   in Loop: Header=BB116_12 Depth=1
	s_or_b32 exec_lo, exec_lo, s28
	s_waitcnt vmcnt(0)
	ds_store_b16 v37, v3
	ds_store_b16 v37, v2 offset:64
	ds_store_b16 v38, v5 offset:128
	;; [unrolled: 1-line block ×15, first 2 shown]
	; wave barrier
	ds_load_b128 v[4:7], v52
	ds_load_b128 v[0:3], v52 offset:16
	s_waitcnt lgkmcnt(0)
	s_barrier
	buffer_gl0_inv
	v_lshrrev_b32_e32 v8, 16, v4
	v_lshrrev_b32_e32 v9, 16, v5
	v_cvt_f32_f16_e32 v10, v5
	v_cvt_f32_f16_e32 v11, v4
	v_lshrrev_b32_e32 v104, 16, v6
	v_cvt_f32_f16_e32 v8, v8
	v_cvt_f32_f16_e32 v9, v9
	v_mul_f32_e32 v12, 0xbfb8aa3b, v10
	v_mul_f32_e32 v14, 0xbfb8aa3b, v11
	v_cvt_f32_f16_e32 v104, v104
	v_mul_f32_e32 v13, 0xbfb8aa3b, v8
	v_mul_f32_e32 v15, 0xbfb8aa3b, v9
	v_rndne_f32_e32 v16, v12
	v_fma_mix_f32 v17, v5, s85, -v12 op_sel_hi:[1,0,0]
	v_cmp_nlt_f32_e32 vcc_lo, 0x42ce8ed0, v8
	v_rndne_f32_e32 v94, v13
	v_fma_mix_f32 v95, v4, s85, -v13 op_sel:[1,0,0] op_sel_hi:[1,0,0]
	v_fma_mix_f32 v97, v5, s85, -v15 op_sel:[1,0,0] op_sel_hi:[1,0,0]
	v_rndne_f32_e32 v96, v15
	s_delay_alu instid0(VALU_DEP_4) | instskip(NEXT) | instid1(VALU_DEP_4)
	v_dual_sub_f32 v12, v12, v16 :: v_dual_sub_f32 v13, v13, v94
	v_fma_mix_f32 v95, v4, s86, v95 op_sel:[1,0,0] op_sel_hi:[1,0,0]
	s_delay_alu instid0(VALU_DEP_4) | instskip(SKIP_4) | instid1(VALU_DEP_4)
	v_fma_mix_f32 v97, v5, s86, v97 op_sel:[1,0,0] op_sel_hi:[1,0,0]
	v_fma_mix_f32 v5, v5, s86, v17 op_sel_hi:[1,0,0]
	v_rndne_f32_e32 v17, v14
	v_sub_f32_e32 v15, v15, v96
	v_cvt_i32_f32_e32 v16, v16
	v_add_f32_e32 v5, v12, v5
	s_delay_alu instid0(VALU_DEP_4) | instskip(SKIP_2) | instid1(VALU_DEP_4)
	v_dual_sub_f32 v12, v14, v17 :: v_dual_add_f32 v13, v13, v95
	v_fma_mix_f32 v95, v4, s85, -v14 op_sel_hi:[1,0,0]
	v_add_f32_e32 v15, v15, v97
	v_exp_f32_e32 v5, v5
	v_cvt_i32_f32_e32 v17, v17
	s_delay_alu instid0(VALU_DEP_3) | instskip(NEXT) | instid1(VALU_DEP_3)
	v_fma_mix_f32 v4, v4, s86, v95 op_sel_hi:[1,0,0]
	v_exp_f32_e32 v14, v15
	v_cvt_i32_f32_e32 v15, v94
	s_delay_alu instid0(VALU_DEP_2) | instskip(SKIP_2) | instid1(TRANS32_DEP_3)
	v_add_f32_e32 v4, v12, v4
	v_exp_f32_e32 v13, v13
	v_cvt_i32_f32_e32 v12, v96
	v_ldexp_f32 v5, v5, v16
	s_delay_alu instid0(VALU_DEP_3)
	v_exp_f32_e32 v4, v4
	s_delay_alu instid0(TRANS32_DEP_3) | instid1(VALU_DEP_2)
	v_ldexp_f32 v12, v14, v12
	s_waitcnt_depctr 0xfff
	v_ldexp_f32 v13, v13, v15
	v_ldexp_f32 v4, v4, v17
	s_delay_alu instid0(VALU_DEP_2)
	v_cndmask_b32_e32 v13, 0, v13, vcc_lo
	v_cmp_nlt_f32_e32 vcc_lo, 0x42ce8ed0, v9
	v_cndmask_b32_e32 v12, 0, v12, vcc_lo
	v_cmp_nlt_f32_e32 vcc_lo, 0x42ce8ed0, v10
	v_cndmask_b32_e32 v5, 0, v5, vcc_lo
	v_cmp_ngt_f32_e32 vcc_lo, 0xc2b17218, v8
	v_cndmask_b32_e32 v13, 0x7f800000, v13, vcc_lo
	v_cmp_ngt_f32_e32 vcc_lo, 0xc2b17218, v9
	v_cndmask_b32_e32 v12, 0x7f800000, v12, vcc_lo
	v_cmp_ngt_f32_e32 vcc_lo, 0xc2b17218, v10
	s_delay_alu instid0(VALU_DEP_2) | instskip(NEXT) | instid1(VALU_DEP_1)
	v_add_f32_e32 v12, 1.0, v12
	v_div_scale_f32 v15, null, v12, v12, v9
	v_div_scale_f32 v99, s28, v9, v12, v9
	s_delay_alu instid0(VALU_DEP_2) | instskip(SKIP_4) | instid1(VALU_DEP_3)
	v_rcp_f32_e32 v94, v15
	s_waitcnt_depctr 0xfff
	v_fma_f32 v98, -v15, v94, 1.0
	v_cndmask_b32_e32 v5, 0x7f800000, v5, vcc_lo
	v_cmp_nlt_f32_e32 vcc_lo, 0x42ce8ed0, v11
	v_fmac_f32_e32 v94, v98, v94
	s_delay_alu instid0(VALU_DEP_3) | instskip(SKIP_2) | instid1(VALU_DEP_3)
	v_add_f32_e32 v14, 1.0, v5
	v_cndmask_b32_e32 v4, 0, v4, vcc_lo
	v_cmp_ngt_f32_e32 vcc_lo, 0xc2b17218, v11
	v_div_scale_f32 v16, null, v14, v14, v10
	s_delay_alu instid0(VALU_DEP_3) | instskip(NEXT) | instid1(VALU_DEP_2)
	v_cndmask_b32_e32 v4, 0x7f800000, v4, vcc_lo
	v_rcp_f32_e32 v95, v16
	s_delay_alu instid0(VALU_DEP_1) | instskip(NEXT) | instid1(VALU_DEP_1)
	v_dual_add_f32 v96, 1.0, v4 :: v_dual_add_f32 v13, 1.0, v13
	v_div_scale_f32 v101, null, v96, v96, v11
	s_waitcnt_depctr 0xfff
	v_fma_f32 v100, -v16, v95, 1.0
	v_rcp_f32_e32 v122, v101
	s_delay_alu instid0(VALU_DEP_1) | instskip(SKIP_2) | instid1(VALU_DEP_3)
	v_dual_fmac_f32 v95, v100, v95 :: v_dual_mul_f32 v100, v99, v94
	v_div_scale_f32 v5, null, v13, v13, v8
	v_div_scale_f32 v4, vcc_lo, v8, v13, v8
	v_fma_f32 v121, -v15, v100, v99
	s_delay_alu instid0(VALU_DEP_3) | instskip(SKIP_2) | instid1(VALU_DEP_1)
	v_rcp_f32_e32 v17, v5
	s_waitcnt_depctr 0xfff
	v_fma_f32 v97, -v5, v17, 1.0
	v_fmac_f32_e32 v17, v97, v17
	v_div_scale_f32 v97, s29, v10, v14, v10
	s_delay_alu instid0(VALU_DEP_1) | instskip(NEXT) | instid1(VALU_DEP_1)
	v_dual_mul_f32 v98, v4, v17 :: v_dual_mul_f32 v115, v97, v95
	v_fma_f32 v118, -v5, v98, v4
	s_delay_alu instid0(VALU_DEP_2) | instskip(SKIP_1) | instid1(VALU_DEP_3)
	v_fma_f32 v123, -v16, v115, v97
	v_dual_fmac_f32 v100, v121, v94 :: v_dual_mul_f32 v121, 0xbfb8aa3b, v104
	v_fmac_f32_e32 v98, v118, v17
	v_lshrrev_b32_e32 v118, 16, v7
	s_delay_alu instid0(VALU_DEP_4) | instskip(NEXT) | instid1(VALU_DEP_3)
	v_fmac_f32_e32 v115, v123, v95
	v_fma_f32 v4, -v5, v98, v4
	v_fma_f32 v5, -v15, v100, v99
	v_fma_f32 v15, -v101, v122, 1.0
	v_cvt_f32_f16_e32 v99, v118
	v_rndne_f32_e32 v118, v121
	v_div_fmas_f32 v4, v4, v17, v98
	s_mov_b32 vcc_lo, s28
	v_fma_mix_f32 v17, v6, s85, -v121 op_sel:[1,0,0] op_sel_hi:[1,0,0]
	v_div_fmas_f32 v5, v5, v94, v100
	v_fmac_f32_e32 v122, v15, v122
	v_div_fixup_f32 v4, v4, v13, v8
	v_mul_f32_e32 v13, 0xbfb8aa3b, v99
	v_div_scale_f32 v8, s28, v11, v96, v11
	v_div_fixup_f32 v5, v5, v12, v9
	v_sub_f32_e32 v9, v121, v118
	v_fma_mix_f32 v12, v6, s86, v17 op_sel:[1,0,0] op_sel_hi:[1,0,0]
	v_fma_f32 v15, -v16, v115, v97
	v_mul_f32_e32 v16, v8, v122
	s_mov_b32 vcc_lo, s29
	v_rndne_f32_e32 v17, v13
	v_add_f32_e32 v9, v9, v12
	v_cvt_f32_f16_e32 v12, v7
	v_div_fmas_f32 v15, v15, v95, v115
	v_fma_mix_f32 v94, v7, s85, -v13 op_sel:[1,0,0] op_sel_hi:[1,0,0]
	v_fma_f32 v97, -v101, v16, v8
	v_sub_f32_e32 v13, v13, v17
	v_mul_f32_e32 v95, 0xbfb8aa3b, v12
	v_exp_f32_e32 v9, v9
	v_fma_mix_f32 v94, v7, s86, v94 op_sel:[1,0,0] op_sel_hi:[1,0,0]
	v_fmac_f32_e32 v16, v97, v122
	v_cvt_i32_f32_e32 v98, v118
	v_rndne_f32_e32 v100, v95
	v_fma_mix_f32 v115, v7, s85, -v95 op_sel_hi:[1,0,0]
	v_add_f32_e32 v13, v13, v94
	v_cmp_nlt_f32_e32 vcc_lo, 0x42ce8ed0, v104
	v_cvt_i32_f32_e32 v17, v17
	v_sub_f32_e32 v94, v95, v100
	v_fma_mix_f32 v7, v7, s86, v115 op_sel_hi:[1,0,0]
	v_cvt_f32_f16_e32 v95, v6
	v_ldexp_f32 v9, v9, v98
	v_fma_f32 v8, -v101, v16, v8
	v_div_fixup_f32 v10, v15, v14, v10
	v_add_f32_e32 v7, v94, v7
	v_mul_f32_e32 v94, 0xbfb8aa3b, v95
	s_delay_alu instid0(VALU_DEP_2) | instskip(NEXT) | instid1(VALU_DEP_1)
	v_exp_f32_e32 v7, v7
	v_rndne_f32_e32 v97, v94
	v_fma_mix_f32 v98, v6, s85, -v94 op_sel_hi:[1,0,0]
	s_delay_alu instid0(VALU_DEP_2) | instskip(SKIP_1) | instid1(VALU_DEP_2)
	v_sub_f32_e32 v94, v94, v97
	v_exp_f32_e32 v13, v13
	v_fma_mix_f32 v6, v6, s86, v98 op_sel_hi:[1,0,0]
	v_cndmask_b32_e32 v9, 0, v9, vcc_lo
	v_cmp_ngt_f32_e32 vcc_lo, 0xc2b17218, v104
	s_delay_alu instid0(VALU_DEP_3) | instskip(SKIP_1) | instid1(VALU_DEP_4)
	v_add_f32_e32 v6, v94, v6
	v_cvt_i32_f32_e32 v94, v97
	v_cndmask_b32_e32 v9, 0x7f800000, v9, vcc_lo
	v_cmp_nlt_f32_e32 vcc_lo, 0x42ce8ed0, v99
	s_delay_alu instid0(TRANS32_DEP_1) | instskip(SKIP_2) | instid1(VALU_DEP_2)
	v_ldexp_f32 v13, v13, v17
	v_cvt_i32_f32_e32 v17, v100
	v_exp_f32_e32 v6, v6
	v_cndmask_b32_e32 v13, 0, v13, vcc_lo
	v_cmp_ngt_f32_e32 vcc_lo, 0xc2b17218, v99
	s_delay_alu instid0(VALU_DEP_3) | instskip(NEXT) | instid1(VALU_DEP_3)
	v_ldexp_f32 v7, v7, v17
	v_cndmask_b32_e32 v13, 0x7f800000, v13, vcc_lo
	v_cmp_nlt_f32_e32 vcc_lo, 0x42ce8ed0, v12
	s_waitcnt_depctr 0xfff
	v_ldexp_f32 v6, v6, v94
	v_add_f32_e32 v13, 1.0, v13
	v_cndmask_b32_e32 v7, 0, v7, vcc_lo
	v_cmp_ngt_f32_e32 vcc_lo, 0xc2b17218, v12
	s_delay_alu instid0(VALU_DEP_3) | instskip(NEXT) | instid1(VALU_DEP_3)
	v_div_scale_f32 v100, null, v13, v13, v99
	v_cndmask_b32_e32 v7, 0x7f800000, v7, vcc_lo
	s_mov_b32 vcc_lo, s28
	v_cmp_nlt_f32_e64 s28, 0x42ce8ed0, v95
	v_div_fmas_f32 v8, v8, v122, v16
	v_rcp_f32_e32 v16, v100
	v_add_f32_e32 v94, 1.0, v7
	s_delay_alu instid0(VALU_DEP_3) | instskip(SKIP_2) | instid1(VALU_DEP_2)
	v_cndmask_b32_e64 v6, 0, v6, s28
	v_cmp_ngt_f32_e64 s28, 0xc2b17218, v95
	v_div_fixup_f32 v8, v8, v96, v11
	v_cndmask_b32_e64 v6, 0x7f800000, v6, s28
	s_waitcnt_depctr 0xfff
	v_fma_f32 v115, -v100, v16, 1.0
	s_delay_alu instid0(VALU_DEP_1) | instskip(SKIP_1) | instid1(VALU_DEP_1)
	v_dual_add_f32 v11, 1.0, v6 :: v_dual_fmac_f32 v16, v115, v16
	v_div_scale_f32 v115, s28, v99, v13, v99
	v_dual_add_f32 v9, 1.0, v9 :: v_dual_mul_f32 v14, v115, v16
	s_delay_alu instid0(VALU_DEP_1) | instskip(SKIP_1) | instid1(VALU_DEP_3)
	v_div_scale_f32 v98, null, v9, v9, v104
	v_div_scale_f32 v7, vcc_lo, v104, v9, v104
	v_fma_f32 v96, -v100, v14, v115
	s_delay_alu instid0(VALU_DEP_3) | instskip(NEXT) | instid1(VALU_DEP_1)
	v_rcp_f32_e32 v17, v98
	v_fmac_f32_e32 v14, v96, v16
	s_waitcnt_depctr 0xfff
	v_fma_f32 v97, -v98, v17, 1.0
	s_delay_alu instid0(VALU_DEP_1) | instskip(SKIP_1) | instid1(VALU_DEP_2)
	v_fmac_f32_e32 v17, v97, v17
	v_div_scale_f32 v97, null, v94, v94, v12
	v_mul_f32_e32 v101, v7, v17
	s_delay_alu instid0(VALU_DEP_2) | instskip(NEXT) | instid1(VALU_DEP_1)
	v_rcp_f32_e32 v118, v97
	v_fma_f32 v121, -v98, v101, v7
	s_delay_alu instid0(VALU_DEP_1) | instskip(SKIP_3) | instid1(VALU_DEP_2)
	v_fmac_f32_e32 v101, v121, v17
	s_waitcnt_depctr 0xfff
	v_fma_f32 v6, -v97, v118, 1.0
	v_fma_f32 v7, -v98, v101, v7
	v_fmac_f32_e32 v118, v6, v118
	v_div_scale_f32 v98, s29, v12, v94, v12
	v_fma_mixlo_f16 v6, v120, v8, 0
	s_delay_alu instid0(VALU_DEP_4) | instskip(SKIP_1) | instid1(VALU_DEP_4)
	v_div_fmas_f32 v17, v7, v17, v101
	v_fma_f32 v8, -v100, v14, v115
	v_mul_f32_e32 v96, v98, v118
	v_lshrrev_b32_e32 v101, 16, v0
	s_mov_b32 vcc_lo, s28
	v_fma_mixlo_f16 v7, v119, v10, 0
	v_div_fixup_f32 v10, v17, v9, v104
	v_fma_f32 v9, -v97, v96, v98
	v_div_fmas_f32 v8, v8, v16, v14
	v_cvt_f32_f16_e32 v14, v101
	v_lshrrev_b32_e32 v100, 16, v1
	s_mov_b32 vcc_lo, s29
	v_fmac_f32_e32 v96, v9, v118
	v_div_fixup_f32 v13, v8, v13, v99
	v_mul_f32_e32 v8, 0xbfb8aa3b, v14
	v_cvt_f32_f16_e32 v16, v100
	v_cvt_f32_f16_e32 v99, v1
	v_fma_mixhi_f16 v7, v114, v5, 0
	v_fma_mixhi_f16 v6, v113, v4, 0
	v_rndne_f32_e32 v100, v8
	v_fma_mix_f32 v101, v0, s85, -v8 op_sel:[1,0,0] op_sel_hi:[1,0,0]
	s_delay_alu instid0(VALU_DEP_2) | instskip(NEXT) | instid1(VALU_DEP_2)
	v_sub_f32_e32 v8, v8, v100
	v_fma_mix_f32 v101, v0, s86, v101 op_sel:[1,0,0] op_sel_hi:[1,0,0]
	v_cvt_i32_f32_e32 v100, v100
	s_delay_alu instid0(VALU_DEP_2) | instskip(SKIP_2) | instid1(VALU_DEP_3)
	v_add_f32_e32 v8, v8, v101
	v_div_scale_f32 v15, null, v11, v11, v95
	v_div_scale_f32 v9, s28, v95, v11, v95
	v_exp_f32_e32 v8, v8
	s_delay_alu instid0(VALU_DEP_2) | instskip(SKIP_3) | instid1(VALU_DEP_1)
	v_rcp_f32_e32 v121, v15
	s_waitcnt_depctr 0xfff
	v_ldexp_f32 v8, v8, v100
	v_fma_f32 v17, -v15, v121, 1.0
	v_fmac_f32_e32 v121, v17, v121
	v_fma_f32 v17, -v97, v96, v98
	v_mul_f32_e32 v97, 0xbfb8aa3b, v16
	s_delay_alu instid0(VALU_DEP_2) | instskip(NEXT) | instid1(VALU_DEP_2)
	v_div_fmas_f32 v17, v17, v118, v96
	v_rndne_f32_e32 v104, v97
	v_fma_mix_f32 v115, v1, s85, -v97 op_sel:[1,0,0] op_sel_hi:[1,0,0]
	v_cmp_nlt_f32_e32 vcc_lo, 0x42ce8ed0, v14
	s_delay_alu instid0(VALU_DEP_4) | instskip(NEXT) | instid1(VALU_DEP_4)
	v_div_fixup_f32 v12, v17, v94, v12
	v_sub_f32_e32 v97, v97, v104
	s_delay_alu instid0(VALU_DEP_4) | instskip(SKIP_3) | instid1(VALU_DEP_4)
	v_fma_mix_f32 v115, v1, s86, v115 op_sel:[1,0,0] op_sel_hi:[1,0,0]
	v_cndmask_b32_e32 v8, 0, v8, vcc_lo
	v_cvt_i32_f32_e32 v96, v104
	v_cmp_nlt_f32_e32 vcc_lo, 0x42ce8ed0, v16
	v_add_f32_e32 v97, v97, v115
	s_delay_alu instid0(VALU_DEP_1) | instskip(SKIP_2) | instid1(VALU_DEP_1)
	v_exp_f32_e32 v97, v97
	s_waitcnt_depctr 0xfff
	v_ldexp_f32 v96, v97, v96
	v_cndmask_b32_e32 v96, 0, v96, vcc_lo
	v_cmp_ngt_f32_e32 vcc_lo, 0xc2b17218, v14
	v_mul_f32_e32 v98, v9, v121
	v_cndmask_b32_e32 v8, 0x7f800000, v8, vcc_lo
	v_mul_f32_e32 v119, 0xbfb8aa3b, v99
	s_delay_alu instid0(VALU_DEP_3) | instskip(SKIP_1) | instid1(VALU_DEP_4)
	v_fma_f32 v101, -v15, v98, v9
	v_cmp_ngt_f32_e32 vcc_lo, 0xc2b17218, v16
	v_add_f32_e32 v100, 1.0, v8
	s_delay_alu instid0(VALU_DEP_4)
	v_rndne_f32_e32 v120, v119
	v_fma_mix_f32 v122, v1, s85, -v119 op_sel_hi:[1,0,0]
	v_fmac_f32_e32 v98, v101, v121
	v_cndmask_b32_e32 v96, 0x7f800000, v96, vcc_lo
	v_cmp_nlt_f32_e32 vcc_lo, 0x42ce8ed0, v99
	v_sub_f32_e32 v115, v119, v120
	v_fma_mix_f32 v1, v1, s86, v122 op_sel_hi:[1,0,0]
	v_fma_f32 v9, -v15, v98, v9
	v_cvt_f32_f16_e32 v15, v0
	v_cvt_i32_f32_e32 v97, v120
	s_delay_alu instid0(VALU_DEP_4) | instskip(SKIP_1) | instid1(VALU_DEP_4)
	v_dual_add_f32 v96, 1.0, v96 :: v_dual_add_f32 v1, v115, v1
	v_div_scale_f32 v101, null, v100, v100, v14
	v_cmp_nlt_f32_e64 s29, 0x42ce8ed0, v15
	v_cmp_ngt_f32_e64 s30, 0xc2b17218, v15
	s_delay_alu instid0(VALU_DEP_4) | instskip(NEXT) | instid1(VALU_DEP_3)
	v_exp_f32_e32 v1, v1
	v_rcp_f32_e32 v115, v101
	s_waitcnt_depctr 0xfff
	v_ldexp_f32 v1, v1, v97
	v_mul_f32_e32 v97, 0xbfb8aa3b, v15
	s_delay_alu instid0(VALU_DEP_1) | instskip(SKIP_1) | instid1(VALU_DEP_2)
	v_rndne_f32_e32 v8, v97
	v_fma_mix_f32 v104, v0, s85, -v97 op_sel_hi:[1,0,0]
	v_sub_f32_e32 v97, v97, v8
	s_delay_alu instid0(VALU_DEP_2) | instskip(SKIP_3) | instid1(VALU_DEP_4)
	v_fma_mix_f32 v0, v0, s86, v104 op_sel_hi:[1,0,0]
	v_cndmask_b32_e32 v1, 0, v1, vcc_lo
	v_cmp_ngt_f32_e32 vcc_lo, 0xc2b17218, v99
	v_div_scale_f32 v104, null, v96, v96, v16
	v_add_f32_e32 v0, v97, v0
	v_fma_f32 v97, -v101, v115, 1.0
	v_cndmask_b32_e32 v1, 0x7f800000, v1, vcc_lo
	s_mov_b32 vcc_lo, s28
	v_div_scale_f32 v17, s28, v16, v96, v16
	v_div_fmas_f32 v9, v9, v121, v98
	v_exp_f32_e32 v0, v0
	v_rcp_f32_e32 v98, v104
	v_fmac_f32_e32 v115, v97, v115
	v_div_scale_f32 v97, vcc_lo, v14, v100, v14
	v_div_fixup_f32 v9, v9, v11, v95
	v_cvt_i32_f32_e32 v11, v8
	s_delay_alu instid0(VALU_DEP_2)
	v_fma_mixlo_f16 v8, v117, v9, 0
	s_delay_alu instid0(TRANS32_DEP_2) | instid1(VALU_DEP_2)
	v_ldexp_f32 v0, v0, v11
	s_delay_alu instid0(TRANS32_DEP_1) | instskip(SKIP_1) | instid1(VALU_DEP_4)
	v_fma_f32 v119, -v104, v98, 1.0
	v_mul_f32_e32 v11, v97, v115
	v_fma_mixhi_f16 v8, v110, v10, 0
	s_delay_alu instid0(VALU_DEP_4) | instskip(NEXT) | instid1(VALU_DEP_4)
	v_cndmask_b32_e64 v0, 0, v0, s29
	v_fmac_f32_e32 v98, v119, v98
	s_delay_alu instid0(VALU_DEP_4) | instskip(NEXT) | instid1(VALU_DEP_3)
	v_fma_f32 v94, -v101, v11, v97
	v_cndmask_b32_e64 v0, 0x7f800000, v0, s30
	v_add_f32_e32 v1, 1.0, v1
	s_delay_alu instid0(VALU_DEP_4) | instskip(NEXT) | instid1(VALU_DEP_3)
	v_mul_f32_e32 v117, v17, v98
	v_dual_fmac_f32 v11, v94, v115 :: v_dual_add_f32 v0, 1.0, v0
	s_delay_alu instid0(VALU_DEP_3) | instskip(SKIP_1) | instid1(VALU_DEP_4)
	v_div_scale_f32 v118, null, v1, v1, v99
	v_div_scale_f32 v119, s29, v99, v1, v99
	v_fma_f32 v94, -v104, v117, v17
	s_delay_alu instid0(VALU_DEP_3) | instskip(NEXT) | instid1(VALU_DEP_1)
	v_rcp_f32_e32 v95, v118
	v_fmac_f32_e32 v117, v94, v98
	s_delay_alu instid0(VALU_DEP_1) | instskip(SKIP_3) | instid1(VALU_DEP_2)
	v_fma_f32 v17, -v104, v117, v17
	s_waitcnt_depctr 0xfff
	v_fma_f32 v9, -v118, v95, 1.0
	v_lshrrev_b32_e32 v104, 16, v3
	v_fmac_f32_e32 v95, v9, v95
	v_fma_mixlo_f16 v9, v116, v12, 0
	v_fma_f32 v12, -v101, v11, v97
	s_delay_alu instid0(VALU_DEP_4) | instskip(NEXT) | instid1(VALU_DEP_4)
	v_cvt_f32_f16_e32 v104, v104
	v_mul_f32_e32 v120, v119, v95
	s_delay_alu instid0(VALU_DEP_4) | instskip(NEXT) | instid1(VALU_DEP_4)
	v_fma_mixhi_f16 v9, v109, v13, 0
	v_div_fmas_f32 v11, v12, v115, v11
	v_lshrrev_b32_e32 v12, 16, v2
	s_mov_b32 vcc_lo, s28
	v_fma_f32 v94, -v118, v120, v119
	v_div_fmas_f32 v17, v17, v98, v117
	s_mov_b32 vcc_lo, s29
	v_cvt_f32_f16_e32 v12, v12
	v_cvt_f32_f16_e32 v117, v3
	v_fmac_f32_e32 v120, v94, v95
	v_div_scale_f32 v94, null, v0, v0, v15
	s_delay_alu instid0(VALU_DEP_4) | instskip(SKIP_1) | instid1(VALU_DEP_4)
	v_mul_f32_e32 v101, 0xbfb8aa3b, v12
	v_cmp_nlt_f32_e64 s28, 0x42ce8ed0, v12
	v_fma_f32 v98, -v118, v120, v119
	s_delay_alu instid0(VALU_DEP_4)
	v_rcp_f32_e32 v97, v94
	v_mul_f32_e32 v118, 0xbfb8aa3b, v104
	v_fma_mix_f32 v115, v2, s85, -v101 op_sel:[1,0,0] op_sel_hi:[1,0,0]
	v_cvt_f32_f16_e32 v119, v2
	v_div_fmas_f32 v95, v98, v95, v120
	v_rndne_f32_e32 v98, v101
	v_fma_mix_f32 v120, v3, s85, -v118 op_sel:[1,0,0] op_sel_hi:[1,0,0]
	v_fma_mix_f32 v115, v2, s86, v115 op_sel:[1,0,0] op_sel_hi:[1,0,0]
	v_div_scale_f32 v123, vcc_lo, v15, v0, v15
	s_delay_alu instid0(TRANS32_DEP_1)
	v_fma_f32 v116, -v94, v97, 1.0
	v_sub_f32_e32 v101, v101, v98
	v_fma_mix_f32 v120, v3, s86, v120 op_sel:[1,0,0] op_sel_hi:[1,0,0]
	v_cvt_i32_f32_e32 v98, v98
	v_div_fixup_f32 v1, v95, v1, v99
	v_fmac_f32_e32 v97, v116, v97
	v_dual_mul_f32 v116, 0xbfb8aa3b, v117 :: v_dual_add_f32 v101, v101, v115
	v_rndne_f32_e32 v115, v118
	v_div_fixup_f32 v11, v11, v100, v14
	v_div_fixup_f32 v14, v17, v96, v16
	s_delay_alu instid0(VALU_DEP_4)
	v_rndne_f32_e32 v121, v116
	v_fma_mix_f32 v122, v3, s85, -v116 op_sel_hi:[1,0,0]
	v_exp_f32_e32 v101, v101
	v_sub_f32_e32 v118, v118, v115
	v_cvt_i32_f32_e32 v115, v115
	v_sub_f32_e32 v116, v116, v121
	v_fma_mix_f32 v3, v3, s86, v122 op_sel_hi:[1,0,0]
	v_mul_f32_e32 v122, 0xbfb8aa3b, v119
	v_add_f32_e32 v118, v118, v120
	v_fma_mixlo_f16 v1, v108, v1, 0
	s_delay_alu instid0(VALU_DEP_4) | instskip(NEXT) | instid1(VALU_DEP_4)
	v_add_f32_e32 v3, v116, v3
	v_rndne_f32_e32 v116, v122
	v_fma_mix_f32 v120, v2, s85, -v122 op_sel_hi:[1,0,0]
	v_exp_f32_e32 v118, v118
	v_ldexp_f32 v98, v101, v98
	v_exp_f32_e32 v3, v3
	v_sub_f32_e32 v101, v122, v116
	v_fma_mix_f32 v2, v2, s86, v120 op_sel_hi:[1,0,0]
	v_cvt_i32_f32_e32 v120, v121
	v_cndmask_b32_e64 v98, 0, v98, s28
	v_cmp_ngt_f32_e64 s28, 0xc2b17218, v12
	v_fma_mixhi_f16 v1, v103, v14, 0
	v_add_f32_e32 v2, v101, v2
	v_ldexp_f32 v101, v118, v115
	v_cvt_i32_f32_e32 v115, v116
	v_cndmask_b32_e64 v98, 0x7f800000, v98, s28
	v_cmp_nlt_f32_e64 s28, 0x42ce8ed0, v104
	v_ldexp_f32 v3, v3, v120
	v_exp_f32_e32 v2, v2
	s_delay_alu instid0(VALU_DEP_3) | instskip(NEXT) | instid1(VALU_DEP_3)
	v_add_f32_e32 v98, 1.0, v98
	v_cndmask_b32_e64 v101, 0, v101, s28
	v_cmp_nlt_f32_e64 s28, 0x42ce8ed0, v117
	s_delay_alu instid0(VALU_DEP_1)
	v_cndmask_b32_e64 v3, 0, v3, s28
	v_cmp_ngt_f32_e64 s28, 0xc2b17218, v104
	s_waitcnt_depctr 0xfff
	v_ldexp_f32 v2, v2, v115
	v_div_scale_f32 v115, null, v98, v98, v12
	v_cndmask_b32_e64 v101, 0x7f800000, v101, s28
	v_cmp_ngt_f32_e64 s28, 0xc2b17218, v117
	s_delay_alu instid0(VALU_DEP_3) | instskip(NEXT) | instid1(VALU_DEP_2)
	v_rcp_f32_e32 v116, v115
	v_add_f32_e32 v101, 1.0, v101
	s_delay_alu instid0(VALU_DEP_2) | instskip(SKIP_1) | instid1(VALU_DEP_3)
	v_cndmask_b32_e64 v3, 0x7f800000, v3, s28
	v_cmp_nlt_f32_e64 s28, 0x42ce8ed0, v119
	v_div_scale_f32 v118, null, v101, v101, v104
	s_delay_alu instid0(VALU_DEP_2) | instskip(SKIP_1) | instid1(TRANS32_DEP_1)
	v_cndmask_b32_e64 v2, 0, v2, s28
	v_cmp_ngt_f32_e64 s28, 0xc2b17218, v119
	v_fma_f32 v124, -v115, v116, 1.0
	s_delay_alu instid0(VALU_DEP_4) | instskip(NEXT) | instid1(VALU_DEP_2)
	v_rcp_f32_e32 v122, v118
	v_cndmask_b32_e64 v2, 0x7f800000, v2, s28
	s_delay_alu instid0(VALU_DEP_2) | instskip(SKIP_1) | instid1(VALU_DEP_3)
	v_fmac_f32_e32 v116, v124, v116
	v_div_scale_f32 v124, s28, v12, v98, v12
	v_dual_add_f32 v2, 1.0, v2 :: v_dual_mul_f32 v121, v123, v97
	s_waitcnt_depctr 0xfff
	v_fma_f32 v128, -v118, v122, 1.0
	v_mul_f32_e32 v130, v124, v116
	v_div_scale_f32 v127, null, v2, v2, v119
	v_fma_f32 v126, -v94, v121, v123
	s_delay_alu instid0(VALU_DEP_4) | instskip(SKIP_1) | instid1(VALU_DEP_4)
	v_fmac_f32_e32 v122, v128, v122
	v_div_scale_f32 v128, s29, v104, v101, v104
	v_rcp_f32_e32 v129, v127
	s_delay_alu instid0(VALU_DEP_1) | instskip(NEXT) | instid1(VALU_DEP_1)
	v_dual_fmac_f32 v121, v126, v97 :: v_dual_mul_f32 v132, v128, v122
	v_fma_f32 v94, -v94, v121, v123
	v_fma_f32 v123, -v115, v130, v124
	s_waitcnt_depctr 0xfff
	v_fma_f32 v131, -v127, v129, 1.0
	v_div_fmas_f32 v94, v94, v97, v121
	v_fma_f32 v97, -v118, v132, v128
	v_dual_add_f32 v3, 1.0, v3 :: v_dual_fmac_f32 v130, v123, v116
	s_delay_alu instid0(VALU_DEP_4) | instskip(SKIP_1) | instid1(VALU_DEP_4)
	v_fmac_f32_e32 v129, v131, v129
	v_div_scale_f32 v131, s31, v119, v2, v119
	v_fmac_f32_e32 v132, v97, v122
	s_delay_alu instid0(VALU_DEP_4) | instskip(NEXT) | instid1(VALU_DEP_3)
	v_div_scale_f32 v120, null, v3, v3, v117
	v_mul_f32_e32 v123, v131, v129
	v_div_fixup_f32 v0, v94, v0, v15
	v_fma_f32 v15, -v115, v130, v124
	s_delay_alu instid0(VALU_DEP_4)
	v_rcp_f32_e32 v125, v120
	v_fma_f32 v97, -v118, v132, v128
	v_fma_f32 v94, -v127, v123, v131
	s_mov_b32 vcc_lo, s28
	v_fma_mixlo_f16 v0, v111, v0, 0
	v_div_fmas_f32 v15, v15, v116, v130
	s_mov_b32 vcc_lo, s29
	v_fmac_f32_e32 v123, v94, v129
	v_div_fmas_f32 v97, v97, v122, v132
	v_fma_mixhi_f16 v0, v105, v11, 0
	v_fma_f32 v126, -v120, v125, 1.0
	v_div_fixup_f32 v12, v15, v98, v12
	v_fma_f32 v115, -v127, v123, v131
	v_div_fixup_f32 v15, v97, v101, v104
	s_delay_alu instid0(VALU_DEP_4) | instskip(SKIP_1) | instid1(VALU_DEP_1)
	v_fmac_f32_e32 v125, v126, v125
	v_div_scale_f32 v126, s30, v117, v3, v117
	s_mov_b32 vcc_lo, s30
	s_delay_alu instid0(VALU_DEP_1) | instskip(NEXT) | instid1(VALU_DEP_1)
	v_mul_f32_e32 v133, v126, v125
	v_fma_f32 v121, -v120, v133, v126
	s_delay_alu instid0(VALU_DEP_1) | instskip(NEXT) | instid1(VALU_DEP_1)
	v_fmac_f32_e32 v133, v121, v125
	v_fma_f32 v94, -v120, v133, v126
	s_delay_alu instid0(VALU_DEP_1) | instskip(SKIP_2) | instid1(VALU_DEP_2)
	v_div_fmas_f32 v94, v94, v125, v133
	s_mov_b32 vcc_lo, s31
	v_div_fmas_f32 v115, v115, v129, v123
	v_div_fixup_f32 v3, v94, v3, v117
	s_delay_alu instid0(VALU_DEP_2) | instskip(NEXT) | instid1(VALU_DEP_2)
	v_div_fixup_f32 v2, v115, v2, v119
	v_fma_mixlo_f16 v3, v106, v3, 0
	s_delay_alu instid0(VALU_DEP_2) | instskip(NEXT) | instid1(VALU_DEP_2)
	v_fma_mixlo_f16 v2, v107, v2, 0
	v_fma_mixhi_f16 v3, v112, v15, 0
	s_delay_alu instid0(VALU_DEP_2)
	v_fma_mixhi_f16 v2, v102, v12, 0
	ds_store_b128 v52, v[6:9]
	ds_store_b128 v52, v[0:3] offset:16
	; wave barrier
	ds_load_u16 v16, v37 offset:64
	ds_load_u16 v15, v38 offset:128
	;; [unrolled: 1-line block ×15, first 2 shown]
	v_add_co_u32 v0, vcc_lo, v76, s34
	v_add_co_ci_u32_e32 v1, vcc_lo, s35, v77, vcc_lo
	s_and_saveexec_b32 s28, s12
	s_cbranch_execnz .LBB116_284
; %bb.252:                              ;   in Loop: Header=BB116_12 Depth=1
	s_or_b32 exec_lo, exec_lo, s28
	s_and_saveexec_b32 s12, s13
	s_cbranch_execnz .LBB116_285
.LBB116_253:                            ;   in Loop: Header=BB116_12 Depth=1
	s_or_b32 exec_lo, exec_lo, s12
	s_and_saveexec_b32 s12, s14
	s_cbranch_execnz .LBB116_286
.LBB116_254:                            ;   in Loop: Header=BB116_12 Depth=1
	s_or_b32 exec_lo, exec_lo, s12
	s_and_saveexec_b32 s12, s15
	s_cbranch_execnz .LBB116_287
.LBB116_255:                            ;   in Loop: Header=BB116_12 Depth=1
	s_or_b32 exec_lo, exec_lo, s12
	s_and_saveexec_b32 s12, s16
	s_cbranch_execnz .LBB116_288
.LBB116_256:                            ;   in Loop: Header=BB116_12 Depth=1
	s_or_b32 exec_lo, exec_lo, s12
	s_and_saveexec_b32 s12, s17
	s_cbranch_execnz .LBB116_289
.LBB116_257:                            ;   in Loop: Header=BB116_12 Depth=1
	s_or_b32 exec_lo, exec_lo, s12
	s_and_saveexec_b32 s12, s18
	s_cbranch_execnz .LBB116_290
.LBB116_258:                            ;   in Loop: Header=BB116_12 Depth=1
	s_or_b32 exec_lo, exec_lo, s12
	s_and_saveexec_b32 s12, s19
	s_cbranch_execnz .LBB116_291
.LBB116_259:                            ;   in Loop: Header=BB116_12 Depth=1
	s_or_b32 exec_lo, exec_lo, s12
	s_and_saveexec_b32 s12, s20
	s_cbranch_execnz .LBB116_292
.LBB116_260:                            ;   in Loop: Header=BB116_12 Depth=1
	s_or_b32 exec_lo, exec_lo, s12
	s_and_saveexec_b32 s12, s21
	s_cbranch_execnz .LBB116_293
.LBB116_261:                            ;   in Loop: Header=BB116_12 Depth=1
	s_or_b32 exec_lo, exec_lo, s12
	s_and_saveexec_b32 s12, s22
	s_cbranch_execnz .LBB116_294
.LBB116_262:                            ;   in Loop: Header=BB116_12 Depth=1
	s_or_b32 exec_lo, exec_lo, s12
	s_and_saveexec_b32 s12, s23
	s_cbranch_execnz .LBB116_295
.LBB116_263:                            ;   in Loop: Header=BB116_12 Depth=1
	s_or_b32 exec_lo, exec_lo, s12
	s_and_saveexec_b32 s12, s24
	s_cbranch_execnz .LBB116_296
.LBB116_264:                            ;   in Loop: Header=BB116_12 Depth=1
	s_or_b32 exec_lo, exec_lo, s12
	s_and_saveexec_b32 s12, s25
	s_cbranch_execnz .LBB116_297
.LBB116_265:                            ;   in Loop: Header=BB116_12 Depth=1
	s_or_b32 exec_lo, exec_lo, s12
	s_and_saveexec_b32 s12, s26
	s_cbranch_execnz .LBB116_298
.LBB116_266:                            ;   in Loop: Header=BB116_12 Depth=1
	s_or_b32 exec_lo, exec_lo, s12
	s_and_saveexec_b32 s12, s27
	s_cbranch_execz .LBB116_11
	s_branch .LBB116_299
.LBB116_267:                            ;   in Loop: Header=BB116_12 Depth=1
	global_load_u16 v101, v[8:9], off offset:832
	s_or_b32 exec_lo, exec_lo, s28
	s_and_saveexec_b32 s28, s26
	s_cbranch_execz .LBB116_72
.LBB116_268:                            ;   in Loop: Header=BB116_12 Depth=1
	global_load_u16 v100, v[8:9], off offset:896
	s_or_b32 exec_lo, exec_lo, s28
	v_mov_b32_e32 v102, 0
	s_and_saveexec_b32 s28, s27
	s_cbranch_execnz .LBB116_73
	s_branch .LBB116_74
.LBB116_269:                            ;   in Loop: Header=BB116_12 Depth=1
	ds_load_u16 v17, v37
	s_waitcnt lgkmcnt(0)
	global_store_b16 v[0:1], v17, off
	s_or_b32 exec_lo, exec_lo, s28
	s_and_saveexec_b32 s28, s13
	s_cbranch_execz .LBB116_204
.LBB116_270:                            ;   in Loop: Header=BB116_12 Depth=1
	s_waitcnt lgkmcnt(14)
	global_store_b16 v[0:1], v16, off offset:64
	s_or_b32 exec_lo, exec_lo, s28
	s_and_saveexec_b32 s28, s14
	s_cbranch_execz .LBB116_205
.LBB116_271:                            ;   in Loop: Header=BB116_12 Depth=1
	s_waitcnt lgkmcnt(13)
	global_store_b16 v[0:1], v15, off offset:128
	s_or_b32 exec_lo, exec_lo, s28
	s_and_saveexec_b32 s28, s15
	s_cbranch_execz .LBB116_206
.LBB116_272:                            ;   in Loop: Header=BB116_12 Depth=1
	s_waitcnt lgkmcnt(12)
	global_store_b16 v[0:1], v14, off offset:192
	s_or_b32 exec_lo, exec_lo, s28
	s_and_saveexec_b32 s28, s16
	s_cbranch_execz .LBB116_207
.LBB116_273:                            ;   in Loop: Header=BB116_12 Depth=1
	s_waitcnt lgkmcnt(11)
	global_store_b16 v[0:1], v13, off offset:256
	s_or_b32 exec_lo, exec_lo, s28
	s_and_saveexec_b32 s28, s17
	s_cbranch_execz .LBB116_208
.LBB116_274:                            ;   in Loop: Header=BB116_12 Depth=1
	s_waitcnt lgkmcnt(10)
	global_store_b16 v[0:1], v12, off offset:320
	s_or_b32 exec_lo, exec_lo, s28
	s_and_saveexec_b32 s28, s18
	s_cbranch_execz .LBB116_209
.LBB116_275:                            ;   in Loop: Header=BB116_12 Depth=1
	s_waitcnt lgkmcnt(9)
	global_store_b16 v[0:1], v11, off offset:384
	s_or_b32 exec_lo, exec_lo, s28
	s_and_saveexec_b32 s28, s19
	s_cbranch_execz .LBB116_210
.LBB116_276:                            ;   in Loop: Header=BB116_12 Depth=1
	s_waitcnt lgkmcnt(8)
	global_store_b16 v[0:1], v10, off offset:448
	s_or_b32 exec_lo, exec_lo, s28
	s_and_saveexec_b32 s28, s20
	s_cbranch_execz .LBB116_211
.LBB116_277:                            ;   in Loop: Header=BB116_12 Depth=1
	s_waitcnt lgkmcnt(7)
	global_store_b16 v[0:1], v9, off offset:512
	s_or_b32 exec_lo, exec_lo, s28
	s_and_saveexec_b32 s28, s21
	s_cbranch_execz .LBB116_212
.LBB116_278:                            ;   in Loop: Header=BB116_12 Depth=1
	s_waitcnt lgkmcnt(6)
	global_store_b16 v[0:1], v8, off offset:576
	s_or_b32 exec_lo, exec_lo, s28
	s_and_saveexec_b32 s28, s22
	s_cbranch_execz .LBB116_213
.LBB116_279:                            ;   in Loop: Header=BB116_12 Depth=1
	s_waitcnt lgkmcnt(5)
	global_store_b16 v[0:1], v7, off offset:640
	s_or_b32 exec_lo, exec_lo, s28
	s_and_saveexec_b32 s28, s23
	s_cbranch_execz .LBB116_214
.LBB116_280:                            ;   in Loop: Header=BB116_12 Depth=1
	s_waitcnt lgkmcnt(4)
	global_store_b16 v[0:1], v6, off offset:704
	s_or_b32 exec_lo, exec_lo, s28
	s_and_saveexec_b32 s28, s24
	s_cbranch_execz .LBB116_215
.LBB116_281:                            ;   in Loop: Header=BB116_12 Depth=1
	s_waitcnt lgkmcnt(3)
	global_store_b16 v[0:1], v5, off offset:768
	s_or_b32 exec_lo, exec_lo, s28
	s_and_saveexec_b32 s28, s25
	s_cbranch_execz .LBB116_216
.LBB116_282:                            ;   in Loop: Header=BB116_12 Depth=1
	s_waitcnt lgkmcnt(2)
	global_store_b16 v[0:1], v4, off offset:832
	s_or_b32 exec_lo, exec_lo, s28
	s_and_saveexec_b32 s28, s26
	s_cbranch_execz .LBB116_217
.LBB116_283:                            ;   in Loop: Header=BB116_12 Depth=1
	s_waitcnt lgkmcnt(1)
	global_store_b16 v[0:1], v3, off offset:896
	s_or_b32 exec_lo, exec_lo, s28
	s_and_saveexec_b32 s28, s27
	s_cbranch_execnz .LBB116_218
	s_branch .LBB116_219
.LBB116_284:                            ;   in Loop: Header=BB116_12 Depth=1
	ds_load_u16 v17, v37
	s_waitcnt lgkmcnt(0)
	global_store_b16 v[0:1], v17, off
	s_or_b32 exec_lo, exec_lo, s28
	s_and_saveexec_b32 s12, s13
	s_cbranch_execz .LBB116_253
.LBB116_285:                            ;   in Loop: Header=BB116_12 Depth=1
	s_waitcnt lgkmcnt(14)
	global_store_b16 v[0:1], v16, off offset:64
	s_or_b32 exec_lo, exec_lo, s12
	s_and_saveexec_b32 s12, s14
	s_cbranch_execz .LBB116_254
.LBB116_286:                            ;   in Loop: Header=BB116_12 Depth=1
	s_waitcnt lgkmcnt(13)
	global_store_b16 v[0:1], v15, off offset:128
	s_or_b32 exec_lo, exec_lo, s12
	s_and_saveexec_b32 s12, s15
	s_cbranch_execz .LBB116_255
.LBB116_287:                            ;   in Loop: Header=BB116_12 Depth=1
	s_waitcnt lgkmcnt(12)
	global_store_b16 v[0:1], v14, off offset:192
	s_or_b32 exec_lo, exec_lo, s12
	s_and_saveexec_b32 s12, s16
	s_cbranch_execz .LBB116_256
.LBB116_288:                            ;   in Loop: Header=BB116_12 Depth=1
	s_waitcnt lgkmcnt(11)
	global_store_b16 v[0:1], v13, off offset:256
	s_or_b32 exec_lo, exec_lo, s12
	s_and_saveexec_b32 s12, s17
	s_cbranch_execz .LBB116_257
.LBB116_289:                            ;   in Loop: Header=BB116_12 Depth=1
	s_waitcnt lgkmcnt(10)
	global_store_b16 v[0:1], v12, off offset:320
	s_or_b32 exec_lo, exec_lo, s12
	s_and_saveexec_b32 s12, s18
	s_cbranch_execz .LBB116_258
.LBB116_290:                            ;   in Loop: Header=BB116_12 Depth=1
	s_waitcnt lgkmcnt(9)
	global_store_b16 v[0:1], v11, off offset:384
	s_or_b32 exec_lo, exec_lo, s12
	s_and_saveexec_b32 s12, s19
	s_cbranch_execz .LBB116_259
.LBB116_291:                            ;   in Loop: Header=BB116_12 Depth=1
	s_waitcnt lgkmcnt(8)
	global_store_b16 v[0:1], v10, off offset:448
	s_or_b32 exec_lo, exec_lo, s12
	s_and_saveexec_b32 s12, s20
	s_cbranch_execz .LBB116_260
.LBB116_292:                            ;   in Loop: Header=BB116_12 Depth=1
	s_waitcnt lgkmcnt(7)
	global_store_b16 v[0:1], v9, off offset:512
	s_or_b32 exec_lo, exec_lo, s12
	s_and_saveexec_b32 s12, s21
	s_cbranch_execz .LBB116_261
.LBB116_293:                            ;   in Loop: Header=BB116_12 Depth=1
	s_waitcnt lgkmcnt(6)
	global_store_b16 v[0:1], v8, off offset:576
	s_or_b32 exec_lo, exec_lo, s12
	s_and_saveexec_b32 s12, s22
	s_cbranch_execz .LBB116_262
.LBB116_294:                            ;   in Loop: Header=BB116_12 Depth=1
	s_waitcnt lgkmcnt(5)
	global_store_b16 v[0:1], v7, off offset:640
	s_or_b32 exec_lo, exec_lo, s12
	s_and_saveexec_b32 s12, s23
	s_cbranch_execz .LBB116_263
.LBB116_295:                            ;   in Loop: Header=BB116_12 Depth=1
	s_waitcnt lgkmcnt(4)
	global_store_b16 v[0:1], v6, off offset:704
	s_or_b32 exec_lo, exec_lo, s12
	s_and_saveexec_b32 s12, s24
	s_cbranch_execz .LBB116_264
.LBB116_296:                            ;   in Loop: Header=BB116_12 Depth=1
	s_waitcnt lgkmcnt(3)
	global_store_b16 v[0:1], v5, off offset:768
	s_or_b32 exec_lo, exec_lo, s12
	s_and_saveexec_b32 s12, s25
	s_cbranch_execz .LBB116_265
.LBB116_297:                            ;   in Loop: Header=BB116_12 Depth=1
	s_waitcnt lgkmcnt(2)
	global_store_b16 v[0:1], v4, off offset:832
	s_or_b32 exec_lo, exec_lo, s12
	s_and_saveexec_b32 s12, s26
	s_cbranch_execz .LBB116_266
.LBB116_298:                            ;   in Loop: Header=BB116_12 Depth=1
	s_waitcnt lgkmcnt(1)
	global_store_b16 v[0:1], v3, off offset:896
	s_or_b32 exec_lo, exec_lo, s12
	s_and_saveexec_b32 s12, s27
	s_cbranch_execz .LBB116_11
.LBB116_299:                            ;   in Loop: Header=BB116_12 Depth=1
	s_waitcnt lgkmcnt(0)
	global_store_b16 v[0:1], v2, off offset:960
	s_branch .LBB116_11
.LBB116_300:
	s_nop 0
	s_sendmsg sendmsg(MSG_DEALLOC_VGPRS)
	s_endpgm
	.section	.rodata,"a",@progbits
	.p2align	6, 0x0
	.amdhsa_kernel _Z25selective_scan_fwd_kernelI32Selective_Scan_fwd_kernel_traitsILi64ELi16ELi1ELb0ELb1ELb1ELb1ELb1EN3c104HalfEffEEv13SSMParamsBase
		.amdhsa_group_segment_fixed_size 0
		.amdhsa_private_segment_fixed_size 0
		.amdhsa_kernarg_size 248
		.amdhsa_user_sgpr_count 14
		.amdhsa_user_sgpr_dispatch_ptr 0
		.amdhsa_user_sgpr_queue_ptr 0
		.amdhsa_user_sgpr_kernarg_segment_ptr 1
		.amdhsa_user_sgpr_dispatch_id 0
		.amdhsa_user_sgpr_private_segment_size 0
		.amdhsa_wavefront_size32 1
		.amdhsa_uses_dynamic_stack 0
		.amdhsa_enable_private_segment 0
		.amdhsa_system_sgpr_workgroup_id_x 1
		.amdhsa_system_sgpr_workgroup_id_y 1
		.amdhsa_system_sgpr_workgroup_id_z 0
		.amdhsa_system_sgpr_workgroup_info 0
		.amdhsa_system_vgpr_workitem_id 0
		.amdhsa_next_free_vgpr 176
		.amdhsa_next_free_sgpr 94
		.amdhsa_reserve_vcc 1
		.amdhsa_float_round_mode_32 0
		.amdhsa_float_round_mode_16_64 0
		.amdhsa_float_denorm_mode_32 3
		.amdhsa_float_denorm_mode_16_64 3
		.amdhsa_dx10_clamp 1
		.amdhsa_ieee_mode 1
		.amdhsa_fp16_overflow 0
		.amdhsa_workgroup_processor_mode 1
		.amdhsa_memory_ordered 1
		.amdhsa_forward_progress 0
		.amdhsa_shared_vgpr_count 0
		.amdhsa_exception_fp_ieee_invalid_op 0
		.amdhsa_exception_fp_denorm_src 0
		.amdhsa_exception_fp_ieee_div_zero 0
		.amdhsa_exception_fp_ieee_overflow 0
		.amdhsa_exception_fp_ieee_underflow 0
		.amdhsa_exception_fp_ieee_inexact 0
		.amdhsa_exception_int_div_zero 0
	.end_amdhsa_kernel
	.section	.text._Z25selective_scan_fwd_kernelI32Selective_Scan_fwd_kernel_traitsILi64ELi16ELi1ELb0ELb1ELb1ELb1ELb1EN3c104HalfEffEEv13SSMParamsBase,"axG",@progbits,_Z25selective_scan_fwd_kernelI32Selective_Scan_fwd_kernel_traitsILi64ELi16ELi1ELb0ELb1ELb1ELb1ELb1EN3c104HalfEffEEv13SSMParamsBase,comdat
.Lfunc_end116:
	.size	_Z25selective_scan_fwd_kernelI32Selective_Scan_fwd_kernel_traitsILi64ELi16ELi1ELb0ELb1ELb1ELb1ELb1EN3c104HalfEffEEv13SSMParamsBase, .Lfunc_end116-_Z25selective_scan_fwd_kernelI32Selective_Scan_fwd_kernel_traitsILi64ELi16ELi1ELb0ELb1ELb1ELb1ELb1EN3c104HalfEffEEv13SSMParamsBase
                                        ; -- End function
	.section	.AMDGPU.csdata,"",@progbits
; Kernel info:
; codeLenInByte = 26060
; NumSgprs: 96
; NumVgprs: 176
; ScratchSize: 0
; MemoryBound: 0
; FloatMode: 240
; IeeeMode: 1
; LDSByteSize: 0 bytes/workgroup (compile time only)
; SGPRBlocks: 11
; VGPRBlocks: 21
; NumSGPRsForWavesPerEU: 96
; NumVGPRsForWavesPerEU: 176
; Occupancy: 8
; WaveLimiterHint : 1
; COMPUTE_PGM_RSRC2:SCRATCH_EN: 0
; COMPUTE_PGM_RSRC2:USER_SGPR: 14
; COMPUTE_PGM_RSRC2:TRAP_HANDLER: 0
; COMPUTE_PGM_RSRC2:TGID_X_EN: 1
; COMPUTE_PGM_RSRC2:TGID_Y_EN: 1
; COMPUTE_PGM_RSRC2:TGID_Z_EN: 0
; COMPUTE_PGM_RSRC2:TIDIG_COMP_CNT: 0
	.section	.text._Z25selective_scan_fwd_kernelI32Selective_Scan_fwd_kernel_traitsILi64ELi16ELi1ELb0ELb1ELb1ELb1ELb0EN3c104HalfEffEEv13SSMParamsBase,"axG",@progbits,_Z25selective_scan_fwd_kernelI32Selective_Scan_fwd_kernel_traitsILi64ELi16ELi1ELb0ELb1ELb1ELb1ELb0EN3c104HalfEffEEv13SSMParamsBase,comdat
	.protected	_Z25selective_scan_fwd_kernelI32Selective_Scan_fwd_kernel_traitsILi64ELi16ELi1ELb0ELb1ELb1ELb1ELb0EN3c104HalfEffEEv13SSMParamsBase ; -- Begin function _Z25selective_scan_fwd_kernelI32Selective_Scan_fwd_kernel_traitsILi64ELi16ELi1ELb0ELb1ELb1ELb1ELb0EN3c104HalfEffEEv13SSMParamsBase
	.globl	_Z25selective_scan_fwd_kernelI32Selective_Scan_fwd_kernel_traitsILi64ELi16ELi1ELb0ELb1ELb1ELb1ELb0EN3c104HalfEffEEv13SSMParamsBase
	.p2align	8
	.type	_Z25selective_scan_fwd_kernelI32Selective_Scan_fwd_kernel_traitsILi64ELi16ELi1ELb0ELb1ELb1ELb1ELb0EN3c104HalfEffEEv13SSMParamsBase,@function
_Z25selective_scan_fwd_kernelI32Selective_Scan_fwd_kernel_traitsILi64ELi16ELi1ELb0ELb1ELb1ELb1ELb0EN3c104HalfEffEEv13SSMParamsBase: ; @_Z25selective_scan_fwd_kernelI32Selective_Scan_fwd_kernel_traitsILi64ELi16ELi1ELb0ELb1ELb1ELb1ELb0EN3c104HalfEffEEv13SSMParamsBase
; %bb.0:
	s_clause 0x1
	s_load_b32 s9, s[0:1], 0x18
	s_load_b128 s[4:7], s[0:1], 0xe8
	s_mov_b32 s12, s15
	s_mov_b32 s47, 0
	s_waitcnt lgkmcnt(0)
	s_abs_i32 s8, s9
	s_cmp_eq_u64 s[6:7], 0
	v_cvt_f32_u32_e32 v1, s8
	s_delay_alu instid0(VALU_DEP_1) | instskip(SKIP_2) | instid1(VALU_DEP_1)
	v_rcp_iflag_f32_e32 v1, v1
	s_waitcnt_depctr 0xfff
	v_mul_f32_e32 v1, 0x4f7ffffe, v1
	v_cvt_u32_f32_e32 v1, v1
	s_delay_alu instid0(VALU_DEP_1)
	v_readfirstlane_b32 s10, v1
	s_cbranch_scc1 .LBB117_2
; %bb.1:
	v_mov_b32_e32 v1, 0
	s_ashr_i32 s3, s14, 31
	s_add_u32 s2, s6, s14
	s_addc_u32 s3, s7, s3
	global_load_u8 v1, v1, s[2:3]
	s_waitcnt vmcnt(0)
	v_and_b32_e32 v1, 1, v1
	s_delay_alu instid0(VALU_DEP_1)
	v_cmp_eq_u32_e64 s47, 1, v1
.LBB117_2:
	s_load_b64 s[6:7], s[0:1], 0x20
	s_cmp_eq_u64 s[4:5], 0
	s_cbranch_scc1 .LBB117_4
; %bb.3:
	s_ashr_i32 s15, s14, 31
	s_delay_alu instid0(SALU_CYCLE_1) | instskip(NEXT) | instid1(SALU_CYCLE_1)
	s_lshl_b64 s[2:3], s[14:15], 2
	s_add_u32 s2, s4, s2
	s_addc_u32 s3, s5, s3
	s_load_b32 s2, s[2:3], 0x0
	s_waitcnt lgkmcnt(0)
	s_ashr_i32 s3, s2, 31
	s_delay_alu instid0(SALU_CYCLE_1)
	s_cmp_eq_u64 s[6:7], s[2:3]
	s_cbranch_scc0 .LBB117_5
	s_branch .LBB117_300
.LBB117_4:
	s_mov_b32 s2, s14
	s_delay_alu instid0(SALU_CYCLE_1)
	s_ashr_i32 s3, s2, 31
	s_waitcnt lgkmcnt(0)
	s_cmp_eq_u64 s[6:7], s[2:3]
	s_cbranch_scc1 .LBB117_300
.LBB117_5:
	s_clause 0x1
	s_load_b512 s[16:31], s[0:1], 0x88
	s_load_b64 s[64:65], s[0:1], 0x8
	s_mov_b32 s68, 0
	s_mov_b32 s69, 0
	s_waitcnt lgkmcnt(0)
	s_cmp_eq_u64 s[22:23], 0
	s_cbranch_scc1 .LBB117_7
; %bb.6:
	s_ashr_i32 s13, s12, 31
	s_delay_alu instid0(SALU_CYCLE_1) | instskip(NEXT) | instid1(SALU_CYCLE_1)
	s_lshl_b64 s[4:5], s[12:13], 2
	s_add_u32 s4, s22, s4
	s_addc_u32 s5, s23, s5
	s_load_b32 s69, s[4:5], 0x0
.LBB117_7:
	s_cmp_eq_u64 s[28:29], 0
	s_cbranch_scc1 .LBB117_9
; %bb.8:
	s_ashr_i32 s13, s12, 31
	s_delay_alu instid0(SALU_CYCLE_1) | instskip(NEXT) | instid1(SALU_CYCLE_1)
	s_lshl_b64 s[4:5], s[12:13], 2
	s_add_u32 s4, s28, s4
	s_addc_u32 s5, s29, s5
	s_load_b32 s68, s[4:5], 0x0
.LBB117_9:
	s_cmp_lt_i32 s64, 1
	s_cbranch_scc1 .LBB117_300
; %bb.10:
	s_sub_i32 s3, 0, s8
	s_load_b256 s[48:55], s[0:1], 0x4c
	s_mul_i32 s3, s3, s10
	s_abs_i32 s4, s12
	s_mul_hi_u32 s3, s10, s3
	s_ashr_i32 s6, s9, 31
	s_add_i32 s10, s10, s3
	s_ashr_i32 s3, s12, 31
	s_mul_hi_u32 s5, s4, s10
	s_xor_b32 s3, s3, s6
	s_mul_i32 s7, s5, s8
	s_add_i32 s6, s5, 1
	s_sub_i32 s4, s4, s7
	s_load_b256 s[56:63], s[0:1], 0x2c
	s_sub_i32 s7, s4, s8
	s_cmp_ge_u32 s4, s8
	s_mov_b32 s67, 0
	s_cselect_b32 s5, s6, s5
	s_cselect_b32 s4, s7, s4
	s_add_i32 s6, s5, 1
	s_cmp_ge_u32 s4, s8
	s_waitcnt lgkmcnt(0)
	s_mul_i32 s66, s50, s14
	s_cselect_b32 s6, s6, s5
	s_lshl_b64 s[4:5], s[66:67], 1
	s_xor_b32 s6, s6, s3
	s_mul_i32 s66, s51, s12
	s_sub_i32 s3, s6, s3
	s_add_u32 s6, s24, s4
	s_addc_u32 s7, s25, s5
	s_lshl_b64 s[4:5], s[66:67], 1
	s_mul_i32 s66, s52, s14
	s_add_u32 s63, s6, s4
	s_addc_u32 s70, s7, s5
	s_lshl_b64 s[4:5], s[66:67], 1
	s_mul_i32 s66, s53, s12
	;; [unrolled: 4-line block ×4, first 2 shown]
	s_load_b64 s[6:7], s[0:1], 0x7c
	s_add_u32 s72, s16, s4
	s_addc_u32 s73, s17, s5
	s_lshl_b64 s[4:5], s[66:67], 1
	v_dual_mov_b32 v21, 0 :: v_dual_lshlrev_b32 v18, 4, v0
	s_mul_i32 s66, s3, s61
	s_load_b128 s[24:27], s[0:1], 0xc8
	s_add_u32 s8, s18, s4
	s_addc_u32 s9, s19, s5
	s_lshl_b64 s[4:5], s[66:67], 1
	s_mul_i32 s66, s62, s14
	s_add_u32 s61, s8, s4
	v_mbcnt_lo_u32_b32 v19, -1, 0
	v_and_b32_e32 v1, 0x200, v18
	s_addc_u32 s62, s9, s5
	s_lshl_b64 s[4:5], s[66:67], 1
	s_load_b128 s[16:19], s[0:1], 0x6c
	s_add_u32 s8, s20, s4
	s_mul_i32 s66, s3, s49
	s_addc_u32 s3, s21, s5
	s_clause 0x2
	s_load_b32 s49, s[0:1], 0x84
	s_load_b64 s[20:21], s[0:1], 0xd8
	s_load_b32 s0, s[0:1], 0x28
	v_or_b32_e32 v20, v19, v1
	v_and_b32_e32 v14, 32, v0
	s_lshl_b64 s[4:5], s[66:67], 1
	s_waitcnt lgkmcnt(0)
	s_mul_i32 s66, s2, s6
	s_add_u32 s74, s8, s4
	v_or_b32_e32 v24, 0x60, v20
	s_addc_u32 s75, s3, s5
	s_lshl_b64 s[2:3], s[66:67], 2
	v_or_b32_e32 v26, 0xa0, v20
	v_or_b32_e32 v28, 0xe0, v20
	;; [unrolled: 1-line block ×5, first 2 shown]
	v_lshrrev_b32_e32 v2, 5, v24
	v_or_b32_e32 v36, 0x1e0, v20
	v_or_b32_e32 v16, v19, v14
	s_mul_i32 s66, s7, s12
	s_add_u32 s4, s24, s2
	s_addc_u32 s5, s25, s3
	s_lshl_b64 s[2:3], s[66:67], 2
	v_or_b32_e32 v23, 64, v20
	s_add_u32 s76, s4, s2
	v_or_b32_e32 v25, 0x80, v20
	v_or_b32_e32 v27, 0xc0, v20
	;; [unrolled: 1-line block ×6, first 2 shown]
	v_and_b32_e32 v2, 18, v2
	v_lshrrev_b32_e32 v5, 5, v26
	v_lshrrev_b32_e32 v8, 5, v28
	;; [unrolled: 1-line block ×6, first 2 shown]
	v_lshrrev_b16 v50, 1, v16
	s_addc_u32 s77, s5, s3
	s_add_i32 s2, s64, 0x7ff
	v_lshrrev_b32_e32 v3, 5, v1
	s_lshr_b32 s78, s2, 11
	s_bitcmp1_b32 s0, 0
	v_lshrrev_b32_e32 v4, 5, v23
	v_lshrrev_b32_e32 v6, 5, v25
	v_add_lshl_u32 v2, v2, v20, 1
	v_and_b32_e32 v5, 20, v5
	v_lshrrev_b32_e32 v7, 5, v27
	v_and_b32_e32 v8, 22, v8
	v_lshrrev_b32_e32 v10, 5, v29
	;; [unrolled: 2-line block ×5, first 2 shown]
	v_and_b32_e32 v51, 30, v49
	v_lshlrev_b32_e32 v16, 4, v16
	v_and_b32_e32 v52, 30, v50
	s_cselect_b32 s79, -1, 0
	s_cmp_gt_i32 s65, 0
	v_add_lshl_u32 v3, v3, v20, 1
	s_cselect_b32 s80, -1, 0
	s_add_i32 s0, 0, 0x840
	v_add_lshl_u32 v4, v4, v20, 1
	v_add_lshl_u32 v6, v6, v20, 1
	v_add_nc_u32_e32 v39, 0, v2
	v_add_lshl_u32 v5, v5, v20, 1
	v_add_lshl_u32 v7, v7, v20, 1
	;; [unrolled: 1-line block ×12, first 2 shown]
	v_add_nc_u32_e32 v55, s0, v2
	v_and_b32_e32 v2, 15, v19
	s_and_b32 s1, s64, 0x3ff
	v_add_nc_u32_e32 v51, 0, v67
	v_add_nc_u32_e32 v53, s0, v3
	;; [unrolled: 1-line block ×15, first 2 shown]
	s_cmp_eq_u32 s1, 0
	v_add_nc_u32_e32 v68, s0, v16
	v_cmp_ne_u32_e64 s0, 0, v2
	v_cmp_lt_u32_e64 s1, 1, v2
	v_cmp_lt_u32_e64 s2, 3, v2
	;; [unrolled: 1-line block ×3, first 2 shown]
	v_add_nc_u32_e32 v2, -1, v19
	v_add_nc_u32_e32 v37, 0, v3
	v_lshrrev_b32_e32 v3, 2, v0
	s_mul_i32 s66, s16, s14
	v_add_nc_u32_e32 v41, 0, v5
	s_cselect_b32 s81, -1, 0
	v_or_b32_e32 v5, 31, v14
	v_cmp_gt_i32_e32 vcc_lo, 0, v2
	s_lshl_b64 s[22:23], s[66:67], 1
	s_add_i32 s82, s78, -1
	s_mul_i32 s66, s17, s12
	v_and_b32_e32 v3, 8, v3
	v_cndmask_b32_e32 v2, v2, v19, vcc_lo
	s_add_u32 s13, s30, s22
	s_addc_u32 s15, s31, s23
	s_lshl_b64 s[16:17], s[66:67], 1
	s_mul_i32 s66, s54, s14
	v_cmp_eq_u32_e64 s5, v5, v0
	v_cmp_gt_u32_e64 s6, 2, v0
	v_lshl_add_u32 v70, v0, 3, 0
	v_cmp_gt_u32_e64 s8, 32, v0
	v_cmp_lt_u32_e64 s9, 31, v0
	v_cmp_eq_u32_e64 s10, 0, v0
	s_add_u32 s13, s13, s16
	v_lshlrev_b32_e32 v0, 1, v19
	s_addc_u32 s15, s15, s17
	s_lshl_b64 s[16:17], s[66:67], 1
	v_add_nc_u32_e32 v38, 0, v4
	v_and_b32_e32 v4, 16, v19
	v_add_nc_u32_e32 v69, 0, v3
	v_and_b32_e32 v3, 1, v19
	s_mul_i32 s66, s55, s12
	s_add_u32 s22, s26, s16
	s_addc_u32 s23, s27, s17
	s_lshl_b64 s[16:17], s[66:67], 1
	v_lshlrev_b32_e32 v71, 2, v2
	v_add_co_u32 v2, s13, s13, v0
	s_mul_i32 s66, s18, s14
	s_add_u32 s16, s22, s16
	v_cmp_ne_u32_e64 s4, 0, v4
	v_cmp_eq_u32_e64 s7, 0, v3
	v_add_co_ci_u32_e64 v3, null, s15, 0, s13
	s_addc_u32 s17, s23, s17
	s_lshl_b64 s[14:15], s[66:67], 1
	v_lshlrev_b32_e32 v4, 1, v1
	s_mul_i32 s66, s19, s12
	s_add_u32 s14, s20, s14
	s_addc_u32 s15, s21, s15
	s_lshl_b64 s[12:13], s[66:67], 1
	v_add_co_u32 v72, vcc_lo, v2, v4
	s_add_u32 s12, s14, s12
	v_add_co_u32 v2, s14, s16, v0
	v_add_co_ci_u32_e32 v73, vcc_lo, 0, v3, vcc_lo
	v_add_co_ci_u32_e64 v3, null, s17, 0, s14
	s_addc_u32 s13, s15, s13
	v_add_co_u32 v0, s12, s12, v0
	s_delay_alu instid0(VALU_DEP_1) | instskip(SKIP_2) | instid1(VALU_DEP_4)
	v_add_co_ci_u32_e64 v5, null, s13, 0, s12
	v_add_co_u32 v74, vcc_lo, v2, v4
	v_add_co_ci_u32_e32 v75, vcc_lo, 0, v3, vcc_lo
	v_add_co_u32 v76, vcc_lo, v0, v4
	v_or_b32_e32 v22, 32, v20
	v_add_nc_u32_e32 v40, 0, v6
	v_add_nc_u32_e32 v42, 0, v7
	;; [unrolled: 1-line block ×11, first 2 shown]
	v_cmp_eq_u32_e64 s11, 0, v19
	v_add_co_ci_u32_e32 v77, vcc_lo, 0, v5, vcc_lo
	v_or_b32_e32 v78, 1, v18
	v_or_b32_e32 v79, 2, v18
	;; [unrolled: 1-line block ×15, first 2 shown]
	v_lshlrev_b32_e32 v93, 1, v1
	s_mov_b32 s83, 0x3e9b6dac
	s_add_i32 s84, 0, 0x1090
	s_mov_b32 s85, 0xbfb8aa3b
	s_mov_b32 s86, 0xb2a5705f
	;; [unrolled: 1-line block ×3, first 2 shown]
	s_branch .LBB117_12
.LBB117_11:                             ;   in Loop: Header=BB117_12 Depth=1
	s_or_b32 exec_lo, exec_lo, s12
	s_add_u32 s71, s71, 0x800
	s_addc_u32 s56, s56, 0
	s_add_u32 s63, s63, 0x800
	s_addc_u32 s70, s70, 0
	;; [unrolled: 2-line block ×4, first 2 shown]
	s_add_i32 s87, s87, 1
	s_delay_alu instid0(SALU_CYCLE_1)
	s_cmp_lg_u32 s87, s78
	s_cbranch_scc0 .LBB117_300
.LBB117_12:                             ; =>This Loop Header: Depth=1
                                        ;     Child Loop BB117_109 Depth 2
	s_waitcnt lgkmcnt(14)
	v_lshlrev_b32_e32 v16, 1, v19
	s_lshl_b32 s50, s87, 10
	s_waitcnt lgkmcnt(0)
	v_mov_b32_e32 v2, 0
	s_sub_i32 s40, s64, s50
	v_add_co_u32 v0, s12, s63, v16
	s_delay_alu instid0(VALU_DEP_1) | instskip(SKIP_1) | instid1(VALU_DEP_3)
	v_add_co_ci_u32_e64 v1, null, s70, 0, s12
	v_cmp_gt_u32_e64 s12, s40, v20
	v_add_co_u32 v0, vcc_lo, v0, v93
	s_delay_alu instid0(VALU_DEP_3)
	v_add_co_ci_u32_e32 v1, vcc_lo, 0, v1, vcc_lo
	s_waitcnt_vscnt null, 0x0
	s_barrier
	buffer_gl0_inv
	s_and_saveexec_b32 s13, s12
	s_cbranch_execz .LBB117_14
; %bb.13:                               ;   in Loop: Header=BB117_12 Depth=1
	global_load_u16 v2, v[0:1], off
.LBB117_14:                             ;   in Loop: Header=BB117_12 Depth=1
	s_or_b32 exec_lo, exec_lo, s13
	v_cmp_gt_u32_e64 s13, s40, v22
	v_dual_mov_b32 v3, 0 :: v_dual_mov_b32 v4, 0
	s_delay_alu instid0(VALU_DEP_2)
	s_and_saveexec_b32 s14, s13
	s_cbranch_execz .LBB117_16
; %bb.15:                               ;   in Loop: Header=BB117_12 Depth=1
	global_load_u16 v4, v[0:1], off offset:64
.LBB117_16:                             ;   in Loop: Header=BB117_12 Depth=1
	s_or_b32 exec_lo, exec_lo, s14
	v_cmp_gt_u32_e64 s14, s40, v23
	s_delay_alu instid0(VALU_DEP_1)
	s_and_saveexec_b32 s15, s14
	s_cbranch_execz .LBB117_18
; %bb.17:                               ;   in Loop: Header=BB117_12 Depth=1
	global_load_u16 v3, v[0:1], off offset:128
.LBB117_18:                             ;   in Loop: Header=BB117_12 Depth=1
	s_or_b32 exec_lo, exec_lo, s15
	v_cmp_gt_u32_e64 s15, s40, v24
	v_dual_mov_b32 v5, 0 :: v_dual_mov_b32 v6, 0
	s_delay_alu instid0(VALU_DEP_2)
	s_and_saveexec_b32 s16, s15
	s_cbranch_execz .LBB117_20
; %bb.19:                               ;   in Loop: Header=BB117_12 Depth=1
	global_load_u16 v6, v[0:1], off offset:192
.LBB117_20:                             ;   in Loop: Header=BB117_12 Depth=1
	s_or_b32 exec_lo, exec_lo, s16
	v_cmp_gt_u32_e64 s16, s40, v25
	s_delay_alu instid0(VALU_DEP_1)
	s_and_saveexec_b32 s17, s16
	s_cbranch_execz .LBB117_22
; %bb.21:                               ;   in Loop: Header=BB117_12 Depth=1
	global_load_u16 v5, v[0:1], off offset:256
.LBB117_22:                             ;   in Loop: Header=BB117_12 Depth=1
	;; [unrolled: 17-line block ×3, first 2 shown]
	s_or_b32 exec_lo, exec_lo, s19
	v_cmp_gt_u32_e64 s19, s40, v28
	v_mov_b32_e32 v9, 0
	v_mov_b32_e32 v11, 0
	s_delay_alu instid0(VALU_DEP_3)
	s_and_saveexec_b32 s20, s19
	s_cbranch_execz .LBB117_28
; %bb.27:                               ;   in Loop: Header=BB117_12 Depth=1
	global_load_u16 v11, v[0:1], off offset:448
.LBB117_28:                             ;   in Loop: Header=BB117_12 Depth=1
	s_or_b32 exec_lo, exec_lo, s20
	v_cmp_gt_u32_e64 s20, s40, v29
	s_delay_alu instid0(VALU_DEP_1)
	s_and_saveexec_b32 s21, s20
	s_cbranch_execz .LBB117_30
; %bb.29:                               ;   in Loop: Header=BB117_12 Depth=1
	global_load_u16 v9, v[0:1], off offset:512
.LBB117_30:                             ;   in Loop: Header=BB117_12 Depth=1
	s_or_b32 exec_lo, exec_lo, s21
	v_cmp_gt_u32_e64 s21, s40, v30
	v_dual_mov_b32 v12, 0 :: v_dual_mov_b32 v13, 0
	s_delay_alu instid0(VALU_DEP_2)
	s_and_saveexec_b32 s22, s21
	s_cbranch_execz .LBB117_32
; %bb.31:                               ;   in Loop: Header=BB117_12 Depth=1
	global_load_u16 v13, v[0:1], off offset:576
.LBB117_32:                             ;   in Loop: Header=BB117_12 Depth=1
	s_or_b32 exec_lo, exec_lo, s22
	v_cmp_gt_u32_e64 s22, s40, v31
	s_delay_alu instid0(VALU_DEP_1)
	s_and_saveexec_b32 s23, s22
	s_cbranch_execz .LBB117_34
; %bb.33:                               ;   in Loop: Header=BB117_12 Depth=1
	global_load_u16 v12, v[0:1], off offset:640
.LBB117_34:                             ;   in Loop: Header=BB117_12 Depth=1
	s_or_b32 exec_lo, exec_lo, s23
	v_cmp_gt_u32_e64 s23, s40, v32
	v_dual_mov_b32 v14, 0 :: v_dual_mov_b32 v15, 0
	s_delay_alu instid0(VALU_DEP_2)
	s_and_saveexec_b32 s24, s23
	s_cbranch_execz .LBB117_36
; %bb.35:                               ;   in Loop: Header=BB117_12 Depth=1
	global_load_u16 v15, v[0:1], off offset:704
.LBB117_36:                             ;   in Loop: Header=BB117_12 Depth=1
	s_or_b32 exec_lo, exec_lo, s24
	v_cmp_gt_u32_e64 s24, s40, v33
	s_delay_alu instid0(VALU_DEP_1)
	s_and_saveexec_b32 s25, s24
	s_cbranch_execz .LBB117_38
; %bb.37:                               ;   in Loop: Header=BB117_12 Depth=1
	global_load_u16 v14, v[0:1], off offset:768
.LBB117_38:                             ;   in Loop: Header=BB117_12 Depth=1
	s_or_b32 exec_lo, exec_lo, s25
	v_cmp_gt_u32_e64 s25, s40, v34
	v_dual_mov_b32 v17, 0 :: v_dual_mov_b32 v94, 0
	s_delay_alu instid0(VALU_DEP_2)
	s_and_saveexec_b32 s26, s25
	s_cbranch_execz .LBB117_40
; %bb.39:                               ;   in Loop: Header=BB117_12 Depth=1
	global_load_u16 v94, v[0:1], off offset:832
.LBB117_40:                             ;   in Loop: Header=BB117_12 Depth=1
	s_or_b32 exec_lo, exec_lo, s26
	v_cmp_gt_u32_e64 s26, s40, v35
	s_delay_alu instid0(VALU_DEP_1)
	s_and_saveexec_b32 s27, s26
	s_cbranch_execz .LBB117_42
; %bb.41:                               ;   in Loop: Header=BB117_12 Depth=1
	global_load_u16 v17, v[0:1], off offset:896
.LBB117_42:                             ;   in Loop: Header=BB117_12 Depth=1
	s_or_b32 exec_lo, exec_lo, s27
	v_cmp_gt_u32_e64 s27, s40, v36
	v_dual_mov_b32 v10, 0 :: v_dual_mov_b32 v95, 0
	s_delay_alu instid0(VALU_DEP_2)
	s_and_saveexec_b32 s28, s27
	s_cbranch_execz .LBB117_44
; %bb.43:                               ;   in Loop: Header=BB117_12 Depth=1
	global_load_u16 v95, v[0:1], off offset:960
.LBB117_44:                             ;   in Loop: Header=BB117_12 Depth=1
	s_or_b32 exec_lo, exec_lo, s28
	s_waitcnt vmcnt(0)
	ds_store_b16 v37, v2
	ds_store_b16 v37, v4 offset:64
	ds_store_b16 v38, v3 offset:128
	;; [unrolled: 1-line block ×15, first 2 shown]
	; wave barrier
	ds_load_b128 v[0:3], v52
	ds_load_b128 v[4:7], v52 offset:16
	v_add_co_u32 v8, s28, s71, v16
	s_delay_alu instid0(VALU_DEP_1) | instskip(SKIP_1) | instid1(VALU_DEP_2)
	v_add_co_ci_u32_e64 v9, null, s56, 0, s28
	s_waitcnt lgkmcnt(0)
	v_add_co_u32 v8, vcc_lo, v8, v93
	s_delay_alu instid0(VALU_DEP_2)
	v_add_co_ci_u32_e32 v9, vcc_lo, 0, v9, vcc_lo
	s_barrier
	buffer_gl0_inv
	s_and_saveexec_b32 s28, s12
	s_cbranch_execz .LBB117_46
; %bb.45:                               ;   in Loop: Header=BB117_12 Depth=1
	global_load_u16 v10, v[8:9], off
.LBB117_46:                             ;   in Loop: Header=BB117_12 Depth=1
	s_or_b32 exec_lo, exec_lo, s28
	v_dual_mov_b32 v11, 0 :: v_dual_mov_b32 v12, 0
	s_and_saveexec_b32 s28, s13
	s_cbranch_execz .LBB117_48
; %bb.47:                               ;   in Loop: Header=BB117_12 Depth=1
	global_load_u16 v12, v[8:9], off offset:64
.LBB117_48:                             ;   in Loop: Header=BB117_12 Depth=1
	s_or_b32 exec_lo, exec_lo, s28
	s_and_saveexec_b32 s28, s14
	s_cbranch_execz .LBB117_50
; %bb.49:                               ;   in Loop: Header=BB117_12 Depth=1
	global_load_u16 v11, v[8:9], off offset:128
.LBB117_50:                             ;   in Loop: Header=BB117_12 Depth=1
	s_or_b32 exec_lo, exec_lo, s28
	v_dual_mov_b32 v13, 0 :: v_dual_mov_b32 v14, 0
	s_and_saveexec_b32 s28, s15
	s_cbranch_execz .LBB117_52
; %bb.51:                               ;   in Loop: Header=BB117_12 Depth=1
	global_load_u16 v14, v[8:9], off offset:192
.LBB117_52:                             ;   in Loop: Header=BB117_12 Depth=1
	s_or_b32 exec_lo, exec_lo, s28
	s_and_saveexec_b32 s28, s16
	s_cbranch_execz .LBB117_54
; %bb.53:                               ;   in Loop: Header=BB117_12 Depth=1
	global_load_u16 v13, v[8:9], off offset:256
.LBB117_54:                             ;   in Loop: Header=BB117_12 Depth=1
	s_or_b32 exec_lo, exec_lo, s28
	v_mov_b32_e32 v15, 0
	v_mov_b32_e32 v17, 0
	s_and_saveexec_b32 s28, s17
	s_cbranch_execz .LBB117_56
; %bb.55:                               ;   in Loop: Header=BB117_12 Depth=1
	global_load_u16 v17, v[8:9], off offset:320
.LBB117_56:                             ;   in Loop: Header=BB117_12 Depth=1
	s_or_b32 exec_lo, exec_lo, s28
	s_and_saveexec_b32 s28, s18
	s_cbranch_execz .LBB117_58
; %bb.57:                               ;   in Loop: Header=BB117_12 Depth=1
	global_load_u16 v15, v[8:9], off offset:384
.LBB117_58:                             ;   in Loop: Header=BB117_12 Depth=1
	s_or_b32 exec_lo, exec_lo, s28
	v_dual_mov_b32 v94, 0 :: v_dual_mov_b32 v95, 0
	s_and_saveexec_b32 s28, s19
	s_cbranch_execz .LBB117_60
; %bb.59:                               ;   in Loop: Header=BB117_12 Depth=1
	global_load_u16 v95, v[8:9], off offset:448
.LBB117_60:                             ;   in Loop: Header=BB117_12 Depth=1
	s_or_b32 exec_lo, exec_lo, s28
	s_and_saveexec_b32 s28, s20
	s_cbranch_execz .LBB117_62
; %bb.61:                               ;   in Loop: Header=BB117_12 Depth=1
	global_load_u16 v94, v[8:9], off offset:512
.LBB117_62:                             ;   in Loop: Header=BB117_12 Depth=1
	s_or_b32 exec_lo, exec_lo, s28
	v_dual_mov_b32 v96, 0 :: v_dual_mov_b32 v97, 0
	;; [unrolled: 13-line block ×4, first 2 shown]
	s_and_saveexec_b32 s28, s25
	s_cbranch_execnz .LBB117_267
; %bb.71:                               ;   in Loop: Header=BB117_12 Depth=1
	s_or_b32 exec_lo, exec_lo, s28
	s_and_saveexec_b32 s28, s26
	s_cbranch_execnz .LBB117_268
.LBB117_72:                             ;   in Loop: Header=BB117_12 Depth=1
	s_or_b32 exec_lo, exec_lo, s28
	v_mov_b32_e32 v102, 0
	s_and_saveexec_b32 s28, s27
	s_cbranch_execz .LBB117_74
.LBB117_73:                             ;   in Loop: Header=BB117_12 Depth=1
	global_load_u16 v102, v[8:9], off offset:960
.LBB117_74:                             ;   in Loop: Header=BB117_12 Depth=1
	s_or_b32 exec_lo, exec_lo, s28
	s_waitcnt vmcnt(0)
	ds_store_b16 v37, v10
	ds_store_b16 v37, v12 offset:64
	ds_store_b16 v38, v11 offset:128
	;; [unrolled: 1-line block ×15, first 2 shown]
	; wave barrier
	ds_load_b128 v[12:15], v52
	ds_load_b128 v[8:11], v52 offset:16
	s_waitcnt lgkmcnt(1)
	v_cvt_f32_f16_e32 v17, v12
	s_delay_alu instid0(VALU_DEP_1) | instskip(NEXT) | instid1(VALU_DEP_1)
	v_add_f32_e32 v94, s68, v17
	v_cmp_ge_f32_e32 vcc_lo, 0x41a00000, v94
	s_and_b32 s28, s79, vcc_lo
	s_delay_alu instid0(SALU_CYCLE_1)
	s_and_saveexec_b32 s29, s28
	s_cbranch_execz .LBB117_76
; %bb.75:                               ;   in Loop: Header=BB117_12 Depth=1
	v_mul_f32_e32 v17, 0x3fb8aa3b, v94
	v_cmp_ngt_f32_e32 vcc_lo, 0xc2ce8ed0, v94
	s_delay_alu instid0(VALU_DEP_2) | instskip(SKIP_1) | instid1(VALU_DEP_1)
	v_rndne_f32_e32 v95, v17
	v_fma_f32 v96, 0x3fb8aa3b, v94, -v17
	v_dual_sub_f32 v17, v17, v95 :: v_dual_fmac_f32 v96, 0x32a5705f, v94
	v_cvt_i32_f32_e32 v95, v95
	s_delay_alu instid0(VALU_DEP_2) | instskip(NEXT) | instid1(VALU_DEP_1)
	v_add_f32_e32 v17, v17, v96
	v_exp_f32_e32 v17, v17
	s_waitcnt_depctr 0xfff
	v_ldexp_f32 v17, v17, v95
	s_delay_alu instid0(VALU_DEP_1) | instskip(SKIP_1) | instid1(VALU_DEP_2)
	v_cndmask_b32_e32 v17, 0, v17, vcc_lo
	v_cmp_nlt_f32_e32 vcc_lo, 0x42b17218, v94
	v_cndmask_b32_e32 v17, 0x7f800000, v17, vcc_lo
	s_delay_alu instid0(VALU_DEP_1) | instskip(NEXT) | instid1(VALU_DEP_1)
	v_add_f32_e32 v96, 1.0, v17
	v_cvt_f64_f32_e32 v[94:95], v96
	s_delay_alu instid0(VALU_DEP_1) | instskip(SKIP_1) | instid1(VALU_DEP_1)
	v_frexp_exp_i32_f64_e32 v94, v[94:95]
	v_frexp_mant_f32_e32 v95, v96
	v_cmp_gt_f32_e32 vcc_lo, 0x3f2aaaab, v95
	v_add_f32_e32 v95, -1.0, v96
	s_delay_alu instid0(VALU_DEP_1) | instskip(NEXT) | instid1(VALU_DEP_1)
	v_dual_sub_f32 v98, v95, v96 :: v_dual_sub_f32 v95, v17, v95
	v_add_f32_e32 v98, 1.0, v98
	v_subrev_co_ci_u32_e32 v94, vcc_lo, 0, v94, vcc_lo
	s_delay_alu instid0(VALU_DEP_1) | instskip(SKIP_1) | instid1(VALU_DEP_2)
	v_sub_nc_u32_e32 v97, 0, v94
	v_cvt_f32_i32_e32 v94, v94
	v_ldexp_f32 v96, v96, v97
	v_add_f32_e32 v95, v95, v98
	s_delay_alu instid0(VALU_DEP_1) | instskip(NEXT) | instid1(VALU_DEP_3)
	v_ldexp_f32 v95, v95, v97
	v_add_f32_e32 v99, 1.0, v96
	s_delay_alu instid0(VALU_DEP_1) | instskip(NEXT) | instid1(VALU_DEP_1)
	v_add_f32_e32 v98, -1.0, v99
	v_sub_f32_e32 v98, v96, v98
	v_cmp_eq_f32_e32 vcc_lo, 0x7f800000, v17
	v_cmp_gt_f32_e64 s28, 0x33800000, v17
	s_delay_alu instid0(VALU_DEP_3) | instskip(NEXT) | instid1(VALU_DEP_2)
	v_dual_add_f32 v98, v95, v98 :: v_dual_add_f32 v97, -1.0, v96
	s_or_b32 vcc_lo, s28, vcc_lo
	s_delay_alu instid0(VALU_DEP_1) | instskip(NEXT) | instid1(VALU_DEP_1)
	v_add_f32_e32 v100, 1.0, v97
	v_sub_f32_e32 v96, v96, v100
	s_delay_alu instid0(VALU_DEP_3) | instskip(NEXT) | instid1(VALU_DEP_1)
	v_add_f32_e32 v100, v99, v98
	v_sub_f32_e32 v99, v99, v100
	s_delay_alu instid0(VALU_DEP_3) | instskip(SKIP_1) | instid1(VALU_DEP_2)
	v_add_f32_e32 v95, v95, v96
	v_rcp_f32_e32 v96, v100
	v_add_f32_e32 v98, v98, v99
	s_delay_alu instid0(VALU_DEP_2) | instskip(NEXT) | instid1(VALU_DEP_1)
	v_add_f32_e32 v101, v97, v95
	v_sub_f32_e32 v97, v97, v101
	s_waitcnt_depctr 0xfff
	v_dual_mul_f32 v102, v101, v96 :: v_dual_add_f32 v95, v95, v97
	s_delay_alu instid0(VALU_DEP_1) | instskip(NEXT) | instid1(VALU_DEP_1)
	v_mul_f32_e32 v103, v100, v102
	v_fma_f32 v99, v102, v100, -v103
	s_delay_alu instid0(VALU_DEP_1) | instskip(NEXT) | instid1(VALU_DEP_1)
	v_fmac_f32_e32 v99, v102, v98
	v_add_f32_e32 v104, v103, v99
	s_delay_alu instid0(VALU_DEP_1) | instskip(NEXT) | instid1(VALU_DEP_1)
	v_sub_f32_e32 v105, v101, v104
	v_sub_f32_e32 v101, v101, v105
	;; [unrolled: 1-line block ×3, first 2 shown]
	s_delay_alu instid0(VALU_DEP_2) | instskip(NEXT) | instid1(VALU_DEP_2)
	v_sub_f32_e32 v101, v101, v104
	v_sub_f32_e32 v97, v97, v99
	s_delay_alu instid0(VALU_DEP_2) | instskip(NEXT) | instid1(VALU_DEP_1)
	v_add_f32_e32 v95, v95, v101
	v_add_f32_e32 v95, v97, v95
	s_delay_alu instid0(VALU_DEP_1) | instskip(NEXT) | instid1(VALU_DEP_1)
	v_add_f32_e32 v97, v105, v95
	v_mul_f32_e32 v99, v96, v97
	s_delay_alu instid0(VALU_DEP_1) | instskip(NEXT) | instid1(VALU_DEP_1)
	v_dual_sub_f32 v104, v105, v97 :: v_dual_mul_f32 v101, v100, v99
	v_add_f32_e32 v95, v95, v104
	s_delay_alu instid0(VALU_DEP_2) | instskip(NEXT) | instid1(VALU_DEP_1)
	v_fma_f32 v100, v99, v100, -v101
	v_fmac_f32_e32 v100, v99, v98
	s_delay_alu instid0(VALU_DEP_1) | instskip(NEXT) | instid1(VALU_DEP_1)
	v_add_f32_e32 v98, v101, v100
	v_sub_f32_e32 v103, v97, v98
	v_sub_f32_e32 v101, v98, v101
	s_delay_alu instid0(VALU_DEP_2) | instskip(NEXT) | instid1(VALU_DEP_1)
	v_sub_f32_e32 v97, v97, v103
	v_sub_f32_e32 v97, v97, v98
	s_delay_alu instid0(VALU_DEP_1) | instskip(SKIP_1) | instid1(VALU_DEP_1)
	v_dual_sub_f32 v98, v101, v100 :: v_dual_add_f32 v95, v95, v97
	v_add_f32_e32 v97, v102, v99
	v_dual_add_f32 v95, v98, v95 :: v_dual_sub_f32 v98, v97, v102
	s_delay_alu instid0(VALU_DEP_1) | instskip(NEXT) | instid1(VALU_DEP_1)
	v_add_f32_e32 v95, v103, v95
	v_dual_sub_f32 v98, v99, v98 :: v_dual_mul_f32 v95, v96, v95
	s_delay_alu instid0(VALU_DEP_1) | instskip(NEXT) | instid1(VALU_DEP_1)
	v_add_f32_e32 v95, v98, v95
	v_add_f32_e32 v96, v97, v95
	s_delay_alu instid0(VALU_DEP_1) | instskip(NEXT) | instid1(VALU_DEP_1)
	v_mul_f32_e32 v98, v96, v96
	v_fmaak_f32 v99, s83, v98, 0x3ecc95a3
	v_mul_f32_e32 v100, v96, v98
	s_delay_alu instid0(VALU_DEP_2) | instskip(SKIP_2) | instid1(VALU_DEP_3)
	v_fmaak_f32 v98, v98, v99, 0x3f2aaada
	v_ldexp_f32 v99, v96, 1
	v_sub_f32_e32 v96, v96, v97
	v_mul_f32_e32 v98, v100, v98
	s_delay_alu instid0(VALU_DEP_2) | instskip(NEXT) | instid1(VALU_DEP_2)
	v_dual_mul_f32 v100, 0x3f317218, v94 :: v_dual_sub_f32 v95, v95, v96
	v_add_f32_e32 v97, v99, v98
	s_delay_alu instid0(VALU_DEP_2) | instskip(NEXT) | instid1(VALU_DEP_2)
	v_ldexp_f32 v95, v95, 1
	v_sub_f32_e32 v96, v97, v99
	s_delay_alu instid0(VALU_DEP_4) | instskip(NEXT) | instid1(VALU_DEP_1)
	v_fma_f32 v99, 0x3f317218, v94, -v100
	v_dual_sub_f32 v96, v98, v96 :: v_dual_fmac_f32 v99, 0xb102e308, v94
	s_delay_alu instid0(VALU_DEP_1) | instskip(NEXT) | instid1(VALU_DEP_1)
	v_dual_add_f32 v94, v95, v96 :: v_dual_add_f32 v95, v100, v99
	v_add_f32_e32 v96, v97, v94
	s_delay_alu instid0(VALU_DEP_2) | instskip(NEXT) | instid1(VALU_DEP_2)
	v_sub_f32_e32 v100, v95, v100
	v_dual_add_f32 v98, v95, v96 :: v_dual_sub_f32 v97, v96, v97
	s_delay_alu instid0(VALU_DEP_2) | instskip(NEXT) | instid1(VALU_DEP_2)
	v_sub_f32_e32 v99, v99, v100
	v_sub_f32_e32 v101, v98, v95
	s_delay_alu instid0(VALU_DEP_3) | instskip(NEXT) | instid1(VALU_DEP_2)
	v_sub_f32_e32 v94, v94, v97
	v_sub_f32_e32 v102, v98, v101
	s_delay_alu instid0(VALU_DEP_2) | instskip(NEXT) | instid1(VALU_DEP_2)
	v_dual_sub_f32 v96, v96, v101 :: v_dual_add_f32 v97, v99, v94
	v_sub_f32_e32 v95, v95, v102
	s_delay_alu instid0(VALU_DEP_1) | instskip(NEXT) | instid1(VALU_DEP_3)
	v_add_f32_e32 v95, v96, v95
	v_sub_f32_e32 v96, v97, v99
	s_delay_alu instid0(VALU_DEP_2) | instskip(NEXT) | instid1(VALU_DEP_2)
	v_add_f32_e32 v95, v97, v95
	v_sub_f32_e32 v97, v97, v96
	v_sub_f32_e32 v94, v94, v96
	s_delay_alu instid0(VALU_DEP_2) | instskip(NEXT) | instid1(VALU_DEP_1)
	v_dual_add_f32 v100, v98, v95 :: v_dual_sub_f32 v97, v99, v97
	v_sub_f32_e32 v96, v100, v98
	s_delay_alu instid0(VALU_DEP_1) | instskip(NEXT) | instid1(VALU_DEP_1)
	v_dual_add_f32 v94, v94, v97 :: v_dual_sub_f32 v95, v95, v96
	v_add_f32_e32 v94, v94, v95
	s_delay_alu instid0(VALU_DEP_1) | instskip(NEXT) | instid1(VALU_DEP_1)
	v_add_f32_e32 v94, v100, v94
	v_cndmask_b32_e32 v94, v94, v17, vcc_lo
.LBB117_76:                             ;   in Loop: Header=BB117_12 Depth=1
	s_or_b32 exec_lo, exec_lo, s29
	v_lshrrev_b32_e32 v12, 16, v12
	s_delay_alu instid0(VALU_DEP_1) | instskip(NEXT) | instid1(VALU_DEP_1)
	v_cvt_f32_f16_e32 v12, v12
	v_add_f32_e32 v95, s68, v12
	s_delay_alu instid0(VALU_DEP_1) | instskip(SKIP_1) | instid1(SALU_CYCLE_1)
	v_cmp_ge_f32_e32 vcc_lo, 0x41a00000, v95
	s_and_b32 s28, s79, vcc_lo
	s_and_saveexec_b32 s29, s28
	s_cbranch_execz .LBB117_78
; %bb.77:                               ;   in Loop: Header=BB117_12 Depth=1
	v_mul_f32_e32 v12, 0x3fb8aa3b, v95
	v_cmp_ngt_f32_e32 vcc_lo, 0xc2ce8ed0, v95
	s_delay_alu instid0(VALU_DEP_2) | instskip(SKIP_1) | instid1(VALU_DEP_2)
	v_rndne_f32_e32 v17, v12
	v_fma_f32 v96, 0x3fb8aa3b, v95, -v12
	v_sub_f32_e32 v12, v12, v17
	s_delay_alu instid0(VALU_DEP_2) | instskip(SKIP_1) | instid1(VALU_DEP_2)
	v_fmac_f32_e32 v96, 0x32a5705f, v95
	v_cvt_i32_f32_e32 v17, v17
	v_add_f32_e32 v12, v12, v96
	s_delay_alu instid0(VALU_DEP_1) | instskip(SKIP_2) | instid1(VALU_DEP_1)
	v_exp_f32_e32 v12, v12
	s_waitcnt_depctr 0xfff
	v_ldexp_f32 v12, v12, v17
	v_cndmask_b32_e32 v12, 0, v12, vcc_lo
	v_cmp_nlt_f32_e32 vcc_lo, 0x42b17218, v95
	s_delay_alu instid0(VALU_DEP_2) | instskip(NEXT) | instid1(VALU_DEP_1)
	v_cndmask_b32_e32 v12, 0x7f800000, v12, vcc_lo
	v_add_f32_e32 v17, 1.0, v12
	s_delay_alu instid0(VALU_DEP_1) | instskip(NEXT) | instid1(VALU_DEP_1)
	v_cvt_f64_f32_e32 v[95:96], v17
	v_frexp_exp_i32_f64_e32 v95, v[95:96]
	v_frexp_mant_f32_e32 v96, v17
	s_delay_alu instid0(VALU_DEP_1) | instskip(SKIP_1) | instid1(VALU_DEP_1)
	v_cmp_gt_f32_e32 vcc_lo, 0x3f2aaaab, v96
	v_add_f32_e32 v96, -1.0, v17
	v_sub_f32_e32 v98, v96, v17
	v_sub_f32_e32 v96, v12, v96
	s_delay_alu instid0(VALU_DEP_2) | instskip(NEXT) | instid1(VALU_DEP_1)
	v_add_f32_e32 v98, 1.0, v98
	v_add_f32_e32 v96, v96, v98
	v_subrev_co_ci_u32_e32 v95, vcc_lo, 0, v95, vcc_lo
	s_delay_alu instid0(VALU_DEP_1) | instskip(SKIP_1) | instid1(VALU_DEP_2)
	v_sub_nc_u32_e32 v97, 0, v95
	v_cvt_f32_i32_e32 v95, v95
	v_ldexp_f32 v17, v17, v97
	v_ldexp_f32 v96, v96, v97
	s_delay_alu instid0(VALU_DEP_2) | instskip(NEXT) | instid1(VALU_DEP_1)
	v_add_f32_e32 v99, 1.0, v17
	v_dual_add_f32 v97, -1.0, v17 :: v_dual_add_f32 v98, -1.0, v99
	s_delay_alu instid0(VALU_DEP_1) | instskip(NEXT) | instid1(VALU_DEP_2)
	v_add_f32_e32 v100, 1.0, v97
	v_sub_f32_e32 v98, v17, v98
	s_delay_alu instid0(VALU_DEP_2) | instskip(NEXT) | instid1(VALU_DEP_1)
	v_sub_f32_e32 v17, v17, v100
	v_add_f32_e32 v17, v96, v17
	s_delay_alu instid0(VALU_DEP_1) | instskip(SKIP_2) | instid1(VALU_DEP_3)
	v_add_f32_e32 v101, v97, v17
	v_cmp_eq_f32_e32 vcc_lo, 0x7f800000, v12
	v_cmp_gt_f32_e64 s28, 0x33800000, v12
	v_dual_sub_f32 v97, v97, v101 :: v_dual_add_f32 v98, v96, v98
	s_delay_alu instid0(VALU_DEP_2) | instskip(NEXT) | instid1(VALU_DEP_1)
	s_or_b32 vcc_lo, s28, vcc_lo
	v_dual_add_f32 v17, v17, v97 :: v_dual_add_f32 v100, v99, v98
	s_delay_alu instid0(VALU_DEP_1) | instskip(SKIP_1) | instid1(VALU_DEP_1)
	v_rcp_f32_e32 v96, v100
	v_sub_f32_e32 v99, v99, v100
	v_add_f32_e32 v98, v98, v99
	s_waitcnt_depctr 0xfff
	v_mul_f32_e32 v102, v101, v96
	s_delay_alu instid0(VALU_DEP_1) | instskip(NEXT) | instid1(VALU_DEP_1)
	v_mul_f32_e32 v103, v100, v102
	v_fma_f32 v99, v102, v100, -v103
	s_delay_alu instid0(VALU_DEP_1) | instskip(NEXT) | instid1(VALU_DEP_1)
	v_fmac_f32_e32 v99, v102, v98
	v_add_f32_e32 v104, v103, v99
	s_delay_alu instid0(VALU_DEP_1) | instskip(SKIP_1) | instid1(VALU_DEP_2)
	v_sub_f32_e32 v105, v101, v104
	v_sub_f32_e32 v97, v104, v103
	;; [unrolled: 1-line block ×3, first 2 shown]
	s_delay_alu instid0(VALU_DEP_2) | instskip(NEXT) | instid1(VALU_DEP_2)
	v_sub_f32_e32 v97, v97, v99
	v_sub_f32_e32 v101, v101, v104
	s_delay_alu instid0(VALU_DEP_1) | instskip(NEXT) | instid1(VALU_DEP_1)
	v_add_f32_e32 v17, v17, v101
	v_add_f32_e32 v17, v97, v17
	s_delay_alu instid0(VALU_DEP_1) | instskip(NEXT) | instid1(VALU_DEP_1)
	v_add_f32_e32 v97, v105, v17
	v_mul_f32_e32 v99, v96, v97
	s_delay_alu instid0(VALU_DEP_1) | instskip(NEXT) | instid1(VALU_DEP_1)
	v_mul_f32_e32 v101, v100, v99
	v_fma_f32 v100, v99, v100, -v101
	s_delay_alu instid0(VALU_DEP_1) | instskip(SKIP_1) | instid1(VALU_DEP_2)
	v_fmac_f32_e32 v100, v99, v98
	v_sub_f32_e32 v104, v105, v97
	v_add_f32_e32 v98, v101, v100
	s_delay_alu instid0(VALU_DEP_2) | instskip(NEXT) | instid1(VALU_DEP_2)
	v_add_f32_e32 v17, v17, v104
	v_sub_f32_e32 v103, v97, v98
	s_delay_alu instid0(VALU_DEP_1) | instskip(NEXT) | instid1(VALU_DEP_1)
	v_sub_f32_e32 v97, v97, v103
	v_sub_f32_e32 v97, v97, v98
	s_delay_alu instid0(VALU_DEP_1) | instskip(SKIP_2) | instid1(VALU_DEP_1)
	v_add_f32_e32 v17, v17, v97
	v_add_f32_e32 v97, v102, v99
	v_sub_f32_e32 v101, v98, v101
	v_sub_f32_e32 v98, v101, v100
	s_delay_alu instid0(VALU_DEP_1) | instskip(NEXT) | instid1(VALU_DEP_1)
	v_dual_add_f32 v17, v98, v17 :: v_dual_sub_f32 v98, v97, v102
	v_add_f32_e32 v17, v103, v17
	s_delay_alu instid0(VALU_DEP_1) | instskip(NEXT) | instid1(VALU_DEP_1)
	v_dual_sub_f32 v98, v99, v98 :: v_dual_mul_f32 v17, v96, v17
	v_add_f32_e32 v17, v98, v17
	s_delay_alu instid0(VALU_DEP_1) | instskip(NEXT) | instid1(VALU_DEP_1)
	v_add_f32_e32 v96, v97, v17
	v_mul_f32_e32 v98, v96, v96
	s_delay_alu instid0(VALU_DEP_1) | instskip(SKIP_1) | instid1(VALU_DEP_2)
	v_fmaak_f32 v99, s83, v98, 0x3ecc95a3
	v_mul_f32_e32 v100, v96, v98
	v_fmaak_f32 v98, v98, v99, 0x3f2aaada
	v_ldexp_f32 v99, v96, 1
	s_delay_alu instid0(VALU_DEP_2) | instskip(SKIP_1) | instid1(VALU_DEP_2)
	v_mul_f32_e32 v98, v100, v98
	v_sub_f32_e32 v96, v96, v97
	v_dual_mul_f32 v100, 0x3f317218, v95 :: v_dual_add_f32 v97, v99, v98
	s_delay_alu instid0(VALU_DEP_2) | instskip(NEXT) | instid1(VALU_DEP_2)
	v_sub_f32_e32 v17, v17, v96
	v_sub_f32_e32 v96, v97, v99
	s_delay_alu instid0(VALU_DEP_3) | instskip(NEXT) | instid1(VALU_DEP_3)
	v_fma_f32 v99, 0x3f317218, v95, -v100
	v_ldexp_f32 v17, v17, 1
	s_delay_alu instid0(VALU_DEP_2) | instskip(NEXT) | instid1(VALU_DEP_1)
	v_dual_sub_f32 v96, v98, v96 :: v_dual_fmac_f32 v99, 0xb102e308, v95
	v_add_f32_e32 v17, v17, v96
	s_delay_alu instid0(VALU_DEP_1) | instskip(NEXT) | instid1(VALU_DEP_1)
	v_dual_add_f32 v95, v100, v99 :: v_dual_add_f32 v96, v97, v17
	v_sub_f32_e32 v100, v95, v100
	s_delay_alu instid0(VALU_DEP_2) | instskip(NEXT) | instid1(VALU_DEP_2)
	v_dual_add_f32 v98, v95, v96 :: v_dual_sub_f32 v97, v96, v97
	v_sub_f32_e32 v99, v99, v100
	s_delay_alu instid0(VALU_DEP_2) | instskip(NEXT) | instid1(VALU_DEP_1)
	v_sub_f32_e32 v101, v98, v95
	v_sub_f32_e32 v102, v98, v101
	;; [unrolled: 1-line block ×4, first 2 shown]
	s_delay_alu instid0(VALU_DEP_1) | instskip(NEXT) | instid1(VALU_DEP_4)
	v_add_f32_e32 v97, v99, v17
	v_sub_f32_e32 v95, v95, v102
	s_delay_alu instid0(VALU_DEP_1) | instskip(NEXT) | instid1(VALU_DEP_3)
	v_add_f32_e32 v95, v96, v95
	v_sub_f32_e32 v96, v97, v99
	s_delay_alu instid0(VALU_DEP_2) | instskip(NEXT) | instid1(VALU_DEP_2)
	v_add_f32_e32 v95, v97, v95
	v_sub_f32_e32 v97, v97, v96
	s_delay_alu instid0(VALU_DEP_2) | instskip(NEXT) | instid1(VALU_DEP_1)
	v_dual_sub_f32 v17, v17, v96 :: v_dual_add_f32 v100, v98, v95
	v_dual_sub_f32 v96, v100, v98 :: v_dual_sub_f32 v97, v99, v97
	s_delay_alu instid0(VALU_DEP_1) | instskip(NEXT) | instid1(VALU_DEP_2)
	v_sub_f32_e32 v95, v95, v96
	v_add_f32_e32 v17, v17, v97
	s_delay_alu instid0(VALU_DEP_1) | instskip(NEXT) | instid1(VALU_DEP_1)
	v_add_f32_e32 v17, v17, v95
	v_add_f32_e32 v17, v100, v17
	s_delay_alu instid0(VALU_DEP_1)
	v_cndmask_b32_e32 v95, v17, v12, vcc_lo
.LBB117_78:                             ;   in Loop: Header=BB117_12 Depth=1
	s_or_b32 exec_lo, exec_lo, s29
	v_cvt_f32_f16_e32 v12, v13
	s_delay_alu instid0(VALU_DEP_1) | instskip(NEXT) | instid1(VALU_DEP_1)
	v_add_f32_e32 v96, s68, v12
	v_cmp_ge_f32_e32 vcc_lo, 0x41a00000, v96
	s_and_b32 s28, s79, vcc_lo
	s_delay_alu instid0(SALU_CYCLE_1)
	s_and_saveexec_b32 s29, s28
	s_cbranch_execz .LBB117_80
; %bb.79:                               ;   in Loop: Header=BB117_12 Depth=1
	v_mul_f32_e32 v12, 0x3fb8aa3b, v96
	v_cmp_ngt_f32_e32 vcc_lo, 0xc2ce8ed0, v96
	s_delay_alu instid0(VALU_DEP_2) | instskip(SKIP_1) | instid1(VALU_DEP_1)
	v_rndne_f32_e32 v17, v12
	v_fma_f32 v97, 0x3fb8aa3b, v96, -v12
	v_dual_sub_f32 v12, v12, v17 :: v_dual_fmac_f32 v97, 0x32a5705f, v96
	v_cvt_i32_f32_e32 v17, v17
	s_delay_alu instid0(VALU_DEP_2) | instskip(NEXT) | instid1(VALU_DEP_1)
	v_add_f32_e32 v12, v12, v97
	v_exp_f32_e32 v12, v12
	s_waitcnt_depctr 0xfff
	v_ldexp_f32 v12, v12, v17
	s_delay_alu instid0(VALU_DEP_1) | instskip(SKIP_1) | instid1(VALU_DEP_2)
	v_cndmask_b32_e32 v12, 0, v12, vcc_lo
	v_cmp_nlt_f32_e32 vcc_lo, 0x42b17218, v96
	v_cndmask_b32_e32 v12, 0x7f800000, v12, vcc_lo
	s_delay_alu instid0(VALU_DEP_1) | instskip(NEXT) | instid1(VALU_DEP_1)
	v_add_f32_e32 v17, 1.0, v12
	v_cvt_f64_f32_e32 v[96:97], v17
	s_delay_alu instid0(VALU_DEP_1) | instskip(SKIP_1) | instid1(VALU_DEP_1)
	v_frexp_exp_i32_f64_e32 v96, v[96:97]
	v_frexp_mant_f32_e32 v97, v17
	v_cmp_gt_f32_e32 vcc_lo, 0x3f2aaaab, v97
	v_add_f32_e32 v97, -1.0, v17
	s_delay_alu instid0(VALU_DEP_1) | instskip(SKIP_1) | instid1(VALU_DEP_2)
	v_sub_f32_e32 v99, v97, v17
	v_sub_f32_e32 v97, v12, v97
	v_add_f32_e32 v99, 1.0, v99
	s_delay_alu instid0(VALU_DEP_1) | instskip(SKIP_3) | instid1(VALU_DEP_2)
	v_add_f32_e32 v97, v97, v99
	v_cmp_gt_f32_e64 s28, 0x33800000, v12
	v_subrev_co_ci_u32_e32 v96, vcc_lo, 0, v96, vcc_lo
	v_cmp_eq_f32_e32 vcc_lo, 0x7f800000, v12
	v_sub_nc_u32_e32 v98, 0, v96
	v_cvt_f32_i32_e32 v96, v96
	s_or_b32 vcc_lo, s28, vcc_lo
	s_delay_alu instid0(VALU_DEP_2) | instskip(SKIP_1) | instid1(VALU_DEP_2)
	v_ldexp_f32 v17, v17, v98
	v_ldexp_f32 v97, v97, v98
	v_add_f32_e32 v100, 1.0, v17
	s_delay_alu instid0(VALU_DEP_1) | instskip(NEXT) | instid1(VALU_DEP_1)
	v_dual_add_f32 v98, -1.0, v17 :: v_dual_add_f32 v99, -1.0, v100
	v_add_f32_e32 v101, 1.0, v98
	s_delay_alu instid0(VALU_DEP_2) | instskip(NEXT) | instid1(VALU_DEP_2)
	v_sub_f32_e32 v99, v17, v99
	v_sub_f32_e32 v17, v17, v101
	s_delay_alu instid0(VALU_DEP_1) | instskip(NEXT) | instid1(VALU_DEP_1)
	v_add_f32_e32 v17, v97, v17
	v_dual_add_f32 v102, v98, v17 :: v_dual_add_f32 v99, v97, v99
	s_delay_alu instid0(VALU_DEP_1) | instskip(NEXT) | instid1(VALU_DEP_1)
	v_dual_sub_f32 v98, v98, v102 :: v_dual_add_f32 v101, v100, v99
	v_rcp_f32_e32 v97, v101
	v_sub_f32_e32 v100, v100, v101
	s_delay_alu instid0(VALU_DEP_1) | instskip(SKIP_2) | instid1(VALU_DEP_1)
	v_add_f32_e32 v99, v99, v100
	s_waitcnt_depctr 0xfff
	v_mul_f32_e32 v103, v102, v97
	v_mul_f32_e32 v104, v101, v103
	s_delay_alu instid0(VALU_DEP_1) | instskip(NEXT) | instid1(VALU_DEP_1)
	v_fma_f32 v100, v103, v101, -v104
	v_fmac_f32_e32 v100, v103, v99
	s_delay_alu instid0(VALU_DEP_1) | instskip(NEXT) | instid1(VALU_DEP_1)
	v_add_f32_e32 v105, v104, v100
	v_sub_f32_e32 v106, v102, v105
	s_delay_alu instid0(VALU_DEP_1) | instskip(SKIP_2) | instid1(VALU_DEP_3)
	v_sub_f32_e32 v102, v102, v106
	v_add_f32_e32 v17, v17, v98
	v_sub_f32_e32 v98, v105, v104
	v_sub_f32_e32 v102, v102, v105
	s_delay_alu instid0(VALU_DEP_1) | instskip(NEXT) | instid1(VALU_DEP_1)
	v_dual_sub_f32 v98, v98, v100 :: v_dual_add_f32 v17, v17, v102
	v_add_f32_e32 v17, v98, v17
	s_delay_alu instid0(VALU_DEP_1) | instskip(NEXT) | instid1(VALU_DEP_1)
	v_add_f32_e32 v98, v106, v17
	v_mul_f32_e32 v100, v97, v98
	s_delay_alu instid0(VALU_DEP_1) | instskip(NEXT) | instid1(VALU_DEP_1)
	v_dual_sub_f32 v105, v106, v98 :: v_dual_mul_f32 v102, v101, v100
	v_add_f32_e32 v17, v17, v105
	s_delay_alu instid0(VALU_DEP_2) | instskip(NEXT) | instid1(VALU_DEP_1)
	v_fma_f32 v101, v100, v101, -v102
	v_fmac_f32_e32 v101, v100, v99
	s_delay_alu instid0(VALU_DEP_1) | instskip(NEXT) | instid1(VALU_DEP_1)
	v_add_f32_e32 v99, v102, v101
	v_sub_f32_e32 v104, v98, v99
	s_delay_alu instid0(VALU_DEP_1) | instskip(NEXT) | instid1(VALU_DEP_1)
	v_sub_f32_e32 v98, v98, v104
	v_sub_f32_e32 v98, v98, v99
	s_delay_alu instid0(VALU_DEP_1) | instskip(SKIP_1) | instid1(VALU_DEP_1)
	v_dual_add_f32 v17, v17, v98 :: v_dual_add_f32 v98, v103, v100
	v_sub_f32_e32 v102, v99, v102
	v_sub_f32_e32 v99, v102, v101
	s_delay_alu instid0(VALU_DEP_1) | instskip(NEXT) | instid1(VALU_DEP_4)
	v_add_f32_e32 v17, v99, v17
	v_sub_f32_e32 v99, v98, v103
	s_delay_alu instid0(VALU_DEP_2) | instskip(NEXT) | instid1(VALU_DEP_2)
	v_add_f32_e32 v17, v104, v17
	v_sub_f32_e32 v99, v100, v99
	s_delay_alu instid0(VALU_DEP_2) | instskip(NEXT) | instid1(VALU_DEP_1)
	v_mul_f32_e32 v17, v97, v17
	v_add_f32_e32 v17, v99, v17
	s_delay_alu instid0(VALU_DEP_1) | instskip(NEXT) | instid1(VALU_DEP_1)
	v_add_f32_e32 v97, v98, v17
	v_mul_f32_e32 v99, v97, v97
	s_delay_alu instid0(VALU_DEP_1) | instskip(SKIP_1) | instid1(VALU_DEP_2)
	v_fmaak_f32 v100, s83, v99, 0x3ecc95a3
	v_mul_f32_e32 v101, v97, v99
	v_fmaak_f32 v99, v99, v100, 0x3f2aaada
	v_ldexp_f32 v100, v97, 1
	v_sub_f32_e32 v97, v97, v98
	s_delay_alu instid0(VALU_DEP_3) | instskip(SKIP_1) | instid1(VALU_DEP_2)
	v_mul_f32_e32 v99, v101, v99
	v_mul_f32_e32 v101, 0x3f317218, v96
	v_dual_sub_f32 v17, v17, v97 :: v_dual_add_f32 v98, v100, v99
	s_delay_alu instid0(VALU_DEP_1) | instskip(NEXT) | instid1(VALU_DEP_2)
	v_ldexp_f32 v17, v17, 1
	v_sub_f32_e32 v97, v98, v100
	s_delay_alu instid0(VALU_DEP_4) | instskip(NEXT) | instid1(VALU_DEP_1)
	v_fma_f32 v100, 0x3f317218, v96, -v101
	v_dual_sub_f32 v97, v99, v97 :: v_dual_fmac_f32 v100, 0xb102e308, v96
	s_delay_alu instid0(VALU_DEP_1) | instskip(NEXT) | instid1(VALU_DEP_1)
	v_add_f32_e32 v17, v17, v97
	v_dual_add_f32 v96, v101, v100 :: v_dual_add_f32 v97, v98, v17
	s_delay_alu instid0(VALU_DEP_1) | instskip(NEXT) | instid1(VALU_DEP_2)
	v_sub_f32_e32 v101, v96, v101
	v_dual_add_f32 v99, v96, v97 :: v_dual_sub_f32 v98, v97, v98
	s_delay_alu instid0(VALU_DEP_2) | instskip(NEXT) | instid1(VALU_DEP_2)
	v_sub_f32_e32 v100, v100, v101
	v_dual_sub_f32 v102, v99, v96 :: v_dual_sub_f32 v17, v17, v98
	s_delay_alu instid0(VALU_DEP_1) | instskip(NEXT) | instid1(VALU_DEP_2)
	v_sub_f32_e32 v103, v99, v102
	v_dual_sub_f32 v97, v97, v102 :: v_dual_add_f32 v98, v100, v17
	s_delay_alu instid0(VALU_DEP_2) | instskip(NEXT) | instid1(VALU_DEP_1)
	v_sub_f32_e32 v96, v96, v103
	v_add_f32_e32 v96, v97, v96
	s_delay_alu instid0(VALU_DEP_3) | instskip(NEXT) | instid1(VALU_DEP_2)
	v_sub_f32_e32 v97, v98, v100
	v_add_f32_e32 v96, v98, v96
	s_delay_alu instid0(VALU_DEP_2) | instskip(SKIP_1) | instid1(VALU_DEP_2)
	v_sub_f32_e32 v98, v98, v97
	v_sub_f32_e32 v17, v17, v97
	v_dual_add_f32 v101, v99, v96 :: v_dual_sub_f32 v98, v100, v98
	s_delay_alu instid0(VALU_DEP_1) | instskip(NEXT) | instid1(VALU_DEP_1)
	v_sub_f32_e32 v97, v101, v99
	v_dual_add_f32 v17, v17, v98 :: v_dual_sub_f32 v96, v96, v97
	s_delay_alu instid0(VALU_DEP_1) | instskip(NEXT) | instid1(VALU_DEP_1)
	v_add_f32_e32 v17, v17, v96
	v_add_f32_e32 v17, v101, v17
	s_delay_alu instid0(VALU_DEP_1)
	v_cndmask_b32_e32 v96, v17, v12, vcc_lo
.LBB117_80:                             ;   in Loop: Header=BB117_12 Depth=1
	s_or_b32 exec_lo, exec_lo, s29
	v_lshrrev_b32_e32 v12, 16, v13
	s_delay_alu instid0(VALU_DEP_1) | instskip(NEXT) | instid1(VALU_DEP_1)
	v_cvt_f32_f16_e32 v12, v12
	v_add_f32_e32 v97, s68, v12
	s_delay_alu instid0(VALU_DEP_1) | instskip(SKIP_1) | instid1(SALU_CYCLE_1)
	v_cmp_ge_f32_e32 vcc_lo, 0x41a00000, v97
	s_and_b32 s28, s79, vcc_lo
	s_and_saveexec_b32 s29, s28
	s_cbranch_execz .LBB117_82
; %bb.81:                               ;   in Loop: Header=BB117_12 Depth=1
	v_mul_f32_e32 v12, 0x3fb8aa3b, v97
	v_cmp_ngt_f32_e32 vcc_lo, 0xc2ce8ed0, v97
	s_delay_alu instid0(VALU_DEP_2) | instskip(SKIP_1) | instid1(VALU_DEP_2)
	v_rndne_f32_e32 v13, v12
	v_fma_f32 v17, 0x3fb8aa3b, v97, -v12
	v_sub_f32_e32 v12, v12, v13
	s_delay_alu instid0(VALU_DEP_2) | instskip(SKIP_1) | instid1(VALU_DEP_2)
	v_fmac_f32_e32 v17, 0x32a5705f, v97
	v_cvt_i32_f32_e32 v13, v13
	v_add_f32_e32 v12, v12, v17
	s_delay_alu instid0(VALU_DEP_1) | instskip(SKIP_2) | instid1(VALU_DEP_1)
	v_exp_f32_e32 v12, v12
	s_waitcnt_depctr 0xfff
	v_ldexp_f32 v12, v12, v13
	v_cndmask_b32_e32 v12, 0, v12, vcc_lo
	v_cmp_nlt_f32_e32 vcc_lo, 0x42b17218, v97
	s_delay_alu instid0(VALU_DEP_2) | instskip(NEXT) | instid1(VALU_DEP_1)
	v_cndmask_b32_e32 v17, 0x7f800000, v12, vcc_lo
	v_add_f32_e32 v97, 1.0, v17
	s_delay_alu instid0(VALU_DEP_1) | instskip(NEXT) | instid1(VALU_DEP_1)
	v_cvt_f64_f32_e32 v[12:13], v97
	v_frexp_exp_i32_f64_e32 v12, v[12:13]
	v_frexp_mant_f32_e32 v13, v97
	s_delay_alu instid0(VALU_DEP_1) | instskip(SKIP_1) | instid1(VALU_DEP_1)
	v_cmp_gt_f32_e32 vcc_lo, 0x3f2aaaab, v13
	v_add_f32_e32 v13, -1.0, v97
	v_sub_f32_e32 v99, v13, v97
	s_delay_alu instid0(VALU_DEP_1) | instskip(SKIP_1) | instid1(VALU_DEP_1)
	v_add_f32_e32 v99, 1.0, v99
	v_subrev_co_ci_u32_e32 v12, vcc_lo, 0, v12, vcc_lo
	v_sub_nc_u32_e32 v98, 0, v12
	v_cvt_f32_i32_e32 v12, v12
	s_delay_alu instid0(VALU_DEP_2) | instskip(NEXT) | instid1(VALU_DEP_1)
	v_ldexp_f32 v97, v97, v98
	v_add_f32_e32 v100, 1.0, v97
	v_sub_f32_e32 v13, v17, v13
	v_cmp_eq_f32_e32 vcc_lo, 0x7f800000, v17
	v_cmp_gt_f32_e64 s28, 0x33800000, v17
	s_delay_alu instid0(VALU_DEP_3) | instskip(SKIP_1) | instid1(VALU_DEP_3)
	v_add_f32_e32 v13, v13, v99
	v_add_f32_e32 v99, -1.0, v100
	s_or_b32 vcc_lo, s28, vcc_lo
	s_delay_alu instid0(VALU_DEP_2) | instskip(NEXT) | instid1(VALU_DEP_2)
	v_ldexp_f32 v13, v13, v98
	v_dual_add_f32 v98, -1.0, v97 :: v_dual_sub_f32 v99, v97, v99
	s_delay_alu instid0(VALU_DEP_1) | instskip(NEXT) | instid1(VALU_DEP_2)
	v_add_f32_e32 v101, 1.0, v98
	v_add_f32_e32 v99, v13, v99
	s_delay_alu instid0(VALU_DEP_2) | instskip(NEXT) | instid1(VALU_DEP_1)
	v_sub_f32_e32 v97, v97, v101
	v_add_f32_e32 v13, v13, v97
	s_delay_alu instid0(VALU_DEP_1) | instskip(NEXT) | instid1(VALU_DEP_1)
	v_dual_add_f32 v102, v98, v13 :: v_dual_add_f32 v101, v100, v99
	v_sub_f32_e32 v98, v98, v102
	s_delay_alu instid0(VALU_DEP_2) | instskip(NEXT) | instid1(VALU_DEP_1)
	v_rcp_f32_e32 v97, v101
	v_dual_sub_f32 v100, v100, v101 :: v_dual_add_f32 v13, v13, v98
	s_delay_alu instid0(VALU_DEP_1) | instskip(SKIP_2) | instid1(VALU_DEP_1)
	v_add_f32_e32 v99, v99, v100
	s_waitcnt_depctr 0xfff
	v_mul_f32_e32 v103, v102, v97
	v_mul_f32_e32 v104, v101, v103
	s_delay_alu instid0(VALU_DEP_1) | instskip(NEXT) | instid1(VALU_DEP_1)
	v_fma_f32 v100, v103, v101, -v104
	v_fmac_f32_e32 v100, v103, v99
	s_delay_alu instid0(VALU_DEP_1) | instskip(NEXT) | instid1(VALU_DEP_1)
	v_add_f32_e32 v105, v104, v100
	v_sub_f32_e32 v106, v102, v105
	v_sub_f32_e32 v98, v105, v104
	s_delay_alu instid0(VALU_DEP_2) | instskip(NEXT) | instid1(VALU_DEP_2)
	v_sub_f32_e32 v102, v102, v106
	v_sub_f32_e32 v98, v98, v100
	s_delay_alu instid0(VALU_DEP_2) | instskip(NEXT) | instid1(VALU_DEP_1)
	v_sub_f32_e32 v102, v102, v105
	v_add_f32_e32 v13, v13, v102
	s_delay_alu instid0(VALU_DEP_1) | instskip(NEXT) | instid1(VALU_DEP_1)
	v_add_f32_e32 v13, v98, v13
	v_add_f32_e32 v98, v106, v13
	s_delay_alu instid0(VALU_DEP_1) | instskip(NEXT) | instid1(VALU_DEP_1)
	v_mul_f32_e32 v100, v97, v98
	v_dual_sub_f32 v105, v106, v98 :: v_dual_mul_f32 v102, v101, v100
	s_delay_alu instid0(VALU_DEP_1) | instskip(NEXT) | instid1(VALU_DEP_1)
	v_fma_f32 v101, v100, v101, -v102
	v_fmac_f32_e32 v101, v100, v99
	s_delay_alu instid0(VALU_DEP_1) | instskip(NEXT) | instid1(VALU_DEP_1)
	v_add_f32_e32 v99, v102, v101
	v_dual_add_f32 v13, v13, v105 :: v_dual_sub_f32 v104, v98, v99
	s_delay_alu instid0(VALU_DEP_1) | instskip(NEXT) | instid1(VALU_DEP_1)
	v_sub_f32_e32 v98, v98, v104
	v_sub_f32_e32 v98, v98, v99
	s_delay_alu instid0(VALU_DEP_1) | instskip(SKIP_1) | instid1(VALU_DEP_1)
	v_dual_add_f32 v13, v13, v98 :: v_dual_add_f32 v98, v103, v100
	v_sub_f32_e32 v102, v99, v102
	v_sub_f32_e32 v99, v102, v101
	s_delay_alu instid0(VALU_DEP_1) | instskip(NEXT) | instid1(VALU_DEP_4)
	v_add_f32_e32 v13, v99, v13
	v_sub_f32_e32 v99, v98, v103
	s_delay_alu instid0(VALU_DEP_2) | instskip(NEXT) | instid1(VALU_DEP_2)
	v_add_f32_e32 v13, v104, v13
	v_sub_f32_e32 v99, v100, v99
	s_delay_alu instid0(VALU_DEP_2) | instskip(NEXT) | instid1(VALU_DEP_1)
	v_mul_f32_e32 v13, v97, v13
	v_add_f32_e32 v13, v99, v13
	s_delay_alu instid0(VALU_DEP_1) | instskip(NEXT) | instid1(VALU_DEP_1)
	v_add_f32_e32 v97, v98, v13
	v_mul_f32_e32 v99, v97, v97
	s_delay_alu instid0(VALU_DEP_1) | instskip(SKIP_1) | instid1(VALU_DEP_2)
	v_fmaak_f32 v100, s83, v99, 0x3ecc95a3
	v_mul_f32_e32 v101, v97, v99
	v_fmaak_f32 v99, v99, v100, 0x3f2aaada
	v_ldexp_f32 v100, v97, 1
	v_sub_f32_e32 v97, v97, v98
	s_delay_alu instid0(VALU_DEP_3) | instskip(SKIP_1) | instid1(VALU_DEP_2)
	v_mul_f32_e32 v99, v101, v99
	v_mul_f32_e32 v101, 0x3f317218, v12
	v_dual_sub_f32 v13, v13, v97 :: v_dual_add_f32 v98, v100, v99
	s_delay_alu instid0(VALU_DEP_1) | instskip(NEXT) | instid1(VALU_DEP_2)
	v_ldexp_f32 v13, v13, 1
	v_sub_f32_e32 v97, v98, v100
	s_delay_alu instid0(VALU_DEP_4) | instskip(NEXT) | instid1(VALU_DEP_1)
	v_fma_f32 v100, 0x3f317218, v12, -v101
	v_dual_sub_f32 v97, v99, v97 :: v_dual_fmac_f32 v100, 0xb102e308, v12
	s_delay_alu instid0(VALU_DEP_1) | instskip(NEXT) | instid1(VALU_DEP_2)
	v_add_f32_e32 v12, v13, v97
	v_add_f32_e32 v13, v101, v100
	s_delay_alu instid0(VALU_DEP_2) | instskip(NEXT) | instid1(VALU_DEP_2)
	v_add_f32_e32 v97, v98, v12
	v_sub_f32_e32 v101, v13, v101
	s_delay_alu instid0(VALU_DEP_2) | instskip(SKIP_1) | instid1(VALU_DEP_3)
	v_add_f32_e32 v99, v13, v97
	v_sub_f32_e32 v98, v97, v98
	v_sub_f32_e32 v100, v100, v101
	s_delay_alu instid0(VALU_DEP_3) | instskip(NEXT) | instid1(VALU_DEP_3)
	v_sub_f32_e32 v102, v99, v13
	v_sub_f32_e32 v12, v12, v98
	s_delay_alu instid0(VALU_DEP_2) | instskip(NEXT) | instid1(VALU_DEP_2)
	v_sub_f32_e32 v103, v99, v102
	v_dual_sub_f32 v97, v97, v102 :: v_dual_add_f32 v98, v100, v12
	s_delay_alu instid0(VALU_DEP_2) | instskip(NEXT) | instid1(VALU_DEP_1)
	v_sub_f32_e32 v13, v13, v103
	v_add_f32_e32 v13, v97, v13
	s_delay_alu instid0(VALU_DEP_3) | instskip(NEXT) | instid1(VALU_DEP_2)
	v_sub_f32_e32 v97, v98, v100
	v_add_f32_e32 v13, v98, v13
	s_delay_alu instid0(VALU_DEP_2) | instskip(SKIP_1) | instid1(VALU_DEP_1)
	v_sub_f32_e32 v12, v12, v97
	v_sub_f32_e32 v98, v98, v97
	v_dual_add_f32 v101, v99, v13 :: v_dual_sub_f32 v98, v100, v98
	s_delay_alu instid0(VALU_DEP_1) | instskip(NEXT) | instid1(VALU_DEP_1)
	v_dual_sub_f32 v97, v101, v99 :: v_dual_add_f32 v12, v12, v98
	v_sub_f32_e32 v13, v13, v97
	s_delay_alu instid0(VALU_DEP_1) | instskip(NEXT) | instid1(VALU_DEP_1)
	v_add_f32_e32 v12, v12, v13
	v_add_f32_e32 v12, v101, v12
	s_delay_alu instid0(VALU_DEP_1)
	v_cndmask_b32_e32 v97, v12, v17, vcc_lo
.LBB117_82:                             ;   in Loop: Header=BB117_12 Depth=1
	s_or_b32 exec_lo, exec_lo, s29
	v_cvt_f32_f16_e32 v12, v14
	s_delay_alu instid0(VALU_DEP_1) | instskip(NEXT) | instid1(VALU_DEP_1)
	v_add_f32_e32 v98, s68, v12
	v_cmp_ge_f32_e32 vcc_lo, 0x41a00000, v98
	s_and_b32 s28, s79, vcc_lo
	s_delay_alu instid0(SALU_CYCLE_1)
	s_and_saveexec_b32 s29, s28
	s_cbranch_execz .LBB117_84
; %bb.83:                               ;   in Loop: Header=BB117_12 Depth=1
	v_mul_f32_e32 v12, 0x3fb8aa3b, v98
	v_cmp_ngt_f32_e32 vcc_lo, 0xc2ce8ed0, v98
	s_delay_alu instid0(VALU_DEP_2) | instskip(SKIP_1) | instid1(VALU_DEP_1)
	v_rndne_f32_e32 v13, v12
	v_fma_f32 v17, 0x3fb8aa3b, v98, -v12
	v_dual_sub_f32 v12, v12, v13 :: v_dual_fmac_f32 v17, 0x32a5705f, v98
	v_cvt_i32_f32_e32 v13, v13
	s_delay_alu instid0(VALU_DEP_2) | instskip(NEXT) | instid1(VALU_DEP_1)
	v_add_f32_e32 v12, v12, v17
	v_exp_f32_e32 v12, v12
	s_waitcnt_depctr 0xfff
	v_ldexp_f32 v12, v12, v13
	s_delay_alu instid0(VALU_DEP_1) | instskip(SKIP_1) | instid1(VALU_DEP_2)
	v_cndmask_b32_e32 v12, 0, v12, vcc_lo
	v_cmp_nlt_f32_e32 vcc_lo, 0x42b17218, v98
	v_cndmask_b32_e32 v17, 0x7f800000, v12, vcc_lo
	s_delay_alu instid0(VALU_DEP_1) | instskip(NEXT) | instid1(VALU_DEP_1)
	v_add_f32_e32 v98, 1.0, v17
	v_cvt_f64_f32_e32 v[12:13], v98
	s_delay_alu instid0(VALU_DEP_1) | instskip(SKIP_1) | instid1(VALU_DEP_1)
	v_frexp_exp_i32_f64_e32 v12, v[12:13]
	v_frexp_mant_f32_e32 v13, v98
	v_cmp_gt_f32_e32 vcc_lo, 0x3f2aaaab, v13
	v_add_f32_e32 v13, -1.0, v98
	s_delay_alu instid0(VALU_DEP_1) | instskip(SKIP_2) | instid1(VALU_DEP_3)
	v_sub_f32_e32 v100, v13, v98
	v_sub_f32_e32 v13, v17, v13
	v_cmp_gt_f32_e64 s28, 0x33800000, v17
	v_add_f32_e32 v100, 1.0, v100
	s_delay_alu instid0(VALU_DEP_1) | instskip(SKIP_2) | instid1(VALU_DEP_2)
	v_add_f32_e32 v13, v13, v100
	v_subrev_co_ci_u32_e32 v12, vcc_lo, 0, v12, vcc_lo
	v_cmp_eq_f32_e32 vcc_lo, 0x7f800000, v17
	v_sub_nc_u32_e32 v99, 0, v12
	v_cvt_f32_i32_e32 v12, v12
	s_or_b32 vcc_lo, s28, vcc_lo
	s_delay_alu instid0(VALU_DEP_2) | instskip(SKIP_1) | instid1(VALU_DEP_2)
	v_ldexp_f32 v98, v98, v99
	v_ldexp_f32 v13, v13, v99
	v_add_f32_e32 v99, -1.0, v98
	s_delay_alu instid0(VALU_DEP_1) | instskip(NEXT) | instid1(VALU_DEP_1)
	v_dual_add_f32 v101, 1.0, v98 :: v_dual_add_f32 v102, 1.0, v99
	v_add_f32_e32 v100, -1.0, v101
	s_delay_alu instid0(VALU_DEP_1) | instskip(NEXT) | instid1(VALU_DEP_3)
	v_sub_f32_e32 v100, v98, v100
	v_sub_f32_e32 v98, v98, v102
	s_delay_alu instid0(VALU_DEP_2) | instskip(NEXT) | instid1(VALU_DEP_2)
	v_add_f32_e32 v100, v13, v100
	v_add_f32_e32 v13, v13, v98
	s_delay_alu instid0(VALU_DEP_1) | instskip(NEXT) | instid1(VALU_DEP_1)
	v_dual_add_f32 v103, v99, v13 :: v_dual_add_f32 v102, v101, v100
	v_sub_f32_e32 v99, v99, v103
	s_delay_alu instid0(VALU_DEP_2) | instskip(SKIP_1) | instid1(VALU_DEP_1)
	v_rcp_f32_e32 v98, v102
	v_sub_f32_e32 v101, v101, v102
	v_dual_add_f32 v13, v13, v99 :: v_dual_add_f32 v100, v100, v101
	s_waitcnt_depctr 0xfff
	v_mul_f32_e32 v104, v103, v98
	s_delay_alu instid0(VALU_DEP_1) | instskip(NEXT) | instid1(VALU_DEP_1)
	v_mul_f32_e32 v105, v102, v104
	v_fma_f32 v101, v104, v102, -v105
	s_delay_alu instid0(VALU_DEP_1) | instskip(NEXT) | instid1(VALU_DEP_1)
	v_fmac_f32_e32 v101, v104, v100
	v_add_f32_e32 v106, v105, v101
	s_delay_alu instid0(VALU_DEP_1) | instskip(SKIP_1) | instid1(VALU_DEP_2)
	v_sub_f32_e32 v107, v103, v106
	v_sub_f32_e32 v99, v106, v105
	;; [unrolled: 1-line block ×3, first 2 shown]
	s_delay_alu instid0(VALU_DEP_2) | instskip(NEXT) | instid1(VALU_DEP_2)
	v_sub_f32_e32 v99, v99, v101
	v_sub_f32_e32 v103, v103, v106
	s_delay_alu instid0(VALU_DEP_1) | instskip(NEXT) | instid1(VALU_DEP_1)
	v_add_f32_e32 v13, v13, v103
	v_add_f32_e32 v13, v99, v13
	s_delay_alu instid0(VALU_DEP_1) | instskip(NEXT) | instid1(VALU_DEP_1)
	v_add_f32_e32 v99, v107, v13
	v_mul_f32_e32 v101, v98, v99
	s_delay_alu instid0(VALU_DEP_1) | instskip(NEXT) | instid1(VALU_DEP_1)
	v_dual_sub_f32 v106, v107, v99 :: v_dual_mul_f32 v103, v102, v101
	v_add_f32_e32 v13, v13, v106
	s_delay_alu instid0(VALU_DEP_2) | instskip(NEXT) | instid1(VALU_DEP_1)
	v_fma_f32 v102, v101, v102, -v103
	v_fmac_f32_e32 v102, v101, v100
	s_delay_alu instid0(VALU_DEP_1) | instskip(NEXT) | instid1(VALU_DEP_1)
	v_add_f32_e32 v100, v103, v102
	v_sub_f32_e32 v105, v99, v100
	s_delay_alu instid0(VALU_DEP_1) | instskip(NEXT) | instid1(VALU_DEP_1)
	v_sub_f32_e32 v99, v99, v105
	v_sub_f32_e32 v99, v99, v100
	s_delay_alu instid0(VALU_DEP_1) | instskip(SKIP_2) | instid1(VALU_DEP_1)
	v_add_f32_e32 v13, v13, v99
	v_add_f32_e32 v99, v104, v101
	v_sub_f32_e32 v103, v100, v103
	v_sub_f32_e32 v100, v103, v102
	s_delay_alu instid0(VALU_DEP_1) | instskip(NEXT) | instid1(VALU_DEP_1)
	v_dual_add_f32 v13, v100, v13 :: v_dual_sub_f32 v100, v99, v104
	v_add_f32_e32 v13, v105, v13
	s_delay_alu instid0(VALU_DEP_1) | instskip(NEXT) | instid1(VALU_DEP_1)
	v_dual_sub_f32 v100, v101, v100 :: v_dual_mul_f32 v13, v98, v13
	v_add_f32_e32 v13, v100, v13
	s_delay_alu instid0(VALU_DEP_1) | instskip(NEXT) | instid1(VALU_DEP_1)
	v_add_f32_e32 v98, v99, v13
	v_mul_f32_e32 v100, v98, v98
	s_delay_alu instid0(VALU_DEP_1) | instskip(SKIP_1) | instid1(VALU_DEP_2)
	v_fmaak_f32 v101, s83, v100, 0x3ecc95a3
	v_mul_f32_e32 v102, v98, v100
	v_fmaak_f32 v100, v100, v101, 0x3f2aaada
	v_ldexp_f32 v101, v98, 1
	v_sub_f32_e32 v98, v98, v99
	s_delay_alu instid0(VALU_DEP_3) | instskip(NEXT) | instid1(VALU_DEP_2)
	v_mul_f32_e32 v100, v102, v100
	v_dual_mul_f32 v102, 0x3f317218, v12 :: v_dual_sub_f32 v13, v13, v98
	s_delay_alu instid0(VALU_DEP_2) | instskip(NEXT) | instid1(VALU_DEP_2)
	v_add_f32_e32 v99, v101, v100
	v_ldexp_f32 v13, v13, 1
	s_delay_alu instid0(VALU_DEP_2) | instskip(NEXT) | instid1(VALU_DEP_4)
	v_sub_f32_e32 v98, v99, v101
	v_fma_f32 v101, 0x3f317218, v12, -v102
	s_delay_alu instid0(VALU_DEP_1) | instskip(NEXT) | instid1(VALU_DEP_1)
	v_dual_sub_f32 v98, v100, v98 :: v_dual_fmac_f32 v101, 0xb102e308, v12
	v_add_f32_e32 v12, v13, v98
	s_delay_alu instid0(VALU_DEP_1) | instskip(NEXT) | instid1(VALU_DEP_1)
	v_add_f32_e32 v98, v99, v12
	v_sub_f32_e32 v99, v98, v99
	s_delay_alu instid0(VALU_DEP_1) | instskip(NEXT) | instid1(VALU_DEP_1)
	v_dual_sub_f32 v12, v12, v99 :: v_dual_add_f32 v13, v102, v101
	v_add_f32_e32 v100, v13, v98
	s_delay_alu instid0(VALU_DEP_1) | instskip(NEXT) | instid1(VALU_DEP_1)
	v_dual_sub_f32 v102, v13, v102 :: v_dual_sub_f32 v103, v100, v13
	v_dual_sub_f32 v101, v101, v102 :: v_dual_sub_f32 v104, v100, v103
	s_delay_alu instid0(VALU_DEP_1) | instskip(NEXT) | instid1(VALU_DEP_2)
	v_dual_sub_f32 v98, v98, v103 :: v_dual_add_f32 v99, v101, v12
	v_sub_f32_e32 v13, v13, v104
	s_delay_alu instid0(VALU_DEP_1) | instskip(NEXT) | instid1(VALU_DEP_3)
	v_add_f32_e32 v13, v98, v13
	v_sub_f32_e32 v98, v99, v101
	s_delay_alu instid0(VALU_DEP_2) | instskip(NEXT) | instid1(VALU_DEP_2)
	v_add_f32_e32 v13, v99, v13
	v_sub_f32_e32 v99, v99, v98
	v_sub_f32_e32 v12, v12, v98
	s_delay_alu instid0(VALU_DEP_2) | instskip(NEXT) | instid1(VALU_DEP_1)
	v_dual_add_f32 v102, v100, v13 :: v_dual_sub_f32 v99, v101, v99
	v_sub_f32_e32 v98, v102, v100
	s_delay_alu instid0(VALU_DEP_1) | instskip(NEXT) | instid1(VALU_DEP_1)
	v_dual_add_f32 v12, v12, v99 :: v_dual_sub_f32 v13, v13, v98
	v_add_f32_e32 v12, v12, v13
	s_delay_alu instid0(VALU_DEP_1) | instskip(NEXT) | instid1(VALU_DEP_1)
	v_add_f32_e32 v12, v102, v12
	v_cndmask_b32_e32 v98, v12, v17, vcc_lo
.LBB117_84:                             ;   in Loop: Header=BB117_12 Depth=1
	s_or_b32 exec_lo, exec_lo, s29
	v_lshrrev_b32_e32 v12, 16, v14
	s_delay_alu instid0(VALU_DEP_1) | instskip(NEXT) | instid1(VALU_DEP_1)
	v_cvt_f32_f16_e32 v12, v12
	v_add_f32_e32 v99, s68, v12
	s_delay_alu instid0(VALU_DEP_1) | instskip(SKIP_1) | instid1(SALU_CYCLE_1)
	v_cmp_ge_f32_e32 vcc_lo, 0x41a00000, v99
	s_and_b32 s28, s79, vcc_lo
	s_and_saveexec_b32 s29, s28
	s_cbranch_execz .LBB117_86
; %bb.85:                               ;   in Loop: Header=BB117_12 Depth=1
	v_mul_f32_e32 v12, 0x3fb8aa3b, v99
	v_cmp_ngt_f32_e32 vcc_lo, 0xc2ce8ed0, v99
	s_delay_alu instid0(VALU_DEP_2) | instskip(SKIP_1) | instid1(VALU_DEP_2)
	v_rndne_f32_e32 v13, v12
	v_fma_f32 v14, 0x3fb8aa3b, v99, -v12
	v_sub_f32_e32 v12, v12, v13
	s_delay_alu instid0(VALU_DEP_2) | instskip(SKIP_1) | instid1(VALU_DEP_2)
	v_fmac_f32_e32 v14, 0x32a5705f, v99
	v_cvt_i32_f32_e32 v13, v13
	v_add_f32_e32 v12, v12, v14
	s_delay_alu instid0(VALU_DEP_1) | instskip(SKIP_2) | instid1(VALU_DEP_1)
	v_exp_f32_e32 v12, v12
	s_waitcnt_depctr 0xfff
	v_ldexp_f32 v12, v12, v13
	v_cndmask_b32_e32 v12, 0, v12, vcc_lo
	v_cmp_nlt_f32_e32 vcc_lo, 0x42b17218, v99
	s_delay_alu instid0(VALU_DEP_2) | instskip(NEXT) | instid1(VALU_DEP_1)
	v_cndmask_b32_e32 v14, 0x7f800000, v12, vcc_lo
	v_add_f32_e32 v17, 1.0, v14
	s_delay_alu instid0(VALU_DEP_1) | instskip(NEXT) | instid1(VALU_DEP_1)
	v_cvt_f64_f32_e32 v[12:13], v17
	v_frexp_exp_i32_f64_e32 v12, v[12:13]
	v_frexp_mant_f32_e32 v13, v17
	s_delay_alu instid0(VALU_DEP_1) | instskip(SKIP_1) | instid1(VALU_DEP_1)
	v_cmp_gt_f32_e32 vcc_lo, 0x3f2aaaab, v13
	v_add_f32_e32 v13, -1.0, v17
	v_sub_f32_e32 v100, v13, v17
	v_sub_f32_e32 v13, v14, v13
	v_subrev_co_ci_u32_e32 v12, vcc_lo, 0, v12, vcc_lo
	s_delay_alu instid0(VALU_DEP_1) | instskip(SKIP_1) | instid1(VALU_DEP_2)
	v_sub_nc_u32_e32 v99, 0, v12
	v_cvt_f32_i32_e32 v12, v12
	v_ldexp_f32 v17, v17, v99
	s_delay_alu instid0(VALU_DEP_1) | instskip(NEXT) | instid1(VALU_DEP_1)
	v_dual_add_f32 v100, 1.0, v100 :: v_dual_add_f32 v101, 1.0, v17
	v_dual_add_f32 v13, v13, v100 :: v_dual_add_f32 v100, -1.0, v101
	s_delay_alu instid0(VALU_DEP_1) | instskip(SKIP_4) | instid1(VALU_DEP_4)
	v_ldexp_f32 v13, v13, v99
	v_add_f32_e32 v99, -1.0, v17
	v_cmp_eq_f32_e32 vcc_lo, 0x7f800000, v14
	v_cmp_gt_f32_e64 s28, 0x33800000, v14
	v_sub_f32_e32 v100, v17, v100
	v_add_f32_e32 v102, 1.0, v99
	s_delay_alu instid0(VALU_DEP_3) | instskip(NEXT) | instid1(VALU_DEP_2)
	s_or_b32 vcc_lo, s28, vcc_lo
	v_add_f32_e32 v100, v13, v100
	s_delay_alu instid0(VALU_DEP_2) | instskip(NEXT) | instid1(VALU_DEP_1)
	v_sub_f32_e32 v17, v17, v102
	v_add_f32_e32 v13, v13, v17
	s_delay_alu instid0(VALU_DEP_1) | instskip(NEXT) | instid1(VALU_DEP_1)
	v_dual_add_f32 v103, v99, v13 :: v_dual_add_f32 v102, v101, v100
	v_sub_f32_e32 v99, v99, v103
	s_delay_alu instid0(VALU_DEP_2) | instskip(SKIP_1) | instid1(VALU_DEP_1)
	v_rcp_f32_e32 v17, v102
	v_sub_f32_e32 v101, v101, v102
	v_dual_add_f32 v13, v13, v99 :: v_dual_add_f32 v100, v100, v101
	s_waitcnt_depctr 0xfff
	v_mul_f32_e32 v104, v103, v17
	s_delay_alu instid0(VALU_DEP_1) | instskip(NEXT) | instid1(VALU_DEP_1)
	v_mul_f32_e32 v105, v102, v104
	v_fma_f32 v101, v104, v102, -v105
	s_delay_alu instid0(VALU_DEP_1) | instskip(NEXT) | instid1(VALU_DEP_1)
	v_fmac_f32_e32 v101, v104, v100
	v_add_f32_e32 v106, v105, v101
	s_delay_alu instid0(VALU_DEP_1) | instskip(NEXT) | instid1(VALU_DEP_1)
	v_sub_f32_e32 v107, v103, v106
	v_sub_f32_e32 v103, v103, v107
	;; [unrolled: 1-line block ×3, first 2 shown]
	s_delay_alu instid0(VALU_DEP_2) | instskip(NEXT) | instid1(VALU_DEP_2)
	v_sub_f32_e32 v103, v103, v106
	v_sub_f32_e32 v99, v99, v101
	s_delay_alu instid0(VALU_DEP_2) | instskip(NEXT) | instid1(VALU_DEP_1)
	v_add_f32_e32 v13, v13, v103
	v_add_f32_e32 v13, v99, v13
	s_delay_alu instid0(VALU_DEP_1) | instskip(NEXT) | instid1(VALU_DEP_1)
	v_add_f32_e32 v99, v107, v13
	v_mul_f32_e32 v101, v17, v99
	s_delay_alu instid0(VALU_DEP_1) | instskip(NEXT) | instid1(VALU_DEP_1)
	v_dual_sub_f32 v106, v107, v99 :: v_dual_mul_f32 v103, v102, v101
	v_add_f32_e32 v13, v13, v106
	s_delay_alu instid0(VALU_DEP_2) | instskip(NEXT) | instid1(VALU_DEP_1)
	v_fma_f32 v102, v101, v102, -v103
	v_fmac_f32_e32 v102, v101, v100
	s_delay_alu instid0(VALU_DEP_1) | instskip(NEXT) | instid1(VALU_DEP_1)
	v_add_f32_e32 v100, v103, v102
	v_sub_f32_e32 v105, v99, v100
	v_sub_f32_e32 v103, v100, v103
	s_delay_alu instid0(VALU_DEP_2) | instskip(NEXT) | instid1(VALU_DEP_1)
	v_sub_f32_e32 v99, v99, v105
	v_sub_f32_e32 v99, v99, v100
	s_delay_alu instid0(VALU_DEP_1) | instskip(SKIP_1) | instid1(VALU_DEP_1)
	v_dual_sub_f32 v100, v103, v102 :: v_dual_add_f32 v13, v13, v99
	v_add_f32_e32 v99, v104, v101
	v_dual_add_f32 v13, v100, v13 :: v_dual_sub_f32 v100, v99, v104
	s_delay_alu instid0(VALU_DEP_1) | instskip(NEXT) | instid1(VALU_DEP_2)
	v_add_f32_e32 v13, v105, v13
	v_sub_f32_e32 v100, v101, v100
	s_delay_alu instid0(VALU_DEP_2) | instskip(NEXT) | instid1(VALU_DEP_1)
	v_mul_f32_e32 v13, v17, v13
	v_add_f32_e32 v13, v100, v13
	s_delay_alu instid0(VALU_DEP_1) | instskip(NEXT) | instid1(VALU_DEP_1)
	v_add_f32_e32 v17, v99, v13
	v_mul_f32_e32 v100, v17, v17
	s_delay_alu instid0(VALU_DEP_1) | instskip(SKIP_1) | instid1(VALU_DEP_2)
	v_fmaak_f32 v101, s83, v100, 0x3ecc95a3
	v_mul_f32_e32 v102, v17, v100
	v_fmaak_f32 v100, v100, v101, 0x3f2aaada
	v_ldexp_f32 v101, v17, 1
	s_delay_alu instid0(VALU_DEP_2) | instskip(NEXT) | instid1(VALU_DEP_1)
	v_dual_sub_f32 v17, v17, v99 :: v_dual_mul_f32 v100, v102, v100
	v_dual_mul_f32 v102, 0x3f317218, v12 :: v_dual_sub_f32 v13, v13, v17
	s_delay_alu instid0(VALU_DEP_2) | instskip(NEXT) | instid1(VALU_DEP_2)
	v_add_f32_e32 v99, v101, v100
	v_ldexp_f32 v13, v13, 1
	s_delay_alu instid0(VALU_DEP_2) | instskip(NEXT) | instid1(VALU_DEP_4)
	v_sub_f32_e32 v17, v99, v101
	v_fma_f32 v101, 0x3f317218, v12, -v102
	s_delay_alu instid0(VALU_DEP_2) | instskip(NEXT) | instid1(VALU_DEP_1)
	v_sub_f32_e32 v17, v100, v17
	v_dual_fmac_f32 v101, 0xb102e308, v12 :: v_dual_add_f32 v12, v13, v17
	s_delay_alu instid0(VALU_DEP_1) | instskip(NEXT) | instid1(VALU_DEP_1)
	v_add_f32_e32 v13, v102, v101
	v_dual_add_f32 v17, v99, v12 :: v_dual_sub_f32 v102, v13, v102
	s_delay_alu instid0(VALU_DEP_1) | instskip(SKIP_1) | instid1(VALU_DEP_3)
	v_add_f32_e32 v100, v13, v17
	v_sub_f32_e32 v99, v17, v99
	v_sub_f32_e32 v101, v101, v102
	s_delay_alu instid0(VALU_DEP_3) | instskip(NEXT) | instid1(VALU_DEP_3)
	v_sub_f32_e32 v103, v100, v13
	v_sub_f32_e32 v12, v12, v99
	s_delay_alu instid0(VALU_DEP_2) | instskip(SKIP_1) | instid1(VALU_DEP_3)
	v_sub_f32_e32 v104, v100, v103
	v_sub_f32_e32 v17, v17, v103
	v_add_f32_e32 v99, v101, v12
	s_delay_alu instid0(VALU_DEP_3) | instskip(NEXT) | instid1(VALU_DEP_1)
	v_sub_f32_e32 v13, v13, v104
	v_add_f32_e32 v13, v17, v13
	s_delay_alu instid0(VALU_DEP_3) | instskip(NEXT) | instid1(VALU_DEP_2)
	v_sub_f32_e32 v17, v99, v101
	v_add_f32_e32 v13, v99, v13
	s_delay_alu instid0(VALU_DEP_2) | instskip(SKIP_1) | instid1(VALU_DEP_2)
	v_sub_f32_e32 v99, v99, v17
	v_sub_f32_e32 v12, v12, v17
	v_dual_add_f32 v102, v100, v13 :: v_dual_sub_f32 v99, v101, v99
	s_delay_alu instid0(VALU_DEP_1) | instskip(NEXT) | instid1(VALU_DEP_1)
	v_dual_sub_f32 v17, v102, v100 :: v_dual_add_f32 v12, v12, v99
	v_sub_f32_e32 v13, v13, v17
	s_delay_alu instid0(VALU_DEP_1) | instskip(NEXT) | instid1(VALU_DEP_1)
	v_add_f32_e32 v12, v12, v13
	v_add_f32_e32 v12, v102, v12
	s_delay_alu instid0(VALU_DEP_1)
	v_cndmask_b32_e32 v99, v12, v14, vcc_lo
.LBB117_86:                             ;   in Loop: Header=BB117_12 Depth=1
	s_or_b32 exec_lo, exec_lo, s29
	v_cvt_f32_f16_e32 v12, v15
	s_delay_alu instid0(VALU_DEP_1) | instskip(NEXT) | instid1(VALU_DEP_1)
	v_add_f32_e32 v100, s68, v12
	v_cmp_ge_f32_e32 vcc_lo, 0x41a00000, v100
	s_and_b32 s28, s79, vcc_lo
	s_delay_alu instid0(SALU_CYCLE_1)
	s_and_saveexec_b32 s29, s28
	s_cbranch_execz .LBB117_88
; %bb.87:                               ;   in Loop: Header=BB117_12 Depth=1
	v_mul_f32_e32 v12, 0x3fb8aa3b, v100
	v_cmp_ngt_f32_e32 vcc_lo, 0xc2ce8ed0, v100
	s_delay_alu instid0(VALU_DEP_2) | instskip(SKIP_1) | instid1(VALU_DEP_2)
	v_rndne_f32_e32 v13, v12
	v_fma_f32 v14, 0x3fb8aa3b, v100, -v12
	v_sub_f32_e32 v12, v12, v13
	s_delay_alu instid0(VALU_DEP_2) | instskip(SKIP_1) | instid1(VALU_DEP_2)
	v_fmac_f32_e32 v14, 0x32a5705f, v100
	v_cvt_i32_f32_e32 v13, v13
	v_add_f32_e32 v12, v12, v14
	s_delay_alu instid0(VALU_DEP_1) | instskip(SKIP_2) | instid1(VALU_DEP_1)
	v_exp_f32_e32 v12, v12
	s_waitcnt_depctr 0xfff
	v_ldexp_f32 v12, v12, v13
	v_cndmask_b32_e32 v12, 0, v12, vcc_lo
	v_cmp_nlt_f32_e32 vcc_lo, 0x42b17218, v100
	s_delay_alu instid0(VALU_DEP_2) | instskip(NEXT) | instid1(VALU_DEP_1)
	v_cndmask_b32_e32 v14, 0x7f800000, v12, vcc_lo
	v_add_f32_e32 v17, 1.0, v14
	s_delay_alu instid0(VALU_DEP_1) | instskip(NEXT) | instid1(VALU_DEP_1)
	v_cvt_f64_f32_e32 v[12:13], v17
	v_frexp_exp_i32_f64_e32 v12, v[12:13]
	v_frexp_mant_f32_e32 v13, v17
	s_delay_alu instid0(VALU_DEP_1) | instskip(SKIP_1) | instid1(VALU_DEP_1)
	v_cmp_gt_f32_e32 vcc_lo, 0x3f2aaaab, v13
	v_add_f32_e32 v13, -1.0, v17
	v_sub_f32_e32 v101, v13, v17
	s_delay_alu instid0(VALU_DEP_1) | instskip(SKIP_2) | instid1(VALU_DEP_2)
	v_add_f32_e32 v101, 1.0, v101
	v_sub_f32_e32 v13, v14, v13
	v_cmp_gt_f32_e64 s28, 0x33800000, v14
	v_add_f32_e32 v13, v13, v101
	v_subrev_co_ci_u32_e32 v12, vcc_lo, 0, v12, vcc_lo
	v_cmp_eq_f32_e32 vcc_lo, 0x7f800000, v14
	s_delay_alu instid0(VALU_DEP_2) | instskip(SKIP_2) | instid1(VALU_DEP_2)
	v_sub_nc_u32_e32 v100, 0, v12
	v_cvt_f32_i32_e32 v12, v12
	s_or_b32 vcc_lo, s28, vcc_lo
	v_ldexp_f32 v17, v17, v100
	v_ldexp_f32 v13, v13, v100
	s_delay_alu instid0(VALU_DEP_2) | instskip(NEXT) | instid1(VALU_DEP_1)
	v_add_f32_e32 v100, -1.0, v17
	v_dual_add_f32 v102, 1.0, v17 :: v_dual_add_f32 v103, 1.0, v100
	s_delay_alu instid0(VALU_DEP_1) | instskip(NEXT) | instid1(VALU_DEP_1)
	v_add_f32_e32 v101, -1.0, v102
	v_sub_f32_e32 v101, v17, v101
	s_delay_alu instid0(VALU_DEP_3) | instskip(NEXT) | instid1(VALU_DEP_2)
	v_sub_f32_e32 v17, v17, v103
	v_add_f32_e32 v101, v13, v101
	s_delay_alu instid0(VALU_DEP_2) | instskip(NEXT) | instid1(VALU_DEP_1)
	v_add_f32_e32 v13, v13, v17
	v_add_f32_e32 v104, v100, v13
	s_delay_alu instid0(VALU_DEP_1) | instskip(NEXT) | instid1(VALU_DEP_1)
	v_dual_sub_f32 v100, v100, v104 :: v_dual_add_f32 v103, v102, v101
	v_add_f32_e32 v13, v13, v100
	s_delay_alu instid0(VALU_DEP_2) | instskip(SKIP_1) | instid1(VALU_DEP_1)
	v_rcp_f32_e32 v17, v103
	v_sub_f32_e32 v102, v102, v103
	v_add_f32_e32 v101, v101, v102
	s_waitcnt_depctr 0xfff
	v_mul_f32_e32 v105, v104, v17
	s_delay_alu instid0(VALU_DEP_1) | instskip(NEXT) | instid1(VALU_DEP_1)
	v_mul_f32_e32 v106, v103, v105
	v_fma_f32 v102, v105, v103, -v106
	s_delay_alu instid0(VALU_DEP_1) | instskip(NEXT) | instid1(VALU_DEP_1)
	v_fmac_f32_e32 v102, v105, v101
	v_add_f32_e32 v107, v106, v102
	s_delay_alu instid0(VALU_DEP_1) | instskip(SKIP_1) | instid1(VALU_DEP_2)
	v_sub_f32_e32 v108, v104, v107
	v_sub_f32_e32 v100, v107, v106
	;; [unrolled: 1-line block ×3, first 2 shown]
	s_delay_alu instid0(VALU_DEP_1) | instskip(NEXT) | instid1(VALU_DEP_1)
	v_sub_f32_e32 v104, v104, v107
	v_dual_sub_f32 v100, v100, v102 :: v_dual_add_f32 v13, v13, v104
	s_delay_alu instid0(VALU_DEP_1) | instskip(NEXT) | instid1(VALU_DEP_1)
	v_add_f32_e32 v13, v100, v13
	v_add_f32_e32 v100, v108, v13
	s_delay_alu instid0(VALU_DEP_1) | instskip(NEXT) | instid1(VALU_DEP_1)
	v_mul_f32_e32 v102, v17, v100
	v_dual_sub_f32 v107, v108, v100 :: v_dual_mul_f32 v104, v103, v102
	s_delay_alu instid0(VALU_DEP_1) | instskip(NEXT) | instid1(VALU_DEP_2)
	v_add_f32_e32 v13, v13, v107
	v_fma_f32 v103, v102, v103, -v104
	s_delay_alu instid0(VALU_DEP_1) | instskip(NEXT) | instid1(VALU_DEP_1)
	v_fmac_f32_e32 v103, v102, v101
	v_add_f32_e32 v101, v104, v103
	s_delay_alu instid0(VALU_DEP_1) | instskip(NEXT) | instid1(VALU_DEP_1)
	v_sub_f32_e32 v106, v100, v101
	v_sub_f32_e32 v100, v100, v106
	s_delay_alu instid0(VALU_DEP_1) | instskip(NEXT) | instid1(VALU_DEP_1)
	v_sub_f32_e32 v100, v100, v101
	v_add_f32_e32 v13, v13, v100
	v_add_f32_e32 v100, v105, v102
	v_sub_f32_e32 v104, v101, v104
	s_delay_alu instid0(VALU_DEP_1) | instskip(NEXT) | instid1(VALU_DEP_1)
	v_sub_f32_e32 v101, v104, v103
	v_add_f32_e32 v13, v101, v13
	s_delay_alu instid0(VALU_DEP_4) | instskip(NEXT) | instid1(VALU_DEP_2)
	v_sub_f32_e32 v101, v100, v105
	v_add_f32_e32 v13, v106, v13
	s_delay_alu instid0(VALU_DEP_2) | instskip(NEXT) | instid1(VALU_DEP_2)
	v_sub_f32_e32 v101, v102, v101
	v_mul_f32_e32 v13, v17, v13
	s_delay_alu instid0(VALU_DEP_1) | instskip(NEXT) | instid1(VALU_DEP_1)
	v_add_f32_e32 v13, v101, v13
	v_add_f32_e32 v17, v100, v13
	s_delay_alu instid0(VALU_DEP_1) | instskip(NEXT) | instid1(VALU_DEP_1)
	v_mul_f32_e32 v101, v17, v17
	v_fmaak_f32 v102, s83, v101, 0x3ecc95a3
	v_mul_f32_e32 v103, v17, v101
	s_delay_alu instid0(VALU_DEP_2) | instskip(SKIP_1) | instid1(VALU_DEP_2)
	v_fmaak_f32 v101, v101, v102, 0x3f2aaada
	v_ldexp_f32 v102, v17, 1
	v_mul_f32_e32 v101, v103, v101
	s_delay_alu instid0(VALU_DEP_1) | instskip(NEXT) | instid1(VALU_DEP_1)
	v_dual_sub_f32 v17, v17, v100 :: v_dual_add_f32 v100, v102, v101
	v_sub_f32_e32 v13, v13, v17
	s_delay_alu instid0(VALU_DEP_2) | instskip(NEXT) | instid1(VALU_DEP_2)
	v_sub_f32_e32 v17, v100, v102
	v_ldexp_f32 v13, v13, 1
	s_delay_alu instid0(VALU_DEP_2) | instskip(SKIP_1) | instid1(VALU_DEP_1)
	v_sub_f32_e32 v17, v101, v17
	v_mul_f32_e32 v103, 0x3f317218, v12
	v_fma_f32 v102, 0x3f317218, v12, -v103
	s_delay_alu instid0(VALU_DEP_1) | instskip(NEXT) | instid1(VALU_DEP_1)
	v_fmac_f32_e32 v102, 0xb102e308, v12
	v_dual_add_f32 v12, v13, v17 :: v_dual_add_f32 v13, v103, v102
	s_delay_alu instid0(VALU_DEP_1) | instskip(NEXT) | instid1(VALU_DEP_1)
	v_add_f32_e32 v17, v100, v12
	v_add_f32_e32 v101, v13, v17
	v_sub_f32_e32 v100, v17, v100
	s_delay_alu instid0(VALU_DEP_2) | instskip(NEXT) | instid1(VALU_DEP_2)
	v_sub_f32_e32 v104, v101, v13
	v_dual_sub_f32 v12, v12, v100 :: v_dual_sub_f32 v103, v13, v103
	s_delay_alu instid0(VALU_DEP_2) | instskip(NEXT) | instid1(VALU_DEP_2)
	v_sub_f32_e32 v105, v101, v104
	v_dual_sub_f32 v17, v17, v104 :: v_dual_sub_f32 v102, v102, v103
	s_delay_alu instid0(VALU_DEP_1) | instskip(NEXT) | instid1(VALU_DEP_1)
	v_dual_sub_f32 v13, v13, v105 :: v_dual_add_f32 v100, v102, v12
	v_add_f32_e32 v13, v17, v13
	s_delay_alu instid0(VALU_DEP_2) | instskip(NEXT) | instid1(VALU_DEP_2)
	v_sub_f32_e32 v17, v100, v102
	v_add_f32_e32 v13, v100, v13
	s_delay_alu instid0(VALU_DEP_2) | instskip(SKIP_1) | instid1(VALU_DEP_2)
	v_sub_f32_e32 v100, v100, v17
	v_sub_f32_e32 v12, v12, v17
	v_dual_add_f32 v103, v101, v13 :: v_dual_sub_f32 v100, v102, v100
	s_delay_alu instid0(VALU_DEP_1) | instskip(NEXT) | instid1(VALU_DEP_1)
	v_dual_sub_f32 v17, v103, v101 :: v_dual_add_f32 v12, v12, v100
	v_sub_f32_e32 v13, v13, v17
	s_delay_alu instid0(VALU_DEP_1) | instskip(NEXT) | instid1(VALU_DEP_1)
	v_add_f32_e32 v12, v12, v13
	v_add_f32_e32 v12, v103, v12
	s_delay_alu instid0(VALU_DEP_1)
	v_cndmask_b32_e32 v100, v12, v14, vcc_lo
.LBB117_88:                             ;   in Loop: Header=BB117_12 Depth=1
	s_or_b32 exec_lo, exec_lo, s29
	v_lshrrev_b32_e32 v12, 16, v15
	s_delay_alu instid0(VALU_DEP_1) | instskip(NEXT) | instid1(VALU_DEP_1)
	v_cvt_f32_f16_e32 v12, v12
	v_add_f32_e32 v101, s68, v12
	s_delay_alu instid0(VALU_DEP_1) | instskip(SKIP_1) | instid1(SALU_CYCLE_1)
	v_cmp_ge_f32_e32 vcc_lo, 0x41a00000, v101
	s_and_b32 s28, s79, vcc_lo
	s_and_saveexec_b32 s29, s28
	s_cbranch_execz .LBB117_90
; %bb.89:                               ;   in Loop: Header=BB117_12 Depth=1
	v_mul_f32_e32 v12, 0x3fb8aa3b, v101
	v_cmp_ngt_f32_e32 vcc_lo, 0xc2ce8ed0, v101
	s_delay_alu instid0(VALU_DEP_2) | instskip(SKIP_1) | instid1(VALU_DEP_2)
	v_rndne_f32_e32 v13, v12
	v_fma_f32 v14, 0x3fb8aa3b, v101, -v12
	v_sub_f32_e32 v12, v12, v13
	s_delay_alu instid0(VALU_DEP_2) | instskip(SKIP_1) | instid1(VALU_DEP_2)
	v_fmac_f32_e32 v14, 0x32a5705f, v101
	v_cvt_i32_f32_e32 v13, v13
	v_add_f32_e32 v12, v12, v14
	s_delay_alu instid0(VALU_DEP_1) | instskip(SKIP_2) | instid1(VALU_DEP_1)
	v_exp_f32_e32 v12, v12
	s_waitcnt_depctr 0xfff
	v_ldexp_f32 v12, v12, v13
	v_cndmask_b32_e32 v12, 0, v12, vcc_lo
	v_cmp_nlt_f32_e32 vcc_lo, 0x42b17218, v101
	s_delay_alu instid0(VALU_DEP_2) | instskip(NEXT) | instid1(VALU_DEP_1)
	v_cndmask_b32_e32 v14, 0x7f800000, v12, vcc_lo
	v_add_f32_e32 v15, 1.0, v14
	s_delay_alu instid0(VALU_DEP_1) | instskip(NEXT) | instid1(VALU_DEP_1)
	v_cvt_f64_f32_e32 v[12:13], v15
	v_frexp_exp_i32_f64_e32 v12, v[12:13]
	v_frexp_mant_f32_e32 v13, v15
	s_delay_alu instid0(VALU_DEP_1) | instskip(SKIP_1) | instid1(VALU_DEP_1)
	v_cmp_gt_f32_e32 vcc_lo, 0x3f2aaaab, v13
	v_add_f32_e32 v13, -1.0, v15
	v_sub_f32_e32 v101, v13, v15
	v_sub_f32_e32 v13, v14, v13
	s_delay_alu instid0(VALU_DEP_2) | instskip(NEXT) | instid1(VALU_DEP_1)
	v_add_f32_e32 v101, 1.0, v101
	v_add_f32_e32 v13, v13, v101
	v_cmp_gt_f32_e64 s28, 0x33800000, v14
	v_subrev_co_ci_u32_e32 v12, vcc_lo, 0, v12, vcc_lo
	v_cmp_eq_f32_e32 vcc_lo, 0x7f800000, v14
	s_delay_alu instid0(VALU_DEP_2) | instskip(SKIP_2) | instid1(VALU_DEP_2)
	v_sub_nc_u32_e32 v17, 0, v12
	v_cvt_f32_i32_e32 v12, v12
	s_or_b32 vcc_lo, s28, vcc_lo
	v_ldexp_f32 v15, v15, v17
	v_ldexp_f32 v13, v13, v17
	s_delay_alu instid0(VALU_DEP_2) | instskip(SKIP_1) | instid1(VALU_DEP_2)
	v_add_f32_e32 v102, 1.0, v15
	v_add_f32_e32 v17, -1.0, v15
	v_add_f32_e32 v101, -1.0, v102
	s_delay_alu instid0(VALU_DEP_2) | instskip(NEXT) | instid1(VALU_DEP_2)
	v_add_f32_e32 v103, 1.0, v17
	v_sub_f32_e32 v101, v15, v101
	s_delay_alu instid0(VALU_DEP_2) | instskip(NEXT) | instid1(VALU_DEP_2)
	v_sub_f32_e32 v15, v15, v103
	v_add_f32_e32 v101, v13, v101
	s_delay_alu instid0(VALU_DEP_2) | instskip(NEXT) | instid1(VALU_DEP_1)
	v_add_f32_e32 v13, v13, v15
	v_add_f32_e32 v104, v17, v13
	s_delay_alu instid0(VALU_DEP_3) | instskip(NEXT) | instid1(VALU_DEP_1)
	v_add_f32_e32 v103, v102, v101
	v_rcp_f32_e32 v15, v103
	v_sub_f32_e32 v102, v102, v103
	s_delay_alu instid0(VALU_DEP_1) | instskip(SKIP_2) | instid1(VALU_DEP_1)
	v_add_f32_e32 v101, v101, v102
	s_waitcnt_depctr 0xfff
	v_mul_f32_e32 v105, v104, v15
	v_dual_mul_f32 v106, v103, v105 :: v_dual_sub_f32 v17, v17, v104
	s_delay_alu instid0(VALU_DEP_1) | instskip(NEXT) | instid1(VALU_DEP_2)
	v_fma_f32 v102, v105, v103, -v106
	v_add_f32_e32 v13, v13, v17
	s_delay_alu instid0(VALU_DEP_2) | instskip(NEXT) | instid1(VALU_DEP_1)
	v_fmac_f32_e32 v102, v105, v101
	v_add_f32_e32 v107, v106, v102
	s_delay_alu instid0(VALU_DEP_1) | instskip(NEXT) | instid1(VALU_DEP_1)
	v_dual_sub_f32 v108, v104, v107 :: v_dual_sub_f32 v17, v107, v106
	v_dual_sub_f32 v104, v104, v108 :: v_dual_sub_f32 v17, v17, v102
	s_delay_alu instid0(VALU_DEP_1) | instskip(NEXT) | instid1(VALU_DEP_1)
	v_sub_f32_e32 v104, v104, v107
	v_add_f32_e32 v13, v13, v104
	s_delay_alu instid0(VALU_DEP_1) | instskip(NEXT) | instid1(VALU_DEP_1)
	v_add_f32_e32 v13, v17, v13
	v_add_f32_e32 v17, v108, v13
	s_delay_alu instid0(VALU_DEP_1) | instskip(NEXT) | instid1(VALU_DEP_1)
	v_mul_f32_e32 v102, v15, v17
	v_dual_sub_f32 v107, v108, v17 :: v_dual_mul_f32 v104, v103, v102
	s_delay_alu instid0(VALU_DEP_1) | instskip(NEXT) | instid1(VALU_DEP_2)
	v_add_f32_e32 v13, v13, v107
	v_fma_f32 v103, v102, v103, -v104
	s_delay_alu instid0(VALU_DEP_1) | instskip(NEXT) | instid1(VALU_DEP_1)
	v_fmac_f32_e32 v103, v102, v101
	v_add_f32_e32 v101, v104, v103
	s_delay_alu instid0(VALU_DEP_1) | instskip(SKIP_1) | instid1(VALU_DEP_2)
	v_sub_f32_e32 v106, v17, v101
	v_sub_f32_e32 v104, v101, v104
	v_sub_f32_e32 v17, v17, v106
	s_delay_alu instid0(VALU_DEP_1) | instskip(NEXT) | instid1(VALU_DEP_3)
	v_sub_f32_e32 v17, v17, v101
	v_sub_f32_e32 v101, v104, v103
	s_delay_alu instid0(VALU_DEP_2) | instskip(SKIP_1) | instid1(VALU_DEP_2)
	v_add_f32_e32 v13, v13, v17
	v_add_f32_e32 v17, v105, v102
	;; [unrolled: 1-line block ×3, first 2 shown]
	s_delay_alu instid0(VALU_DEP_2) | instskip(NEXT) | instid1(VALU_DEP_2)
	v_sub_f32_e32 v101, v17, v105
	v_add_f32_e32 v13, v106, v13
	s_delay_alu instid0(VALU_DEP_2) | instskip(NEXT) | instid1(VALU_DEP_2)
	v_sub_f32_e32 v101, v102, v101
	v_mul_f32_e32 v13, v15, v13
	s_delay_alu instid0(VALU_DEP_1) | instskip(NEXT) | instid1(VALU_DEP_1)
	v_add_f32_e32 v13, v101, v13
	v_add_f32_e32 v15, v17, v13
	s_delay_alu instid0(VALU_DEP_1) | instskip(NEXT) | instid1(VALU_DEP_1)
	v_mul_f32_e32 v101, v15, v15
	v_fmaak_f32 v102, s83, v101, 0x3ecc95a3
	v_mul_f32_e32 v103, v15, v101
	s_delay_alu instid0(VALU_DEP_2) | instskip(SKIP_2) | instid1(VALU_DEP_3)
	v_fmaak_f32 v101, v101, v102, 0x3f2aaada
	v_ldexp_f32 v102, v15, 1
	v_sub_f32_e32 v15, v15, v17
	v_mul_f32_e32 v101, v103, v101
	v_mul_f32_e32 v103, 0x3f317218, v12
	s_delay_alu instid0(VALU_DEP_3) | instskip(NEXT) | instid1(VALU_DEP_3)
	v_sub_f32_e32 v13, v13, v15
	v_add_f32_e32 v17, v102, v101
	s_delay_alu instid0(VALU_DEP_2) | instskip(NEXT) | instid1(VALU_DEP_2)
	v_ldexp_f32 v13, v13, 1
	v_sub_f32_e32 v15, v17, v102
	v_fma_f32 v102, 0x3f317218, v12, -v103
	s_delay_alu instid0(VALU_DEP_1) | instskip(NEXT) | instid1(VALU_DEP_1)
	v_dual_sub_f32 v15, v101, v15 :: v_dual_fmac_f32 v102, 0xb102e308, v12
	v_dual_add_f32 v12, v13, v15 :: v_dual_add_f32 v13, v103, v102
	s_delay_alu instid0(VALU_DEP_1) | instskip(NEXT) | instid1(VALU_DEP_1)
	v_add_f32_e32 v15, v17, v12
	v_add_f32_e32 v101, v13, v15
	v_sub_f32_e32 v17, v15, v17
	s_delay_alu instid0(VALU_DEP_2) | instskip(NEXT) | instid1(VALU_DEP_2)
	v_sub_f32_e32 v104, v101, v13
	v_dual_sub_f32 v103, v13, v103 :: v_dual_sub_f32 v12, v12, v17
	s_delay_alu instid0(VALU_DEP_1) | instskip(SKIP_1) | instid1(VALU_DEP_2)
	v_dual_sub_f32 v105, v101, v104 :: v_dual_sub_f32 v102, v102, v103
	v_sub_f32_e32 v15, v15, v104
	v_sub_f32_e32 v13, v13, v105
	s_delay_alu instid0(VALU_DEP_3) | instskip(NEXT) | instid1(VALU_DEP_2)
	v_add_f32_e32 v17, v102, v12
	v_add_f32_e32 v13, v15, v13
	s_delay_alu instid0(VALU_DEP_2) | instskip(NEXT) | instid1(VALU_DEP_2)
	v_sub_f32_e32 v15, v17, v102
	v_add_f32_e32 v13, v17, v13
	s_delay_alu instid0(VALU_DEP_2) | instskip(NEXT) | instid1(VALU_DEP_2)
	v_sub_f32_e32 v17, v17, v15
	v_dual_sub_f32 v12, v12, v15 :: v_dual_add_f32 v103, v101, v13
	s_delay_alu instid0(VALU_DEP_2) | instskip(NEXT) | instid1(VALU_DEP_2)
	v_sub_f32_e32 v17, v102, v17
	v_sub_f32_e32 v15, v103, v101
	s_delay_alu instid0(VALU_DEP_1) | instskip(NEXT) | instid1(VALU_DEP_1)
	v_dual_add_f32 v12, v12, v17 :: v_dual_sub_f32 v13, v13, v15
	v_add_f32_e32 v12, v12, v13
	s_delay_alu instid0(VALU_DEP_1) | instskip(NEXT) | instid1(VALU_DEP_1)
	v_add_f32_e32 v12, v103, v12
	v_cndmask_b32_e32 v101, v12, v14, vcc_lo
.LBB117_90:                             ;   in Loop: Header=BB117_12 Depth=1
	s_or_b32 exec_lo, exec_lo, s29
	s_waitcnt lgkmcnt(0)
	v_cvt_f32_f16_e32 v12, v8
	s_delay_alu instid0(VALU_DEP_1) | instskip(NEXT) | instid1(VALU_DEP_1)
	v_add_f32_e32 v104, s68, v12
	v_cmp_ge_f32_e32 vcc_lo, 0x41a00000, v104
	s_and_b32 s28, s79, vcc_lo
	s_delay_alu instid0(SALU_CYCLE_1)
	s_and_saveexec_b32 s29, s28
	s_cbranch_execz .LBB117_92
; %bb.91:                               ;   in Loop: Header=BB117_12 Depth=1
	v_mul_f32_e32 v12, 0x3fb8aa3b, v104
	v_cmp_ngt_f32_e32 vcc_lo, 0xc2ce8ed0, v104
	s_delay_alu instid0(VALU_DEP_2) | instskip(SKIP_1) | instid1(VALU_DEP_2)
	v_rndne_f32_e32 v13, v12
	v_fma_f32 v14, 0x3fb8aa3b, v104, -v12
	v_sub_f32_e32 v12, v12, v13
	s_delay_alu instid0(VALU_DEP_2) | instskip(SKIP_1) | instid1(VALU_DEP_2)
	v_fmac_f32_e32 v14, 0x32a5705f, v104
	v_cvt_i32_f32_e32 v13, v13
	v_add_f32_e32 v12, v12, v14
	s_delay_alu instid0(VALU_DEP_1) | instskip(SKIP_2) | instid1(VALU_DEP_1)
	v_exp_f32_e32 v12, v12
	s_waitcnt_depctr 0xfff
	v_ldexp_f32 v12, v12, v13
	v_cndmask_b32_e32 v12, 0, v12, vcc_lo
	v_cmp_nlt_f32_e32 vcc_lo, 0x42b17218, v104
	s_delay_alu instid0(VALU_DEP_2) | instskip(NEXT) | instid1(VALU_DEP_1)
	v_cndmask_b32_e32 v14, 0x7f800000, v12, vcc_lo
	v_add_f32_e32 v15, 1.0, v14
	s_delay_alu instid0(VALU_DEP_1) | instskip(NEXT) | instid1(VALU_DEP_1)
	v_cvt_f64_f32_e32 v[12:13], v15
	v_frexp_exp_i32_f64_e32 v12, v[12:13]
	v_frexp_mant_f32_e32 v13, v15
	s_delay_alu instid0(VALU_DEP_1) | instskip(SKIP_1) | instid1(VALU_DEP_1)
	v_cmp_gt_f32_e32 vcc_lo, 0x3f2aaaab, v13
	v_add_f32_e32 v13, -1.0, v15
	v_dual_sub_f32 v102, v13, v15 :: v_dual_sub_f32 v13, v14, v13
	s_delay_alu instid0(VALU_DEP_1) | instskip(NEXT) | instid1(VALU_DEP_1)
	v_add_f32_e32 v102, 1.0, v102
	v_add_f32_e32 v13, v13, v102
	v_subrev_co_ci_u32_e32 v12, vcc_lo, 0, v12, vcc_lo
	s_delay_alu instid0(VALU_DEP_1) | instskip(SKIP_1) | instid1(VALU_DEP_2)
	v_sub_nc_u32_e32 v17, 0, v12
	v_cvt_f32_i32_e32 v12, v12
	v_ldexp_f32 v15, v15, v17
	v_ldexp_f32 v13, v13, v17
	s_delay_alu instid0(VALU_DEP_2) | instskip(SKIP_3) | instid1(VALU_DEP_4)
	v_add_f32_e32 v103, 1.0, v15
	v_add_f32_e32 v17, -1.0, v15
	v_cmp_eq_f32_e32 vcc_lo, 0x7f800000, v14
	v_cmp_gt_f32_e64 s28, 0x33800000, v14
	v_add_f32_e32 v102, -1.0, v103
	s_delay_alu instid0(VALU_DEP_4) | instskip(NEXT) | instid1(VALU_DEP_3)
	v_add_f32_e32 v104, 1.0, v17
	s_or_b32 vcc_lo, s28, vcc_lo
	s_delay_alu instid0(VALU_DEP_2) | instskip(NEXT) | instid1(VALU_DEP_1)
	v_sub_f32_e32 v102, v15, v102
	v_dual_sub_f32 v15, v15, v104 :: v_dual_add_f32 v102, v13, v102
	s_delay_alu instid0(VALU_DEP_1) | instskip(NEXT) | instid1(VALU_DEP_1)
	v_add_f32_e32 v13, v13, v15
	v_dual_add_f32 v105, v17, v13 :: v_dual_add_f32 v104, v103, v102
	s_delay_alu instid0(VALU_DEP_1) | instskip(NEXT) | instid1(VALU_DEP_2)
	v_sub_f32_e32 v17, v17, v105
	v_rcp_f32_e32 v15, v104
	v_sub_f32_e32 v103, v103, v104
	s_delay_alu instid0(VALU_DEP_1) | instskip(SKIP_2) | instid1(VALU_DEP_1)
	v_dual_add_f32 v102, v102, v103 :: v_dual_add_f32 v13, v13, v17
	s_waitcnt_depctr 0xfff
	v_mul_f32_e32 v106, v105, v15
	v_mul_f32_e32 v107, v104, v106
	s_delay_alu instid0(VALU_DEP_1) | instskip(NEXT) | instid1(VALU_DEP_1)
	v_fma_f32 v103, v106, v104, -v107
	v_fmac_f32_e32 v103, v106, v102
	s_delay_alu instid0(VALU_DEP_1) | instskip(NEXT) | instid1(VALU_DEP_1)
	v_add_f32_e32 v108, v107, v103
	v_sub_f32_e32 v109, v105, v108
	s_delay_alu instid0(VALU_DEP_1) | instskip(SKIP_1) | instid1(VALU_DEP_2)
	v_sub_f32_e32 v105, v105, v109
	v_sub_f32_e32 v17, v108, v107
	;; [unrolled: 1-line block ×3, first 2 shown]
	s_delay_alu instid0(VALU_DEP_2) | instskip(NEXT) | instid1(VALU_DEP_2)
	v_sub_f32_e32 v17, v17, v103
	v_add_f32_e32 v13, v13, v105
	s_delay_alu instid0(VALU_DEP_1) | instskip(NEXT) | instid1(VALU_DEP_1)
	v_add_f32_e32 v13, v17, v13
	v_add_f32_e32 v17, v109, v13
	s_delay_alu instid0(VALU_DEP_1) | instskip(NEXT) | instid1(VALU_DEP_1)
	v_mul_f32_e32 v103, v15, v17
	v_dual_sub_f32 v108, v109, v17 :: v_dual_mul_f32 v105, v104, v103
	s_delay_alu instid0(VALU_DEP_1) | instskip(NEXT) | instid1(VALU_DEP_2)
	v_add_f32_e32 v13, v13, v108
	v_fma_f32 v104, v103, v104, -v105
	s_delay_alu instid0(VALU_DEP_1) | instskip(NEXT) | instid1(VALU_DEP_1)
	v_fmac_f32_e32 v104, v103, v102
	v_add_f32_e32 v102, v105, v104
	s_delay_alu instid0(VALU_DEP_1) | instskip(NEXT) | instid1(VALU_DEP_1)
	v_sub_f32_e32 v107, v17, v102
	v_sub_f32_e32 v17, v17, v107
	s_delay_alu instid0(VALU_DEP_1) | instskip(NEXT) | instid1(VALU_DEP_1)
	v_sub_f32_e32 v17, v17, v102
	v_add_f32_e32 v13, v13, v17
	v_add_f32_e32 v17, v106, v103
	v_sub_f32_e32 v105, v102, v105
	s_delay_alu instid0(VALU_DEP_1) | instskip(NEXT) | instid1(VALU_DEP_1)
	v_sub_f32_e32 v102, v105, v104
	v_dual_add_f32 v13, v102, v13 :: v_dual_sub_f32 v102, v17, v106
	s_delay_alu instid0(VALU_DEP_1) | instskip(NEXT) | instid1(VALU_DEP_2)
	v_add_f32_e32 v13, v107, v13
	v_sub_f32_e32 v102, v103, v102
	s_delay_alu instid0(VALU_DEP_2) | instskip(NEXT) | instid1(VALU_DEP_1)
	v_mul_f32_e32 v13, v15, v13
	v_add_f32_e32 v13, v102, v13
	s_delay_alu instid0(VALU_DEP_1) | instskip(NEXT) | instid1(VALU_DEP_1)
	v_add_f32_e32 v15, v17, v13
	v_mul_f32_e32 v102, v15, v15
	s_delay_alu instid0(VALU_DEP_1) | instskip(SKIP_1) | instid1(VALU_DEP_2)
	v_fmaak_f32 v103, s83, v102, 0x3ecc95a3
	v_mul_f32_e32 v104, v15, v102
	v_fmaak_f32 v102, v102, v103, 0x3f2aaada
	v_ldexp_f32 v103, v15, 1
	s_delay_alu instid0(VALU_DEP_2) | instskip(NEXT) | instid1(VALU_DEP_1)
	v_dual_sub_f32 v15, v15, v17 :: v_dual_mul_f32 v102, v104, v102
	v_dual_mul_f32 v104, 0x3f317218, v12 :: v_dual_sub_f32 v13, v13, v15
	s_delay_alu instid0(VALU_DEP_2) | instskip(NEXT) | instid1(VALU_DEP_2)
	v_add_f32_e32 v17, v103, v102
	v_ldexp_f32 v13, v13, 1
	s_delay_alu instid0(VALU_DEP_2) | instskip(NEXT) | instid1(VALU_DEP_4)
	v_sub_f32_e32 v15, v17, v103
	v_fma_f32 v103, 0x3f317218, v12, -v104
	s_delay_alu instid0(VALU_DEP_2) | instskip(NEXT) | instid1(VALU_DEP_1)
	v_sub_f32_e32 v15, v102, v15
	v_dual_fmac_f32 v103, 0xb102e308, v12 :: v_dual_add_f32 v12, v13, v15
	s_delay_alu instid0(VALU_DEP_1) | instskip(NEXT) | instid1(VALU_DEP_2)
	v_add_f32_e32 v13, v104, v103
	v_add_f32_e32 v15, v17, v12
	s_delay_alu instid0(VALU_DEP_2) | instskip(NEXT) | instid1(VALU_DEP_2)
	v_sub_f32_e32 v104, v13, v104
	v_dual_add_f32 v102, v13, v15 :: v_dual_sub_f32 v17, v15, v17
	s_delay_alu instid0(VALU_DEP_2) | instskip(NEXT) | instid1(VALU_DEP_2)
	v_sub_f32_e32 v103, v103, v104
	v_sub_f32_e32 v105, v102, v13
	s_delay_alu instid0(VALU_DEP_3) | instskip(NEXT) | instid1(VALU_DEP_2)
	v_sub_f32_e32 v12, v12, v17
	v_sub_f32_e32 v106, v102, v105
	;; [unrolled: 1-line block ×3, first 2 shown]
	s_delay_alu instid0(VALU_DEP_3) | instskip(NEXT) | instid1(VALU_DEP_3)
	v_add_f32_e32 v17, v103, v12
	v_sub_f32_e32 v13, v13, v106
	s_delay_alu instid0(VALU_DEP_1) | instskip(NEXT) | instid1(VALU_DEP_3)
	v_add_f32_e32 v13, v15, v13
	v_sub_f32_e32 v15, v17, v103
	s_delay_alu instid0(VALU_DEP_2) | instskip(NEXT) | instid1(VALU_DEP_2)
	v_add_f32_e32 v13, v17, v13
	v_sub_f32_e32 v17, v17, v15
	v_sub_f32_e32 v12, v12, v15
	s_delay_alu instid0(VALU_DEP_3) | instskip(NEXT) | instid1(VALU_DEP_3)
	v_add_f32_e32 v104, v102, v13
	v_sub_f32_e32 v17, v103, v17
	s_delay_alu instid0(VALU_DEP_2) | instskip(NEXT) | instid1(VALU_DEP_1)
	v_sub_f32_e32 v15, v104, v102
	v_dual_add_f32 v12, v12, v17 :: v_dual_sub_f32 v13, v13, v15
	s_delay_alu instid0(VALU_DEP_1) | instskip(NEXT) | instid1(VALU_DEP_1)
	v_add_f32_e32 v12, v12, v13
	v_add_f32_e32 v12, v104, v12
	s_delay_alu instid0(VALU_DEP_1)
	v_cndmask_b32_e32 v104, v12, v14, vcc_lo
.LBB117_92:                             ;   in Loop: Header=BB117_12 Depth=1
	s_or_b32 exec_lo, exec_lo, s29
	v_lshrrev_b32_e32 v8, 16, v8
	s_delay_alu instid0(VALU_DEP_1) | instskip(NEXT) | instid1(VALU_DEP_1)
	v_cvt_f32_f16_e32 v8, v8
	v_add_f32_e32 v115, s68, v8
	s_delay_alu instid0(VALU_DEP_1) | instskip(SKIP_1) | instid1(SALU_CYCLE_1)
	v_cmp_ge_f32_e32 vcc_lo, 0x41a00000, v115
	s_and_b32 s28, s79, vcc_lo
	s_and_saveexec_b32 s29, s28
	s_cbranch_execz .LBB117_94
; %bb.93:                               ;   in Loop: Header=BB117_12 Depth=1
	v_mul_f32_e32 v8, 0x3fb8aa3b, v115
	v_cmp_ngt_f32_e32 vcc_lo, 0xc2ce8ed0, v115
	s_delay_alu instid0(VALU_DEP_2) | instskip(SKIP_1) | instid1(VALU_DEP_1)
	v_rndne_f32_e32 v12, v8
	v_fma_f32 v13, 0x3fb8aa3b, v115, -v8
	v_dual_sub_f32 v8, v8, v12 :: v_dual_fmac_f32 v13, 0x32a5705f, v115
	v_cvt_i32_f32_e32 v12, v12
	s_delay_alu instid0(VALU_DEP_2) | instskip(NEXT) | instid1(VALU_DEP_1)
	v_add_f32_e32 v8, v8, v13
	v_exp_f32_e32 v8, v8
	s_waitcnt_depctr 0xfff
	v_ldexp_f32 v8, v8, v12
	s_delay_alu instid0(VALU_DEP_1) | instskip(SKIP_1) | instid1(VALU_DEP_2)
	v_cndmask_b32_e32 v8, 0, v8, vcc_lo
	v_cmp_nlt_f32_e32 vcc_lo, 0x42b17218, v115
	v_cndmask_b32_e32 v8, 0x7f800000, v8, vcc_lo
	s_delay_alu instid0(VALU_DEP_1) | instskip(NEXT) | instid1(VALU_DEP_1)
	v_add_f32_e32 v14, 1.0, v8
	v_cvt_f64_f32_e32 v[12:13], v14
	s_delay_alu instid0(VALU_DEP_1) | instskip(SKIP_1) | instid1(VALU_DEP_1)
	v_frexp_exp_i32_f64_e32 v12, v[12:13]
	v_frexp_mant_f32_e32 v13, v14
	v_cmp_gt_f32_e32 vcc_lo, 0x3f2aaaab, v13
	v_add_f32_e32 v13, -1.0, v14
	s_delay_alu instid0(VALU_DEP_1) | instskip(SKIP_1) | instid1(VALU_DEP_2)
	v_sub_f32_e32 v17, v13, v14
	v_sub_f32_e32 v13, v8, v13
	v_add_f32_e32 v17, 1.0, v17
	s_delay_alu instid0(VALU_DEP_1) | instskip(SKIP_3) | instid1(VALU_DEP_2)
	v_add_f32_e32 v13, v13, v17
	v_cmp_gt_f32_e64 s28, 0x33800000, v8
	v_subrev_co_ci_u32_e32 v12, vcc_lo, 0, v12, vcc_lo
	v_cmp_eq_f32_e32 vcc_lo, 0x7f800000, v8
	v_sub_nc_u32_e32 v15, 0, v12
	v_cvt_f32_i32_e32 v12, v12
	s_or_b32 vcc_lo, s28, vcc_lo
	s_delay_alu instid0(VALU_DEP_2) | instskip(SKIP_1) | instid1(VALU_DEP_2)
	v_ldexp_f32 v14, v14, v15
	v_ldexp_f32 v13, v13, v15
	v_add_f32_e32 v102, 1.0, v14
	v_add_f32_e32 v15, -1.0, v14
	s_delay_alu instid0(VALU_DEP_1) | instskip(NEXT) | instid1(VALU_DEP_3)
	v_add_f32_e32 v103, 1.0, v15
	v_add_f32_e32 v17, -1.0, v102
	s_delay_alu instid0(VALU_DEP_1) | instskip(NEXT) | instid1(VALU_DEP_1)
	v_sub_f32_e32 v17, v14, v17
	v_dual_sub_f32 v14, v14, v103 :: v_dual_add_f32 v17, v13, v17
	s_delay_alu instid0(VALU_DEP_1) | instskip(NEXT) | instid1(VALU_DEP_1)
	v_add_f32_e32 v103, v102, v17
	v_sub_f32_e32 v102, v102, v103
	s_delay_alu instid0(VALU_DEP_1) | instskip(NEXT) | instid1(VALU_DEP_4)
	v_add_f32_e32 v17, v17, v102
	v_add_f32_e32 v13, v13, v14
	v_rcp_f32_e32 v14, v103
	s_delay_alu instid0(VALU_DEP_1) | instskip(SKIP_2) | instid1(VALU_DEP_1)
	v_add_f32_e32 v105, v15, v13
	s_waitcnt_depctr 0xfff
	v_dual_sub_f32 v15, v15, v105 :: v_dual_mul_f32 v106, v105, v14
	v_mul_f32_e32 v107, v103, v106
	s_delay_alu instid0(VALU_DEP_1) | instskip(NEXT) | instid1(VALU_DEP_1)
	v_fma_f32 v102, v106, v103, -v107
	v_dual_fmac_f32 v102, v106, v17 :: v_dual_add_f32 v13, v13, v15
	s_delay_alu instid0(VALU_DEP_1) | instskip(NEXT) | instid1(VALU_DEP_1)
	v_add_f32_e32 v108, v107, v102
	v_sub_f32_e32 v109, v105, v108
	v_sub_f32_e32 v15, v108, v107
	s_delay_alu instid0(VALU_DEP_2) | instskip(NEXT) | instid1(VALU_DEP_2)
	v_sub_f32_e32 v105, v105, v109
	v_sub_f32_e32 v15, v15, v102
	s_delay_alu instid0(VALU_DEP_2) | instskip(NEXT) | instid1(VALU_DEP_1)
	v_sub_f32_e32 v105, v105, v108
	v_add_f32_e32 v13, v13, v105
	s_delay_alu instid0(VALU_DEP_1) | instskip(NEXT) | instid1(VALU_DEP_1)
	v_add_f32_e32 v13, v15, v13
	v_add_f32_e32 v15, v109, v13
	s_delay_alu instid0(VALU_DEP_1) | instskip(NEXT) | instid1(VALU_DEP_1)
	v_mul_f32_e32 v102, v14, v15
	v_dual_sub_f32 v108, v109, v15 :: v_dual_mul_f32 v105, v103, v102
	s_delay_alu instid0(VALU_DEP_1) | instskip(NEXT) | instid1(VALU_DEP_2)
	v_add_f32_e32 v13, v13, v108
	v_fma_f32 v103, v102, v103, -v105
	s_delay_alu instid0(VALU_DEP_1) | instskip(NEXT) | instid1(VALU_DEP_1)
	v_fmac_f32_e32 v103, v102, v17
	v_add_f32_e32 v17, v105, v103
	s_delay_alu instid0(VALU_DEP_1) | instskip(SKIP_1) | instid1(VALU_DEP_2)
	v_sub_f32_e32 v107, v15, v17
	v_sub_f32_e32 v105, v17, v105
	;; [unrolled: 1-line block ×3, first 2 shown]
	s_delay_alu instid0(VALU_DEP_1) | instskip(NEXT) | instid1(VALU_DEP_3)
	v_sub_f32_e32 v15, v15, v17
	v_sub_f32_e32 v17, v105, v103
	s_delay_alu instid0(VALU_DEP_2) | instskip(SKIP_1) | instid1(VALU_DEP_2)
	v_add_f32_e32 v13, v13, v15
	v_add_f32_e32 v15, v106, v102
	v_add_f32_e32 v13, v17, v13
	s_delay_alu instid0(VALU_DEP_2) | instskip(NEXT) | instid1(VALU_DEP_2)
	v_sub_f32_e32 v17, v15, v106
	v_add_f32_e32 v13, v107, v13
	s_delay_alu instid0(VALU_DEP_2) | instskip(NEXT) | instid1(VALU_DEP_2)
	v_sub_f32_e32 v17, v102, v17
	v_mul_f32_e32 v13, v14, v13
	s_delay_alu instid0(VALU_DEP_1) | instskip(NEXT) | instid1(VALU_DEP_1)
	v_add_f32_e32 v13, v17, v13
	v_add_f32_e32 v14, v15, v13
	s_delay_alu instid0(VALU_DEP_1) | instskip(NEXT) | instid1(VALU_DEP_1)
	v_mul_f32_e32 v17, v14, v14
	v_fmaak_f32 v102, s83, v17, 0x3ecc95a3
	v_mul_f32_e32 v103, v14, v17
	s_delay_alu instid0(VALU_DEP_2) | instskip(SKIP_1) | instid1(VALU_DEP_2)
	v_fmaak_f32 v17, v17, v102, 0x3f2aaada
	v_ldexp_f32 v102, v14, 1
	v_dual_sub_f32 v14, v14, v15 :: v_dual_mul_f32 v17, v103, v17
	v_mul_f32_e32 v103, 0x3f317218, v12
	s_delay_alu instid0(VALU_DEP_2) | instskip(NEXT) | instid1(VALU_DEP_3)
	v_sub_f32_e32 v13, v13, v14
	v_add_f32_e32 v15, v102, v17
	s_delay_alu instid0(VALU_DEP_2) | instskip(NEXT) | instid1(VALU_DEP_2)
	v_ldexp_f32 v13, v13, 1
	v_sub_f32_e32 v14, v15, v102
	v_fma_f32 v102, 0x3f317218, v12, -v103
	s_delay_alu instid0(VALU_DEP_2) | instskip(NEXT) | instid1(VALU_DEP_2)
	v_sub_f32_e32 v14, v17, v14
	v_fmac_f32_e32 v102, 0xb102e308, v12
	s_delay_alu instid0(VALU_DEP_2) | instskip(NEXT) | instid1(VALU_DEP_2)
	v_add_f32_e32 v12, v13, v14
	v_add_f32_e32 v13, v103, v102
	s_delay_alu instid0(VALU_DEP_1) | instskip(NEXT) | instid1(VALU_DEP_1)
	v_dual_add_f32 v14, v15, v12 :: v_dual_sub_f32 v103, v13, v103
	v_add_f32_e32 v17, v13, v14
	v_sub_f32_e32 v15, v14, v15
	s_delay_alu instid0(VALU_DEP_2) | instskip(NEXT) | instid1(VALU_DEP_2)
	v_dual_sub_f32 v102, v102, v103 :: v_dual_sub_f32 v105, v17, v13
	v_sub_f32_e32 v12, v12, v15
	s_delay_alu instid0(VALU_DEP_2) | instskip(SKIP_1) | instid1(VALU_DEP_3)
	v_sub_f32_e32 v106, v17, v105
	v_sub_f32_e32 v14, v14, v105
	v_add_f32_e32 v15, v102, v12
	s_delay_alu instid0(VALU_DEP_3) | instskip(NEXT) | instid1(VALU_DEP_1)
	v_sub_f32_e32 v13, v13, v106
	v_dual_add_f32 v13, v14, v13 :: v_dual_sub_f32 v14, v15, v102
	s_delay_alu instid0(VALU_DEP_1) | instskip(NEXT) | instid1(VALU_DEP_2)
	v_add_f32_e32 v13, v15, v13
	v_sub_f32_e32 v15, v15, v14
	s_delay_alu instid0(VALU_DEP_2) | instskip(NEXT) | instid1(VALU_DEP_1)
	v_dual_sub_f32 v12, v12, v14 :: v_dual_add_f32 v103, v17, v13
	v_dual_sub_f32 v15, v102, v15 :: v_dual_sub_f32 v14, v103, v17
	s_delay_alu instid0(VALU_DEP_1) | instskip(NEXT) | instid1(VALU_DEP_1)
	v_dual_add_f32 v12, v12, v15 :: v_dual_sub_f32 v13, v13, v14
	v_add_f32_e32 v12, v12, v13
	s_delay_alu instid0(VALU_DEP_1) | instskip(NEXT) | instid1(VALU_DEP_1)
	v_add_f32_e32 v12, v103, v12
	v_cndmask_b32_e32 v115, v12, v8, vcc_lo
.LBB117_94:                             ;   in Loop: Header=BB117_12 Depth=1
	s_or_b32 exec_lo, exec_lo, s29
	v_cvt_f32_f16_e32 v8, v9
	s_delay_alu instid0(VALU_DEP_1) | instskip(NEXT) | instid1(VALU_DEP_1)
	v_add_f32_e32 v118, s68, v8
	v_cmp_ge_f32_e32 vcc_lo, 0x41a00000, v118
	s_and_b32 s28, s79, vcc_lo
	s_delay_alu instid0(SALU_CYCLE_1)
	s_and_saveexec_b32 s29, s28
	s_cbranch_execz .LBB117_96
; %bb.95:                               ;   in Loop: Header=BB117_12 Depth=1
	v_mul_f32_e32 v8, 0x3fb8aa3b, v118
	v_cmp_ngt_f32_e32 vcc_lo, 0xc2ce8ed0, v118
	s_delay_alu instid0(VALU_DEP_2) | instskip(SKIP_1) | instid1(VALU_DEP_1)
	v_rndne_f32_e32 v12, v8
	v_fma_f32 v13, 0x3fb8aa3b, v118, -v8
	v_dual_sub_f32 v8, v8, v12 :: v_dual_fmac_f32 v13, 0x32a5705f, v118
	v_cvt_i32_f32_e32 v12, v12
	s_delay_alu instid0(VALU_DEP_2) | instskip(NEXT) | instid1(VALU_DEP_1)
	v_add_f32_e32 v8, v8, v13
	v_exp_f32_e32 v8, v8
	s_waitcnt_depctr 0xfff
	v_ldexp_f32 v8, v8, v12
	s_delay_alu instid0(VALU_DEP_1) | instskip(SKIP_1) | instid1(VALU_DEP_2)
	v_cndmask_b32_e32 v8, 0, v8, vcc_lo
	v_cmp_nlt_f32_e32 vcc_lo, 0x42b17218, v118
	v_cndmask_b32_e32 v8, 0x7f800000, v8, vcc_lo
	s_delay_alu instid0(VALU_DEP_1) | instskip(NEXT) | instid1(VALU_DEP_1)
	v_add_f32_e32 v14, 1.0, v8
	v_cvt_f64_f32_e32 v[12:13], v14
	s_delay_alu instid0(VALU_DEP_1) | instskip(SKIP_1) | instid1(VALU_DEP_1)
	v_frexp_exp_i32_f64_e32 v12, v[12:13]
	v_frexp_mant_f32_e32 v13, v14
	v_cmp_gt_f32_e32 vcc_lo, 0x3f2aaaab, v13
	v_add_f32_e32 v13, -1.0, v14
	s_delay_alu instid0(VALU_DEP_1) | instskip(SKIP_1) | instid1(VALU_DEP_2)
	v_sub_f32_e32 v17, v13, v14
	v_sub_f32_e32 v13, v8, v13
	v_add_f32_e32 v17, 1.0, v17
	s_delay_alu instid0(VALU_DEP_1) | instskip(SKIP_3) | instid1(VALU_DEP_2)
	v_add_f32_e32 v13, v13, v17
	v_cmp_gt_f32_e64 s28, 0x33800000, v8
	v_subrev_co_ci_u32_e32 v12, vcc_lo, 0, v12, vcc_lo
	v_cmp_eq_f32_e32 vcc_lo, 0x7f800000, v8
	v_sub_nc_u32_e32 v15, 0, v12
	v_cvt_f32_i32_e32 v12, v12
	s_or_b32 vcc_lo, s28, vcc_lo
	s_delay_alu instid0(VALU_DEP_2) | instskip(SKIP_1) | instid1(VALU_DEP_2)
	v_ldexp_f32 v14, v14, v15
	v_ldexp_f32 v13, v13, v15
	v_add_f32_e32 v102, 1.0, v14
	v_add_f32_e32 v15, -1.0, v14
	s_delay_alu instid0(VALU_DEP_1) | instskip(NEXT) | instid1(VALU_DEP_3)
	v_add_f32_e32 v103, 1.0, v15
	v_add_f32_e32 v17, -1.0, v102
	s_delay_alu instid0(VALU_DEP_1) | instskip(NEXT) | instid1(VALU_DEP_1)
	v_sub_f32_e32 v17, v14, v17
	v_dual_sub_f32 v14, v14, v103 :: v_dual_add_f32 v17, v13, v17
	s_delay_alu instid0(VALU_DEP_1) | instskip(NEXT) | instid1(VALU_DEP_1)
	v_add_f32_e32 v103, v102, v17
	v_sub_f32_e32 v102, v102, v103
	s_delay_alu instid0(VALU_DEP_1) | instskip(NEXT) | instid1(VALU_DEP_4)
	v_add_f32_e32 v17, v17, v102
	v_add_f32_e32 v13, v13, v14
	v_rcp_f32_e32 v14, v103
	s_delay_alu instid0(VALU_DEP_1) | instskip(SKIP_2) | instid1(VALU_DEP_1)
	v_add_f32_e32 v105, v15, v13
	s_waitcnt_depctr 0xfff
	v_dual_sub_f32 v15, v15, v105 :: v_dual_mul_f32 v106, v105, v14
	v_mul_f32_e32 v107, v103, v106
	s_delay_alu instid0(VALU_DEP_1) | instskip(NEXT) | instid1(VALU_DEP_1)
	v_fma_f32 v102, v106, v103, -v107
	v_dual_fmac_f32 v102, v106, v17 :: v_dual_add_f32 v13, v13, v15
	s_delay_alu instid0(VALU_DEP_1) | instskip(NEXT) | instid1(VALU_DEP_1)
	v_add_f32_e32 v108, v107, v102
	v_sub_f32_e32 v109, v105, v108
	v_sub_f32_e32 v15, v108, v107
	s_delay_alu instid0(VALU_DEP_2) | instskip(NEXT) | instid1(VALU_DEP_2)
	v_sub_f32_e32 v105, v105, v109
	v_sub_f32_e32 v15, v15, v102
	s_delay_alu instid0(VALU_DEP_2) | instskip(NEXT) | instid1(VALU_DEP_1)
	v_sub_f32_e32 v105, v105, v108
	v_add_f32_e32 v13, v13, v105
	s_delay_alu instid0(VALU_DEP_1) | instskip(NEXT) | instid1(VALU_DEP_1)
	v_add_f32_e32 v13, v15, v13
	v_add_f32_e32 v15, v109, v13
	s_delay_alu instid0(VALU_DEP_1) | instskip(NEXT) | instid1(VALU_DEP_1)
	v_mul_f32_e32 v102, v14, v15
	v_dual_sub_f32 v108, v109, v15 :: v_dual_mul_f32 v105, v103, v102
	s_delay_alu instid0(VALU_DEP_1) | instskip(NEXT) | instid1(VALU_DEP_2)
	v_add_f32_e32 v13, v13, v108
	v_fma_f32 v103, v102, v103, -v105
	s_delay_alu instid0(VALU_DEP_1) | instskip(NEXT) | instid1(VALU_DEP_1)
	v_fmac_f32_e32 v103, v102, v17
	v_add_f32_e32 v17, v105, v103
	s_delay_alu instid0(VALU_DEP_1) | instskip(SKIP_1) | instid1(VALU_DEP_2)
	v_sub_f32_e32 v107, v15, v17
	v_sub_f32_e32 v105, v17, v105
	;; [unrolled: 1-line block ×3, first 2 shown]
	s_delay_alu instid0(VALU_DEP_1) | instskip(NEXT) | instid1(VALU_DEP_3)
	v_sub_f32_e32 v15, v15, v17
	v_sub_f32_e32 v17, v105, v103
	s_delay_alu instid0(VALU_DEP_2) | instskip(SKIP_1) | instid1(VALU_DEP_2)
	v_add_f32_e32 v13, v13, v15
	v_add_f32_e32 v15, v106, v102
	;; [unrolled: 1-line block ×3, first 2 shown]
	s_delay_alu instid0(VALU_DEP_2) | instskip(NEXT) | instid1(VALU_DEP_2)
	v_sub_f32_e32 v17, v15, v106
	v_add_f32_e32 v13, v107, v13
	s_delay_alu instid0(VALU_DEP_2) | instskip(NEXT) | instid1(VALU_DEP_2)
	v_sub_f32_e32 v17, v102, v17
	v_mul_f32_e32 v13, v14, v13
	s_delay_alu instid0(VALU_DEP_1) | instskip(NEXT) | instid1(VALU_DEP_1)
	v_add_f32_e32 v13, v17, v13
	v_add_f32_e32 v14, v15, v13
	s_delay_alu instid0(VALU_DEP_1) | instskip(NEXT) | instid1(VALU_DEP_1)
	v_mul_f32_e32 v17, v14, v14
	v_fmaak_f32 v102, s83, v17, 0x3ecc95a3
	v_mul_f32_e32 v103, v14, v17
	s_delay_alu instid0(VALU_DEP_2) | instskip(SKIP_1) | instid1(VALU_DEP_2)
	v_fmaak_f32 v17, v17, v102, 0x3f2aaada
	v_ldexp_f32 v102, v14, 1
	v_dual_sub_f32 v14, v14, v15 :: v_dual_mul_f32 v17, v103, v17
	v_mul_f32_e32 v103, 0x3f317218, v12
	s_delay_alu instid0(VALU_DEP_2) | instskip(NEXT) | instid1(VALU_DEP_3)
	v_sub_f32_e32 v13, v13, v14
	v_add_f32_e32 v15, v102, v17
	s_delay_alu instid0(VALU_DEP_2) | instskip(NEXT) | instid1(VALU_DEP_2)
	v_ldexp_f32 v13, v13, 1
	v_sub_f32_e32 v14, v15, v102
	v_fma_f32 v102, 0x3f317218, v12, -v103
	s_delay_alu instid0(VALU_DEP_2) | instskip(NEXT) | instid1(VALU_DEP_2)
	v_sub_f32_e32 v14, v17, v14
	v_fmac_f32_e32 v102, 0xb102e308, v12
	s_delay_alu instid0(VALU_DEP_2) | instskip(NEXT) | instid1(VALU_DEP_2)
	v_add_f32_e32 v12, v13, v14
	v_add_f32_e32 v13, v103, v102
	s_delay_alu instid0(VALU_DEP_1) | instskip(NEXT) | instid1(VALU_DEP_1)
	v_dual_add_f32 v14, v15, v12 :: v_dual_sub_f32 v103, v13, v103
	v_add_f32_e32 v17, v13, v14
	v_sub_f32_e32 v15, v14, v15
	s_delay_alu instid0(VALU_DEP_2) | instskip(NEXT) | instid1(VALU_DEP_2)
	v_dual_sub_f32 v102, v102, v103 :: v_dual_sub_f32 v105, v17, v13
	v_sub_f32_e32 v12, v12, v15
	s_delay_alu instid0(VALU_DEP_2) | instskip(SKIP_1) | instid1(VALU_DEP_3)
	v_sub_f32_e32 v106, v17, v105
	v_sub_f32_e32 v14, v14, v105
	v_add_f32_e32 v15, v102, v12
	s_delay_alu instid0(VALU_DEP_3) | instskip(NEXT) | instid1(VALU_DEP_1)
	v_sub_f32_e32 v13, v13, v106
	v_dual_add_f32 v13, v14, v13 :: v_dual_sub_f32 v14, v15, v102
	s_delay_alu instid0(VALU_DEP_1) | instskip(NEXT) | instid1(VALU_DEP_2)
	v_add_f32_e32 v13, v15, v13
	v_sub_f32_e32 v15, v15, v14
	s_delay_alu instid0(VALU_DEP_2) | instskip(NEXT) | instid1(VALU_DEP_1)
	v_dual_sub_f32 v12, v12, v14 :: v_dual_add_f32 v103, v17, v13
	v_dual_sub_f32 v15, v102, v15 :: v_dual_sub_f32 v14, v103, v17
	s_delay_alu instid0(VALU_DEP_1) | instskip(NEXT) | instid1(VALU_DEP_1)
	v_dual_add_f32 v12, v12, v15 :: v_dual_sub_f32 v13, v13, v14
	v_add_f32_e32 v12, v12, v13
	s_delay_alu instid0(VALU_DEP_1) | instskip(NEXT) | instid1(VALU_DEP_1)
	v_add_f32_e32 v12, v103, v12
	v_cndmask_b32_e32 v118, v12, v8, vcc_lo
.LBB117_96:                             ;   in Loop: Header=BB117_12 Depth=1
	s_or_b32 exec_lo, exec_lo, s29
	v_lshrrev_b32_e32 v8, 16, v9
	s_delay_alu instid0(VALU_DEP_1) | instskip(NEXT) | instid1(VALU_DEP_1)
	v_cvt_f32_f16_e32 v8, v8
	v_add_f32_e32 v121, s68, v8
	s_delay_alu instid0(VALU_DEP_1) | instskip(SKIP_1) | instid1(SALU_CYCLE_1)
	v_cmp_ge_f32_e32 vcc_lo, 0x41a00000, v121
	s_and_b32 s28, s79, vcc_lo
	s_and_saveexec_b32 s29, s28
	s_cbranch_execz .LBB117_98
; %bb.97:                               ;   in Loop: Header=BB117_12 Depth=1
	v_mul_f32_e32 v8, 0x3fb8aa3b, v121
	v_cmp_ngt_f32_e32 vcc_lo, 0xc2ce8ed0, v121
	s_delay_alu instid0(VALU_DEP_2) | instskip(SKIP_1) | instid1(VALU_DEP_2)
	v_rndne_f32_e32 v9, v8
	v_fma_f32 v12, 0x3fb8aa3b, v121, -v8
	v_sub_f32_e32 v8, v8, v9
	s_delay_alu instid0(VALU_DEP_2) | instskip(SKIP_1) | instid1(VALU_DEP_2)
	v_fmac_f32_e32 v12, 0x32a5705f, v121
	v_cvt_i32_f32_e32 v9, v9
	v_add_f32_e32 v8, v8, v12
	s_delay_alu instid0(VALU_DEP_1) | instskip(SKIP_2) | instid1(VALU_DEP_1)
	v_exp_f32_e32 v8, v8
	s_waitcnt_depctr 0xfff
	v_ldexp_f32 v8, v8, v9
	v_cndmask_b32_e32 v8, 0, v8, vcc_lo
	v_cmp_nlt_f32_e32 vcc_lo, 0x42b17218, v121
	s_delay_alu instid0(VALU_DEP_2) | instskip(NEXT) | instid1(VALU_DEP_1)
	v_cndmask_b32_e32 v12, 0x7f800000, v8, vcc_lo
	v_add_f32_e32 v13, 1.0, v12
	s_delay_alu instid0(VALU_DEP_1) | instskip(NEXT) | instid1(VALU_DEP_1)
	v_cvt_f64_f32_e32 v[8:9], v13
	v_frexp_exp_i32_f64_e32 v8, v[8:9]
	v_frexp_mant_f32_e32 v9, v13
	s_delay_alu instid0(VALU_DEP_1) | instskip(SKIP_1) | instid1(VALU_DEP_1)
	v_cmp_gt_f32_e32 vcc_lo, 0x3f2aaaab, v9
	v_add_f32_e32 v9, -1.0, v13
	v_sub_f32_e32 v15, v9, v13
	s_delay_alu instid0(VALU_DEP_1) | instskip(SKIP_1) | instid1(VALU_DEP_1)
	v_add_f32_e32 v15, 1.0, v15
	v_subrev_co_ci_u32_e32 v8, vcc_lo, 0, v8, vcc_lo
	v_sub_nc_u32_e32 v14, 0, v8
	v_cvt_f32_i32_e32 v8, v8
	s_delay_alu instid0(VALU_DEP_2) | instskip(NEXT) | instid1(VALU_DEP_1)
	v_ldexp_f32 v13, v13, v14
	v_add_f32_e32 v17, 1.0, v13
	v_sub_f32_e32 v9, v12, v9
	v_cmp_eq_f32_e32 vcc_lo, 0x7f800000, v12
	v_cmp_gt_f32_e64 s28, 0x33800000, v12
	s_delay_alu instid0(VALU_DEP_3) | instskip(SKIP_1) | instid1(VALU_DEP_3)
	v_add_f32_e32 v9, v9, v15
	v_add_f32_e32 v15, -1.0, v17
	s_or_b32 vcc_lo, s28, vcc_lo
	s_delay_alu instid0(VALU_DEP_2) | instskip(NEXT) | instid1(VALU_DEP_2)
	v_ldexp_f32 v9, v9, v14
	v_dual_add_f32 v14, -1.0, v13 :: v_dual_sub_f32 v15, v13, v15
	s_delay_alu instid0(VALU_DEP_1) | instskip(NEXT) | instid1(VALU_DEP_1)
	v_dual_add_f32 v102, 1.0, v14 :: v_dual_add_f32 v15, v9, v15
	v_sub_f32_e32 v13, v13, v102
	s_delay_alu instid0(VALU_DEP_1) | instskip(NEXT) | instid1(VALU_DEP_1)
	v_add_f32_e32 v9, v9, v13
	v_dual_add_f32 v102, v17, v15 :: v_dual_add_f32 v103, v14, v9
	s_delay_alu instid0(VALU_DEP_1) | instskip(NEXT) | instid1(VALU_DEP_1)
	v_rcp_f32_e32 v13, v102
	v_dual_sub_f32 v17, v17, v102 :: v_dual_sub_f32 v14, v14, v103
	s_delay_alu instid0(VALU_DEP_1) | instskip(SKIP_2) | instid1(VALU_DEP_1)
	v_add_f32_e32 v9, v9, v14
	s_waitcnt_depctr 0xfff
	v_mul_f32_e32 v105, v103, v13
	v_mul_f32_e32 v106, v102, v105
	v_add_f32_e32 v15, v15, v17
	s_delay_alu instid0(VALU_DEP_2) | instskip(NEXT) | instid1(VALU_DEP_1)
	v_fma_f32 v17, v105, v102, -v106
	v_fmac_f32_e32 v17, v105, v15
	s_delay_alu instid0(VALU_DEP_1) | instskip(NEXT) | instid1(VALU_DEP_1)
	v_add_f32_e32 v107, v106, v17
	v_sub_f32_e32 v108, v103, v107
	v_sub_f32_e32 v14, v107, v106
	s_delay_alu instid0(VALU_DEP_1) | instskip(NEXT) | instid1(VALU_DEP_1)
	v_dual_sub_f32 v103, v103, v108 :: v_dual_sub_f32 v14, v14, v17
	v_sub_f32_e32 v103, v103, v107
	s_delay_alu instid0(VALU_DEP_1) | instskip(NEXT) | instid1(VALU_DEP_1)
	v_add_f32_e32 v9, v9, v103
	v_add_f32_e32 v9, v14, v9
	s_delay_alu instid0(VALU_DEP_1) | instskip(NEXT) | instid1(VALU_DEP_1)
	v_add_f32_e32 v14, v108, v9
	v_mul_f32_e32 v17, v13, v14
	v_sub_f32_e32 v107, v108, v14
	s_delay_alu instid0(VALU_DEP_2) | instskip(NEXT) | instid1(VALU_DEP_2)
	v_mul_f32_e32 v103, v102, v17
	v_add_f32_e32 v9, v9, v107
	s_delay_alu instid0(VALU_DEP_2) | instskip(NEXT) | instid1(VALU_DEP_1)
	v_fma_f32 v102, v17, v102, -v103
	v_fmac_f32_e32 v102, v17, v15
	s_delay_alu instid0(VALU_DEP_1) | instskip(NEXT) | instid1(VALU_DEP_1)
	v_add_f32_e32 v15, v103, v102
	v_sub_f32_e32 v106, v14, v15
	s_delay_alu instid0(VALU_DEP_1) | instskip(NEXT) | instid1(VALU_DEP_1)
	v_dual_sub_f32 v103, v15, v103 :: v_dual_sub_f32 v14, v14, v106
	v_dual_sub_f32 v14, v14, v15 :: v_dual_sub_f32 v15, v103, v102
	s_delay_alu instid0(VALU_DEP_1) | instskip(SKIP_1) | instid1(VALU_DEP_2)
	v_add_f32_e32 v9, v9, v14
	v_add_f32_e32 v14, v105, v17
	;; [unrolled: 1-line block ×3, first 2 shown]
	s_delay_alu instid0(VALU_DEP_2) | instskip(NEXT) | instid1(VALU_DEP_2)
	v_sub_f32_e32 v15, v14, v105
	v_add_f32_e32 v9, v106, v9
	s_delay_alu instid0(VALU_DEP_2) | instskip(NEXT) | instid1(VALU_DEP_2)
	v_sub_f32_e32 v15, v17, v15
	v_mul_f32_e32 v9, v13, v9
	s_delay_alu instid0(VALU_DEP_1) | instskip(NEXT) | instid1(VALU_DEP_1)
	v_add_f32_e32 v9, v15, v9
	v_add_f32_e32 v13, v14, v9
	s_delay_alu instid0(VALU_DEP_1) | instskip(NEXT) | instid1(VALU_DEP_1)
	v_mul_f32_e32 v15, v13, v13
	v_fmaak_f32 v17, s83, v15, 0x3ecc95a3
	s_delay_alu instid0(VALU_DEP_1) | instskip(SKIP_2) | instid1(VALU_DEP_3)
	v_dual_mul_f32 v102, v13, v15 :: v_dual_fmaak_f32 v15, v15, v17, 0x3f2aaada
	v_ldexp_f32 v17, v13, 1
	v_sub_f32_e32 v13, v13, v14
	v_dual_mul_f32 v15, v102, v15 :: v_dual_mul_f32 v102, 0x3f317218, v8
	s_delay_alu instid0(VALU_DEP_2) | instskip(NEXT) | instid1(VALU_DEP_2)
	v_sub_f32_e32 v9, v9, v13
	v_add_f32_e32 v14, v17, v15
	s_delay_alu instid0(VALU_DEP_2) | instskip(NEXT) | instid1(VALU_DEP_2)
	v_ldexp_f32 v9, v9, 1
	v_sub_f32_e32 v13, v14, v17
	v_fma_f32 v17, 0x3f317218, v8, -v102
	s_delay_alu instid0(VALU_DEP_2) | instskip(NEXT) | instid1(VALU_DEP_1)
	v_sub_f32_e32 v13, v15, v13
	v_dual_fmac_f32 v17, 0xb102e308, v8 :: v_dual_add_f32 v8, v9, v13
	s_delay_alu instid0(VALU_DEP_1) | instskip(NEXT) | instid1(VALU_DEP_1)
	v_add_f32_e32 v9, v102, v17
	v_dual_add_f32 v13, v14, v8 :: v_dual_sub_f32 v102, v9, v102
	s_delay_alu instid0(VALU_DEP_1) | instskip(SKIP_1) | instid1(VALU_DEP_3)
	v_add_f32_e32 v15, v9, v13
	v_sub_f32_e32 v14, v13, v14
	v_sub_f32_e32 v17, v17, v102
	s_delay_alu instid0(VALU_DEP_2) | instskip(NEXT) | instid1(VALU_DEP_1)
	v_dual_sub_f32 v103, v15, v9 :: v_dual_sub_f32 v8, v8, v14
	v_sub_f32_e32 v105, v15, v103
	v_sub_f32_e32 v13, v13, v103
	s_delay_alu instid0(VALU_DEP_3) | instskip(NEXT) | instid1(VALU_DEP_3)
	v_add_f32_e32 v14, v17, v8
	v_sub_f32_e32 v9, v9, v105
	s_delay_alu instid0(VALU_DEP_1) | instskip(NEXT) | instid1(VALU_DEP_3)
	v_add_f32_e32 v9, v13, v9
	v_sub_f32_e32 v13, v14, v17
	s_delay_alu instid0(VALU_DEP_2) | instskip(NEXT) | instid1(VALU_DEP_2)
	v_add_f32_e32 v9, v14, v9
	v_sub_f32_e32 v14, v14, v13
	v_sub_f32_e32 v8, v8, v13
	s_delay_alu instid0(VALU_DEP_3) | instskip(NEXT) | instid1(VALU_DEP_1)
	v_add_f32_e32 v102, v15, v9
	v_dual_sub_f32 v14, v17, v14 :: v_dual_sub_f32 v13, v102, v15
	s_delay_alu instid0(VALU_DEP_1) | instskip(NEXT) | instid1(VALU_DEP_1)
	v_dual_add_f32 v8, v8, v14 :: v_dual_sub_f32 v9, v9, v13
	v_add_f32_e32 v8, v8, v9
	s_delay_alu instid0(VALU_DEP_1) | instskip(NEXT) | instid1(VALU_DEP_1)
	v_add_f32_e32 v8, v102, v8
	v_cndmask_b32_e32 v121, v8, v12, vcc_lo
.LBB117_98:                             ;   in Loop: Header=BB117_12 Depth=1
	s_or_b32 exec_lo, exec_lo, s29
	v_cvt_f32_f16_e32 v8, v10
	s_delay_alu instid0(VALU_DEP_1) | instskip(NEXT) | instid1(VALU_DEP_1)
	v_add_f32_e32 v122, s68, v8
	v_cmp_ge_f32_e32 vcc_lo, 0x41a00000, v122
	s_and_b32 s28, s79, vcc_lo
	s_delay_alu instid0(SALU_CYCLE_1)
	s_and_saveexec_b32 s29, s28
	s_cbranch_execz .LBB117_100
; %bb.99:                               ;   in Loop: Header=BB117_12 Depth=1
	v_mul_f32_e32 v8, 0x3fb8aa3b, v122
	v_cmp_ngt_f32_e32 vcc_lo, 0xc2ce8ed0, v122
	s_delay_alu instid0(VALU_DEP_2) | instskip(SKIP_1) | instid1(VALU_DEP_2)
	v_rndne_f32_e32 v9, v8
	v_fma_f32 v12, 0x3fb8aa3b, v122, -v8
	v_sub_f32_e32 v8, v8, v9
	s_delay_alu instid0(VALU_DEP_2) | instskip(SKIP_1) | instid1(VALU_DEP_2)
	v_fmac_f32_e32 v12, 0x32a5705f, v122
	v_cvt_i32_f32_e32 v9, v9
	v_add_f32_e32 v8, v8, v12
	s_delay_alu instid0(VALU_DEP_1) | instskip(SKIP_2) | instid1(VALU_DEP_1)
	v_exp_f32_e32 v8, v8
	s_waitcnt_depctr 0xfff
	v_ldexp_f32 v8, v8, v9
	v_cndmask_b32_e32 v8, 0, v8, vcc_lo
	v_cmp_nlt_f32_e32 vcc_lo, 0x42b17218, v122
	s_delay_alu instid0(VALU_DEP_2) | instskip(NEXT) | instid1(VALU_DEP_1)
	v_cndmask_b32_e32 v12, 0x7f800000, v8, vcc_lo
	v_add_f32_e32 v13, 1.0, v12
	s_delay_alu instid0(VALU_DEP_1) | instskip(NEXT) | instid1(VALU_DEP_1)
	v_cvt_f64_f32_e32 v[8:9], v13
	v_frexp_exp_i32_f64_e32 v8, v[8:9]
	v_frexp_mant_f32_e32 v9, v13
	s_delay_alu instid0(VALU_DEP_1) | instskip(SKIP_1) | instid1(VALU_DEP_1)
	v_cmp_gt_f32_e32 vcc_lo, 0x3f2aaaab, v9
	v_add_f32_e32 v9, -1.0, v13
	v_sub_f32_e32 v15, v9, v13
	s_delay_alu instid0(VALU_DEP_1) | instskip(SKIP_1) | instid1(VALU_DEP_1)
	v_add_f32_e32 v15, 1.0, v15
	v_subrev_co_ci_u32_e32 v8, vcc_lo, 0, v8, vcc_lo
	v_sub_nc_u32_e32 v14, 0, v8
	v_cvt_f32_i32_e32 v8, v8
	s_delay_alu instid0(VALU_DEP_2) | instskip(NEXT) | instid1(VALU_DEP_1)
	v_ldexp_f32 v13, v13, v14
	v_add_f32_e32 v17, 1.0, v13
	v_sub_f32_e32 v9, v12, v9
	v_cmp_eq_f32_e32 vcc_lo, 0x7f800000, v12
	v_cmp_gt_f32_e64 s28, 0x33800000, v12
	s_delay_alu instid0(VALU_DEP_3) | instskip(NEXT) | instid1(VALU_DEP_2)
	v_add_f32_e32 v9, v9, v15
	s_or_b32 vcc_lo, s28, vcc_lo
	s_delay_alu instid0(VALU_DEP_1) | instskip(SKIP_1) | instid1(VALU_DEP_1)
	v_ldexp_f32 v9, v9, v14
	v_add_f32_e32 v14, -1.0, v13
	v_dual_add_f32 v15, -1.0, v17 :: v_dual_add_f32 v102, 1.0, v14
	s_delay_alu instid0(VALU_DEP_1) | instskip(NEXT) | instid1(VALU_DEP_2)
	v_sub_f32_e32 v15, v13, v15
	v_sub_f32_e32 v13, v13, v102
	s_delay_alu instid0(VALU_DEP_2) | instskip(NEXT) | instid1(VALU_DEP_2)
	v_add_f32_e32 v15, v9, v15
	v_add_f32_e32 v9, v9, v13
	s_delay_alu instid0(VALU_DEP_1) | instskip(NEXT) | instid1(VALU_DEP_1)
	v_dual_add_f32 v102, v17, v15 :: v_dual_add_f32 v103, v14, v9
	v_rcp_f32_e32 v13, v102
	s_delay_alu instid0(VALU_DEP_1) | instskip(NEXT) | instid1(VALU_DEP_1)
	v_dual_sub_f32 v17, v17, v102 :: v_dual_sub_f32 v14, v14, v103
	v_add_f32_e32 v15, v15, v17
	s_delay_alu instid0(VALU_DEP_2) | instskip(SKIP_2) | instid1(VALU_DEP_1)
	v_add_f32_e32 v9, v9, v14
	s_waitcnt_depctr 0xfff
	v_mul_f32_e32 v105, v103, v13
	v_mul_f32_e32 v106, v102, v105
	s_delay_alu instid0(VALU_DEP_1) | instskip(NEXT) | instid1(VALU_DEP_1)
	v_fma_f32 v17, v105, v102, -v106
	v_fmac_f32_e32 v17, v105, v15
	s_delay_alu instid0(VALU_DEP_1) | instskip(NEXT) | instid1(VALU_DEP_1)
	v_add_f32_e32 v107, v106, v17
	v_sub_f32_e32 v108, v103, v107
	v_sub_f32_e32 v14, v107, v106
	s_delay_alu instid0(VALU_DEP_1) | instskip(NEXT) | instid1(VALU_DEP_1)
	v_dual_sub_f32 v103, v103, v108 :: v_dual_sub_f32 v14, v14, v17
	v_sub_f32_e32 v103, v103, v107
	s_delay_alu instid0(VALU_DEP_1) | instskip(NEXT) | instid1(VALU_DEP_1)
	v_add_f32_e32 v9, v9, v103
	v_add_f32_e32 v9, v14, v9
	s_delay_alu instid0(VALU_DEP_1) | instskip(NEXT) | instid1(VALU_DEP_1)
	v_add_f32_e32 v14, v108, v9
	v_mul_f32_e32 v17, v13, v14
	v_sub_f32_e32 v107, v108, v14
	s_delay_alu instid0(VALU_DEP_2) | instskip(NEXT) | instid1(VALU_DEP_2)
	v_mul_f32_e32 v103, v102, v17
	v_add_f32_e32 v9, v9, v107
	s_delay_alu instid0(VALU_DEP_2) | instskip(NEXT) | instid1(VALU_DEP_1)
	v_fma_f32 v102, v17, v102, -v103
	v_fmac_f32_e32 v102, v17, v15
	s_delay_alu instid0(VALU_DEP_1) | instskip(NEXT) | instid1(VALU_DEP_1)
	v_add_f32_e32 v15, v103, v102
	v_sub_f32_e32 v106, v14, v15
	s_delay_alu instid0(VALU_DEP_1) | instskip(NEXT) | instid1(VALU_DEP_1)
	v_dual_sub_f32 v103, v15, v103 :: v_dual_sub_f32 v14, v14, v106
	v_dual_sub_f32 v14, v14, v15 :: v_dual_sub_f32 v15, v103, v102
	s_delay_alu instid0(VALU_DEP_1) | instskip(SKIP_1) | instid1(VALU_DEP_2)
	v_add_f32_e32 v9, v9, v14
	v_add_f32_e32 v14, v105, v17
	;; [unrolled: 1-line block ×3, first 2 shown]
	s_delay_alu instid0(VALU_DEP_2) | instskip(NEXT) | instid1(VALU_DEP_2)
	v_sub_f32_e32 v15, v14, v105
	v_add_f32_e32 v9, v106, v9
	s_delay_alu instid0(VALU_DEP_2) | instskip(NEXT) | instid1(VALU_DEP_2)
	v_sub_f32_e32 v15, v17, v15
	v_mul_f32_e32 v9, v13, v9
	s_delay_alu instid0(VALU_DEP_1) | instskip(NEXT) | instid1(VALU_DEP_1)
	v_add_f32_e32 v9, v15, v9
	v_add_f32_e32 v13, v14, v9
	s_delay_alu instid0(VALU_DEP_1) | instskip(NEXT) | instid1(VALU_DEP_1)
	v_mul_f32_e32 v15, v13, v13
	v_fmaak_f32 v17, s83, v15, 0x3ecc95a3
	s_delay_alu instid0(VALU_DEP_1) | instskip(SKIP_2) | instid1(VALU_DEP_3)
	v_dual_mul_f32 v102, v13, v15 :: v_dual_fmaak_f32 v15, v15, v17, 0x3f2aaada
	v_ldexp_f32 v17, v13, 1
	v_sub_f32_e32 v13, v13, v14
	v_dual_mul_f32 v15, v102, v15 :: v_dual_mul_f32 v102, 0x3f317218, v8
	s_delay_alu instid0(VALU_DEP_2) | instskip(NEXT) | instid1(VALU_DEP_2)
	v_sub_f32_e32 v9, v9, v13
	v_add_f32_e32 v14, v17, v15
	s_delay_alu instid0(VALU_DEP_2) | instskip(NEXT) | instid1(VALU_DEP_2)
	v_ldexp_f32 v9, v9, 1
	v_sub_f32_e32 v13, v14, v17
	v_fma_f32 v17, 0x3f317218, v8, -v102
	s_delay_alu instid0(VALU_DEP_2) | instskip(NEXT) | instid1(VALU_DEP_1)
	v_sub_f32_e32 v13, v15, v13
	v_dual_fmac_f32 v17, 0xb102e308, v8 :: v_dual_add_f32 v8, v9, v13
	s_delay_alu instid0(VALU_DEP_1) | instskip(NEXT) | instid1(VALU_DEP_1)
	v_add_f32_e32 v9, v102, v17
	v_dual_add_f32 v13, v14, v8 :: v_dual_sub_f32 v102, v9, v102
	s_delay_alu instid0(VALU_DEP_1) | instskip(SKIP_1) | instid1(VALU_DEP_3)
	v_add_f32_e32 v15, v9, v13
	v_sub_f32_e32 v14, v13, v14
	v_sub_f32_e32 v17, v17, v102
	s_delay_alu instid0(VALU_DEP_2) | instskip(NEXT) | instid1(VALU_DEP_1)
	v_dual_sub_f32 v103, v15, v9 :: v_dual_sub_f32 v8, v8, v14
	v_sub_f32_e32 v105, v15, v103
	v_sub_f32_e32 v13, v13, v103
	s_delay_alu instid0(VALU_DEP_3) | instskip(NEXT) | instid1(VALU_DEP_3)
	v_add_f32_e32 v14, v17, v8
	v_sub_f32_e32 v9, v9, v105
	s_delay_alu instid0(VALU_DEP_1) | instskip(NEXT) | instid1(VALU_DEP_3)
	v_add_f32_e32 v9, v13, v9
	v_sub_f32_e32 v13, v14, v17
	s_delay_alu instid0(VALU_DEP_2) | instskip(NEXT) | instid1(VALU_DEP_2)
	v_add_f32_e32 v9, v14, v9
	v_sub_f32_e32 v14, v14, v13
	v_sub_f32_e32 v8, v8, v13
	s_delay_alu instid0(VALU_DEP_3) | instskip(NEXT) | instid1(VALU_DEP_1)
	v_add_f32_e32 v102, v15, v9
	v_dual_sub_f32 v14, v17, v14 :: v_dual_sub_f32 v13, v102, v15
	s_delay_alu instid0(VALU_DEP_1) | instskip(NEXT) | instid1(VALU_DEP_1)
	v_dual_add_f32 v8, v8, v14 :: v_dual_sub_f32 v9, v9, v13
	v_add_f32_e32 v8, v8, v9
	s_delay_alu instid0(VALU_DEP_1) | instskip(NEXT) | instid1(VALU_DEP_1)
	v_add_f32_e32 v8, v102, v8
	v_cndmask_b32_e32 v122, v8, v12, vcc_lo
.LBB117_100:                            ;   in Loop: Header=BB117_12 Depth=1
	s_or_b32 exec_lo, exec_lo, s29
	v_lshrrev_b32_e32 v8, 16, v10
	s_delay_alu instid0(VALU_DEP_1) | instskip(NEXT) | instid1(VALU_DEP_1)
	v_cvt_f32_f16_e32 v8, v8
	v_add_f32_e32 v123, s68, v8
	s_delay_alu instid0(VALU_DEP_1) | instskip(SKIP_1) | instid1(SALU_CYCLE_1)
	v_cmp_ge_f32_e32 vcc_lo, 0x41a00000, v123
	s_and_b32 s28, s79, vcc_lo
	s_and_saveexec_b32 s29, s28
	s_cbranch_execz .LBB117_102
; %bb.101:                              ;   in Loop: Header=BB117_12 Depth=1
	v_mul_f32_e32 v8, 0x3fb8aa3b, v123
	v_cmp_ngt_f32_e32 vcc_lo, 0xc2ce8ed0, v123
	s_delay_alu instid0(VALU_DEP_2) | instskip(SKIP_1) | instid1(VALU_DEP_2)
	v_rndne_f32_e32 v9, v8
	v_fma_f32 v10, 0x3fb8aa3b, v123, -v8
	v_sub_f32_e32 v8, v8, v9
	s_delay_alu instid0(VALU_DEP_2) | instskip(SKIP_1) | instid1(VALU_DEP_2)
	v_fmac_f32_e32 v10, 0x32a5705f, v123
	v_cvt_i32_f32_e32 v9, v9
	v_add_f32_e32 v8, v8, v10
	s_delay_alu instid0(VALU_DEP_1) | instskip(SKIP_2) | instid1(VALU_DEP_1)
	v_exp_f32_e32 v8, v8
	s_waitcnt_depctr 0xfff
	v_ldexp_f32 v8, v8, v9
	v_cndmask_b32_e32 v8, 0, v8, vcc_lo
	v_cmp_nlt_f32_e32 vcc_lo, 0x42b17218, v123
	s_delay_alu instid0(VALU_DEP_2) | instskip(NEXT) | instid1(VALU_DEP_1)
	v_cndmask_b32_e32 v10, 0x7f800000, v8, vcc_lo
	v_add_f32_e32 v12, 1.0, v10
	s_delay_alu instid0(VALU_DEP_1) | instskip(NEXT) | instid1(VALU_DEP_1)
	v_cvt_f64_f32_e32 v[8:9], v12
	v_frexp_exp_i32_f64_e32 v8, v[8:9]
	v_frexp_mant_f32_e32 v9, v12
	s_delay_alu instid0(VALU_DEP_1) | instskip(SKIP_1) | instid1(VALU_DEP_1)
	v_cmp_gt_f32_e32 vcc_lo, 0x3f2aaaab, v9
	v_add_f32_e32 v9, -1.0, v12
	v_dual_sub_f32 v14, v9, v12 :: v_dual_sub_f32 v9, v10, v9
	v_subrev_co_ci_u32_e32 v8, vcc_lo, 0, v8, vcc_lo
	s_delay_alu instid0(VALU_DEP_1) | instskip(SKIP_1) | instid1(VALU_DEP_2)
	v_sub_nc_u32_e32 v13, 0, v8
	v_cvt_f32_i32_e32 v8, v8
	v_ldexp_f32 v12, v12, v13
	s_delay_alu instid0(VALU_DEP_1) | instskip(NEXT) | instid1(VALU_DEP_1)
	v_dual_add_f32 v14, 1.0, v14 :: v_dual_add_f32 v15, 1.0, v12
	v_add_f32_e32 v9, v9, v14
	s_delay_alu instid0(VALU_DEP_1) | instskip(NEXT) | instid1(VALU_DEP_3)
	v_ldexp_f32 v9, v9, v13
	v_dual_add_f32 v13, -1.0, v12 :: v_dual_add_f32 v14, -1.0, v15
	s_delay_alu instid0(VALU_DEP_1) | instskip(NEXT) | instid1(VALU_DEP_1)
	v_dual_add_f32 v17, 1.0, v13 :: v_dual_sub_f32 v14, v12, v14
	v_sub_f32_e32 v12, v12, v17
	s_delay_alu instid0(VALU_DEP_2) | instskip(NEXT) | instid1(VALU_DEP_2)
	v_add_f32_e32 v14, v9, v14
	v_add_f32_e32 v9, v9, v12
	s_delay_alu instid0(VALU_DEP_2) | instskip(SKIP_2) | instid1(VALU_DEP_3)
	v_add_f32_e32 v17, v15, v14
	v_cmp_eq_f32_e32 vcc_lo, 0x7f800000, v10
	v_cmp_gt_f32_e64 s28, 0x33800000, v10
	v_rcp_f32_e32 v12, v17
	v_sub_f32_e32 v15, v15, v17
	s_delay_alu instid0(VALU_DEP_2) | instskip(NEXT) | instid1(VALU_DEP_1)
	s_or_b32 vcc_lo, s28, vcc_lo
	v_add_f32_e32 v14, v14, v15
	v_add_f32_e32 v102, v13, v9
	s_waitcnt_depctr 0xfff
	v_mul_f32_e32 v103, v102, v12
	s_delay_alu instid0(VALU_DEP_1) | instskip(NEXT) | instid1(VALU_DEP_1)
	v_mul_f32_e32 v105, v17, v103
	v_fma_f32 v15, v103, v17, -v105
	s_delay_alu instid0(VALU_DEP_1) | instskip(SKIP_1) | instid1(VALU_DEP_2)
	v_fmac_f32_e32 v15, v103, v14
	v_sub_f32_e32 v13, v13, v102
	v_add_f32_e32 v106, v105, v15
	s_delay_alu instid0(VALU_DEP_2) | instskip(NEXT) | instid1(VALU_DEP_2)
	v_add_f32_e32 v9, v9, v13
	v_sub_f32_e32 v107, v102, v106
	v_sub_f32_e32 v13, v106, v105
	s_delay_alu instid0(VALU_DEP_2) | instskip(NEXT) | instid1(VALU_DEP_1)
	v_sub_f32_e32 v102, v102, v107
	v_dual_sub_f32 v13, v13, v15 :: v_dual_sub_f32 v102, v102, v106
	s_delay_alu instid0(VALU_DEP_1) | instskip(NEXT) | instid1(VALU_DEP_1)
	v_add_f32_e32 v9, v9, v102
	v_add_f32_e32 v9, v13, v9
	s_delay_alu instid0(VALU_DEP_1) | instskip(NEXT) | instid1(VALU_DEP_1)
	v_add_f32_e32 v13, v107, v9
	v_mul_f32_e32 v15, v12, v13
	v_sub_f32_e32 v106, v107, v13
	s_delay_alu instid0(VALU_DEP_2) | instskip(NEXT) | instid1(VALU_DEP_1)
	v_mul_f32_e32 v102, v17, v15
	v_fma_f32 v17, v15, v17, -v102
	s_delay_alu instid0(VALU_DEP_1) | instskip(NEXT) | instid1(VALU_DEP_1)
	v_fmac_f32_e32 v17, v15, v14
	v_add_f32_e32 v14, v102, v17
	s_delay_alu instid0(VALU_DEP_1) | instskip(SKIP_2) | instid1(VALU_DEP_3)
	v_sub_f32_e32 v105, v13, v14
	v_sub_f32_e32 v102, v14, v102
	v_add_f32_e32 v9, v9, v106
	v_sub_f32_e32 v13, v13, v105
	s_delay_alu instid0(VALU_DEP_1) | instskip(NEXT) | instid1(VALU_DEP_1)
	v_dual_sub_f32 v13, v13, v14 :: v_dual_sub_f32 v14, v102, v17
	v_add_f32_e32 v9, v9, v13
	v_add_f32_e32 v13, v103, v15
	s_delay_alu instid0(VALU_DEP_1) | instskip(NEXT) | instid1(VALU_DEP_1)
	v_dual_add_f32 v9, v14, v9 :: v_dual_sub_f32 v14, v13, v103
	v_dual_add_f32 v9, v105, v9 :: v_dual_sub_f32 v14, v15, v14
	s_delay_alu instid0(VALU_DEP_1) | instskip(NEXT) | instid1(VALU_DEP_1)
	v_mul_f32_e32 v9, v12, v9
	v_add_f32_e32 v9, v14, v9
	s_delay_alu instid0(VALU_DEP_1) | instskip(NEXT) | instid1(VALU_DEP_1)
	v_add_f32_e32 v12, v13, v9
	v_mul_f32_e32 v14, v12, v12
	s_delay_alu instid0(VALU_DEP_1) | instskip(NEXT) | instid1(VALU_DEP_1)
	v_fmaak_f32 v15, s83, v14, 0x3ecc95a3
	v_dual_mul_f32 v17, v12, v14 :: v_dual_fmaak_f32 v14, v14, v15, 0x3f2aaada
	v_ldexp_f32 v15, v12, 1
	s_delay_alu instid0(VALU_DEP_2) | instskip(SKIP_1) | instid1(VALU_DEP_2)
	v_mul_f32_e32 v14, v17, v14
	v_dual_sub_f32 v12, v12, v13 :: v_dual_mul_f32 v17, 0x3f317218, v8
	v_add_f32_e32 v13, v15, v14
	s_delay_alu instid0(VALU_DEP_2) | instskip(NEXT) | instid1(VALU_DEP_2)
	v_sub_f32_e32 v9, v9, v12
	v_sub_f32_e32 v12, v13, v15
	s_delay_alu instid0(VALU_DEP_4) | instskip(NEXT) | instid1(VALU_DEP_3)
	v_fma_f32 v15, 0x3f317218, v8, -v17
	v_ldexp_f32 v9, v9, 1
	s_delay_alu instid0(VALU_DEP_3) | instskip(NEXT) | instid1(VALU_DEP_3)
	v_sub_f32_e32 v12, v14, v12
	v_fmac_f32_e32 v15, 0xb102e308, v8
	s_delay_alu instid0(VALU_DEP_2) | instskip(NEXT) | instid1(VALU_DEP_1)
	v_add_f32_e32 v8, v9, v12
	v_add_f32_e32 v12, v13, v8
	s_delay_alu instid0(VALU_DEP_1) | instskip(NEXT) | instid1(VALU_DEP_1)
	v_sub_f32_e32 v13, v12, v13
	v_dual_sub_f32 v8, v8, v13 :: v_dual_add_f32 v9, v17, v15
	s_delay_alu instid0(VALU_DEP_1) | instskip(NEXT) | instid1(VALU_DEP_1)
	v_add_f32_e32 v14, v9, v12
	v_sub_f32_e32 v102, v14, v9
	s_delay_alu instid0(VALU_DEP_1) | instskip(NEXT) | instid1(VALU_DEP_1)
	v_dual_sub_f32 v17, v9, v17 :: v_dual_sub_f32 v12, v12, v102
	v_sub_f32_e32 v15, v15, v17
	s_delay_alu instid0(VALU_DEP_1) | instskip(SKIP_1) | instid1(VALU_DEP_1)
	v_add_f32_e32 v13, v15, v8
	v_sub_f32_e32 v103, v14, v102
	v_sub_f32_e32 v9, v9, v103
	s_delay_alu instid0(VALU_DEP_1) | instskip(NEXT) | instid1(VALU_DEP_1)
	v_dual_add_f32 v9, v12, v9 :: v_dual_sub_f32 v12, v13, v15
	v_add_f32_e32 v9, v13, v9
	s_delay_alu instid0(VALU_DEP_2) | instskip(NEXT) | instid1(VALU_DEP_2)
	v_sub_f32_e32 v13, v13, v12
	v_dual_sub_f32 v8, v8, v12 :: v_dual_add_f32 v17, v14, v9
	s_delay_alu instid0(VALU_DEP_1) | instskip(NEXT) | instid1(VALU_DEP_1)
	v_dual_sub_f32 v13, v15, v13 :: v_dual_sub_f32 v12, v17, v14
	v_dual_add_f32 v8, v8, v13 :: v_dual_sub_f32 v9, v9, v12
	s_delay_alu instid0(VALU_DEP_1) | instskip(NEXT) | instid1(VALU_DEP_1)
	v_add_f32_e32 v8, v8, v9
	v_add_f32_e32 v8, v17, v8
	s_delay_alu instid0(VALU_DEP_1)
	v_cndmask_b32_e32 v123, v8, v10, vcc_lo
.LBB117_102:                            ;   in Loop: Header=BB117_12 Depth=1
	s_or_b32 exec_lo, exec_lo, s29
	v_cvt_f32_f16_e32 v8, v11
	s_delay_alu instid0(VALU_DEP_1) | instskip(NEXT) | instid1(VALU_DEP_1)
	v_add_f32_e32 v124, s68, v8
	v_cmp_ge_f32_e32 vcc_lo, 0x41a00000, v124
	s_and_b32 s28, s79, vcc_lo
	s_delay_alu instid0(SALU_CYCLE_1)
	s_and_saveexec_b32 s29, s28
	s_cbranch_execz .LBB117_104
; %bb.103:                              ;   in Loop: Header=BB117_12 Depth=1
	v_mul_f32_e32 v8, 0x3fb8aa3b, v124
	v_cmp_ngt_f32_e32 vcc_lo, 0xc2ce8ed0, v124
	s_delay_alu instid0(VALU_DEP_2) | instskip(SKIP_1) | instid1(VALU_DEP_2)
	v_rndne_f32_e32 v9, v8
	v_fma_f32 v10, 0x3fb8aa3b, v124, -v8
	v_sub_f32_e32 v8, v8, v9
	s_delay_alu instid0(VALU_DEP_2) | instskip(SKIP_1) | instid1(VALU_DEP_2)
	v_fmac_f32_e32 v10, 0x32a5705f, v124
	v_cvt_i32_f32_e32 v9, v9
	v_add_f32_e32 v8, v8, v10
	s_delay_alu instid0(VALU_DEP_1) | instskip(SKIP_2) | instid1(VALU_DEP_1)
	v_exp_f32_e32 v8, v8
	s_waitcnt_depctr 0xfff
	v_ldexp_f32 v8, v8, v9
	v_cndmask_b32_e32 v8, 0, v8, vcc_lo
	v_cmp_nlt_f32_e32 vcc_lo, 0x42b17218, v124
	s_delay_alu instid0(VALU_DEP_2) | instskip(NEXT) | instid1(VALU_DEP_1)
	v_cndmask_b32_e32 v10, 0x7f800000, v8, vcc_lo
	v_add_f32_e32 v12, 1.0, v10
	s_delay_alu instid0(VALU_DEP_1) | instskip(NEXT) | instid1(VALU_DEP_1)
	v_cvt_f64_f32_e32 v[8:9], v12
	v_frexp_exp_i32_f64_e32 v8, v[8:9]
	v_frexp_mant_f32_e32 v9, v12
	s_delay_alu instid0(VALU_DEP_1) | instskip(SKIP_1) | instid1(VALU_DEP_1)
	v_cmp_gt_f32_e32 vcc_lo, 0x3f2aaaab, v9
	v_add_f32_e32 v9, -1.0, v12
	v_dual_sub_f32 v14, v9, v12 :: v_dual_sub_f32 v9, v10, v9
	v_subrev_co_ci_u32_e32 v8, vcc_lo, 0, v8, vcc_lo
	s_delay_alu instid0(VALU_DEP_1) | instskip(SKIP_1) | instid1(VALU_DEP_2)
	v_sub_nc_u32_e32 v13, 0, v8
	v_cvt_f32_i32_e32 v8, v8
	v_ldexp_f32 v12, v12, v13
	s_delay_alu instid0(VALU_DEP_1) | instskip(NEXT) | instid1(VALU_DEP_1)
	v_dual_add_f32 v14, 1.0, v14 :: v_dual_add_f32 v15, 1.0, v12
	v_add_f32_e32 v9, v9, v14
	s_delay_alu instid0(VALU_DEP_1) | instskip(NEXT) | instid1(VALU_DEP_3)
	v_ldexp_f32 v9, v9, v13
	v_dual_add_f32 v13, -1.0, v12 :: v_dual_add_f32 v14, -1.0, v15
	s_delay_alu instid0(VALU_DEP_1) | instskip(NEXT) | instid1(VALU_DEP_1)
	v_dual_add_f32 v17, 1.0, v13 :: v_dual_sub_f32 v14, v12, v14
	v_sub_f32_e32 v12, v12, v17
	s_delay_alu instid0(VALU_DEP_2) | instskip(NEXT) | instid1(VALU_DEP_2)
	v_add_f32_e32 v14, v9, v14
	v_add_f32_e32 v9, v9, v12
	s_delay_alu instid0(VALU_DEP_2) | instskip(SKIP_2) | instid1(VALU_DEP_3)
	v_add_f32_e32 v17, v15, v14
	v_cmp_eq_f32_e32 vcc_lo, 0x7f800000, v10
	v_cmp_gt_f32_e64 s28, 0x33800000, v10
	v_rcp_f32_e32 v12, v17
	v_sub_f32_e32 v15, v15, v17
	s_delay_alu instid0(VALU_DEP_2) | instskip(NEXT) | instid1(VALU_DEP_1)
	s_or_b32 vcc_lo, s28, vcc_lo
	v_add_f32_e32 v14, v14, v15
	v_add_f32_e32 v102, v13, v9
	s_waitcnt_depctr 0xfff
	v_mul_f32_e32 v103, v102, v12
	s_delay_alu instid0(VALU_DEP_1) | instskip(NEXT) | instid1(VALU_DEP_1)
	v_mul_f32_e32 v105, v17, v103
	v_fma_f32 v15, v103, v17, -v105
	s_delay_alu instid0(VALU_DEP_1) | instskip(SKIP_1) | instid1(VALU_DEP_2)
	v_fmac_f32_e32 v15, v103, v14
	v_sub_f32_e32 v13, v13, v102
	v_add_f32_e32 v106, v105, v15
	s_delay_alu instid0(VALU_DEP_2) | instskip(NEXT) | instid1(VALU_DEP_2)
	v_add_f32_e32 v9, v9, v13
	v_sub_f32_e32 v107, v102, v106
	v_sub_f32_e32 v13, v106, v105
	s_delay_alu instid0(VALU_DEP_2) | instskip(NEXT) | instid1(VALU_DEP_1)
	v_sub_f32_e32 v102, v102, v107
	v_dual_sub_f32 v13, v13, v15 :: v_dual_sub_f32 v102, v102, v106
	s_delay_alu instid0(VALU_DEP_1) | instskip(NEXT) | instid1(VALU_DEP_1)
	v_add_f32_e32 v9, v9, v102
	v_add_f32_e32 v9, v13, v9
	s_delay_alu instid0(VALU_DEP_1) | instskip(NEXT) | instid1(VALU_DEP_1)
	v_add_f32_e32 v13, v107, v9
	v_mul_f32_e32 v15, v12, v13
	v_sub_f32_e32 v106, v107, v13
	s_delay_alu instid0(VALU_DEP_2) | instskip(NEXT) | instid1(VALU_DEP_1)
	v_mul_f32_e32 v102, v17, v15
	v_fma_f32 v17, v15, v17, -v102
	s_delay_alu instid0(VALU_DEP_1) | instskip(NEXT) | instid1(VALU_DEP_1)
	v_fmac_f32_e32 v17, v15, v14
	v_add_f32_e32 v14, v102, v17
	s_delay_alu instid0(VALU_DEP_1) | instskip(SKIP_2) | instid1(VALU_DEP_3)
	v_sub_f32_e32 v105, v13, v14
	v_sub_f32_e32 v102, v14, v102
	v_add_f32_e32 v9, v9, v106
	v_sub_f32_e32 v13, v13, v105
	s_delay_alu instid0(VALU_DEP_1) | instskip(NEXT) | instid1(VALU_DEP_1)
	v_dual_sub_f32 v13, v13, v14 :: v_dual_sub_f32 v14, v102, v17
	v_add_f32_e32 v9, v9, v13
	v_add_f32_e32 v13, v103, v15
	s_delay_alu instid0(VALU_DEP_1) | instskip(NEXT) | instid1(VALU_DEP_1)
	v_dual_add_f32 v9, v14, v9 :: v_dual_sub_f32 v14, v13, v103
	v_dual_add_f32 v9, v105, v9 :: v_dual_sub_f32 v14, v15, v14
	s_delay_alu instid0(VALU_DEP_1) | instskip(NEXT) | instid1(VALU_DEP_1)
	v_mul_f32_e32 v9, v12, v9
	v_add_f32_e32 v9, v14, v9
	s_delay_alu instid0(VALU_DEP_1) | instskip(NEXT) | instid1(VALU_DEP_1)
	v_add_f32_e32 v12, v13, v9
	v_mul_f32_e32 v14, v12, v12
	s_delay_alu instid0(VALU_DEP_1) | instskip(NEXT) | instid1(VALU_DEP_1)
	v_fmaak_f32 v15, s83, v14, 0x3ecc95a3
	v_dual_mul_f32 v17, v12, v14 :: v_dual_fmaak_f32 v14, v14, v15, 0x3f2aaada
	v_ldexp_f32 v15, v12, 1
	s_delay_alu instid0(VALU_DEP_2) | instskip(SKIP_1) | instid1(VALU_DEP_2)
	v_mul_f32_e32 v14, v17, v14
	v_dual_sub_f32 v12, v12, v13 :: v_dual_mul_f32 v17, 0x3f317218, v8
	v_add_f32_e32 v13, v15, v14
	s_delay_alu instid0(VALU_DEP_2) | instskip(NEXT) | instid1(VALU_DEP_2)
	v_sub_f32_e32 v9, v9, v12
	v_sub_f32_e32 v12, v13, v15
	s_delay_alu instid0(VALU_DEP_4) | instskip(NEXT) | instid1(VALU_DEP_3)
	v_fma_f32 v15, 0x3f317218, v8, -v17
	v_ldexp_f32 v9, v9, 1
	s_delay_alu instid0(VALU_DEP_3) | instskip(NEXT) | instid1(VALU_DEP_3)
	v_sub_f32_e32 v12, v14, v12
	v_fmac_f32_e32 v15, 0xb102e308, v8
	s_delay_alu instid0(VALU_DEP_2) | instskip(NEXT) | instid1(VALU_DEP_1)
	v_add_f32_e32 v8, v9, v12
	v_add_f32_e32 v12, v13, v8
	s_delay_alu instid0(VALU_DEP_1) | instskip(NEXT) | instid1(VALU_DEP_1)
	v_sub_f32_e32 v13, v12, v13
	v_dual_sub_f32 v8, v8, v13 :: v_dual_add_f32 v9, v17, v15
	s_delay_alu instid0(VALU_DEP_1) | instskip(NEXT) | instid1(VALU_DEP_1)
	v_add_f32_e32 v14, v9, v12
	v_sub_f32_e32 v102, v14, v9
	s_delay_alu instid0(VALU_DEP_1) | instskip(NEXT) | instid1(VALU_DEP_1)
	v_dual_sub_f32 v17, v9, v17 :: v_dual_sub_f32 v12, v12, v102
	v_sub_f32_e32 v15, v15, v17
	s_delay_alu instid0(VALU_DEP_1) | instskip(SKIP_1) | instid1(VALU_DEP_1)
	v_add_f32_e32 v13, v15, v8
	v_sub_f32_e32 v103, v14, v102
	v_sub_f32_e32 v9, v9, v103
	s_delay_alu instid0(VALU_DEP_1) | instskip(NEXT) | instid1(VALU_DEP_1)
	v_dual_add_f32 v9, v12, v9 :: v_dual_sub_f32 v12, v13, v15
	v_add_f32_e32 v9, v13, v9
	s_delay_alu instid0(VALU_DEP_2) | instskip(NEXT) | instid1(VALU_DEP_2)
	v_sub_f32_e32 v13, v13, v12
	v_dual_sub_f32 v8, v8, v12 :: v_dual_add_f32 v17, v14, v9
	s_delay_alu instid0(VALU_DEP_1) | instskip(NEXT) | instid1(VALU_DEP_1)
	v_dual_sub_f32 v13, v15, v13 :: v_dual_sub_f32 v12, v17, v14
	v_dual_add_f32 v8, v8, v13 :: v_dual_sub_f32 v9, v9, v12
	s_delay_alu instid0(VALU_DEP_1) | instskip(NEXT) | instid1(VALU_DEP_1)
	v_add_f32_e32 v8, v8, v9
	v_add_f32_e32 v8, v17, v8
	s_delay_alu instid0(VALU_DEP_1)
	v_cndmask_b32_e32 v124, v8, v10, vcc_lo
.LBB117_104:                            ;   in Loop: Header=BB117_12 Depth=1
	s_or_b32 exec_lo, exec_lo, s29
	v_lshrrev_b32_e32 v8, 16, v11
	s_delay_alu instid0(VALU_DEP_1) | instskip(NEXT) | instid1(VALU_DEP_1)
	v_cvt_f32_f16_e32 v8, v8
	v_add_f32_e32 v125, s68, v8
	s_delay_alu instid0(VALU_DEP_1) | instskip(SKIP_1) | instid1(SALU_CYCLE_1)
	v_cmp_ge_f32_e32 vcc_lo, 0x41a00000, v125
	s_and_b32 s28, s79, vcc_lo
	s_and_saveexec_b32 s29, s28
	s_cbranch_execz .LBB117_106
; %bb.105:                              ;   in Loop: Header=BB117_12 Depth=1
	v_mul_f32_e32 v8, 0x3fb8aa3b, v125
	v_cmp_ngt_f32_e32 vcc_lo, 0xc2ce8ed0, v125
	s_delay_alu instid0(VALU_DEP_2) | instskip(SKIP_1) | instid1(VALU_DEP_2)
	v_rndne_f32_e32 v9, v8
	v_fma_f32 v10, 0x3fb8aa3b, v125, -v8
	v_sub_f32_e32 v8, v8, v9
	s_delay_alu instid0(VALU_DEP_2) | instskip(SKIP_1) | instid1(VALU_DEP_2)
	v_fmac_f32_e32 v10, 0x32a5705f, v125
	v_cvt_i32_f32_e32 v9, v9
	v_add_f32_e32 v8, v8, v10
	s_delay_alu instid0(VALU_DEP_1) | instskip(SKIP_2) | instid1(VALU_DEP_1)
	v_exp_f32_e32 v8, v8
	s_waitcnt_depctr 0xfff
	v_ldexp_f32 v8, v8, v9
	v_cndmask_b32_e32 v8, 0, v8, vcc_lo
	v_cmp_nlt_f32_e32 vcc_lo, 0x42b17218, v125
	s_delay_alu instid0(VALU_DEP_2) | instskip(NEXT) | instid1(VALU_DEP_1)
	v_cndmask_b32_e32 v10, 0x7f800000, v8, vcc_lo
	v_add_f32_e32 v11, 1.0, v10
	s_delay_alu instid0(VALU_DEP_1) | instskip(NEXT) | instid1(VALU_DEP_1)
	v_cvt_f64_f32_e32 v[8:9], v11
	v_frexp_exp_i32_f64_e32 v8, v[8:9]
	v_frexp_mant_f32_e32 v9, v11
	s_delay_alu instid0(VALU_DEP_1) | instskip(SKIP_1) | instid1(VALU_DEP_1)
	v_cmp_gt_f32_e32 vcc_lo, 0x3f2aaaab, v9
	v_add_f32_e32 v9, -1.0, v11
	v_sub_f32_e32 v13, v9, v11
	v_sub_f32_e32 v9, v10, v9
	s_delay_alu instid0(VALU_DEP_2) | instskip(NEXT) | instid1(VALU_DEP_1)
	v_add_f32_e32 v13, 1.0, v13
	v_add_f32_e32 v9, v9, v13
	v_cmp_gt_f32_e64 s28, 0x33800000, v10
	v_subrev_co_ci_u32_e32 v8, vcc_lo, 0, v8, vcc_lo
	v_cmp_eq_f32_e32 vcc_lo, 0x7f800000, v10
	s_delay_alu instid0(VALU_DEP_2) | instskip(SKIP_2) | instid1(VALU_DEP_2)
	v_sub_nc_u32_e32 v12, 0, v8
	v_cvt_f32_i32_e32 v8, v8
	s_or_b32 vcc_lo, s28, vcc_lo
	v_ldexp_f32 v11, v11, v12
	v_ldexp_f32 v9, v9, v12
	s_delay_alu instid0(VALU_DEP_2) | instskip(NEXT) | instid1(VALU_DEP_1)
	v_add_f32_e32 v14, 1.0, v11
	v_dual_add_f32 v12, -1.0, v11 :: v_dual_add_f32 v13, -1.0, v14
	s_delay_alu instid0(VALU_DEP_1) | instskip(NEXT) | instid1(VALU_DEP_2)
	v_add_f32_e32 v15, 1.0, v12
	v_sub_f32_e32 v13, v11, v13
	s_delay_alu instid0(VALU_DEP_2) | instskip(NEXT) | instid1(VALU_DEP_2)
	v_sub_f32_e32 v11, v11, v15
	v_add_f32_e32 v13, v9, v13
	s_delay_alu instid0(VALU_DEP_2) | instskip(NEXT) | instid1(VALU_DEP_2)
	v_add_f32_e32 v9, v9, v11
	v_add_f32_e32 v15, v14, v13
	s_delay_alu instid0(VALU_DEP_1) | instskip(NEXT) | instid1(VALU_DEP_2)
	v_rcp_f32_e32 v11, v15
	v_dual_add_f32 v17, v12, v9 :: v_dual_sub_f32 v14, v14, v15
	s_delay_alu instid0(VALU_DEP_1) | instskip(SKIP_2) | instid1(VALU_DEP_1)
	v_dual_sub_f32 v12, v12, v17 :: v_dual_add_f32 v13, v13, v14
	s_waitcnt_depctr 0xfff
	v_mul_f32_e32 v102, v17, v11
	v_mul_f32_e32 v103, v15, v102
	s_delay_alu instid0(VALU_DEP_1) | instskip(NEXT) | instid1(VALU_DEP_1)
	v_fma_f32 v14, v102, v15, -v103
	v_dual_fmac_f32 v14, v102, v13 :: v_dual_add_f32 v9, v9, v12
	s_delay_alu instid0(VALU_DEP_1) | instskip(NEXT) | instid1(VALU_DEP_1)
	v_add_f32_e32 v105, v103, v14
	v_sub_f32_e32 v106, v17, v105
	v_sub_f32_e32 v12, v105, v103
	s_delay_alu instid0(VALU_DEP_2) | instskip(NEXT) | instid1(VALU_DEP_1)
	v_sub_f32_e32 v17, v17, v106
	v_dual_sub_f32 v12, v12, v14 :: v_dual_sub_f32 v17, v17, v105
	s_delay_alu instid0(VALU_DEP_1) | instskip(NEXT) | instid1(VALU_DEP_1)
	v_add_f32_e32 v9, v9, v17
	v_add_f32_e32 v9, v12, v9
	s_delay_alu instid0(VALU_DEP_1) | instskip(NEXT) | instid1(VALU_DEP_1)
	v_add_f32_e32 v12, v106, v9
	v_mul_f32_e32 v14, v11, v12
	v_sub_f32_e32 v105, v106, v12
	s_delay_alu instid0(VALU_DEP_2) | instskip(NEXT) | instid1(VALU_DEP_2)
	v_mul_f32_e32 v17, v15, v14
	v_add_f32_e32 v9, v9, v105
	s_delay_alu instid0(VALU_DEP_2) | instskip(NEXT) | instid1(VALU_DEP_1)
	v_fma_f32 v15, v14, v15, -v17
	v_fmac_f32_e32 v15, v14, v13
	s_delay_alu instid0(VALU_DEP_1) | instskip(NEXT) | instid1(VALU_DEP_1)
	v_add_f32_e32 v13, v17, v15
	v_sub_f32_e32 v103, v12, v13
	s_delay_alu instid0(VALU_DEP_1) | instskip(NEXT) | instid1(VALU_DEP_1)
	v_dual_sub_f32 v17, v13, v17 :: v_dual_sub_f32 v12, v12, v103
	v_dual_sub_f32 v12, v12, v13 :: v_dual_sub_f32 v13, v17, v15
	s_delay_alu instid0(VALU_DEP_1) | instskip(NEXT) | instid1(VALU_DEP_1)
	v_dual_add_f32 v9, v9, v12 :: v_dual_add_f32 v12, v102, v14
	v_add_f32_e32 v9, v13, v9
	s_delay_alu instid0(VALU_DEP_2) | instskip(NEXT) | instid1(VALU_DEP_2)
	v_sub_f32_e32 v13, v12, v102
	v_add_f32_e32 v9, v103, v9
	s_delay_alu instid0(VALU_DEP_2) | instskip(NEXT) | instid1(VALU_DEP_2)
	v_sub_f32_e32 v13, v14, v13
	v_mul_f32_e32 v9, v11, v9
	s_delay_alu instid0(VALU_DEP_1) | instskip(NEXT) | instid1(VALU_DEP_1)
	v_add_f32_e32 v9, v13, v9
	v_add_f32_e32 v11, v12, v9
	s_delay_alu instid0(VALU_DEP_1) | instskip(NEXT) | instid1(VALU_DEP_1)
	v_mul_f32_e32 v13, v11, v11
	v_fmaak_f32 v14, s83, v13, 0x3ecc95a3
	v_mul_f32_e32 v15, v11, v13
	s_delay_alu instid0(VALU_DEP_2) | instskip(SKIP_2) | instid1(VALU_DEP_3)
	v_fmaak_f32 v13, v13, v14, 0x3f2aaada
	v_ldexp_f32 v14, v11, 1
	v_sub_f32_e32 v11, v11, v12
	v_mul_f32_e32 v13, v15, v13
	v_mul_f32_e32 v15, 0x3f317218, v8
	s_delay_alu instid0(VALU_DEP_2) | instskip(NEXT) | instid1(VALU_DEP_1)
	v_dual_sub_f32 v9, v9, v11 :: v_dual_add_f32 v12, v14, v13
	v_ldexp_f32 v9, v9, 1
	s_delay_alu instid0(VALU_DEP_2) | instskip(NEXT) | instid1(VALU_DEP_4)
	v_sub_f32_e32 v11, v12, v14
	v_fma_f32 v14, 0x3f317218, v8, -v15
	s_delay_alu instid0(VALU_DEP_1) | instskip(NEXT) | instid1(VALU_DEP_1)
	v_dual_sub_f32 v11, v13, v11 :: v_dual_fmac_f32 v14, 0xb102e308, v8
	v_dual_add_f32 v8, v9, v11 :: v_dual_add_f32 v9, v15, v14
	s_delay_alu instid0(VALU_DEP_1) | instskip(NEXT) | instid1(VALU_DEP_2)
	v_add_f32_e32 v11, v12, v8
	v_sub_f32_e32 v15, v9, v15
	s_delay_alu instid0(VALU_DEP_2) | instskip(NEXT) | instid1(VALU_DEP_1)
	v_dual_add_f32 v13, v9, v11 :: v_dual_sub_f32 v12, v11, v12
	v_dual_sub_f32 v14, v14, v15 :: v_dual_sub_f32 v17, v13, v9
	s_delay_alu instid0(VALU_DEP_2) | instskip(NEXT) | instid1(VALU_DEP_2)
	v_sub_f32_e32 v8, v8, v12
	v_sub_f32_e32 v102, v13, v17
	s_delay_alu instid0(VALU_DEP_2) | instskip(NEXT) | instid1(VALU_DEP_2)
	v_dual_sub_f32 v11, v11, v17 :: v_dual_add_f32 v12, v14, v8
	v_sub_f32_e32 v9, v9, v102
	s_delay_alu instid0(VALU_DEP_1) | instskip(NEXT) | instid1(VALU_DEP_3)
	v_add_f32_e32 v9, v11, v9
	v_sub_f32_e32 v11, v12, v14
	s_delay_alu instid0(VALU_DEP_2) | instskip(NEXT) | instid1(VALU_DEP_2)
	v_add_f32_e32 v9, v12, v9
	v_sub_f32_e32 v12, v12, v11
	s_delay_alu instid0(VALU_DEP_2) | instskip(NEXT) | instid1(VALU_DEP_1)
	v_dual_sub_f32 v8, v8, v11 :: v_dual_add_f32 v15, v13, v9
	v_dual_sub_f32 v12, v14, v12 :: v_dual_sub_f32 v11, v15, v13
	s_delay_alu instid0(VALU_DEP_1) | instskip(NEXT) | instid1(VALU_DEP_1)
	v_dual_add_f32 v8, v8, v12 :: v_dual_sub_f32 v9, v9, v11
	v_add_f32_e32 v8, v8, v9
	s_delay_alu instid0(VALU_DEP_1) | instskip(NEXT) | instid1(VALU_DEP_1)
	v_add_f32_e32 v8, v15, v8
	v_cndmask_b32_e32 v125, v8, v10, vcc_lo
.LBB117_106:                            ;   in Loop: Header=BB117_12 Depth=1
	s_or_b32 exec_lo, exec_lo, s29
	v_lshrrev_b32_e32 v9, 16, v6
	v_lshrrev_b32_e32 v10, 16, v7
	;; [unrolled: 1-line block ×6, first 2 shown]
	v_cvt_f32_f16_e32 v8, v7
	v_cvt_f32_f16_e32 v7, v9
	;; [unrolled: 1-line block ×7, first 2 shown]
	v_lshrrev_b32_e32 v14, 16, v1
	v_lshrrev_b32_e32 v15, 16, v0
	v_cvt_f32_f16_e32 v6, v6
	v_cvt_f32_f16_e32 v5, v5
	v_cvt_f32_f16_e32 v4, v4
	v_cvt_f32_f16_e32 v3, v3
	v_cvt_f32_f16_e32 v2, v2
	v_cvt_f32_f16_e32 v14, v14
	v_cvt_f32_f16_e32 v1, v1
	v_cvt_f32_f16_e32 v15, v15
	v_cvt_f32_f16_e32 v0, v0
	v_dual_mul_f32 v106, s69, v8 :: v_dual_mul_f32 v107, s69, v6
	v_dual_mul_f32 v102, s69, v7 :: v_dual_mul_f32 v103, s69, v9
	;; [unrolled: 1-line block ×7, first 2 shown]
	v_mul_f32_e32 v113, s69, v15
	v_mul_f32_e32 v112, s69, v11
	s_and_b32 vcc_lo, exec_lo, s80
	s_barrier
	buffer_gl0_inv
	s_cbranch_vccz .LBB117_202
; %bb.107:                              ;   in Loop: Header=BB117_12 Depth=1
	v_dual_mul_f32 v126, v125, v11 :: v_dual_mul_f32 v131, v124, v8
	v_add_co_u32 v11, s28, s61, v16
	s_delay_alu instid0(VALU_DEP_1) | instskip(SKIP_1) | instid1(VALU_DEP_1)
	v_add_co_ci_u32_e64 v17, null, s62, 0, s28
	v_add_co_u32 v16, s28, s74, v16
	v_add_co_ci_u32_e64 v130, null, s75, 0, s28
	s_delay_alu instid0(VALU_DEP_4) | instskip(NEXT) | instid1(VALU_DEP_4)
	v_add_co_u32 v127, vcc_lo, v11, v93
	v_add_co_ci_u32_e32 v128, vcc_lo, 0, v17, vcc_lo
	s_delay_alu instid0(VALU_DEP_4) | instskip(NEXT) | instid1(VALU_DEP_4)
	v_add_co_u32 v129, vcc_lo, v16, v93
	v_add_co_ci_u32_e32 v130, vcc_lo, 0, v130, vcc_lo
	v_cmp_gt_u32_e32 vcc_lo, s40, v18
	s_cmp_lg_u32 s87, 0
	v_cmp_gt_u32_e64 s30, s40, v79
	s_cselect_b32 s51, -1, 0
	s_cmp_eq_u32 s87, s82
	v_cmp_gt_u32_e64 s31, s40, v80
	s_cselect_b32 s88, -1, 0
	s_or_b32 s28, s81, vcc_lo
	v_cmp_gt_u32_e32 vcc_lo, s40, v78
	v_cmp_gt_u32_e64 s33, s40, v81
	v_cmp_gt_u32_e64 s34, s40, v82
	;; [unrolled: 1-line block ×4, first 2 shown]
	s_or_b32 s29, s81, vcc_lo
	v_cmp_gt_u32_e32 vcc_lo, s40, v83
	v_cmp_gt_u32_e64 s38, s40, v86
	v_cmp_gt_u32_e64 s39, s40, v87
	;; [unrolled: 1-line block ×4, first 2 shown]
	s_or_b32 s35, s81, vcc_lo
	v_cmp_gt_u32_e32 vcc_lo, s40, v88
	v_cmp_gt_u32_e64 s43, s40, v91
	v_cmp_gt_u32_e64 s44, s40, v92
	v_dual_mul_f32 v132, v123, v7 :: v_dual_mul_f32 v133, v122, v6
	v_dual_mul_f32 v134, v121, v9 :: v_dual_mul_f32 v137, v104, v4
	;; [unrolled: 1-line block ×7, first 2 shown]
	s_mov_b32 s66, 0
	s_or_b32 s30, s81, s30
	s_or_b32 s31, s81, s31
	s_or_b32 s33, s81, s33
	s_or_b32 s34, s81, s34
	s_or_b32 s36, s81, s36
	s_or_b32 s37, s81, s37
	s_or_b32 s38, s81, s38
	s_or_b32 s39, s81, s39
	s_or_b32 s40, s81, vcc_lo
	s_or_b32 s41, s81, s41
	s_or_b32 s42, s81, s42
	;; [unrolled: 1-line block ×4, first 2 shown]
	s_mov_b32 s52, s66
	s_mov_b32 s54, s66
	;; [unrolled: 1-line block ×5, first 2 shown]
	s_branch .LBB117_109
.LBB117_108:                            ;   in Loop: Header=BB117_109 Depth=2
	s_or_b32 exec_lo, exec_lo, s45
	v_cndmask_b32_e64 v9, v175, v11, s11
	v_cndmask_b32_e64 v10, v174, v10, s11
	s_add_i32 s89, s89, -1
	s_add_i32 s90, s90, 8
	s_add_i32 s58, s58, s49
	v_fma_f32 v9, v9, v146, v15
	v_mul_f32_e32 v10, v10, v146
	s_add_i32 s54, s54, s48
	s_add_i32 s52, s52, s60
	;; [unrolled: 1-line block ×3, first 2 shown]
	v_cndmask_b32_e64 v9, v9, v15, s10
	v_cndmask_b32_e64 v10, v10, v146, s10
	s_cmp_eq_u32 s89, 0
	s_waitcnt lgkmcnt(0)
	s_delay_alu instid0(VALU_DEP_1) | instskip(NEXT) | instid1(VALU_DEP_1)
	v_fmac_f32_e32 v9, v8, v10
	v_fmac_f32_e32 v12, v9, v148
	s_delay_alu instid0(VALU_DEP_1) | instskip(NEXT) | instid1(VALU_DEP_1)
	v_fmac_f32_e32 v13, v12, v150
	v_fmac_f32_e32 v14, v13, v152
	v_fma_mix_f32 v120, v9, v4, v120 op_sel_hi:[0,1,0]
	s_delay_alu instid0(VALU_DEP_2) | instskip(SKIP_2) | instid1(VALU_DEP_3)
	v_fmac_f32_e32 v147, v14, v154
	v_fma_mix_f32 v113, v12, v4, v113 op_sel:[0,1,0] op_sel_hi:[0,1,0]
	v_fma_mix_f32 v114, v14, v5, v114 op_sel:[0,1,0] op_sel_hi:[0,1,0]
	v_fmac_f32_e32 v149, v147, v155
	v_fma_mix_f32 v117, v147, v6, v117 op_sel_hi:[0,1,0]
	s_delay_alu instid0(VALU_DEP_2) | instskip(SKIP_1) | instid1(VALU_DEP_2)
	v_fmac_f32_e32 v151, v149, v157
	v_fma_mix_f32 v110, v149, v6, v110 op_sel:[0,1,0] op_sel_hi:[0,1,0]
	v_fmac_f32_e32 v153, v151, v160
	s_delay_alu instid0(VALU_DEP_1) | instskip(SKIP_1) | instid1(VALU_DEP_2)
	v_fmac_f32_e32 v156, v153, v161
	v_fma_mix_f32 v119, v13, v5, v119 op_sel_hi:[0,1,0]
	v_fmac_f32_e32 v158, v156, v162
	v_fma_mix_f32 v116, v151, v7, v116 op_sel_hi:[0,1,0]
	v_fma_mix_f32 v111, v156, v0, v111 op_sel_hi:[0,1,0]
	s_delay_alu instid0(VALU_DEP_3) | instskip(SKIP_1) | instid1(VALU_DEP_2)
	v_fmac_f32_e32 v159, v158, v163
	v_fma_mix_f32 v105, v158, v0, v105 op_sel:[0,1,0] op_sel_hi:[0,1,0]
	v_fmac_f32_e32 v164, v159, v170
	v_fma_mix_f32 v108, v159, v1, v108 op_sel_hi:[0,1,0]
	s_delay_alu instid0(VALU_DEP_2) | instskip(NEXT) | instid1(VALU_DEP_1)
	v_fmac_f32_e32 v165, v164, v167
	v_fmac_f32_e32 v166, v165, v169
	v_fma_mix_f32 v109, v153, v7, v109 op_sel:[0,1,0] op_sel_hi:[0,1,0]
	s_delay_alu instid0(VALU_DEP_2) | instskip(SKIP_2) | instid1(VALU_DEP_3)
	v_fmac_f32_e32 v168, v166, v172
	v_fma_mix_f32 v107, v165, v2, v107 op_sel_hi:[0,1,0]
	v_fma_mix_f32 v102, v166, v2, v102 op_sel:[0,1,0] op_sel_hi:[0,1,0]
	v_fmac_f32_e32 v171, v168, v173
	v_fma_mix_f32 v103, v164, v1, v103 op_sel:[0,1,0] op_sel_hi:[0,1,0]
	v_fma_mix_f32 v106, v168, v3, v106 op_sel_hi:[0,1,0]
	s_delay_alu instid0(VALU_DEP_3)
	v_fma_mix_f32 v112, v171, v3, v112 op_sel:[0,1,0] op_sel_hi:[0,1,0]
	s_cbranch_scc1 .LBB117_202
.LBB117_109:                            ;   Parent Loop BB117_12 Depth=1
                                        ; =>  This Inner Loop Header: Depth=2
	s_lshl_b64 s[92:93], s[66:67], 2
	s_mov_b32 s53, s67
	s_add_u32 s92, s72, s92
	s_addc_u32 s93, s73, s93
	v_dual_mov_b32 v2, 0 :: v_dual_mov_b32 v3, 0
	global_load_b32 v146, v21, s[92:93]
	s_lshl_b64 s[92:93], s[52:53], 1
	s_delay_alu instid0(SALU_CYCLE_1)
	v_add_co_u32 v0, vcc_lo, v127, s92
	v_add_co_ci_u32_e32 v1, vcc_lo, s93, v128, vcc_lo
	s_and_saveexec_b32 s45, s12
	s_cbranch_execnz .LBB117_145
; %bb.110:                              ;   in Loop: Header=BB117_109 Depth=2
	s_or_b32 exec_lo, exec_lo, s45
	s_and_saveexec_b32 s45, s13
	s_cbranch_execnz .LBB117_146
.LBB117_111:                            ;   in Loop: Header=BB117_109 Depth=2
	s_or_b32 exec_lo, exec_lo, s45
	v_mov_b32_e32 v4, 0
	s_and_saveexec_b32 s45, s14
	s_cbranch_execnz .LBB117_147
.LBB117_112:                            ;   in Loop: Header=BB117_109 Depth=2
	s_or_b32 exec_lo, exec_lo, s45
	s_and_saveexec_b32 s45, s15
	s_cbranch_execnz .LBB117_148
.LBB117_113:                            ;   in Loop: Header=BB117_109 Depth=2
	s_or_b32 exec_lo, exec_lo, s45
	v_mov_b32_e32 v5, 0
	s_and_saveexec_b32 s45, s16
	s_cbranch_execnz .LBB117_149
.LBB117_114:                            ;   in Loop: Header=BB117_109 Depth=2
	s_or_b32 exec_lo, exec_lo, s45
	s_and_saveexec_b32 s45, s17
	s_cbranch_execnz .LBB117_150
.LBB117_115:                            ;   in Loop: Header=BB117_109 Depth=2
	s_or_b32 exec_lo, exec_lo, s45
	v_mov_b32_e32 v6, 0
	s_and_saveexec_b32 s45, s18
	s_cbranch_execnz .LBB117_151
.LBB117_116:                            ;   in Loop: Header=BB117_109 Depth=2
	s_or_b32 exec_lo, exec_lo, s45
	s_and_saveexec_b32 s45, s19
	s_cbranch_execnz .LBB117_152
.LBB117_117:                            ;   in Loop: Header=BB117_109 Depth=2
	s_or_b32 exec_lo, exec_lo, s45
	v_mov_b32_e32 v7, 0
	s_and_saveexec_b32 s45, s20
	s_cbranch_execnz .LBB117_153
.LBB117_118:                            ;   in Loop: Header=BB117_109 Depth=2
	s_or_b32 exec_lo, exec_lo, s45
	s_and_saveexec_b32 s45, s21
	s_cbranch_execnz .LBB117_154
.LBB117_119:                            ;   in Loop: Header=BB117_109 Depth=2
	s_or_b32 exec_lo, exec_lo, s45
	v_mov_b32_e32 v8, 0
	s_and_saveexec_b32 s45, s22
	s_cbranch_execnz .LBB117_155
.LBB117_120:                            ;   in Loop: Header=BB117_109 Depth=2
	s_or_b32 exec_lo, exec_lo, s45
	s_and_saveexec_b32 s45, s23
	s_cbranch_execnz .LBB117_156
.LBB117_121:                            ;   in Loop: Header=BB117_109 Depth=2
	s_or_b32 exec_lo, exec_lo, s45
	v_mov_b32_e32 v9, 0
	s_and_saveexec_b32 s45, s24
	s_cbranch_execnz .LBB117_157
.LBB117_122:                            ;   in Loop: Header=BB117_109 Depth=2
	s_or_b32 exec_lo, exec_lo, s45
	s_and_saveexec_b32 s45, s25
	s_cbranch_execnz .LBB117_158
.LBB117_123:                            ;   in Loop: Header=BB117_109 Depth=2
	s_or_b32 exec_lo, exec_lo, s45
	v_mov_b32_e32 v10, 0
	s_and_saveexec_b32 s45, s26
	s_cbranch_execnz .LBB117_159
.LBB117_124:                            ;   in Loop: Header=BB117_109 Depth=2
	s_or_b32 exec_lo, exec_lo, s45
	s_and_saveexec_b32 s45, s27
	s_cbranch_execz .LBB117_126
.LBB117_125:                            ;   in Loop: Header=BB117_109 Depth=2
	global_load_u16 v0, v[0:1], off offset:960
	s_waitcnt vmcnt(0)
	v_lshl_or_b32 v10, v0, 16, v10
.LBB117_126:                            ;   in Loop: Header=BB117_109 Depth=2
	s_or_b32 exec_lo, exec_lo, s45
	s_waitcnt vmcnt(0)
	ds_store_b16 v37, v3
	ds_store_b16 v37, v2 offset:64
	ds_store_b16 v38, v4 offset:128
	ds_store_b16_d16_hi v39, v4 offset:192
	ds_store_b16 v40, v5 offset:256
	ds_store_b16_d16_hi v41, v5 offset:320
	ds_store_b16 v42, v6 offset:384
	ds_store_b16_d16_hi v43, v6 offset:448
	ds_store_b16 v44, v7 offset:512
	ds_store_b16_d16_hi v45, v7 offset:576
	ds_store_b16 v46, v8 offset:640
	ds_store_b16_d16_hi v47, v8 offset:704
	ds_store_b16 v48, v9 offset:768
	ds_store_b16_d16_hi v49, v9 offset:832
	ds_store_b16 v50, v10 offset:896
	ds_store_b16_d16_hi v51, v10 offset:960
	; wave barrier
	ds_load_b128 v[12:15], v52
	ds_load_b128 v[8:11], v52 offset:16
	s_mov_b32 s55, s67
	v_dual_mov_b32 v2, 0 :: v_dual_mov_b32 v3, 0
	s_lshl_b64 s[92:93], s[54:55], 1
	s_delay_alu instid0(SALU_CYCLE_1)
	v_add_co_u32 v0, vcc_lo, v129, s92
	v_add_co_ci_u32_e32 v1, vcc_lo, s93, v130, vcc_lo
	s_and_saveexec_b32 s45, s12
	s_cbranch_execnz .LBB117_160
; %bb.127:                              ;   in Loop: Header=BB117_109 Depth=2
	s_or_b32 exec_lo, exec_lo, s45
	s_and_saveexec_b32 s45, s13
	s_cbranch_execnz .LBB117_161
.LBB117_128:                            ;   in Loop: Header=BB117_109 Depth=2
	s_or_b32 exec_lo, exec_lo, s45
	v_mov_b32_e32 v4, 0
	s_and_saveexec_b32 s45, s14
	s_cbranch_execnz .LBB117_162
.LBB117_129:                            ;   in Loop: Header=BB117_109 Depth=2
	s_or_b32 exec_lo, exec_lo, s45
	s_and_saveexec_b32 s45, s15
	s_cbranch_execnz .LBB117_163
.LBB117_130:                            ;   in Loop: Header=BB117_109 Depth=2
	s_or_b32 exec_lo, exec_lo, s45
	v_mov_b32_e32 v5, 0
	s_and_saveexec_b32 s45, s16
	s_cbranch_execnz .LBB117_164
.LBB117_131:                            ;   in Loop: Header=BB117_109 Depth=2
	s_or_b32 exec_lo, exec_lo, s45
	s_and_saveexec_b32 s45, s17
	s_cbranch_execnz .LBB117_165
.LBB117_132:                            ;   in Loop: Header=BB117_109 Depth=2
	s_or_b32 exec_lo, exec_lo, s45
	v_mov_b32_e32 v6, 0
	s_and_saveexec_b32 s45, s18
	s_cbranch_execnz .LBB117_166
.LBB117_133:                            ;   in Loop: Header=BB117_109 Depth=2
	s_or_b32 exec_lo, exec_lo, s45
	s_and_saveexec_b32 s45, s19
	s_cbranch_execnz .LBB117_167
.LBB117_134:                            ;   in Loop: Header=BB117_109 Depth=2
	s_or_b32 exec_lo, exec_lo, s45
	v_mov_b32_e32 v7, 0
	s_and_saveexec_b32 s45, s20
	s_cbranch_execnz .LBB117_168
.LBB117_135:                            ;   in Loop: Header=BB117_109 Depth=2
	s_or_b32 exec_lo, exec_lo, s45
	s_and_saveexec_b32 s45, s21
	s_cbranch_execnz .LBB117_169
.LBB117_136:                            ;   in Loop: Header=BB117_109 Depth=2
	s_or_b32 exec_lo, exec_lo, s45
	v_mov_b32_e32 v16, 0
	s_and_saveexec_b32 s45, s22
	s_cbranch_execnz .LBB117_170
.LBB117_137:                            ;   in Loop: Header=BB117_109 Depth=2
	s_or_b32 exec_lo, exec_lo, s45
	s_and_saveexec_b32 s45, s23
	s_cbranch_execnz .LBB117_171
.LBB117_138:                            ;   in Loop: Header=BB117_109 Depth=2
	s_or_b32 exec_lo, exec_lo, s45
	v_mov_b32_e32 v17, 0
	s_and_saveexec_b32 s45, s24
	s_cbranch_execnz .LBB117_172
.LBB117_139:                            ;   in Loop: Header=BB117_109 Depth=2
	s_or_b32 exec_lo, exec_lo, s45
	s_and_saveexec_b32 s45, s25
	s_cbranch_execnz .LBB117_173
.LBB117_140:                            ;   in Loop: Header=BB117_109 Depth=2
	s_or_b32 exec_lo, exec_lo, s45
	v_mov_b32_e32 v147, 0
	s_and_saveexec_b32 s45, s26
	s_cbranch_execnz .LBB117_174
.LBB117_141:                            ;   in Loop: Header=BB117_109 Depth=2
	s_or_b32 exec_lo, exec_lo, s45
	s_and_saveexec_b32 s45, s27
	s_cbranch_execz .LBB117_143
.LBB117_142:                            ;   in Loop: Header=BB117_109 Depth=2
	global_load_u16 v0, v[0:1], off offset:960
	s_waitcnt vmcnt(0)
	v_lshl_or_b32 v147, v0, 16, v147
.LBB117_143:                            ;   in Loop: Header=BB117_109 Depth=2
	s_or_b32 exec_lo, exec_lo, s45
	s_waitcnt vmcnt(0)
	ds_store_b16 v37, v3 offset:2112
	ds_store_b16 v53, v2 offset:64
	;; [unrolled: 1-line block ×3, first 2 shown]
	ds_store_b16_d16_hi v55, v4 offset:192
	ds_store_b16 v56, v5 offset:256
	ds_store_b16_d16_hi v57, v5 offset:320
	ds_store_b16 v58, v6 offset:384
	;; [unrolled: 2-line block ×6, first 2 shown]
	ds_store_b16_d16_hi v67, v147 offset:960
	; wave barrier
	ds_load_b128 v[4:7], v52 offset:2112
	ds_load_b128 v[0:3], v68 offset:16
	s_and_not1_b32 vcc_lo, exec_lo, s51
	s_cbranch_vccnz .LBB117_175
; %bb.144:                              ;   in Loop: Header=BB117_109 Depth=2
	v_mov_b32_e32 v16, s90
	ds_load_b64 v[16:17], v16
	s_cbranch_execz .LBB117_176
	s_branch .LBB117_179
.LBB117_145:                            ;   in Loop: Header=BB117_109 Depth=2
	global_load_u16 v3, v[0:1], off
	s_or_b32 exec_lo, exec_lo, s45
	s_and_saveexec_b32 s45, s13
	s_cbranch_execz .LBB117_111
.LBB117_146:                            ;   in Loop: Header=BB117_109 Depth=2
	global_load_u16 v2, v[0:1], off offset:64
	s_or_b32 exec_lo, exec_lo, s45
	v_mov_b32_e32 v4, 0
	s_and_saveexec_b32 s45, s14
	s_cbranch_execz .LBB117_112
.LBB117_147:                            ;   in Loop: Header=BB117_109 Depth=2
	global_load_u16 v4, v[0:1], off offset:128
	s_or_b32 exec_lo, exec_lo, s45
	s_and_saveexec_b32 s45, s15
	s_cbranch_execz .LBB117_113
.LBB117_148:                            ;   in Loop: Header=BB117_109 Depth=2
	global_load_u16 v5, v[0:1], off offset:192
	s_waitcnt vmcnt(0)
	v_lshl_or_b32 v4, v5, 16, v4
	s_or_b32 exec_lo, exec_lo, s45
	v_mov_b32_e32 v5, 0
	s_and_saveexec_b32 s45, s16
	s_cbranch_execz .LBB117_114
.LBB117_149:                            ;   in Loop: Header=BB117_109 Depth=2
	global_load_u16 v5, v[0:1], off offset:256
	s_or_b32 exec_lo, exec_lo, s45
	s_and_saveexec_b32 s45, s17
	s_cbranch_execz .LBB117_115
.LBB117_150:                            ;   in Loop: Header=BB117_109 Depth=2
	global_load_u16 v6, v[0:1], off offset:320
	s_waitcnt vmcnt(0)
	v_lshl_or_b32 v5, v6, 16, v5
	s_or_b32 exec_lo, exec_lo, s45
	v_mov_b32_e32 v6, 0
	s_and_saveexec_b32 s45, s18
	s_cbranch_execz .LBB117_116
.LBB117_151:                            ;   in Loop: Header=BB117_109 Depth=2
	global_load_u16 v6, v[0:1], off offset:384
	s_or_b32 exec_lo, exec_lo, s45
	s_and_saveexec_b32 s45, s19
	s_cbranch_execz .LBB117_117
.LBB117_152:                            ;   in Loop: Header=BB117_109 Depth=2
	global_load_u16 v7, v[0:1], off offset:448
	s_waitcnt vmcnt(0)
	v_lshl_or_b32 v6, v7, 16, v6
	s_or_b32 exec_lo, exec_lo, s45
	v_mov_b32_e32 v7, 0
	s_and_saveexec_b32 s45, s20
	s_cbranch_execz .LBB117_118
.LBB117_153:                            ;   in Loop: Header=BB117_109 Depth=2
	global_load_u16 v7, v[0:1], off offset:512
	s_or_b32 exec_lo, exec_lo, s45
	s_and_saveexec_b32 s45, s21
	s_cbranch_execz .LBB117_119
.LBB117_154:                            ;   in Loop: Header=BB117_109 Depth=2
	global_load_u16 v8, v[0:1], off offset:576
	s_waitcnt vmcnt(0)
	v_lshl_or_b32 v7, v8, 16, v7
	s_or_b32 exec_lo, exec_lo, s45
	v_mov_b32_e32 v8, 0
	s_and_saveexec_b32 s45, s22
	s_cbranch_execz .LBB117_120
.LBB117_155:                            ;   in Loop: Header=BB117_109 Depth=2
	global_load_u16 v8, v[0:1], off offset:640
	s_or_b32 exec_lo, exec_lo, s45
	s_and_saveexec_b32 s45, s23
	s_cbranch_execz .LBB117_121
.LBB117_156:                            ;   in Loop: Header=BB117_109 Depth=2
	global_load_u16 v9, v[0:1], off offset:704
	s_waitcnt vmcnt(0)
	v_lshl_or_b32 v8, v9, 16, v8
	s_or_b32 exec_lo, exec_lo, s45
	v_mov_b32_e32 v9, 0
	s_and_saveexec_b32 s45, s24
	s_cbranch_execz .LBB117_122
.LBB117_157:                            ;   in Loop: Header=BB117_109 Depth=2
	global_load_u16 v9, v[0:1], off offset:768
	s_or_b32 exec_lo, exec_lo, s45
	s_and_saveexec_b32 s45, s25
	s_cbranch_execz .LBB117_123
.LBB117_158:                            ;   in Loop: Header=BB117_109 Depth=2
	global_load_u16 v10, v[0:1], off offset:832
	s_waitcnt vmcnt(0)
	v_lshl_or_b32 v9, v10, 16, v9
	s_or_b32 exec_lo, exec_lo, s45
	v_mov_b32_e32 v10, 0
	s_and_saveexec_b32 s45, s26
	s_cbranch_execz .LBB117_124
.LBB117_159:                            ;   in Loop: Header=BB117_109 Depth=2
	global_load_u16 v10, v[0:1], off offset:896
	s_or_b32 exec_lo, exec_lo, s45
	s_and_saveexec_b32 s45, s27
	s_cbranch_execnz .LBB117_125
	s_branch .LBB117_126
.LBB117_160:                            ;   in Loop: Header=BB117_109 Depth=2
	global_load_u16 v3, v[0:1], off
	s_or_b32 exec_lo, exec_lo, s45
	s_and_saveexec_b32 s45, s13
	s_cbranch_execz .LBB117_128
.LBB117_161:                            ;   in Loop: Header=BB117_109 Depth=2
	global_load_u16 v2, v[0:1], off offset:64
	s_or_b32 exec_lo, exec_lo, s45
	v_mov_b32_e32 v4, 0
	s_and_saveexec_b32 s45, s14
	s_cbranch_execz .LBB117_129
.LBB117_162:                            ;   in Loop: Header=BB117_109 Depth=2
	global_load_u16 v4, v[0:1], off offset:128
	s_or_b32 exec_lo, exec_lo, s45
	s_and_saveexec_b32 s45, s15
	s_cbranch_execz .LBB117_130
.LBB117_163:                            ;   in Loop: Header=BB117_109 Depth=2
	global_load_u16 v5, v[0:1], off offset:192
	s_waitcnt vmcnt(0)
	v_lshl_or_b32 v4, v5, 16, v4
	s_or_b32 exec_lo, exec_lo, s45
	v_mov_b32_e32 v5, 0
	s_and_saveexec_b32 s45, s16
	s_cbranch_execz .LBB117_131
.LBB117_164:                            ;   in Loop: Header=BB117_109 Depth=2
	global_load_u16 v5, v[0:1], off offset:256
	s_or_b32 exec_lo, exec_lo, s45
	s_and_saveexec_b32 s45, s17
	s_cbranch_execz .LBB117_132
.LBB117_165:                            ;   in Loop: Header=BB117_109 Depth=2
	global_load_u16 v6, v[0:1], off offset:320
	s_waitcnt vmcnt(0)
	v_lshl_or_b32 v5, v6, 16, v5
	s_or_b32 exec_lo, exec_lo, s45
	v_mov_b32_e32 v6, 0
	s_and_saveexec_b32 s45, s18
	s_cbranch_execz .LBB117_133
.LBB117_166:                            ;   in Loop: Header=BB117_109 Depth=2
	global_load_u16 v6, v[0:1], off offset:384
	s_or_b32 exec_lo, exec_lo, s45
	s_and_saveexec_b32 s45, s19
	s_cbranch_execz .LBB117_134
.LBB117_167:                            ;   in Loop: Header=BB117_109 Depth=2
	global_load_u16 v7, v[0:1], off offset:448
	s_waitcnt vmcnt(0)
	v_lshl_or_b32 v6, v7, 16, v6
	s_or_b32 exec_lo, exec_lo, s45
	v_mov_b32_e32 v7, 0
	s_and_saveexec_b32 s45, s20
	s_cbranch_execz .LBB117_135
.LBB117_168:                            ;   in Loop: Header=BB117_109 Depth=2
	global_load_u16 v7, v[0:1], off offset:512
	s_or_b32 exec_lo, exec_lo, s45
	s_and_saveexec_b32 s45, s21
	s_cbranch_execz .LBB117_136
.LBB117_169:                            ;   in Loop: Header=BB117_109 Depth=2
	global_load_u16 v16, v[0:1], off offset:576
	s_waitcnt vmcnt(0)
	v_lshl_or_b32 v7, v16, 16, v7
	s_or_b32 exec_lo, exec_lo, s45
	v_mov_b32_e32 v16, 0
	s_and_saveexec_b32 s45, s22
	s_cbranch_execz .LBB117_137
.LBB117_170:                            ;   in Loop: Header=BB117_109 Depth=2
	global_load_u16 v16, v[0:1], off offset:640
	s_or_b32 exec_lo, exec_lo, s45
	s_and_saveexec_b32 s45, s23
	s_cbranch_execz .LBB117_138
.LBB117_171:                            ;   in Loop: Header=BB117_109 Depth=2
	global_load_u16 v17, v[0:1], off offset:704
	s_waitcnt vmcnt(0)
	v_lshl_or_b32 v16, v17, 16, v16
	s_or_b32 exec_lo, exec_lo, s45
	v_mov_b32_e32 v17, 0
	s_and_saveexec_b32 s45, s24
	s_cbranch_execz .LBB117_139
.LBB117_172:                            ;   in Loop: Header=BB117_109 Depth=2
	global_load_u16 v17, v[0:1], off offset:768
	s_or_b32 exec_lo, exec_lo, s45
	s_and_saveexec_b32 s45, s25
	s_cbranch_execz .LBB117_140
.LBB117_173:                            ;   in Loop: Header=BB117_109 Depth=2
	global_load_u16 v147, v[0:1], off offset:832
	s_waitcnt vmcnt(0)
	v_lshl_or_b32 v17, v147, 16, v17
	s_or_b32 exec_lo, exec_lo, s45
	v_mov_b32_e32 v147, 0
	s_and_saveexec_b32 s45, s26
	s_cbranch_execz .LBB117_141
.LBB117_174:                            ;   in Loop: Header=BB117_109 Depth=2
	global_load_u16 v147, v[0:1], off offset:896
	s_or_b32 exec_lo, exec_lo, s45
	s_and_saveexec_b32 s45, s27
	s_cbranch_execnz .LBB117_142
	s_branch .LBB117_143
.LBB117_175:                            ;   in Loop: Header=BB117_109 Depth=2
                                        ; implicit-def: $vgpr16
.LBB117_176:                            ;   in Loop: Header=BB117_109 Depth=2
	s_waitcnt lgkmcnt(0)
	v_mov_b32_e32 v17, 0
	s_and_not1_b32 vcc_lo, exec_lo, s47
	s_cbranch_vccnz .LBB117_178
; %bb.177:                              ;   in Loop: Header=BB117_109 Depth=2
	s_mov_b32 s59, s67
	s_delay_alu instid0(SALU_CYCLE_1) | instskip(NEXT) | instid1(SALU_CYCLE_1)
	s_lshl_b64 s[92:93], s[58:59], 2
	s_add_u32 s92, s76, s92
	s_addc_u32 s93, s77, s93
	global_load_b32 v17, v21, s[92:93]
.LBB117_178:                            ;   in Loop: Header=BB117_109 Depth=2
	v_mov_b32_e32 v16, 1.0
.LBB117_179:                            ;   in Loop: Header=BB117_109 Depth=2
	v_mul_f32_e32 v168, 0x3fb8aa3b, v146
	s_waitcnt lgkmcnt(19)
	v_lshrrev_b32_e32 v148, 16, v13
	v_lshrrev_b32_e32 v149, 16, v14
	v_cvt_f32_f16_e32 v13, v13
	v_cvt_f32_f16_e64 v156, v14
	v_mul_f32_e32 v14, v168, v94
	v_lshrrev_b32_e32 v147, 16, v12
	v_lshrrev_b32_e32 v150, 16, v15
	v_mul_f32_e32 v13, v143, v13
	v_cvt_f32_f16_e32 v12, v12
	v_cmp_gt_f32_e32 vcc_lo, 0xc2fc0000, v14
	v_cvt_f32_f16_e64 v157, v15
	v_mul_f32_e32 v15, v168, v95
	v_cvt_f32_f16_e64 v155, v148
	v_mul_f32_e32 v12, v145, v12
	v_cndmask_b32_e64 v14, 0, 0x42800000, vcc_lo
	v_mul_f32_e32 v146, v168, v96
	v_cmp_gt_f32_e64 s45, 0xc2fc0000, v15
	v_cndmask_b32_e64 v148, 1.0, 0x1f800000, vcc_lo
	s_waitcnt lgkmcnt(18)
	v_lshrrev_b32_e32 v151, 16, v8
	v_fmac_f32_e32 v14, v168, v94
	v_cvt_f32_f16_e64 v147, v147
	v_cndmask_b32_e64 v15, 0, 0x42800000, s45
	v_cvt_f32_f16_e64 v158, v150
	v_cmp_gt_f32_e32 vcc_lo, 0xc2fc0000, v146
	v_exp_f32_e32 v14, v14
	v_mul_f32_e32 v146, v168, v97
	v_fmac_f32_e32 v15, v168, v95
	v_cvt_f32_f16_e64 v159, v151
	v_cndmask_b32_e64 v151, 0, 0x42800000, vcc_lo
	v_lshrrev_b32_e32 v152, 16, v9
	v_lshrrev_b32_e32 v153, 16, v10
	;; [unrolled: 1-line block ×3, first 2 shown]
	v_cvt_f32_f16_e32 v9, v9
	v_cvt_f32_f16_e32 v8, v8
	v_mul_f32_e32 v14, v14, v148
	v_exp_f32_e32 v150, v15
	v_cndmask_b32_e64 v15, 0, v12, s28
	v_cndmask_b32_e64 v12, 1.0, 0x1f800000, s45
	v_cmp_gt_f32_e64 s45, 0xc2fc0000, v146
	v_cndmask_b32_e64 v146, 1.0, v14, s28
	v_mul_f32_e32 v14, v144, v147
	v_cvt_f32_f16_e64 v164, v152
	v_cvt_f32_f16_e64 v166, v153
	v_cndmask_b32_e64 v148, 0, 0x42800000, s45
	v_cvt_f32_f16_e64 v171, v154
	v_mul_f32_e32 v147, v150, v12
	v_cndmask_b32_e64 v12, 0, v14, s29
	v_cndmask_b32_e64 v14, 1.0, 0x1f800000, vcc_lo
	v_fmac_f32_e32 v151, v168, v96
	v_fmac_f32_e32 v148, v168, v97
	v_dual_mul_f32 v153, v168, v99 :: v_dual_mul_f32 v158, v138, v158
	v_dual_mul_f32 v154, v168, v100 :: v_dual_mul_f32 v9, v135, v9
	s_delay_alu instid0(VALU_DEP_4)
	v_exp_f32_e32 v150, v151
	v_mul_f32_e32 v151, v168, v98
	v_exp_f32_e32 v152, v148
	v_cndmask_b32_e64 v148, 1.0, v147, s29
	v_cndmask_b32_e64 v147, 1.0, 0x1f800000, s45
	v_cmp_gt_f32_e64 s45, 0xc2fc0000, v153
	v_cvt_f32_f16_e32 v10, v10
	v_cvt_f32_f16_e32 v11, v11
	v_mul_f32_e32 v169, v168, v122
	s_delay_alu instid0(TRANS32_DEP_2) | instskip(SKIP_1) | instid1(TRANS32_DEP_1)
	v_dual_mul_f32 v159, v136, v159 :: v_dual_mul_f32 v14, v150, v14
	v_cndmask_b32_e64 v153, 0, 0x42800000, s45
	v_dual_mul_f32 v147, v152, v147 :: v_dual_mul_f32 v10, v133, v10
	v_cndmask_b32_e64 v13, 0, v13, s30
	s_delay_alu instid0(VALU_DEP_4)
	v_cndmask_b32_e64 v150, 1.0, v14, s30
	v_mul_f32_e32 v14, v142, v155
	v_cmp_gt_f32_e32 vcc_lo, 0xc2fc0000, v151
	v_cndmask_b32_e64 v152, 1.0, v147, s31
	v_dual_fmac_f32 v153, v168, v99 :: v_dual_mul_f32 v8, v137, v8
	v_mul_f32_e32 v155, v168, v101
	v_cndmask_b32_e64 v151, 0, 0x42800000, vcc_lo
	v_cndmask_b32_e64 v147, 1.0, 0x1f800000, vcc_lo
	v_cmp_gt_f32_e32 vcc_lo, 0xc2fc0000, v154
	v_exp_f32_e32 v153, v153
	v_cmp_gt_f32_e64 s46, 0xc2fc0000, v155
	v_fmac_f32_e32 v151, v168, v98
	v_mul_f32_e32 v162, v168, v115
	v_cndmask_b32_e64 v154, 0, 0x42800000, vcc_lo
	v_cvt_f32_f16_e64 v149, v149
	v_cndmask_b32_e64 v155, 0, 0x42800000, s46
	v_exp_f32_e32 v151, v151
	v_cndmask_b32_e64 v14, 0, v14, s31
	v_dual_fmac_f32 v154, v168, v100 :: v_dual_mul_f32 v11, v131, v11
	s_delay_alu instid0(VALU_DEP_3) | instskip(SKIP_2) | instid1(VALU_DEP_4)
	v_fmac_f32_e32 v155, v168, v101
	v_mul_f32_e32 v170, v168, v123
	v_mul_f32_e32 v166, v132, v166
	v_exp_f32_e32 v160, v154
	s_delay_alu instid0(TRANS32_DEP_2)
	v_mul_f32_e32 v151, v151, v147
	v_mul_f32_e32 v147, v141, v156
	v_cndmask_b32_e64 v156, 1.0, 0x1f800000, s45
	v_cmp_gt_f32_e64 s45, 0xc2fc0000, v162
	v_mul_f32_e32 v162, v168, v121
	v_cndmask_b32_e64 v154, 1.0, v151, s33
	v_cndmask_b32_e64 v147, 0, v147, s33
	v_mul_f32_e32 v151, v153, v156
	v_cndmask_b32_e64 v153, 1.0, 0x1f800000, vcc_lo
	v_exp_f32_e32 v156, v155
	v_cndmask_b32_e64 v166, 0, v166, s42
	s_delay_alu instid0(VALU_DEP_3) | instskip(NEXT) | instid1(VALU_DEP_3)
	v_cndmask_b32_e64 v155, 1.0, v151, s34
	v_mul_f32_e32 v153, v160, v153
	v_mul_f32_e32 v151, v139, v157
	v_cndmask_b32_e64 v160, 1.0, 0x1f800000, s46
	s_delay_alu instid0(VALU_DEP_3)
	v_cndmask_b32_e64 v157, 1.0, v153, s35
	v_mul_f32_e32 v161, v168, v104
	v_cndmask_b32_e64 v153, 0, v158, s36
	v_mul_f32_e32 v158, v168, v118
	v_mul_f32_e32 v156, v156, v160
	v_cndmask_b32_e64 v151, 0, v151, s35
	v_cmp_gt_f32_e32 vcc_lo, 0xc2fc0000, v161
	s_delay_alu instid0(VALU_DEP_4) | instskip(NEXT) | instid1(VALU_DEP_4)
	v_cmp_gt_f32_e64 s46, 0xc2fc0000, v158
	v_cndmask_b32_e64 v160, 1.0, v156, s36
	v_cndmask_b32_e64 v161, 0, 0x42800000, vcc_lo
	v_cndmask_b32_e64 v163, 1.0, 0x1f800000, vcc_lo
	s_delay_alu instid0(VALU_DEP_4) | instskip(SKIP_1) | instid1(VALU_DEP_4)
	v_cndmask_b32_e64 v158, 0, 0x42800000, s46
	v_cmp_gt_f32_e32 vcc_lo, 0xc2fc0000, v162
	v_fmac_f32_e32 v161, v168, v104
	s_delay_alu instid0(VALU_DEP_3) | instskip(SKIP_1) | instid1(VALU_DEP_3)
	v_fmac_f32_e32 v158, v168, v118
	v_cndmask_b32_e64 v162, 0, 0x42800000, vcc_lo
	v_exp_f32_e32 v156, v161
	v_cndmask_b32_e64 v161, 0, 0x42800000, s45
	s_delay_alu instid0(VALU_DEP_2) | instskip(NEXT) | instid1(VALU_DEP_2)
	v_fmac_f32_e32 v162, v168, v121
	v_fmac_f32_e32 v161, v168, v115
	s_delay_alu instid0(VALU_DEP_2) | instskip(NEXT) | instid1(VALU_DEP_1)
	v_exp_f32_e32 v167, v162
	v_exp_f32_e32 v165, v161
	s_delay_alu instid0(TRANS32_DEP_3)
	v_mul_f32_e32 v161, v156, v163
	v_cndmask_b32_e64 v156, 0, v8, s37
	v_exp_f32_e32 v8, v158
	v_cndmask_b32_e64 v158, 1.0, 0x1f800000, s45
	v_cndmask_b32_e64 v163, 1.0, 0x1f800000, s46
	v_cmp_gt_f32_e64 s45, 0xc2fc0000, v170
	v_cndmask_b32_e64 v161, 1.0, v161, s37
	s_delay_alu instid0(TRANS32_DEP_2) | instid1(VALU_DEP_4)
	v_mul_f32_e32 v162, v165, v158
	v_cndmask_b32_e64 v165, 1.0, 0x1f800000, vcc_lo
	v_cmp_gt_f32_e32 vcc_lo, 0xc2fc0000, v169
	s_delay_alu instid0(TRANS32_DEP_1)
	v_mul_f32_e32 v8, v8, v163
	v_cndmask_b32_e64 v158, 0, v159, s38
	v_cndmask_b32_e64 v159, 0, v9, s39
	v_mul_f32_e32 v9, v134, v164
	v_fma_f32 v169, v148, v15, v12
	v_cndmask_b32_e64 v163, 1.0, v8, s39
	v_mul_f32_e32 v8, v167, v165
	v_cndmask_b32_e64 v165, 0, 0x42800000, vcc_lo
	v_mul_f32_e32 v167, v148, v146
	v_cndmask_b32_e64 v164, 0, v9, s40
	v_cndmask_b32_e64 v162, 1.0, v162, s38
	v_cndmask_b32_e64 v170, 1.0, v8, s40
	v_fmac_f32_e32 v165, v168, v122
	v_mul_f32_e32 v9, v167, v150
	v_fma_f32 v167, v169, v150, v13
	v_cndmask_b32_e64 v8, 1.0, 0x1f800000, vcc_lo
	v_cndmask_b32_e64 v169, 0, 0x42800000, s45
	v_exp_f32_e32 v165, v165
	v_mul_f32_e32 v149, v140, v149
	v_mul_f32_e32 v9, v9, v152
	v_fma_f32 v167, v167, v152, v14
	v_fmac_f32_e32 v169, v168, v123
	s_delay_alu instid0(VALU_DEP_3) | instskip(NEXT) | instid1(VALU_DEP_3)
	v_mul_f32_e32 v9, v9, v154
	v_fma_f32 v167, v167, v154, v147
	s_delay_alu instid0(VALU_DEP_3) | instskip(NEXT) | instid1(TRANS32_DEP_2)
	v_exp_f32_e32 v169, v169
	v_mul_f32_e32 v8, v165, v8
	v_cndmask_b32_e64 v149, 0, v149, s34
	v_mul_f32_e32 v9, v9, v155
	v_cndmask_b32_e64 v165, 0, v10, s41
	v_cndmask_b32_e64 v10, 1.0, 0x1f800000, s45
	s_delay_alu instid0(VALU_DEP_4)
	v_fma_f32 v172, v167, v155, v149
	v_cndmask_b32_e64 v167, 1.0, v8, s41
	v_mul_f32_e32 v8, v9, v157
	s_delay_alu instid0(TRANS32_DEP_1) | instid1(VALU_DEP_4)
	v_mul_f32_e32 v10, v169, v10
	s_delay_alu instid0(VALU_DEP_4) | instskip(SKIP_1) | instid1(VALU_DEP_4)
	v_fma_f32 v9, v172, v157, v151
	v_mul_f32_e32 v172, v168, v124
	v_mul_f32_e32 v8, v8, v160
	s_delay_alu instid0(VALU_DEP_3) | instskip(NEXT) | instid1(VALU_DEP_3)
	v_fma_f32 v9, v9, v160, v153
	v_cmp_gt_f32_e32 vcc_lo, 0xc2fc0000, v172
	v_mul_f32_e32 v172, v168, v125
	s_delay_alu instid0(VALU_DEP_4) | instskip(NEXT) | instid1(VALU_DEP_4)
	v_mul_f32_e32 v8, v8, v161
	v_fma_f32 v9, v9, v161, v156
	v_cndmask_b32_e64 v169, 0, 0x42800000, vcc_lo
	s_delay_alu instid0(VALU_DEP_4) | instskip(NEXT) | instid1(VALU_DEP_4)
	v_cmp_gt_f32_e64 s45, 0xc2fc0000, v172
	v_mul_f32_e32 v8, v8, v162
	s_delay_alu instid0(VALU_DEP_4) | instskip(NEXT) | instid1(VALU_DEP_4)
	v_fma_f32 v9, v9, v162, v158
	v_fmac_f32_e32 v169, v168, v124
	s_delay_alu instid0(VALU_DEP_4) | instskip(NEXT) | instid1(VALU_DEP_4)
	v_cndmask_b32_e64 v172, 0, 0x42800000, s45
	v_mul_f32_e32 v8, v8, v163
	s_delay_alu instid0(VALU_DEP_4) | instskip(NEXT) | instid1(VALU_DEP_4)
	v_fma_f32 v9, v9, v163, v159
	v_exp_f32_e32 v173, v169
	s_delay_alu instid0(VALU_DEP_3)
	v_fmac_f32_e32 v172, v168, v125
	v_cndmask_b32_e64 v169, 1.0, v10, s42
	v_cndmask_b32_e64 v10, 1.0, 0x1f800000, vcc_lo
	v_mul_f32_e32 v8, v8, v170
	v_fma_f32 v9, v9, v170, v164
	v_exp_f32_e32 v174, v172
	v_cndmask_b32_e64 v168, 0, v11, s43
	v_cndmask_b32_e64 v11, 1.0, 0x1f800000, s45
	v_mul_f32_e32 v8, v8, v167
	v_mul_f32_e32 v10, v173, v10
	v_fma_f32 v9, v9, v167, v165
	s_delay_alu instid0(VALU_DEP_3) | instskip(NEXT) | instid1(VALU_DEP_3)
	v_mul_f32_e32 v8, v8, v169
	v_cndmask_b32_e64 v172, 1.0, v10, s43
	v_mul_f32_e32 v10, v126, v171
	s_delay_alu instid0(TRANS32_DEP_1) | instskip(SKIP_1) | instid1(VALU_DEP_4)
	v_mul_f32_e32 v11, v174, v11
	v_fma_f32 v9, v9, v169, v166
	v_mul_f32_e32 v8, v8, v172
	s_delay_alu instid0(VALU_DEP_4) | instskip(NEXT) | instid1(VALU_DEP_4)
	v_cndmask_b32_e64 v171, 0, v10, s44
	v_cndmask_b32_e64 v173, 1.0, v11, s44
	s_delay_alu instid0(VALU_DEP_4) | instskip(NEXT) | instid1(VALU_DEP_2)
	v_fma_f32 v9, v9, v172, v168
	v_mul_f32_e32 v8, v8, v173
	s_delay_alu instid0(VALU_DEP_2) | instskip(NEXT) | instid1(VALU_DEP_2)
	v_fma_f32 v9, v9, v173, v171
	v_mov_b32_dpp v11, v8 row_shr:1 row_mask:0xf bank_mask:0xf
	s_delay_alu instid0(VALU_DEP_2)
	v_mov_b32_dpp v10, v9 row_shr:1 row_mask:0xf bank_mask:0xf
	s_and_saveexec_b32 s45, s0
; %bb.180:                              ;   in Loop: Header=BB117_109 Depth=2
	s_delay_alu instid0(VALU_DEP_2) | instskip(NEXT) | instid1(VALU_DEP_1)
	v_mul_f32_e32 v11, v8, v11
	v_dual_fmac_f32 v9, v8, v10 :: v_dual_mov_b32 v8, v11
; %bb.181:                              ;   in Loop: Header=BB117_109 Depth=2
	s_or_b32 exec_lo, exec_lo, s45
	s_delay_alu instid0(VALU_DEP_1) | instskip(NEXT) | instid1(VALU_DEP_2)
	v_mov_b32_dpp v10, v8 row_shr:2 row_mask:0xf bank_mask:0xf
	v_mov_b32_dpp v11, v9 row_shr:2 row_mask:0xf bank_mask:0xf
	s_and_saveexec_b32 s45, s1
; %bb.182:                              ;   in Loop: Header=BB117_109 Depth=2
	s_delay_alu instid0(VALU_DEP_1) | instskip(NEXT) | instid1(VALU_DEP_3)
	v_fmac_f32_e32 v9, v8, v11
	v_mul_f32_e32 v8, v8, v10
; %bb.183:                              ;   in Loop: Header=BB117_109 Depth=2
	s_or_b32 exec_lo, exec_lo, s45
	s_delay_alu instid0(VALU_DEP_1) | instskip(NEXT) | instid1(VALU_DEP_3)
	v_mov_b32_dpp v10, v8 row_shr:4 row_mask:0xf bank_mask:0xf
	v_mov_b32_dpp v11, v9 row_shr:4 row_mask:0xf bank_mask:0xf
	s_and_saveexec_b32 s45, s2
; %bb.184:                              ;   in Loop: Header=BB117_109 Depth=2
	s_delay_alu instid0(VALU_DEP_1) | instskip(NEXT) | instid1(VALU_DEP_3)
	v_fmac_f32_e32 v9, v8, v11
	v_mul_f32_e32 v8, v8, v10
; %bb.185:                              ;   in Loop: Header=BB117_109 Depth=2
	s_or_b32 exec_lo, exec_lo, s45
	s_delay_alu instid0(VALU_DEP_1) | instskip(NEXT) | instid1(VALU_DEP_3)
	v_mov_b32_dpp v10, v8 row_shr:8 row_mask:0xf bank_mask:0xf
	v_mov_b32_dpp v11, v9 row_shr:8 row_mask:0xf bank_mask:0xf
	s_and_saveexec_b32 s45, s3
; %bb.186:                              ;   in Loop: Header=BB117_109 Depth=2
	s_delay_alu instid0(VALU_DEP_1) | instskip(NEXT) | instid1(VALU_DEP_3)
	v_fmac_f32_e32 v9, v8, v11
	v_mul_f32_e32 v8, v8, v10
; %bb.187:                              ;   in Loop: Header=BB117_109 Depth=2
	s_or_b32 exec_lo, exec_lo, s45
	ds_swizzle_b32 v11, v8 offset:swizzle(BROADCAST,32,15)
	ds_swizzle_b32 v10, v9 offset:swizzle(BROADCAST,32,15)
	s_and_saveexec_b32 s45, s4
	s_cbranch_execz .LBB117_189
; %bb.188:                              ;   in Loop: Header=BB117_109 Depth=2
	s_waitcnt lgkmcnt(1)
	v_mul_f32_e32 v11, v8, v11
	s_waitcnt lgkmcnt(0)
	s_delay_alu instid0(VALU_DEP_1)
	v_dual_fmac_f32 v9, v8, v10 :: v_dual_mov_b32 v8, v11
.LBB117_189:                            ;   in Loop: Header=BB117_109 Depth=2
	s_or_b32 exec_lo, exec_lo, s45
	s_and_saveexec_b32 s45, s5
	s_cbranch_execz .LBB117_191
; %bb.190:                              ;   in Loop: Header=BB117_109 Depth=2
	ds_store_b64 v69, v[8:9] offset:4224
.LBB117_191:                            ;   in Loop: Header=BB117_109 Depth=2
	s_or_b32 exec_lo, exec_lo, s45
	s_waitcnt vmcnt(0) lgkmcnt(0)
	s_waitcnt_vscnt null, 0x0
	s_barrier
	buffer_gl0_inv
	s_and_saveexec_b32 s45, s6
	s_cbranch_execz .LBB117_193
; %bb.192:                              ;   in Loop: Header=BB117_109 Depth=2
	ds_load_b64 v[10:11], v70 offset:4224
	s_waitcnt lgkmcnt(0)
	v_mov_b32_dpp v174, v10 row_shr:1 row_mask:0xf bank_mask:0xf
	v_mov_b32_dpp v175, v11 row_shr:1 row_mask:0xf bank_mask:0xf
	s_delay_alu instid0(VALU_DEP_2) | instskip(NEXT) | instid1(VALU_DEP_2)
	v_mul_f32_e32 v174, v10, v174
	v_fma_f32 v175, v10, v175, v11
	s_delay_alu instid0(VALU_DEP_2) | instskip(NEXT) | instid1(VALU_DEP_2)
	v_cndmask_b32_e64 v10, v174, v10, s7
	v_cndmask_b32_e64 v11, v175, v11, s7
	ds_store_b64 v70, v[10:11] offset:4224
.LBB117_193:                            ;   in Loop: Header=BB117_109 Depth=2
	s_or_b32 exec_lo, exec_lo, s45
	s_waitcnt lgkmcnt(0)
	s_barrier
	buffer_gl0_inv
                                        ; implicit-def: $vgpr11
	s_and_saveexec_b32 s45, s9
	s_cbranch_execz .LBB117_195
; %bb.194:                              ;   in Loop: Header=BB117_109 Depth=2
	ds_load_b64 v[10:11], v69 offset:4216
	s_waitcnt lgkmcnt(0)
	v_mul_f32_e32 v174, v8, v10
	s_delay_alu instid0(VALU_DEP_1)
	v_dual_fmac_f32 v9, v8, v11 :: v_dual_mov_b32 v8, v174
.LBB117_195:                            ;   in Loop: Header=BB117_109 Depth=2
	s_or_b32 exec_lo, exec_lo, s45
	ds_bpermute_b32 v174, v71, v8
	ds_bpermute_b32 v175, v71, v9
	s_and_saveexec_b32 s45, s8
	s_cbranch_execz .LBB117_199
; %bb.196:                              ;   in Loop: Header=BB117_109 Depth=2
	ds_load_b64 v[8:9], v21 offset:4232
	s_and_saveexec_b32 s46, s10
	s_cbranch_execz .LBB117_198
; %bb.197:                              ;   in Loop: Header=BB117_109 Depth=2
	ds_store_b64 v21, v[16:17] offset:4232
.LBB117_198:                            ;   in Loop: Header=BB117_109 Depth=2
	s_or_b32 exec_lo, exec_lo, s46
	s_waitcnt lgkmcnt(0)
	v_fmac_f32_e32 v9, v17, v8
	s_delay_alu instid0(VALU_DEP_1)
	v_dual_mul_f32 v16, v16, v8 :: v_dual_mov_b32 v17, v9
.LBB117_199:                            ;   in Loop: Header=BB117_109 Depth=2
	s_or_b32 exec_lo, exec_lo, s45
	s_waitcnt lgkmcnt(0)
	s_barrier
	buffer_gl0_inv
	ds_load_b32 v8, v21 offset:4236
	s_and_saveexec_b32 s45, s10
	s_cbranch_execz .LBB117_108
; %bb.200:                              ;   in Loop: Header=BB117_109 Depth=2
	v_mov_b32_e32 v9, s90
	s_and_not1_b32 vcc_lo, exec_lo, s88
	ds_store_b64 v9, v[16:17]
	s_cbranch_vccnz .LBB117_108
; %bb.201:                              ;   in Loop: Header=BB117_109 Depth=2
	s_mov_b32 s59, s67
	s_delay_alu instid0(SALU_CYCLE_1) | instskip(NEXT) | instid1(SALU_CYCLE_1)
	s_lshl_b64 s[92:93], s[58:59], 2
	s_add_u32 s92, s76, s92
	s_addc_u32 s93, s77, s93
	global_store_b32 v21, v17, s[92:93]
	s_branch .LBB117_108
.LBB117_202:                            ;   in Loop: Header=BB117_12 Depth=1
	v_cvt_f16_f32_e32 v0, v120
	v_cvt_f16_f32_e32 v4, v113
	;; [unrolled: 1-line block ×16, first 2 shown]
	v_pack_b32_f16 v3, v3, v7
	v_pack_b32_f16 v2, v2, v6
	;; [unrolled: 1-line block ×8, first 2 shown]
	s_waitcnt_vscnt null, 0x0
	s_barrier
	buffer_gl0_inv
	ds_store_b128 v52, v[0:3]
	ds_store_b128 v52, v[4:7] offset:16
	; wave barrier
	ds_load_u16 v16, v37 offset:64
	ds_load_u16 v15, v38 offset:128
	;; [unrolled: 1-line block ×15, first 2 shown]
	s_mov_b32 s51, s67
	s_delay_alu instid0(SALU_CYCLE_1) | instskip(NEXT) | instid1(SALU_CYCLE_1)
	s_lshl_b64 s[34:35], s[50:51], 1
	v_add_co_u32 v0, vcc_lo, v72, s34
	v_add_co_ci_u32_e32 v1, vcc_lo, s35, v73, vcc_lo
	s_and_saveexec_b32 s28, s12
	s_cbranch_execnz .LBB117_269
; %bb.203:                              ;   in Loop: Header=BB117_12 Depth=1
	s_or_b32 exec_lo, exec_lo, s28
	s_and_saveexec_b32 s28, s13
	s_cbranch_execnz .LBB117_270
.LBB117_204:                            ;   in Loop: Header=BB117_12 Depth=1
	s_or_b32 exec_lo, exec_lo, s28
	s_and_saveexec_b32 s28, s14
	s_cbranch_execnz .LBB117_271
.LBB117_205:                            ;   in Loop: Header=BB117_12 Depth=1
	s_or_b32 exec_lo, exec_lo, s28
	s_and_saveexec_b32 s28, s15
	s_cbranch_execnz .LBB117_272
.LBB117_206:                            ;   in Loop: Header=BB117_12 Depth=1
	s_or_b32 exec_lo, exec_lo, s28
	s_and_saveexec_b32 s28, s16
	s_cbranch_execnz .LBB117_273
.LBB117_207:                            ;   in Loop: Header=BB117_12 Depth=1
	s_or_b32 exec_lo, exec_lo, s28
	s_and_saveexec_b32 s28, s17
	s_cbranch_execnz .LBB117_274
.LBB117_208:                            ;   in Loop: Header=BB117_12 Depth=1
	s_or_b32 exec_lo, exec_lo, s28
	s_and_saveexec_b32 s28, s18
	s_cbranch_execnz .LBB117_275
.LBB117_209:                            ;   in Loop: Header=BB117_12 Depth=1
	s_or_b32 exec_lo, exec_lo, s28
	s_and_saveexec_b32 s28, s19
	s_cbranch_execnz .LBB117_276
.LBB117_210:                            ;   in Loop: Header=BB117_12 Depth=1
	s_or_b32 exec_lo, exec_lo, s28
	s_and_saveexec_b32 s28, s20
	s_cbranch_execnz .LBB117_277
.LBB117_211:                            ;   in Loop: Header=BB117_12 Depth=1
	s_or_b32 exec_lo, exec_lo, s28
	s_and_saveexec_b32 s28, s21
	s_cbranch_execnz .LBB117_278
.LBB117_212:                            ;   in Loop: Header=BB117_12 Depth=1
	s_or_b32 exec_lo, exec_lo, s28
	s_and_saveexec_b32 s28, s22
	s_cbranch_execnz .LBB117_279
.LBB117_213:                            ;   in Loop: Header=BB117_12 Depth=1
	s_or_b32 exec_lo, exec_lo, s28
	s_and_saveexec_b32 s28, s23
	s_cbranch_execnz .LBB117_280
.LBB117_214:                            ;   in Loop: Header=BB117_12 Depth=1
	s_or_b32 exec_lo, exec_lo, s28
	s_and_saveexec_b32 s28, s24
	s_cbranch_execnz .LBB117_281
.LBB117_215:                            ;   in Loop: Header=BB117_12 Depth=1
	s_or_b32 exec_lo, exec_lo, s28
	s_and_saveexec_b32 s28, s25
	s_cbranch_execnz .LBB117_282
.LBB117_216:                            ;   in Loop: Header=BB117_12 Depth=1
	s_or_b32 exec_lo, exec_lo, s28
	s_and_saveexec_b32 s28, s26
	s_cbranch_execnz .LBB117_283
.LBB117_217:                            ;   in Loop: Header=BB117_12 Depth=1
	s_or_b32 exec_lo, exec_lo, s28
	s_and_saveexec_b32 s28, s27
	s_cbranch_execz .LBB117_219
.LBB117_218:                            ;   in Loop: Header=BB117_12 Depth=1
	s_waitcnt lgkmcnt(0)
	global_store_b16 v[0:1], v2, off offset:960
.LBB117_219:                            ;   in Loop: Header=BB117_12 Depth=1
	s_or_b32 exec_lo, exec_lo, s28
	v_add_co_u32 v0, vcc_lo, v74, s34
	v_add_co_ci_u32_e32 v1, vcc_lo, s35, v75, vcc_lo
	s_waitcnt lgkmcnt(0)
	v_dual_mov_b32 v2, 0 :: v_dual_mov_b32 v3, 0
	s_waitcnt_vscnt null, 0x0
	s_barrier
	buffer_gl0_inv
	s_and_saveexec_b32 s28, s12
	s_cbranch_execz .LBB117_221
; %bb.220:                              ;   in Loop: Header=BB117_12 Depth=1
	global_load_u16 v3, v[0:1], off
.LBB117_221:                            ;   in Loop: Header=BB117_12 Depth=1
	s_or_b32 exec_lo, exec_lo, s28
	s_and_saveexec_b32 s28, s13
	s_cbranch_execz .LBB117_223
; %bb.222:                              ;   in Loop: Header=BB117_12 Depth=1
	global_load_u16 v2, v[0:1], off offset:64
.LBB117_223:                            ;   in Loop: Header=BB117_12 Depth=1
	s_or_b32 exec_lo, exec_lo, s28
	v_dual_mov_b32 v4, 0 :: v_dual_mov_b32 v5, 0
	s_and_saveexec_b32 s28, s14
	s_cbranch_execz .LBB117_225
; %bb.224:                              ;   in Loop: Header=BB117_12 Depth=1
	global_load_u16 v5, v[0:1], off offset:128
.LBB117_225:                            ;   in Loop: Header=BB117_12 Depth=1
	s_or_b32 exec_lo, exec_lo, s28
	s_and_saveexec_b32 s28, s15
	s_cbranch_execz .LBB117_227
; %bb.226:                              ;   in Loop: Header=BB117_12 Depth=1
	global_load_u16 v4, v[0:1], off offset:192
.LBB117_227:                            ;   in Loop: Header=BB117_12 Depth=1
	s_or_b32 exec_lo, exec_lo, s28
	v_dual_mov_b32 v6, 0 :: v_dual_mov_b32 v7, 0
	s_and_saveexec_b32 s28, s16
	s_cbranch_execz .LBB117_229
; %bb.228:                              ;   in Loop: Header=BB117_12 Depth=1
	global_load_u16 v7, v[0:1], off offset:256
.LBB117_229:                            ;   in Loop: Header=BB117_12 Depth=1
	;; [unrolled: 13-line block ×7, first 2 shown]
	s_or_b32 exec_lo, exec_lo, s28
	s_and_saveexec_b32 s28, s27
	s_cbranch_execz .LBB117_251
; %bb.250:                              ;   in Loop: Header=BB117_12 Depth=1
	global_load_u16 v16, v[0:1], off offset:960
.LBB117_251:                            ;   in Loop: Header=BB117_12 Depth=1
	s_or_b32 exec_lo, exec_lo, s28
	s_waitcnt vmcnt(0)
	ds_store_b16 v37, v3
	ds_store_b16 v37, v2 offset:64
	ds_store_b16 v38, v5 offset:128
	;; [unrolled: 1-line block ×15, first 2 shown]
	; wave barrier
	ds_load_b128 v[4:7], v52
	ds_load_b128 v[0:3], v52 offset:16
	s_waitcnt lgkmcnt(0)
	s_barrier
	buffer_gl0_inv
	v_lshrrev_b32_e32 v8, 16, v4
	v_lshrrev_b32_e32 v9, 16, v5
	v_cvt_f32_f16_e32 v10, v5
	v_cvt_f32_f16_e32 v11, v4
	v_lshrrev_b32_e32 v104, 16, v6
	v_cvt_f32_f16_e32 v8, v8
	v_cvt_f32_f16_e32 v9, v9
	v_mul_f32_e32 v12, 0xbfb8aa3b, v10
	v_mul_f32_e32 v14, 0xbfb8aa3b, v11
	v_cvt_f32_f16_e32 v104, v104
	v_mul_f32_e32 v13, 0xbfb8aa3b, v8
	v_mul_f32_e32 v15, 0xbfb8aa3b, v9
	v_rndne_f32_e32 v16, v12
	v_fma_mix_f32 v17, v5, s85, -v12 op_sel_hi:[1,0,0]
	v_cmp_nlt_f32_e32 vcc_lo, 0x42ce8ed0, v8
	v_rndne_f32_e32 v94, v13
	v_fma_mix_f32 v95, v4, s85, -v13 op_sel:[1,0,0] op_sel_hi:[1,0,0]
	v_fma_mix_f32 v97, v5, s85, -v15 op_sel:[1,0,0] op_sel_hi:[1,0,0]
	v_rndne_f32_e32 v96, v15
	s_delay_alu instid0(VALU_DEP_4) | instskip(NEXT) | instid1(VALU_DEP_4)
	v_dual_sub_f32 v12, v12, v16 :: v_dual_sub_f32 v13, v13, v94
	v_fma_mix_f32 v95, v4, s86, v95 op_sel:[1,0,0] op_sel_hi:[1,0,0]
	s_delay_alu instid0(VALU_DEP_4) | instskip(SKIP_4) | instid1(VALU_DEP_4)
	v_fma_mix_f32 v97, v5, s86, v97 op_sel:[1,0,0] op_sel_hi:[1,0,0]
	v_fma_mix_f32 v5, v5, s86, v17 op_sel_hi:[1,0,0]
	v_rndne_f32_e32 v17, v14
	v_sub_f32_e32 v15, v15, v96
	v_cvt_i32_f32_e32 v16, v16
	v_add_f32_e32 v5, v12, v5
	s_delay_alu instid0(VALU_DEP_4) | instskip(SKIP_2) | instid1(VALU_DEP_4)
	v_dual_sub_f32 v12, v14, v17 :: v_dual_add_f32 v13, v13, v95
	v_fma_mix_f32 v95, v4, s85, -v14 op_sel_hi:[1,0,0]
	v_add_f32_e32 v15, v15, v97
	v_exp_f32_e32 v5, v5
	v_cvt_i32_f32_e32 v17, v17
	s_delay_alu instid0(VALU_DEP_3) | instskip(NEXT) | instid1(VALU_DEP_3)
	v_fma_mix_f32 v4, v4, s86, v95 op_sel_hi:[1,0,0]
	v_exp_f32_e32 v14, v15
	v_cvt_i32_f32_e32 v15, v94
	s_delay_alu instid0(VALU_DEP_2) | instskip(SKIP_2) | instid1(TRANS32_DEP_3)
	v_add_f32_e32 v4, v12, v4
	v_exp_f32_e32 v13, v13
	v_cvt_i32_f32_e32 v12, v96
	v_ldexp_f32 v5, v5, v16
	s_delay_alu instid0(VALU_DEP_3)
	v_exp_f32_e32 v4, v4
	s_delay_alu instid0(TRANS32_DEP_3) | instid1(VALU_DEP_2)
	v_ldexp_f32 v12, v14, v12
	s_waitcnt_depctr 0xfff
	v_ldexp_f32 v13, v13, v15
	v_ldexp_f32 v4, v4, v17
	s_delay_alu instid0(VALU_DEP_2)
	v_cndmask_b32_e32 v13, 0, v13, vcc_lo
	v_cmp_nlt_f32_e32 vcc_lo, 0x42ce8ed0, v9
	v_cndmask_b32_e32 v12, 0, v12, vcc_lo
	v_cmp_nlt_f32_e32 vcc_lo, 0x42ce8ed0, v10
	v_cndmask_b32_e32 v5, 0, v5, vcc_lo
	v_cmp_ngt_f32_e32 vcc_lo, 0xc2b17218, v8
	v_cndmask_b32_e32 v13, 0x7f800000, v13, vcc_lo
	v_cmp_ngt_f32_e32 vcc_lo, 0xc2b17218, v9
	;; [unrolled: 2-line block ×3, first 2 shown]
	s_delay_alu instid0(VALU_DEP_2) | instskip(NEXT) | instid1(VALU_DEP_1)
	v_add_f32_e32 v12, 1.0, v12
	v_div_scale_f32 v15, null, v12, v12, v9
	v_div_scale_f32 v99, s28, v9, v12, v9
	s_delay_alu instid0(VALU_DEP_2) | instskip(SKIP_4) | instid1(VALU_DEP_3)
	v_rcp_f32_e32 v94, v15
	s_waitcnt_depctr 0xfff
	v_fma_f32 v98, -v15, v94, 1.0
	v_cndmask_b32_e32 v5, 0x7f800000, v5, vcc_lo
	v_cmp_nlt_f32_e32 vcc_lo, 0x42ce8ed0, v11
	v_fmac_f32_e32 v94, v98, v94
	s_delay_alu instid0(VALU_DEP_3) | instskip(SKIP_2) | instid1(VALU_DEP_3)
	v_add_f32_e32 v14, 1.0, v5
	v_cndmask_b32_e32 v4, 0, v4, vcc_lo
	v_cmp_ngt_f32_e32 vcc_lo, 0xc2b17218, v11
	v_div_scale_f32 v16, null, v14, v14, v10
	s_delay_alu instid0(VALU_DEP_3) | instskip(NEXT) | instid1(VALU_DEP_2)
	v_cndmask_b32_e32 v4, 0x7f800000, v4, vcc_lo
	v_rcp_f32_e32 v95, v16
	s_delay_alu instid0(VALU_DEP_1) | instskip(NEXT) | instid1(VALU_DEP_1)
	v_dual_add_f32 v96, 1.0, v4 :: v_dual_add_f32 v13, 1.0, v13
	v_div_scale_f32 v101, null, v96, v96, v11
	s_waitcnt_depctr 0xfff
	v_fma_f32 v100, -v16, v95, 1.0
	v_rcp_f32_e32 v122, v101
	s_delay_alu instid0(VALU_DEP_1) | instskip(SKIP_2) | instid1(VALU_DEP_3)
	v_dual_fmac_f32 v95, v100, v95 :: v_dual_mul_f32 v100, v99, v94
	v_div_scale_f32 v5, null, v13, v13, v8
	v_div_scale_f32 v4, vcc_lo, v8, v13, v8
	v_fma_f32 v121, -v15, v100, v99
	s_delay_alu instid0(VALU_DEP_3) | instskip(SKIP_2) | instid1(VALU_DEP_1)
	v_rcp_f32_e32 v17, v5
	s_waitcnt_depctr 0xfff
	v_fma_f32 v97, -v5, v17, 1.0
	v_fmac_f32_e32 v17, v97, v17
	v_div_scale_f32 v97, s29, v10, v14, v10
	s_delay_alu instid0(VALU_DEP_1) | instskip(NEXT) | instid1(VALU_DEP_1)
	v_dual_mul_f32 v98, v4, v17 :: v_dual_mul_f32 v115, v97, v95
	v_fma_f32 v118, -v5, v98, v4
	s_delay_alu instid0(VALU_DEP_2) | instskip(SKIP_1) | instid1(VALU_DEP_3)
	v_fma_f32 v123, -v16, v115, v97
	v_dual_fmac_f32 v100, v121, v94 :: v_dual_mul_f32 v121, 0xbfb8aa3b, v104
	v_fmac_f32_e32 v98, v118, v17
	v_lshrrev_b32_e32 v118, 16, v7
	s_delay_alu instid0(VALU_DEP_4) | instskip(NEXT) | instid1(VALU_DEP_3)
	v_fmac_f32_e32 v115, v123, v95
	v_fma_f32 v4, -v5, v98, v4
	v_fma_f32 v5, -v15, v100, v99
	v_fma_f32 v15, -v101, v122, 1.0
	v_cvt_f32_f16_e32 v99, v118
	v_rndne_f32_e32 v118, v121
	v_div_fmas_f32 v4, v4, v17, v98
	s_mov_b32 vcc_lo, s28
	v_fma_mix_f32 v17, v6, s85, -v121 op_sel:[1,0,0] op_sel_hi:[1,0,0]
	v_div_fmas_f32 v5, v5, v94, v100
	v_fmac_f32_e32 v122, v15, v122
	v_div_fixup_f32 v4, v4, v13, v8
	v_mul_f32_e32 v13, 0xbfb8aa3b, v99
	v_div_scale_f32 v8, s28, v11, v96, v11
	v_div_fixup_f32 v5, v5, v12, v9
	v_sub_f32_e32 v9, v121, v118
	v_fma_mix_f32 v12, v6, s86, v17 op_sel:[1,0,0] op_sel_hi:[1,0,0]
	v_fma_f32 v15, -v16, v115, v97
	v_mul_f32_e32 v16, v8, v122
	s_mov_b32 vcc_lo, s29
	v_rndne_f32_e32 v17, v13
	v_add_f32_e32 v9, v9, v12
	v_cvt_f32_f16_e32 v12, v7
	v_div_fmas_f32 v15, v15, v95, v115
	v_fma_mix_f32 v94, v7, s85, -v13 op_sel:[1,0,0] op_sel_hi:[1,0,0]
	v_fma_f32 v97, -v101, v16, v8
	v_sub_f32_e32 v13, v13, v17
	v_mul_f32_e32 v95, 0xbfb8aa3b, v12
	v_exp_f32_e32 v9, v9
	v_fma_mix_f32 v94, v7, s86, v94 op_sel:[1,0,0] op_sel_hi:[1,0,0]
	v_fmac_f32_e32 v16, v97, v122
	v_cvt_i32_f32_e32 v98, v118
	v_rndne_f32_e32 v100, v95
	v_fma_mix_f32 v115, v7, s85, -v95 op_sel_hi:[1,0,0]
	v_add_f32_e32 v13, v13, v94
	v_cmp_nlt_f32_e32 vcc_lo, 0x42ce8ed0, v104
	v_cvt_i32_f32_e32 v17, v17
	v_sub_f32_e32 v94, v95, v100
	v_fma_mix_f32 v7, v7, s86, v115 op_sel_hi:[1,0,0]
	v_cvt_f32_f16_e32 v95, v6
	v_ldexp_f32 v9, v9, v98
	v_fma_f32 v8, -v101, v16, v8
	v_div_fixup_f32 v10, v15, v14, v10
	v_add_f32_e32 v7, v94, v7
	v_mul_f32_e32 v94, 0xbfb8aa3b, v95
	s_delay_alu instid0(VALU_DEP_2) | instskip(NEXT) | instid1(VALU_DEP_1)
	v_exp_f32_e32 v7, v7
	v_rndne_f32_e32 v97, v94
	v_fma_mix_f32 v98, v6, s85, -v94 op_sel_hi:[1,0,0]
	s_delay_alu instid0(VALU_DEP_2) | instskip(SKIP_1) | instid1(VALU_DEP_2)
	v_sub_f32_e32 v94, v94, v97
	v_exp_f32_e32 v13, v13
	v_fma_mix_f32 v6, v6, s86, v98 op_sel_hi:[1,0,0]
	v_cndmask_b32_e32 v9, 0, v9, vcc_lo
	v_cmp_ngt_f32_e32 vcc_lo, 0xc2b17218, v104
	s_delay_alu instid0(VALU_DEP_3) | instskip(SKIP_1) | instid1(VALU_DEP_4)
	v_add_f32_e32 v6, v94, v6
	v_cvt_i32_f32_e32 v94, v97
	v_cndmask_b32_e32 v9, 0x7f800000, v9, vcc_lo
	v_cmp_nlt_f32_e32 vcc_lo, 0x42ce8ed0, v99
	s_delay_alu instid0(TRANS32_DEP_1) | instskip(SKIP_2) | instid1(VALU_DEP_2)
	v_ldexp_f32 v13, v13, v17
	v_cvt_i32_f32_e32 v17, v100
	v_exp_f32_e32 v6, v6
	v_cndmask_b32_e32 v13, 0, v13, vcc_lo
	v_cmp_ngt_f32_e32 vcc_lo, 0xc2b17218, v99
	s_delay_alu instid0(VALU_DEP_3) | instskip(NEXT) | instid1(VALU_DEP_3)
	v_ldexp_f32 v7, v7, v17
	v_cndmask_b32_e32 v13, 0x7f800000, v13, vcc_lo
	v_cmp_nlt_f32_e32 vcc_lo, 0x42ce8ed0, v12
	s_waitcnt_depctr 0xfff
	v_ldexp_f32 v6, v6, v94
	v_add_f32_e32 v13, 1.0, v13
	v_cndmask_b32_e32 v7, 0, v7, vcc_lo
	v_cmp_ngt_f32_e32 vcc_lo, 0xc2b17218, v12
	s_delay_alu instid0(VALU_DEP_3) | instskip(NEXT) | instid1(VALU_DEP_3)
	v_div_scale_f32 v100, null, v13, v13, v99
	v_cndmask_b32_e32 v7, 0x7f800000, v7, vcc_lo
	s_mov_b32 vcc_lo, s28
	v_cmp_nlt_f32_e64 s28, 0x42ce8ed0, v95
	v_div_fmas_f32 v8, v8, v122, v16
	v_rcp_f32_e32 v16, v100
	v_add_f32_e32 v94, 1.0, v7
	s_delay_alu instid0(VALU_DEP_3) | instskip(SKIP_2) | instid1(VALU_DEP_2)
	v_cndmask_b32_e64 v6, 0, v6, s28
	v_cmp_ngt_f32_e64 s28, 0xc2b17218, v95
	v_div_fixup_f32 v8, v8, v96, v11
	v_cndmask_b32_e64 v6, 0x7f800000, v6, s28
	s_waitcnt_depctr 0xfff
	v_fma_f32 v115, -v100, v16, 1.0
	s_delay_alu instid0(VALU_DEP_1) | instskip(SKIP_1) | instid1(VALU_DEP_1)
	v_dual_add_f32 v11, 1.0, v6 :: v_dual_fmac_f32 v16, v115, v16
	v_div_scale_f32 v115, s28, v99, v13, v99
	v_dual_add_f32 v9, 1.0, v9 :: v_dual_mul_f32 v14, v115, v16
	s_delay_alu instid0(VALU_DEP_1) | instskip(SKIP_1) | instid1(VALU_DEP_3)
	v_div_scale_f32 v98, null, v9, v9, v104
	v_div_scale_f32 v7, vcc_lo, v104, v9, v104
	v_fma_f32 v96, -v100, v14, v115
	s_delay_alu instid0(VALU_DEP_3) | instskip(NEXT) | instid1(VALU_DEP_1)
	v_rcp_f32_e32 v17, v98
	v_fmac_f32_e32 v14, v96, v16
	s_waitcnt_depctr 0xfff
	v_fma_f32 v97, -v98, v17, 1.0
	s_delay_alu instid0(VALU_DEP_1) | instskip(SKIP_1) | instid1(VALU_DEP_2)
	v_fmac_f32_e32 v17, v97, v17
	v_div_scale_f32 v97, null, v94, v94, v12
	v_mul_f32_e32 v101, v7, v17
	s_delay_alu instid0(VALU_DEP_2) | instskip(NEXT) | instid1(VALU_DEP_1)
	v_rcp_f32_e32 v118, v97
	v_fma_f32 v121, -v98, v101, v7
	s_delay_alu instid0(VALU_DEP_1) | instskip(SKIP_3) | instid1(VALU_DEP_2)
	v_fmac_f32_e32 v101, v121, v17
	s_waitcnt_depctr 0xfff
	v_fma_f32 v6, -v97, v118, 1.0
	v_fma_f32 v7, -v98, v101, v7
	v_fmac_f32_e32 v118, v6, v118
	v_div_scale_f32 v98, s29, v12, v94, v12
	v_fma_mixlo_f16 v6, v120, v8, 0
	s_delay_alu instid0(VALU_DEP_4) | instskip(SKIP_1) | instid1(VALU_DEP_4)
	v_div_fmas_f32 v17, v7, v17, v101
	v_fma_f32 v8, -v100, v14, v115
	v_mul_f32_e32 v96, v98, v118
	v_lshrrev_b32_e32 v101, 16, v0
	s_mov_b32 vcc_lo, s28
	v_fma_mixlo_f16 v7, v119, v10, 0
	v_div_fixup_f32 v10, v17, v9, v104
	v_fma_f32 v9, -v97, v96, v98
	v_div_fmas_f32 v8, v8, v16, v14
	v_cvt_f32_f16_e32 v14, v101
	v_lshrrev_b32_e32 v100, 16, v1
	s_mov_b32 vcc_lo, s29
	v_fmac_f32_e32 v96, v9, v118
	v_div_fixup_f32 v13, v8, v13, v99
	v_mul_f32_e32 v8, 0xbfb8aa3b, v14
	v_cvt_f32_f16_e32 v16, v100
	v_cvt_f32_f16_e32 v99, v1
	v_fma_mixhi_f16 v7, v114, v5, 0
	v_fma_mixhi_f16 v6, v113, v4, 0
	v_rndne_f32_e32 v100, v8
	v_fma_mix_f32 v101, v0, s85, -v8 op_sel:[1,0,0] op_sel_hi:[1,0,0]
	s_delay_alu instid0(VALU_DEP_2) | instskip(NEXT) | instid1(VALU_DEP_2)
	v_sub_f32_e32 v8, v8, v100
	v_fma_mix_f32 v101, v0, s86, v101 op_sel:[1,0,0] op_sel_hi:[1,0,0]
	v_cvt_i32_f32_e32 v100, v100
	s_delay_alu instid0(VALU_DEP_2) | instskip(SKIP_2) | instid1(VALU_DEP_3)
	v_add_f32_e32 v8, v8, v101
	v_div_scale_f32 v15, null, v11, v11, v95
	v_div_scale_f32 v9, s28, v95, v11, v95
	v_exp_f32_e32 v8, v8
	s_delay_alu instid0(VALU_DEP_2) | instskip(SKIP_3) | instid1(VALU_DEP_1)
	v_rcp_f32_e32 v121, v15
	s_waitcnt_depctr 0xfff
	v_ldexp_f32 v8, v8, v100
	v_fma_f32 v17, -v15, v121, 1.0
	v_fmac_f32_e32 v121, v17, v121
	v_fma_f32 v17, -v97, v96, v98
	v_mul_f32_e32 v97, 0xbfb8aa3b, v16
	s_delay_alu instid0(VALU_DEP_2) | instskip(NEXT) | instid1(VALU_DEP_2)
	v_div_fmas_f32 v17, v17, v118, v96
	v_rndne_f32_e32 v104, v97
	v_fma_mix_f32 v115, v1, s85, -v97 op_sel:[1,0,0] op_sel_hi:[1,0,0]
	v_cmp_nlt_f32_e32 vcc_lo, 0x42ce8ed0, v14
	s_delay_alu instid0(VALU_DEP_4) | instskip(NEXT) | instid1(VALU_DEP_4)
	v_div_fixup_f32 v12, v17, v94, v12
	v_sub_f32_e32 v97, v97, v104
	s_delay_alu instid0(VALU_DEP_4) | instskip(SKIP_3) | instid1(VALU_DEP_4)
	v_fma_mix_f32 v115, v1, s86, v115 op_sel:[1,0,0] op_sel_hi:[1,0,0]
	v_cndmask_b32_e32 v8, 0, v8, vcc_lo
	v_cvt_i32_f32_e32 v96, v104
	v_cmp_nlt_f32_e32 vcc_lo, 0x42ce8ed0, v16
	v_add_f32_e32 v97, v97, v115
	s_delay_alu instid0(VALU_DEP_1) | instskip(SKIP_2) | instid1(VALU_DEP_1)
	v_exp_f32_e32 v97, v97
	s_waitcnt_depctr 0xfff
	v_ldexp_f32 v96, v97, v96
	v_cndmask_b32_e32 v96, 0, v96, vcc_lo
	v_cmp_ngt_f32_e32 vcc_lo, 0xc2b17218, v14
	v_mul_f32_e32 v98, v9, v121
	v_cndmask_b32_e32 v8, 0x7f800000, v8, vcc_lo
	v_mul_f32_e32 v119, 0xbfb8aa3b, v99
	s_delay_alu instid0(VALU_DEP_3) | instskip(SKIP_1) | instid1(VALU_DEP_4)
	v_fma_f32 v101, -v15, v98, v9
	v_cmp_ngt_f32_e32 vcc_lo, 0xc2b17218, v16
	v_add_f32_e32 v100, 1.0, v8
	s_delay_alu instid0(VALU_DEP_4)
	v_rndne_f32_e32 v120, v119
	v_fma_mix_f32 v122, v1, s85, -v119 op_sel_hi:[1,0,0]
	v_fmac_f32_e32 v98, v101, v121
	v_cndmask_b32_e32 v96, 0x7f800000, v96, vcc_lo
	v_cmp_nlt_f32_e32 vcc_lo, 0x42ce8ed0, v99
	v_sub_f32_e32 v115, v119, v120
	v_fma_mix_f32 v1, v1, s86, v122 op_sel_hi:[1,0,0]
	v_fma_f32 v9, -v15, v98, v9
	v_cvt_f32_f16_e32 v15, v0
	v_cvt_i32_f32_e32 v97, v120
	s_delay_alu instid0(VALU_DEP_4) | instskip(SKIP_1) | instid1(VALU_DEP_4)
	v_dual_add_f32 v96, 1.0, v96 :: v_dual_add_f32 v1, v115, v1
	v_div_scale_f32 v101, null, v100, v100, v14
	v_cmp_nlt_f32_e64 s29, 0x42ce8ed0, v15
	v_cmp_ngt_f32_e64 s30, 0xc2b17218, v15
	s_delay_alu instid0(VALU_DEP_4) | instskip(NEXT) | instid1(VALU_DEP_3)
	v_exp_f32_e32 v1, v1
	v_rcp_f32_e32 v115, v101
	s_waitcnt_depctr 0xfff
	v_ldexp_f32 v1, v1, v97
	v_mul_f32_e32 v97, 0xbfb8aa3b, v15
	s_delay_alu instid0(VALU_DEP_1) | instskip(SKIP_1) | instid1(VALU_DEP_2)
	v_rndne_f32_e32 v8, v97
	v_fma_mix_f32 v104, v0, s85, -v97 op_sel_hi:[1,0,0]
	v_sub_f32_e32 v97, v97, v8
	s_delay_alu instid0(VALU_DEP_2) | instskip(SKIP_3) | instid1(VALU_DEP_4)
	v_fma_mix_f32 v0, v0, s86, v104 op_sel_hi:[1,0,0]
	v_cndmask_b32_e32 v1, 0, v1, vcc_lo
	v_cmp_ngt_f32_e32 vcc_lo, 0xc2b17218, v99
	v_div_scale_f32 v104, null, v96, v96, v16
	v_add_f32_e32 v0, v97, v0
	v_fma_f32 v97, -v101, v115, 1.0
	v_cndmask_b32_e32 v1, 0x7f800000, v1, vcc_lo
	s_mov_b32 vcc_lo, s28
	v_div_scale_f32 v17, s28, v16, v96, v16
	v_div_fmas_f32 v9, v9, v121, v98
	v_exp_f32_e32 v0, v0
	v_rcp_f32_e32 v98, v104
	v_fmac_f32_e32 v115, v97, v115
	v_div_scale_f32 v97, vcc_lo, v14, v100, v14
	v_div_fixup_f32 v9, v9, v11, v95
	v_cvt_i32_f32_e32 v11, v8
	s_delay_alu instid0(VALU_DEP_2)
	v_fma_mixlo_f16 v8, v117, v9, 0
	s_delay_alu instid0(TRANS32_DEP_2) | instid1(VALU_DEP_2)
	v_ldexp_f32 v0, v0, v11
	s_delay_alu instid0(TRANS32_DEP_1) | instskip(SKIP_1) | instid1(VALU_DEP_4)
	v_fma_f32 v119, -v104, v98, 1.0
	v_mul_f32_e32 v11, v97, v115
	v_fma_mixhi_f16 v8, v110, v10, 0
	s_delay_alu instid0(VALU_DEP_4) | instskip(NEXT) | instid1(VALU_DEP_4)
	v_cndmask_b32_e64 v0, 0, v0, s29
	v_fmac_f32_e32 v98, v119, v98
	s_delay_alu instid0(VALU_DEP_4) | instskip(NEXT) | instid1(VALU_DEP_3)
	v_fma_f32 v94, -v101, v11, v97
	v_cndmask_b32_e64 v0, 0x7f800000, v0, s30
	v_add_f32_e32 v1, 1.0, v1
	s_delay_alu instid0(VALU_DEP_4) | instskip(NEXT) | instid1(VALU_DEP_3)
	v_mul_f32_e32 v117, v17, v98
	v_dual_fmac_f32 v11, v94, v115 :: v_dual_add_f32 v0, 1.0, v0
	s_delay_alu instid0(VALU_DEP_3) | instskip(SKIP_1) | instid1(VALU_DEP_4)
	v_div_scale_f32 v118, null, v1, v1, v99
	v_div_scale_f32 v119, s29, v99, v1, v99
	v_fma_f32 v94, -v104, v117, v17
	s_delay_alu instid0(VALU_DEP_3) | instskip(NEXT) | instid1(VALU_DEP_1)
	v_rcp_f32_e32 v95, v118
	v_fmac_f32_e32 v117, v94, v98
	s_delay_alu instid0(VALU_DEP_1) | instskip(SKIP_3) | instid1(VALU_DEP_2)
	v_fma_f32 v17, -v104, v117, v17
	s_waitcnt_depctr 0xfff
	v_fma_f32 v9, -v118, v95, 1.0
	v_lshrrev_b32_e32 v104, 16, v3
	v_fmac_f32_e32 v95, v9, v95
	v_fma_mixlo_f16 v9, v116, v12, 0
	v_fma_f32 v12, -v101, v11, v97
	s_delay_alu instid0(VALU_DEP_4) | instskip(NEXT) | instid1(VALU_DEP_4)
	v_cvt_f32_f16_e32 v104, v104
	v_mul_f32_e32 v120, v119, v95
	s_delay_alu instid0(VALU_DEP_4) | instskip(NEXT) | instid1(VALU_DEP_4)
	v_fma_mixhi_f16 v9, v109, v13, 0
	v_div_fmas_f32 v11, v12, v115, v11
	v_lshrrev_b32_e32 v12, 16, v2
	s_mov_b32 vcc_lo, s28
	v_fma_f32 v94, -v118, v120, v119
	v_div_fmas_f32 v17, v17, v98, v117
	s_mov_b32 vcc_lo, s29
	v_cvt_f32_f16_e32 v12, v12
	v_cvt_f32_f16_e32 v117, v3
	v_fmac_f32_e32 v120, v94, v95
	v_div_scale_f32 v94, null, v0, v0, v15
	s_delay_alu instid0(VALU_DEP_4) | instskip(SKIP_1) | instid1(VALU_DEP_4)
	v_mul_f32_e32 v101, 0xbfb8aa3b, v12
	v_cmp_nlt_f32_e64 s28, 0x42ce8ed0, v12
	v_fma_f32 v98, -v118, v120, v119
	s_delay_alu instid0(VALU_DEP_4)
	v_rcp_f32_e32 v97, v94
	v_mul_f32_e32 v118, 0xbfb8aa3b, v104
	v_fma_mix_f32 v115, v2, s85, -v101 op_sel:[1,0,0] op_sel_hi:[1,0,0]
	v_cvt_f32_f16_e32 v119, v2
	v_div_fmas_f32 v95, v98, v95, v120
	v_rndne_f32_e32 v98, v101
	v_fma_mix_f32 v120, v3, s85, -v118 op_sel:[1,0,0] op_sel_hi:[1,0,0]
	v_fma_mix_f32 v115, v2, s86, v115 op_sel:[1,0,0] op_sel_hi:[1,0,0]
	v_div_scale_f32 v123, vcc_lo, v15, v0, v15
	s_delay_alu instid0(TRANS32_DEP_1)
	v_fma_f32 v116, -v94, v97, 1.0
	v_sub_f32_e32 v101, v101, v98
	v_fma_mix_f32 v120, v3, s86, v120 op_sel:[1,0,0] op_sel_hi:[1,0,0]
	v_cvt_i32_f32_e32 v98, v98
	v_div_fixup_f32 v1, v95, v1, v99
	v_fmac_f32_e32 v97, v116, v97
	v_dual_mul_f32 v116, 0xbfb8aa3b, v117 :: v_dual_add_f32 v101, v101, v115
	v_rndne_f32_e32 v115, v118
	v_div_fixup_f32 v11, v11, v100, v14
	v_div_fixup_f32 v14, v17, v96, v16
	s_delay_alu instid0(VALU_DEP_4)
	v_rndne_f32_e32 v121, v116
	v_fma_mix_f32 v122, v3, s85, -v116 op_sel_hi:[1,0,0]
	v_exp_f32_e32 v101, v101
	v_sub_f32_e32 v118, v118, v115
	v_cvt_i32_f32_e32 v115, v115
	v_sub_f32_e32 v116, v116, v121
	v_fma_mix_f32 v3, v3, s86, v122 op_sel_hi:[1,0,0]
	v_mul_f32_e32 v122, 0xbfb8aa3b, v119
	v_add_f32_e32 v118, v118, v120
	v_fma_mixlo_f16 v1, v108, v1, 0
	s_delay_alu instid0(VALU_DEP_4) | instskip(NEXT) | instid1(VALU_DEP_4)
	v_add_f32_e32 v3, v116, v3
	v_rndne_f32_e32 v116, v122
	v_fma_mix_f32 v120, v2, s85, -v122 op_sel_hi:[1,0,0]
	v_exp_f32_e32 v118, v118
	v_ldexp_f32 v98, v101, v98
	v_exp_f32_e32 v3, v3
	v_sub_f32_e32 v101, v122, v116
	v_fma_mix_f32 v2, v2, s86, v120 op_sel_hi:[1,0,0]
	v_cvt_i32_f32_e32 v120, v121
	v_cndmask_b32_e64 v98, 0, v98, s28
	v_cmp_ngt_f32_e64 s28, 0xc2b17218, v12
	v_fma_mixhi_f16 v1, v103, v14, 0
	v_add_f32_e32 v2, v101, v2
	v_ldexp_f32 v101, v118, v115
	v_cvt_i32_f32_e32 v115, v116
	v_cndmask_b32_e64 v98, 0x7f800000, v98, s28
	v_cmp_nlt_f32_e64 s28, 0x42ce8ed0, v104
	v_ldexp_f32 v3, v3, v120
	v_exp_f32_e32 v2, v2
	s_delay_alu instid0(VALU_DEP_3) | instskip(NEXT) | instid1(VALU_DEP_3)
	v_add_f32_e32 v98, 1.0, v98
	v_cndmask_b32_e64 v101, 0, v101, s28
	v_cmp_nlt_f32_e64 s28, 0x42ce8ed0, v117
	s_delay_alu instid0(VALU_DEP_1)
	v_cndmask_b32_e64 v3, 0, v3, s28
	v_cmp_ngt_f32_e64 s28, 0xc2b17218, v104
	s_waitcnt_depctr 0xfff
	v_ldexp_f32 v2, v2, v115
	v_div_scale_f32 v115, null, v98, v98, v12
	v_cndmask_b32_e64 v101, 0x7f800000, v101, s28
	v_cmp_ngt_f32_e64 s28, 0xc2b17218, v117
	s_delay_alu instid0(VALU_DEP_3) | instskip(NEXT) | instid1(VALU_DEP_2)
	v_rcp_f32_e32 v116, v115
	v_add_f32_e32 v101, 1.0, v101
	s_delay_alu instid0(VALU_DEP_2) | instskip(SKIP_1) | instid1(VALU_DEP_3)
	v_cndmask_b32_e64 v3, 0x7f800000, v3, s28
	v_cmp_nlt_f32_e64 s28, 0x42ce8ed0, v119
	v_div_scale_f32 v118, null, v101, v101, v104
	s_delay_alu instid0(VALU_DEP_2) | instskip(SKIP_1) | instid1(TRANS32_DEP_1)
	v_cndmask_b32_e64 v2, 0, v2, s28
	v_cmp_ngt_f32_e64 s28, 0xc2b17218, v119
	v_fma_f32 v124, -v115, v116, 1.0
	s_delay_alu instid0(VALU_DEP_4) | instskip(NEXT) | instid1(VALU_DEP_2)
	v_rcp_f32_e32 v122, v118
	v_cndmask_b32_e64 v2, 0x7f800000, v2, s28
	s_delay_alu instid0(VALU_DEP_2) | instskip(SKIP_1) | instid1(VALU_DEP_3)
	v_fmac_f32_e32 v116, v124, v116
	v_div_scale_f32 v124, s28, v12, v98, v12
	v_dual_add_f32 v2, 1.0, v2 :: v_dual_mul_f32 v121, v123, v97
	s_waitcnt_depctr 0xfff
	v_fma_f32 v128, -v118, v122, 1.0
	v_mul_f32_e32 v130, v124, v116
	v_div_scale_f32 v127, null, v2, v2, v119
	v_fma_f32 v126, -v94, v121, v123
	s_delay_alu instid0(VALU_DEP_4) | instskip(SKIP_1) | instid1(VALU_DEP_4)
	v_fmac_f32_e32 v122, v128, v122
	v_div_scale_f32 v128, s29, v104, v101, v104
	v_rcp_f32_e32 v129, v127
	s_delay_alu instid0(VALU_DEP_1) | instskip(NEXT) | instid1(VALU_DEP_1)
	v_dual_fmac_f32 v121, v126, v97 :: v_dual_mul_f32 v132, v128, v122
	v_fma_f32 v94, -v94, v121, v123
	v_fma_f32 v123, -v115, v130, v124
	s_waitcnt_depctr 0xfff
	v_fma_f32 v131, -v127, v129, 1.0
	v_div_fmas_f32 v94, v94, v97, v121
	v_fma_f32 v97, -v118, v132, v128
	v_dual_add_f32 v3, 1.0, v3 :: v_dual_fmac_f32 v130, v123, v116
	s_delay_alu instid0(VALU_DEP_4) | instskip(SKIP_1) | instid1(VALU_DEP_4)
	v_fmac_f32_e32 v129, v131, v129
	v_div_scale_f32 v131, s31, v119, v2, v119
	v_fmac_f32_e32 v132, v97, v122
	s_delay_alu instid0(VALU_DEP_4) | instskip(NEXT) | instid1(VALU_DEP_3)
	v_div_scale_f32 v120, null, v3, v3, v117
	v_mul_f32_e32 v123, v131, v129
	v_div_fixup_f32 v0, v94, v0, v15
	v_fma_f32 v15, -v115, v130, v124
	s_delay_alu instid0(VALU_DEP_4)
	v_rcp_f32_e32 v125, v120
	v_fma_f32 v97, -v118, v132, v128
	v_fma_f32 v94, -v127, v123, v131
	s_mov_b32 vcc_lo, s28
	v_fma_mixlo_f16 v0, v111, v0, 0
	v_div_fmas_f32 v15, v15, v116, v130
	s_mov_b32 vcc_lo, s29
	v_fmac_f32_e32 v123, v94, v129
	v_div_fmas_f32 v97, v97, v122, v132
	v_fma_mixhi_f16 v0, v105, v11, 0
	v_fma_f32 v126, -v120, v125, 1.0
	v_div_fixup_f32 v12, v15, v98, v12
	v_fma_f32 v115, -v127, v123, v131
	v_div_fixup_f32 v15, v97, v101, v104
	s_delay_alu instid0(VALU_DEP_4) | instskip(SKIP_1) | instid1(VALU_DEP_1)
	v_fmac_f32_e32 v125, v126, v125
	v_div_scale_f32 v126, s30, v117, v3, v117
	s_mov_b32 vcc_lo, s30
	s_delay_alu instid0(VALU_DEP_1) | instskip(NEXT) | instid1(VALU_DEP_1)
	v_mul_f32_e32 v133, v126, v125
	v_fma_f32 v121, -v120, v133, v126
	s_delay_alu instid0(VALU_DEP_1) | instskip(NEXT) | instid1(VALU_DEP_1)
	v_fmac_f32_e32 v133, v121, v125
	v_fma_f32 v94, -v120, v133, v126
	s_delay_alu instid0(VALU_DEP_1) | instskip(SKIP_2) | instid1(VALU_DEP_2)
	v_div_fmas_f32 v94, v94, v125, v133
	s_mov_b32 vcc_lo, s31
	v_div_fmas_f32 v115, v115, v129, v123
	v_div_fixup_f32 v3, v94, v3, v117
	s_delay_alu instid0(VALU_DEP_2) | instskip(NEXT) | instid1(VALU_DEP_2)
	v_div_fixup_f32 v2, v115, v2, v119
	v_fma_mixlo_f16 v3, v106, v3, 0
	s_delay_alu instid0(VALU_DEP_2) | instskip(NEXT) | instid1(VALU_DEP_2)
	v_fma_mixlo_f16 v2, v107, v2, 0
	v_fma_mixhi_f16 v3, v112, v15, 0
	s_delay_alu instid0(VALU_DEP_2)
	v_fma_mixhi_f16 v2, v102, v12, 0
	ds_store_b128 v52, v[6:9]
	ds_store_b128 v52, v[0:3] offset:16
	; wave barrier
	ds_load_u16 v16, v37 offset:64
	ds_load_u16 v15, v38 offset:128
	;; [unrolled: 1-line block ×15, first 2 shown]
	v_add_co_u32 v0, vcc_lo, v76, s34
	v_add_co_ci_u32_e32 v1, vcc_lo, s35, v77, vcc_lo
	s_and_saveexec_b32 s28, s12
	s_cbranch_execnz .LBB117_284
; %bb.252:                              ;   in Loop: Header=BB117_12 Depth=1
	s_or_b32 exec_lo, exec_lo, s28
	s_and_saveexec_b32 s12, s13
	s_cbranch_execnz .LBB117_285
.LBB117_253:                            ;   in Loop: Header=BB117_12 Depth=1
	s_or_b32 exec_lo, exec_lo, s12
	s_and_saveexec_b32 s12, s14
	s_cbranch_execnz .LBB117_286
.LBB117_254:                            ;   in Loop: Header=BB117_12 Depth=1
	s_or_b32 exec_lo, exec_lo, s12
	s_and_saveexec_b32 s12, s15
	s_cbranch_execnz .LBB117_287
.LBB117_255:                            ;   in Loop: Header=BB117_12 Depth=1
	s_or_b32 exec_lo, exec_lo, s12
	s_and_saveexec_b32 s12, s16
	s_cbranch_execnz .LBB117_288
.LBB117_256:                            ;   in Loop: Header=BB117_12 Depth=1
	s_or_b32 exec_lo, exec_lo, s12
	s_and_saveexec_b32 s12, s17
	s_cbranch_execnz .LBB117_289
.LBB117_257:                            ;   in Loop: Header=BB117_12 Depth=1
	s_or_b32 exec_lo, exec_lo, s12
	s_and_saveexec_b32 s12, s18
	s_cbranch_execnz .LBB117_290
.LBB117_258:                            ;   in Loop: Header=BB117_12 Depth=1
	s_or_b32 exec_lo, exec_lo, s12
	s_and_saveexec_b32 s12, s19
	s_cbranch_execnz .LBB117_291
.LBB117_259:                            ;   in Loop: Header=BB117_12 Depth=1
	s_or_b32 exec_lo, exec_lo, s12
	s_and_saveexec_b32 s12, s20
	s_cbranch_execnz .LBB117_292
.LBB117_260:                            ;   in Loop: Header=BB117_12 Depth=1
	s_or_b32 exec_lo, exec_lo, s12
	s_and_saveexec_b32 s12, s21
	s_cbranch_execnz .LBB117_293
.LBB117_261:                            ;   in Loop: Header=BB117_12 Depth=1
	s_or_b32 exec_lo, exec_lo, s12
	s_and_saveexec_b32 s12, s22
	s_cbranch_execnz .LBB117_294
.LBB117_262:                            ;   in Loop: Header=BB117_12 Depth=1
	s_or_b32 exec_lo, exec_lo, s12
	s_and_saveexec_b32 s12, s23
	s_cbranch_execnz .LBB117_295
.LBB117_263:                            ;   in Loop: Header=BB117_12 Depth=1
	s_or_b32 exec_lo, exec_lo, s12
	s_and_saveexec_b32 s12, s24
	s_cbranch_execnz .LBB117_296
.LBB117_264:                            ;   in Loop: Header=BB117_12 Depth=1
	s_or_b32 exec_lo, exec_lo, s12
	s_and_saveexec_b32 s12, s25
	s_cbranch_execnz .LBB117_297
.LBB117_265:                            ;   in Loop: Header=BB117_12 Depth=1
	s_or_b32 exec_lo, exec_lo, s12
	s_and_saveexec_b32 s12, s26
	s_cbranch_execnz .LBB117_298
.LBB117_266:                            ;   in Loop: Header=BB117_12 Depth=1
	s_or_b32 exec_lo, exec_lo, s12
	s_and_saveexec_b32 s12, s27
	s_cbranch_execz .LBB117_11
	s_branch .LBB117_299
.LBB117_267:                            ;   in Loop: Header=BB117_12 Depth=1
	global_load_u16 v101, v[8:9], off offset:832
	s_or_b32 exec_lo, exec_lo, s28
	s_and_saveexec_b32 s28, s26
	s_cbranch_execz .LBB117_72
.LBB117_268:                            ;   in Loop: Header=BB117_12 Depth=1
	global_load_u16 v100, v[8:9], off offset:896
	s_or_b32 exec_lo, exec_lo, s28
	v_mov_b32_e32 v102, 0
	s_and_saveexec_b32 s28, s27
	s_cbranch_execnz .LBB117_73
	s_branch .LBB117_74
.LBB117_269:                            ;   in Loop: Header=BB117_12 Depth=1
	ds_load_u16 v17, v37
	s_waitcnt lgkmcnt(0)
	global_store_b16 v[0:1], v17, off
	s_or_b32 exec_lo, exec_lo, s28
	s_and_saveexec_b32 s28, s13
	s_cbranch_execz .LBB117_204
.LBB117_270:                            ;   in Loop: Header=BB117_12 Depth=1
	s_waitcnt lgkmcnt(14)
	global_store_b16 v[0:1], v16, off offset:64
	s_or_b32 exec_lo, exec_lo, s28
	s_and_saveexec_b32 s28, s14
	s_cbranch_execz .LBB117_205
.LBB117_271:                            ;   in Loop: Header=BB117_12 Depth=1
	s_waitcnt lgkmcnt(13)
	global_store_b16 v[0:1], v15, off offset:128
	s_or_b32 exec_lo, exec_lo, s28
	s_and_saveexec_b32 s28, s15
	s_cbranch_execz .LBB117_206
.LBB117_272:                            ;   in Loop: Header=BB117_12 Depth=1
	s_waitcnt lgkmcnt(12)
	global_store_b16 v[0:1], v14, off offset:192
	s_or_b32 exec_lo, exec_lo, s28
	s_and_saveexec_b32 s28, s16
	s_cbranch_execz .LBB117_207
.LBB117_273:                            ;   in Loop: Header=BB117_12 Depth=1
	s_waitcnt lgkmcnt(11)
	global_store_b16 v[0:1], v13, off offset:256
	s_or_b32 exec_lo, exec_lo, s28
	s_and_saveexec_b32 s28, s17
	s_cbranch_execz .LBB117_208
.LBB117_274:                            ;   in Loop: Header=BB117_12 Depth=1
	s_waitcnt lgkmcnt(10)
	global_store_b16 v[0:1], v12, off offset:320
	s_or_b32 exec_lo, exec_lo, s28
	s_and_saveexec_b32 s28, s18
	s_cbranch_execz .LBB117_209
.LBB117_275:                            ;   in Loop: Header=BB117_12 Depth=1
	s_waitcnt lgkmcnt(9)
	global_store_b16 v[0:1], v11, off offset:384
	s_or_b32 exec_lo, exec_lo, s28
	s_and_saveexec_b32 s28, s19
	s_cbranch_execz .LBB117_210
.LBB117_276:                            ;   in Loop: Header=BB117_12 Depth=1
	s_waitcnt lgkmcnt(8)
	global_store_b16 v[0:1], v10, off offset:448
	s_or_b32 exec_lo, exec_lo, s28
	s_and_saveexec_b32 s28, s20
	s_cbranch_execz .LBB117_211
.LBB117_277:                            ;   in Loop: Header=BB117_12 Depth=1
	s_waitcnt lgkmcnt(7)
	global_store_b16 v[0:1], v9, off offset:512
	s_or_b32 exec_lo, exec_lo, s28
	s_and_saveexec_b32 s28, s21
	s_cbranch_execz .LBB117_212
.LBB117_278:                            ;   in Loop: Header=BB117_12 Depth=1
	s_waitcnt lgkmcnt(6)
	global_store_b16 v[0:1], v8, off offset:576
	s_or_b32 exec_lo, exec_lo, s28
	s_and_saveexec_b32 s28, s22
	s_cbranch_execz .LBB117_213
.LBB117_279:                            ;   in Loop: Header=BB117_12 Depth=1
	s_waitcnt lgkmcnt(5)
	global_store_b16 v[0:1], v7, off offset:640
	s_or_b32 exec_lo, exec_lo, s28
	s_and_saveexec_b32 s28, s23
	s_cbranch_execz .LBB117_214
.LBB117_280:                            ;   in Loop: Header=BB117_12 Depth=1
	s_waitcnt lgkmcnt(4)
	global_store_b16 v[0:1], v6, off offset:704
	s_or_b32 exec_lo, exec_lo, s28
	s_and_saveexec_b32 s28, s24
	s_cbranch_execz .LBB117_215
.LBB117_281:                            ;   in Loop: Header=BB117_12 Depth=1
	s_waitcnt lgkmcnt(3)
	global_store_b16 v[0:1], v5, off offset:768
	s_or_b32 exec_lo, exec_lo, s28
	s_and_saveexec_b32 s28, s25
	s_cbranch_execz .LBB117_216
.LBB117_282:                            ;   in Loop: Header=BB117_12 Depth=1
	s_waitcnt lgkmcnt(2)
	global_store_b16 v[0:1], v4, off offset:832
	s_or_b32 exec_lo, exec_lo, s28
	s_and_saveexec_b32 s28, s26
	s_cbranch_execz .LBB117_217
.LBB117_283:                            ;   in Loop: Header=BB117_12 Depth=1
	s_waitcnt lgkmcnt(1)
	global_store_b16 v[0:1], v3, off offset:896
	s_or_b32 exec_lo, exec_lo, s28
	s_and_saveexec_b32 s28, s27
	s_cbranch_execnz .LBB117_218
	s_branch .LBB117_219
.LBB117_284:                            ;   in Loop: Header=BB117_12 Depth=1
	ds_load_u16 v17, v37
	s_waitcnt lgkmcnt(0)
	global_store_b16 v[0:1], v17, off
	s_or_b32 exec_lo, exec_lo, s28
	s_and_saveexec_b32 s12, s13
	s_cbranch_execz .LBB117_253
.LBB117_285:                            ;   in Loop: Header=BB117_12 Depth=1
	s_waitcnt lgkmcnt(14)
	global_store_b16 v[0:1], v16, off offset:64
	s_or_b32 exec_lo, exec_lo, s12
	s_and_saveexec_b32 s12, s14
	s_cbranch_execz .LBB117_254
.LBB117_286:                            ;   in Loop: Header=BB117_12 Depth=1
	s_waitcnt lgkmcnt(13)
	global_store_b16 v[0:1], v15, off offset:128
	s_or_b32 exec_lo, exec_lo, s12
	s_and_saveexec_b32 s12, s15
	s_cbranch_execz .LBB117_255
.LBB117_287:                            ;   in Loop: Header=BB117_12 Depth=1
	s_waitcnt lgkmcnt(12)
	global_store_b16 v[0:1], v14, off offset:192
	s_or_b32 exec_lo, exec_lo, s12
	s_and_saveexec_b32 s12, s16
	s_cbranch_execz .LBB117_256
.LBB117_288:                            ;   in Loop: Header=BB117_12 Depth=1
	s_waitcnt lgkmcnt(11)
	global_store_b16 v[0:1], v13, off offset:256
	s_or_b32 exec_lo, exec_lo, s12
	s_and_saveexec_b32 s12, s17
	s_cbranch_execz .LBB117_257
.LBB117_289:                            ;   in Loop: Header=BB117_12 Depth=1
	s_waitcnt lgkmcnt(10)
	global_store_b16 v[0:1], v12, off offset:320
	s_or_b32 exec_lo, exec_lo, s12
	s_and_saveexec_b32 s12, s18
	s_cbranch_execz .LBB117_258
.LBB117_290:                            ;   in Loop: Header=BB117_12 Depth=1
	s_waitcnt lgkmcnt(9)
	global_store_b16 v[0:1], v11, off offset:384
	s_or_b32 exec_lo, exec_lo, s12
	s_and_saveexec_b32 s12, s19
	s_cbranch_execz .LBB117_259
.LBB117_291:                            ;   in Loop: Header=BB117_12 Depth=1
	s_waitcnt lgkmcnt(8)
	global_store_b16 v[0:1], v10, off offset:448
	s_or_b32 exec_lo, exec_lo, s12
	s_and_saveexec_b32 s12, s20
	s_cbranch_execz .LBB117_260
.LBB117_292:                            ;   in Loop: Header=BB117_12 Depth=1
	s_waitcnt lgkmcnt(7)
	global_store_b16 v[0:1], v9, off offset:512
	s_or_b32 exec_lo, exec_lo, s12
	s_and_saveexec_b32 s12, s21
	s_cbranch_execz .LBB117_261
.LBB117_293:                            ;   in Loop: Header=BB117_12 Depth=1
	s_waitcnt lgkmcnt(6)
	global_store_b16 v[0:1], v8, off offset:576
	s_or_b32 exec_lo, exec_lo, s12
	s_and_saveexec_b32 s12, s22
	s_cbranch_execz .LBB117_262
.LBB117_294:                            ;   in Loop: Header=BB117_12 Depth=1
	s_waitcnt lgkmcnt(5)
	global_store_b16 v[0:1], v7, off offset:640
	s_or_b32 exec_lo, exec_lo, s12
	s_and_saveexec_b32 s12, s23
	s_cbranch_execz .LBB117_263
.LBB117_295:                            ;   in Loop: Header=BB117_12 Depth=1
	s_waitcnt lgkmcnt(4)
	global_store_b16 v[0:1], v6, off offset:704
	s_or_b32 exec_lo, exec_lo, s12
	s_and_saveexec_b32 s12, s24
	s_cbranch_execz .LBB117_264
.LBB117_296:                            ;   in Loop: Header=BB117_12 Depth=1
	s_waitcnt lgkmcnt(3)
	global_store_b16 v[0:1], v5, off offset:768
	s_or_b32 exec_lo, exec_lo, s12
	s_and_saveexec_b32 s12, s25
	s_cbranch_execz .LBB117_265
.LBB117_297:                            ;   in Loop: Header=BB117_12 Depth=1
	s_waitcnt lgkmcnt(2)
	global_store_b16 v[0:1], v4, off offset:832
	s_or_b32 exec_lo, exec_lo, s12
	s_and_saveexec_b32 s12, s26
	s_cbranch_execz .LBB117_266
.LBB117_298:                            ;   in Loop: Header=BB117_12 Depth=1
	s_waitcnt lgkmcnt(1)
	global_store_b16 v[0:1], v3, off offset:896
	s_or_b32 exec_lo, exec_lo, s12
	s_and_saveexec_b32 s12, s27
	s_cbranch_execz .LBB117_11
.LBB117_299:                            ;   in Loop: Header=BB117_12 Depth=1
	s_waitcnt lgkmcnt(0)
	global_store_b16 v[0:1], v2, off offset:960
	s_branch .LBB117_11
.LBB117_300:
	s_nop 0
	s_sendmsg sendmsg(MSG_DEALLOC_VGPRS)
	s_endpgm
	.section	.rodata,"a",@progbits
	.p2align	6, 0x0
	.amdhsa_kernel _Z25selective_scan_fwd_kernelI32Selective_Scan_fwd_kernel_traitsILi64ELi16ELi1ELb0ELb1ELb1ELb1ELb0EN3c104HalfEffEEv13SSMParamsBase
		.amdhsa_group_segment_fixed_size 0
		.amdhsa_private_segment_fixed_size 0
		.amdhsa_kernarg_size 248
		.amdhsa_user_sgpr_count 14
		.amdhsa_user_sgpr_dispatch_ptr 0
		.amdhsa_user_sgpr_queue_ptr 0
		.amdhsa_user_sgpr_kernarg_segment_ptr 1
		.amdhsa_user_sgpr_dispatch_id 0
		.amdhsa_user_sgpr_private_segment_size 0
		.amdhsa_wavefront_size32 1
		.amdhsa_uses_dynamic_stack 0
		.amdhsa_enable_private_segment 0
		.amdhsa_system_sgpr_workgroup_id_x 1
		.amdhsa_system_sgpr_workgroup_id_y 1
		.amdhsa_system_sgpr_workgroup_id_z 0
		.amdhsa_system_sgpr_workgroup_info 0
		.amdhsa_system_vgpr_workitem_id 0
		.amdhsa_next_free_vgpr 176
		.amdhsa_next_free_sgpr 94
		.amdhsa_reserve_vcc 1
		.amdhsa_float_round_mode_32 0
		.amdhsa_float_round_mode_16_64 0
		.amdhsa_float_denorm_mode_32 3
		.amdhsa_float_denorm_mode_16_64 3
		.amdhsa_dx10_clamp 1
		.amdhsa_ieee_mode 1
		.amdhsa_fp16_overflow 0
		.amdhsa_workgroup_processor_mode 1
		.amdhsa_memory_ordered 1
		.amdhsa_forward_progress 0
		.amdhsa_shared_vgpr_count 0
		.amdhsa_exception_fp_ieee_invalid_op 0
		.amdhsa_exception_fp_denorm_src 0
		.amdhsa_exception_fp_ieee_div_zero 0
		.amdhsa_exception_fp_ieee_overflow 0
		.amdhsa_exception_fp_ieee_underflow 0
		.amdhsa_exception_fp_ieee_inexact 0
		.amdhsa_exception_int_div_zero 0
	.end_amdhsa_kernel
	.section	.text._Z25selective_scan_fwd_kernelI32Selective_Scan_fwd_kernel_traitsILi64ELi16ELi1ELb0ELb1ELb1ELb1ELb0EN3c104HalfEffEEv13SSMParamsBase,"axG",@progbits,_Z25selective_scan_fwd_kernelI32Selective_Scan_fwd_kernel_traitsILi64ELi16ELi1ELb0ELb1ELb1ELb1ELb0EN3c104HalfEffEEv13SSMParamsBase,comdat
.Lfunc_end117:
	.size	_Z25selective_scan_fwd_kernelI32Selective_Scan_fwd_kernel_traitsILi64ELi16ELi1ELb0ELb1ELb1ELb1ELb0EN3c104HalfEffEEv13SSMParamsBase, .Lfunc_end117-_Z25selective_scan_fwd_kernelI32Selective_Scan_fwd_kernel_traitsILi64ELi16ELi1ELb0ELb1ELb1ELb1ELb0EN3c104HalfEffEEv13SSMParamsBase
                                        ; -- End function
	.section	.AMDGPU.csdata,"",@progbits
; Kernel info:
; codeLenInByte = 26084
; NumSgprs: 96
; NumVgprs: 176
; ScratchSize: 0
; MemoryBound: 0
; FloatMode: 240
; IeeeMode: 1
; LDSByteSize: 0 bytes/workgroup (compile time only)
; SGPRBlocks: 11
; VGPRBlocks: 21
; NumSGPRsForWavesPerEU: 96
; NumVGPRsForWavesPerEU: 176
; Occupancy: 8
; WaveLimiterHint : 0
; COMPUTE_PGM_RSRC2:SCRATCH_EN: 0
; COMPUTE_PGM_RSRC2:USER_SGPR: 14
; COMPUTE_PGM_RSRC2:TRAP_HANDLER: 0
; COMPUTE_PGM_RSRC2:TGID_X_EN: 1
; COMPUTE_PGM_RSRC2:TGID_Y_EN: 1
; COMPUTE_PGM_RSRC2:TGID_Z_EN: 0
; COMPUTE_PGM_RSRC2:TIDIG_COMP_CNT: 0
	.section	.text._Z25selective_scan_fwd_kernelI32Selective_Scan_fwd_kernel_traitsILi64ELi16ELi1ELb0ELb1ELb1ELb0ELb1EN3c104HalfEffEEv13SSMParamsBase,"axG",@progbits,_Z25selective_scan_fwd_kernelI32Selective_Scan_fwd_kernel_traitsILi64ELi16ELi1ELb0ELb1ELb1ELb0ELb1EN3c104HalfEffEEv13SSMParamsBase,comdat
	.protected	_Z25selective_scan_fwd_kernelI32Selective_Scan_fwd_kernel_traitsILi64ELi16ELi1ELb0ELb1ELb1ELb0ELb1EN3c104HalfEffEEv13SSMParamsBase ; -- Begin function _Z25selective_scan_fwd_kernelI32Selective_Scan_fwd_kernel_traitsILi64ELi16ELi1ELb0ELb1ELb1ELb0ELb1EN3c104HalfEffEEv13SSMParamsBase
	.globl	_Z25selective_scan_fwd_kernelI32Selective_Scan_fwd_kernel_traitsILi64ELi16ELi1ELb0ELb1ELb1ELb0ELb1EN3c104HalfEffEEv13SSMParamsBase
	.p2align	8
	.type	_Z25selective_scan_fwd_kernelI32Selective_Scan_fwd_kernel_traitsILi64ELi16ELi1ELb0ELb1ELb1ELb0ELb1EN3c104HalfEffEEv13SSMParamsBase,@function
_Z25selective_scan_fwd_kernelI32Selective_Scan_fwd_kernel_traitsILi64ELi16ELi1ELb0ELb1ELb1ELb0ELb1EN3c104HalfEffEEv13SSMParamsBase: ; @_Z25selective_scan_fwd_kernelI32Selective_Scan_fwd_kernel_traitsILi64ELi16ELi1ELb0ELb1ELb1ELb0ELb1EN3c104HalfEffEEv13SSMParamsBase
; %bb.0:
	s_clause 0x2
	s_load_b32 s34, s[0:1], 0x18
	s_load_b128 s[4:7], s[0:1], 0xe0
	s_load_b64 s[10:11], s[0:1], 0xf0
	s_mov_b32 s12, s15
	s_ashr_i32 s15, s14, 31
	s_mov_b32 s47, 0
	s_lshl_b64 s[8:9], s[14:15], 2
	s_waitcnt lgkmcnt(0)
	s_abs_i32 s33, s34
	s_add_u32 s2, s4, s8
	v_cvt_f32_u32_e32 v1, s33
	s_addc_u32 s3, s5, s9
	s_cmp_eq_u64 s[10:11], 0
	s_delay_alu instid0(VALU_DEP_1) | instskip(SKIP_2) | instid1(VALU_DEP_1)
	v_rcp_iflag_f32_e32 v1, v1
	s_waitcnt_depctr 0xfff
	v_mul_f32_e32 v1, 0x4f7ffffe, v1
	v_cvt_u32_f32_e32 v1, v1
	s_delay_alu instid0(VALU_DEP_1)
	v_readfirstlane_b32 s35, v1
	s_cbranch_scc1 .LBB118_2
; %bb.1:
	v_mov_b32_e32 v1, 0
	s_add_u32 s4, s10, s14
	s_addc_u32 s5, s11, s15
	global_load_u8 v1, v1, s[4:5]
	s_waitcnt vmcnt(0)
	v_and_b32_e32 v1, 1, v1
	s_delay_alu instid0(VALU_DEP_1)
	v_cmp_eq_u32_e64 s47, 1, v1
.LBB118_2:
	s_load_b64 s[4:5], s[0:1], 0x20
	s_cmp_eq_u64 s[6:7], 0
	s_cbranch_scc1 .LBB118_4
; %bb.3:
	s_add_u32 s6, s6, s8
	s_addc_u32 s7, s7, s9
	s_load_b32 s14, s[6:7], 0x0
	s_waitcnt lgkmcnt(0)
	s_ashr_i32 s15, s14, 31
.LBB118_4:
	s_waitcnt lgkmcnt(0)
	s_cmp_eq_u64 s[4:5], s[14:15]
	s_cbranch_scc1 .LBB118_236
; %bb.5:
	s_load_b512 s[16:31], s[0:1], 0x88
	s_load_b64 s[10:11], s[2:3], 0x0
	s_mov_b32 s66, 0
	s_mov_b32 s67, 0
	s_waitcnt lgkmcnt(0)
	s_cmp_eq_u64 s[22:23], 0
	s_cbranch_scc1 .LBB118_7
; %bb.6:
	s_ashr_i32 s13, s12, 31
	s_delay_alu instid0(SALU_CYCLE_1) | instskip(NEXT) | instid1(SALU_CYCLE_1)
	s_lshl_b64 s[2:3], s[12:13], 2
	s_add_u32 s2, s22, s2
	s_addc_u32 s3, s23, s3
	s_load_b32 s67, s[2:3], 0x0
.LBB118_7:
	s_cmp_eq_u64 s[28:29], 0
	s_cbranch_scc1 .LBB118_9
; %bb.8:
	s_ashr_i32 s13, s12, 31
	s_delay_alu instid0(SALU_CYCLE_1) | instskip(NEXT) | instid1(SALU_CYCLE_1)
	s_lshl_b64 s[2:3], s[12:13], 2
	s_add_u32 s2, s28, s2
	s_addc_u32 s3, s29, s3
	s_load_b32 s66, s[2:3], 0x0
.LBB118_9:
	s_sub_i32 s68, s11, s10
	s_delay_alu instid0(SALU_CYCLE_1)
	s_cmp_lt_i32 s68, 1
	s_cbranch_scc1 .LBB118_236
; %bb.10:
	s_sub_i32 s2, 0, s33
	s_abs_i32 s5, s12
	s_mul_i32 s4, s2, s35
	s_clause 0x1
	s_load_b64 s[2:3], s[0:1], 0x5c
	s_load_b128 s[56:59], s[0:1], 0x4c
	s_mul_hi_u32 s4, s35, s4
	s_ashr_i32 s7, s34, 31
	s_add_i32 s35, s35, s4
	s_ashr_i32 s4, s12, 31
	s_mul_hi_u32 s6, s5, s35
	s_xor_b32 s7, s4, s7
	s_mul_i32 s8, s6, s33
	s_load_b256 s[48:55], s[0:1], 0x2c
	s_sub_i32 s4, s5, s8
	s_add_i32 s5, s6, 1
	s_sub_i32 s8, s4, s33
	s_cmp_ge_u32 s4, s33
	s_mov_b32 s65, 0
	s_cselect_b32 s5, s5, s6
	s_cselect_b32 s4, s8, s4
	s_add_i32 s6, s5, 1
	s_cmp_ge_u32 s4, s33
	s_load_b128 s[60:63], s[0:1], 0x7c
	s_cselect_b32 s4, s6, s5
	s_waitcnt lgkmcnt(0)
	s_mul_i32 s64, s10, s58
	s_xor_b32 s6, s4, s7
	s_lshl_b64 s[4:5], s[64:65], 1
	s_sub_i32 s6, s6, s7
	s_mul_i32 s64, s59, s12
	s_add_u32 s7, s24, s4
	s_addc_u32 s8, s25, s5
	s_lshl_b64 s[4:5], s[64:65], 1
	s_mul_i32 s64, s10, s2
	s_add_u32 s69, s7, s4
	s_addc_u32 s70, s8, s5
	s_lshl_b64 s[4:5], s[64:65], 1
	;; [unrolled: 4-line block ×3, first 2 shown]
	v_dual_mov_b32 v21, 0 :: v_dual_lshlrev_b32 v18, 4, v0
	s_add_u32 s71, s4, s2
	s_mul_i32 s64, s48, s12
	s_addc_u32 s48, s5, s3
	s_load_b64 s[4:5], s[0:1], 0xc8
	s_lshl_b64 s[2:3], s[64:65], 2
	v_mbcnt_lo_u32_b32 v19, -1, 0
	v_and_b32_e32 v1, 0x200, v18
	s_mul_i32 s64, s10, s50
	s_add_u32 s72, s16, s2
	s_addc_u32 s63, s17, s3
	s_lshl_b64 s[2:3], s[64:65], 1
	s_mul_i32 s64, s6, s53
	s_clause 0x2
	s_load_b64 s[16:17], s[0:1], 0x6c
	s_load_b32 s77, s[0:1], 0xc
	s_load_b32 s0, s[0:1], 0x28
	s_add_u32 s7, s18, s2
	v_or_b32_e32 v20, v19, v1
	s_addc_u32 s8, s19, s3
	s_lshl_b64 s[2:3], s[64:65], 1
	s_mul_i32 s64, s10, s54
	s_add_u32 s53, s7, s2
	s_addc_u32 s73, s8, s3
	s_lshl_b64 s[2:3], s[64:65], 1
	s_mul_i32 s64, s6, s57
	v_or_b32_e32 v24, 0x60, v20
	v_and_b32_e32 v14, 32, v0
	s_add_u32 s7, s20, s2
	s_addc_u32 s6, s21, s3
	s_lshl_b64 s[2:3], s[64:65], 1
	s_mul_i32 s64, s14, s60
	s_add_u32 s57, s7, s2
	s_addc_u32 s74, s6, s3
	s_lshl_b64 s[2:3], s[64:65], 2
	v_or_b32_e32 v26, 0xa0, v20
	v_or_b32_e32 v28, 0xe0, v20
	;; [unrolled: 1-line block ×5, first 2 shown]
	v_lshrrev_b32_e32 v2, 5, v24
	v_or_b32_e32 v36, 0x1e0, v20
	v_or_b32_e32 v16, v19, v14
	s_mul_i32 s64, s61, s12
	s_waitcnt lgkmcnt(0)
	s_add_u32 s4, s4, s2
	s_addc_u32 s5, s5, s3
	s_lshl_b64 s[2:3], s[64:65], 2
	v_or_b32_e32 v23, 64, v20
	s_add_u32 s75, s4, s2
	v_or_b32_e32 v25, 0x80, v20
	v_or_b32_e32 v27, 0xc0, v20
	;; [unrolled: 1-line block ×6, first 2 shown]
	v_and_b32_e32 v2, 18, v2
	v_lshrrev_b32_e32 v5, 5, v26
	v_lshrrev_b32_e32 v8, 5, v28
	;; [unrolled: 1-line block ×6, first 2 shown]
	v_lshrrev_b16 v50, 1, v16
	s_addc_u32 s76, s5, s3
	s_add_i32 s2, s68, 0x7ff
	v_lshrrev_b32_e32 v3, 5, v1
	s_lshr_b32 s78, s2, 11
	s_bitcmp1_b32 s0, 0
	v_lshrrev_b32_e32 v4, 5, v23
	v_lshrrev_b32_e32 v6, 5, v25
	v_add_lshl_u32 v2, v2, v20, 1
	v_and_b32_e32 v5, 20, v5
	v_lshrrev_b32_e32 v7, 5, v27
	v_and_b32_e32 v8, 22, v8
	v_lshrrev_b32_e32 v10, 5, v29
	v_and_b32_e32 v9, 24, v9
	v_lshrrev_b32_e32 v12, 5, v31
	v_and_b32_e32 v11, 26, v11
	v_lshrrev_b32_e32 v13, 5, v33
	v_and_b32_e32 v15, 28, v15
	v_lshrrev_b32_e32 v17, 5, v35
	v_and_b32_e32 v51, 30, v49
	v_lshlrev_b32_e32 v16, 4, v16
	v_and_b32_e32 v52, 30, v50
	s_cselect_b32 s79, -1, 0
	s_cmp_gt_i32 s77, 0
	v_add_lshl_u32 v3, v3, v20, 1
	s_cselect_b32 s80, -1, 0
	s_add_i32 s0, 0, 0x840
	v_add_lshl_u32 v4, v4, v20, 1
	v_add_lshl_u32 v6, v6, v20, 1
	v_add_nc_u32_e32 v39, 0, v2
	v_add_lshl_u32 v5, v5, v20, 1
	v_add_lshl_u32 v7, v7, v20, 1
	;; [unrolled: 1-line block ×12, first 2 shown]
	v_add_nc_u32_e32 v55, s0, v2
	v_and_b32_e32 v2, 15, v19
	s_and_b32 s1, s68, 0x3ff
	v_add_nc_u32_e32 v51, 0, v67
	v_add_nc_u32_e32 v53, s0, v3
	;; [unrolled: 1-line block ×15, first 2 shown]
	s_cmp_eq_u32 s1, 0
	v_add_nc_u32_e32 v68, s0, v16
	v_cmp_ne_u32_e64 s0, 0, v2
	v_cmp_lt_u32_e64 s1, 1, v2
	v_cmp_lt_u32_e64 s2, 3, v2
	;; [unrolled: 1-line block ×3, first 2 shown]
	v_add_nc_u32_e32 v2, -1, v19
	v_add_nc_u32_e32 v37, 0, v3
	v_lshrrev_b32_e32 v3, 2, v0
	v_add_nc_u32_e32 v41, 0, v5
	v_or_b32_e32 v5, 31, v14
	v_cmp_gt_i32_e32 vcc_lo, 0, v2
	s_mul_i32 s64, s10, s16
	v_and_b32_e32 v3, 8, v3
	s_cselect_b32 s81, -1, 0
	s_lshl_b64 s[14:15], s[64:65], 1
	v_cndmask_b32_e32 v2, v2, v19, vcc_lo
	s_add_i32 s82, s78, -1
	s_mul_i32 s64, s17, s12
	v_cmp_eq_u32_e64 s5, v5, v0
	v_cmp_gt_u32_e64 s6, 2, v0
	v_lshl_add_u32 v70, v0, 3, 0
	v_cmp_gt_u32_e64 s8, 32, v0
	v_cmp_lt_u32_e64 s9, 31, v0
	v_cmp_eq_u32_e64 s10, 0, v0
	s_add_u32 s11, s30, s14
	v_lshlrev_b32_e32 v0, 1, v19
	s_addc_u32 s14, s31, s15
	s_lshl_b64 s[12:13], s[64:65], 1
	v_add_nc_u32_e32 v69, 0, v3
	v_and_b32_e32 v3, 1, v19
	s_add_u32 s11, s11, s12
	v_lshlrev_b32_e32 v71, 2, v2
	s_addc_u32 s12, s14, s13
	v_lshlrev_b32_e32 v2, 1, v1
	v_add_co_u32 v0, s11, s11, v0
	v_add_nc_u32_e32 v38, 0, v4
	v_and_b32_e32 v4, 16, v19
	v_cmp_eq_u32_e64 s7, 0, v3
	v_add_co_ci_u32_e64 v3, null, s12, 0, s11
	v_add_co_u32 v72, vcc_lo, v0, v2
	v_or_b32_e32 v22, 32, v20
	v_add_nc_u32_e32 v40, 0, v6
	v_add_nc_u32_e32 v42, 0, v7
	;; [unrolled: 1-line block ×11, first 2 shown]
	v_cmp_ne_u32_e64 s4, 0, v4
	v_cmp_eq_u32_e64 s11, 0, v19
	v_add_co_ci_u32_e32 v73, vcc_lo, 0, v3, vcc_lo
	v_or_b32_e32 v74, 1, v18
	v_or_b32_e32 v75, 2, v18
	;; [unrolled: 1-line block ×15, first 2 shown]
	v_lshlrev_b32_e32 v89, 1, v1
	s_mov_b32 s83, 0x3e9b6dac
	s_add_i32 s84, 0, 0x1090
	s_mov_b32 s85, 0
	s_branch .LBB118_12
.LBB118_11:                             ;   in Loop: Header=BB118_12 Depth=1
	s_or_b32 exec_lo, exec_lo, s12
	s_add_u32 s71, s71, 0x800
	s_addc_u32 s48, s48, 0
	s_add_u32 s69, s69, 0x800
	s_addc_u32 s70, s70, 0
	;; [unrolled: 2-line block ×4, first 2 shown]
	s_add_i32 s85, s85, 1
	s_delay_alu instid0(SALU_CYCLE_1)
	s_cmp_eq_u32 s85, s78
	s_cbranch_scc1 .LBB118_236
.LBB118_12:                             ; =>This Loop Header: Depth=1
                                        ;     Child Loop BB118_109 Depth 2
	s_waitcnt lgkmcnt(14)
	v_lshlrev_b32_e32 v16, 1, v19
	s_lshl_b32 s50, s85, 10
	s_waitcnt lgkmcnt(0)
	v_mov_b32_e32 v2, 0
	s_sub_i32 s40, s68, s50
	v_add_co_u32 v0, s12, s69, v16
	s_delay_alu instid0(VALU_DEP_1) | instskip(SKIP_1) | instid1(VALU_DEP_3)
	v_add_co_ci_u32_e64 v1, null, s70, 0, s12
	v_cmp_gt_u32_e64 s12, s40, v20
	v_add_co_u32 v0, vcc_lo, v0, v89
	s_delay_alu instid0(VALU_DEP_3)
	v_add_co_ci_u32_e32 v1, vcc_lo, 0, v1, vcc_lo
	s_waitcnt_vscnt null, 0x0
	s_barrier
	buffer_gl0_inv
	s_and_saveexec_b32 s13, s12
	s_cbranch_execz .LBB118_14
; %bb.13:                               ;   in Loop: Header=BB118_12 Depth=1
	global_load_u16 v2, v[0:1], off
.LBB118_14:                             ;   in Loop: Header=BB118_12 Depth=1
	s_or_b32 exec_lo, exec_lo, s13
	v_cmp_gt_u32_e64 s13, s40, v22
	v_dual_mov_b32 v3, 0 :: v_dual_mov_b32 v4, 0
	s_delay_alu instid0(VALU_DEP_2)
	s_and_saveexec_b32 s14, s13
	s_cbranch_execz .LBB118_16
; %bb.15:                               ;   in Loop: Header=BB118_12 Depth=1
	global_load_u16 v4, v[0:1], off offset:64
.LBB118_16:                             ;   in Loop: Header=BB118_12 Depth=1
	s_or_b32 exec_lo, exec_lo, s14
	v_cmp_gt_u32_e64 s14, s40, v23
	s_delay_alu instid0(VALU_DEP_1)
	s_and_saveexec_b32 s15, s14
	s_cbranch_execz .LBB118_18
; %bb.17:                               ;   in Loop: Header=BB118_12 Depth=1
	global_load_u16 v3, v[0:1], off offset:128
.LBB118_18:                             ;   in Loop: Header=BB118_12 Depth=1
	s_or_b32 exec_lo, exec_lo, s15
	v_cmp_gt_u32_e64 s15, s40, v24
	v_dual_mov_b32 v5, 0 :: v_dual_mov_b32 v6, 0
	s_delay_alu instid0(VALU_DEP_2)
	s_and_saveexec_b32 s16, s15
	s_cbranch_execz .LBB118_20
; %bb.19:                               ;   in Loop: Header=BB118_12 Depth=1
	global_load_u16 v6, v[0:1], off offset:192
.LBB118_20:                             ;   in Loop: Header=BB118_12 Depth=1
	s_or_b32 exec_lo, exec_lo, s16
	v_cmp_gt_u32_e64 s16, s40, v25
	s_delay_alu instid0(VALU_DEP_1)
	s_and_saveexec_b32 s17, s16
	s_cbranch_execz .LBB118_22
; %bb.21:                               ;   in Loop: Header=BB118_12 Depth=1
	global_load_u16 v5, v[0:1], off offset:256
.LBB118_22:                             ;   in Loop: Header=BB118_12 Depth=1
	;; [unrolled: 17-line block ×3, first 2 shown]
	s_or_b32 exec_lo, exec_lo, s19
	v_cmp_gt_u32_e64 s19, s40, v28
	v_mov_b32_e32 v9, 0
	v_mov_b32_e32 v11, 0
	s_delay_alu instid0(VALU_DEP_3)
	s_and_saveexec_b32 s20, s19
	s_cbranch_execz .LBB118_28
; %bb.27:                               ;   in Loop: Header=BB118_12 Depth=1
	global_load_u16 v11, v[0:1], off offset:448
.LBB118_28:                             ;   in Loop: Header=BB118_12 Depth=1
	s_or_b32 exec_lo, exec_lo, s20
	v_cmp_gt_u32_e64 s20, s40, v29
	s_delay_alu instid0(VALU_DEP_1)
	s_and_saveexec_b32 s21, s20
	s_cbranch_execz .LBB118_30
; %bb.29:                               ;   in Loop: Header=BB118_12 Depth=1
	global_load_u16 v9, v[0:1], off offset:512
.LBB118_30:                             ;   in Loop: Header=BB118_12 Depth=1
	s_or_b32 exec_lo, exec_lo, s21
	v_cmp_gt_u32_e64 s21, s40, v30
	v_dual_mov_b32 v12, 0 :: v_dual_mov_b32 v13, 0
	s_delay_alu instid0(VALU_DEP_2)
	s_and_saveexec_b32 s22, s21
	s_cbranch_execz .LBB118_32
; %bb.31:                               ;   in Loop: Header=BB118_12 Depth=1
	global_load_u16 v13, v[0:1], off offset:576
.LBB118_32:                             ;   in Loop: Header=BB118_12 Depth=1
	s_or_b32 exec_lo, exec_lo, s22
	v_cmp_gt_u32_e64 s22, s40, v31
	s_delay_alu instid0(VALU_DEP_1)
	s_and_saveexec_b32 s23, s22
	s_cbranch_execz .LBB118_34
; %bb.33:                               ;   in Loop: Header=BB118_12 Depth=1
	global_load_u16 v12, v[0:1], off offset:640
.LBB118_34:                             ;   in Loop: Header=BB118_12 Depth=1
	s_or_b32 exec_lo, exec_lo, s23
	v_cmp_gt_u32_e64 s23, s40, v32
	v_dual_mov_b32 v14, 0 :: v_dual_mov_b32 v15, 0
	s_delay_alu instid0(VALU_DEP_2)
	;; [unrolled: 17-line block ×4, first 2 shown]
	s_and_saveexec_b32 s28, s27
	s_cbranch_execz .LBB118_44
; %bb.43:                               ;   in Loop: Header=BB118_12 Depth=1
	global_load_u16 v91, v[0:1], off offset:960
.LBB118_44:                             ;   in Loop: Header=BB118_12 Depth=1
	s_or_b32 exec_lo, exec_lo, s28
	s_waitcnt vmcnt(0)
	ds_store_b16 v37, v2
	ds_store_b16 v37, v4 offset:64
	ds_store_b16 v38, v3 offset:128
	;; [unrolled: 1-line block ×15, first 2 shown]
	; wave barrier
	ds_load_b128 v[0:3], v52
	ds_load_b128 v[4:7], v52 offset:16
	v_add_co_u32 v8, s28, s71, v16
	s_delay_alu instid0(VALU_DEP_1) | instskip(SKIP_1) | instid1(VALU_DEP_2)
	v_add_co_ci_u32_e64 v9, null, s48, 0, s28
	s_waitcnt lgkmcnt(0)
	v_add_co_u32 v8, vcc_lo, v8, v89
	s_delay_alu instid0(VALU_DEP_2)
	v_add_co_ci_u32_e32 v9, vcc_lo, 0, v9, vcc_lo
	s_barrier
	buffer_gl0_inv
	s_and_saveexec_b32 s28, s12
	s_cbranch_execz .LBB118_46
; %bb.45:                               ;   in Loop: Header=BB118_12 Depth=1
	global_load_u16 v10, v[8:9], off
.LBB118_46:                             ;   in Loop: Header=BB118_12 Depth=1
	s_or_b32 exec_lo, exec_lo, s28
	v_dual_mov_b32 v11, 0 :: v_dual_mov_b32 v12, 0
	s_and_saveexec_b32 s28, s13
	s_cbranch_execz .LBB118_48
; %bb.47:                               ;   in Loop: Header=BB118_12 Depth=1
	global_load_u16 v12, v[8:9], off offset:64
.LBB118_48:                             ;   in Loop: Header=BB118_12 Depth=1
	s_or_b32 exec_lo, exec_lo, s28
	s_and_saveexec_b32 s28, s14
	s_cbranch_execz .LBB118_50
; %bb.49:                               ;   in Loop: Header=BB118_12 Depth=1
	global_load_u16 v11, v[8:9], off offset:128
.LBB118_50:                             ;   in Loop: Header=BB118_12 Depth=1
	s_or_b32 exec_lo, exec_lo, s28
	v_dual_mov_b32 v13, 0 :: v_dual_mov_b32 v14, 0
	s_and_saveexec_b32 s28, s15
	s_cbranch_execz .LBB118_52
; %bb.51:                               ;   in Loop: Header=BB118_12 Depth=1
	global_load_u16 v14, v[8:9], off offset:192
.LBB118_52:                             ;   in Loop: Header=BB118_12 Depth=1
	s_or_b32 exec_lo, exec_lo, s28
	s_and_saveexec_b32 s28, s16
	s_cbranch_execz .LBB118_54
; %bb.53:                               ;   in Loop: Header=BB118_12 Depth=1
	global_load_u16 v13, v[8:9], off offset:256
.LBB118_54:                             ;   in Loop: Header=BB118_12 Depth=1
	s_or_b32 exec_lo, exec_lo, s28
	v_mov_b32_e32 v15, 0
	v_mov_b32_e32 v17, 0
	s_and_saveexec_b32 s28, s17
	s_cbranch_execz .LBB118_56
; %bb.55:                               ;   in Loop: Header=BB118_12 Depth=1
	global_load_u16 v17, v[8:9], off offset:320
.LBB118_56:                             ;   in Loop: Header=BB118_12 Depth=1
	s_or_b32 exec_lo, exec_lo, s28
	s_and_saveexec_b32 s28, s18
	s_cbranch_execz .LBB118_58
; %bb.57:                               ;   in Loop: Header=BB118_12 Depth=1
	global_load_u16 v15, v[8:9], off offset:384
.LBB118_58:                             ;   in Loop: Header=BB118_12 Depth=1
	s_or_b32 exec_lo, exec_lo, s28
	v_dual_mov_b32 v90, 0 :: v_dual_mov_b32 v91, 0
	s_and_saveexec_b32 s28, s19
	s_cbranch_execz .LBB118_60
; %bb.59:                               ;   in Loop: Header=BB118_12 Depth=1
	global_load_u16 v91, v[8:9], off offset:448
.LBB118_60:                             ;   in Loop: Header=BB118_12 Depth=1
	s_or_b32 exec_lo, exec_lo, s28
	s_and_saveexec_b32 s28, s20
	s_cbranch_execz .LBB118_62
; %bb.61:                               ;   in Loop: Header=BB118_12 Depth=1
	global_load_u16 v90, v[8:9], off offset:512
.LBB118_62:                             ;   in Loop: Header=BB118_12 Depth=1
	s_or_b32 exec_lo, exec_lo, s28
	v_dual_mov_b32 v92, 0 :: v_dual_mov_b32 v93, 0
	;; [unrolled: 13-line block ×4, first 2 shown]
	s_and_saveexec_b32 s28, s25
	s_cbranch_execnz .LBB118_218
; %bb.71:                               ;   in Loop: Header=BB118_12 Depth=1
	s_or_b32 exec_lo, exec_lo, s28
	s_and_saveexec_b32 s28, s26
	s_cbranch_execnz .LBB118_219
.LBB118_72:                             ;   in Loop: Header=BB118_12 Depth=1
	s_or_b32 exec_lo, exec_lo, s28
	v_mov_b32_e32 v98, 0
	s_and_saveexec_b32 s28, s27
	s_cbranch_execz .LBB118_74
.LBB118_73:                             ;   in Loop: Header=BB118_12 Depth=1
	global_load_u16 v98, v[8:9], off offset:960
.LBB118_74:                             ;   in Loop: Header=BB118_12 Depth=1
	s_or_b32 exec_lo, exec_lo, s28
	s_waitcnt vmcnt(0)
	ds_store_b16 v37, v10
	ds_store_b16 v37, v12 offset:64
	ds_store_b16 v38, v11 offset:128
	;; [unrolled: 1-line block ×15, first 2 shown]
	; wave barrier
	ds_load_b128 v[12:15], v52
	ds_load_b128 v[8:11], v52 offset:16
	s_waitcnt lgkmcnt(1)
	v_cvt_f32_f16_e32 v17, v12
	s_delay_alu instid0(VALU_DEP_1) | instskip(NEXT) | instid1(VALU_DEP_1)
	v_add_f32_e32 v90, s66, v17
	v_cmp_ge_f32_e32 vcc_lo, 0x41a00000, v90
	s_and_b32 s28, s79, vcc_lo
	s_delay_alu instid0(SALU_CYCLE_1)
	s_and_saveexec_b32 s29, s28
	s_cbranch_execz .LBB118_76
; %bb.75:                               ;   in Loop: Header=BB118_12 Depth=1
	v_mul_f32_e32 v17, 0x3fb8aa3b, v90
	v_cmp_ngt_f32_e32 vcc_lo, 0xc2ce8ed0, v90
	s_delay_alu instid0(VALU_DEP_2) | instskip(SKIP_1) | instid1(VALU_DEP_1)
	v_rndne_f32_e32 v91, v17
	v_fma_f32 v92, 0x3fb8aa3b, v90, -v17
	v_dual_sub_f32 v17, v17, v91 :: v_dual_fmac_f32 v92, 0x32a5705f, v90
	v_cvt_i32_f32_e32 v91, v91
	s_delay_alu instid0(VALU_DEP_2) | instskip(NEXT) | instid1(VALU_DEP_1)
	v_add_f32_e32 v17, v17, v92
	v_exp_f32_e32 v17, v17
	s_waitcnt_depctr 0xfff
	v_ldexp_f32 v17, v17, v91
	s_delay_alu instid0(VALU_DEP_1) | instskip(SKIP_1) | instid1(VALU_DEP_2)
	v_cndmask_b32_e32 v17, 0, v17, vcc_lo
	v_cmp_nlt_f32_e32 vcc_lo, 0x42b17218, v90
	v_cndmask_b32_e32 v17, 0x7f800000, v17, vcc_lo
	s_delay_alu instid0(VALU_DEP_1) | instskip(NEXT) | instid1(VALU_DEP_1)
	v_add_f32_e32 v92, 1.0, v17
	v_cvt_f64_f32_e32 v[90:91], v92
	s_delay_alu instid0(VALU_DEP_1) | instskip(SKIP_1) | instid1(VALU_DEP_1)
	v_frexp_exp_i32_f64_e32 v90, v[90:91]
	v_frexp_mant_f32_e32 v91, v92
	v_cmp_gt_f32_e32 vcc_lo, 0x3f2aaaab, v91
	v_add_f32_e32 v91, -1.0, v92
	s_delay_alu instid0(VALU_DEP_1) | instskip(NEXT) | instid1(VALU_DEP_1)
	v_dual_sub_f32 v94, v91, v92 :: v_dual_sub_f32 v91, v17, v91
	v_add_f32_e32 v94, 1.0, v94
	v_subrev_co_ci_u32_e32 v90, vcc_lo, 0, v90, vcc_lo
	s_delay_alu instid0(VALU_DEP_1) | instskip(SKIP_1) | instid1(VALU_DEP_2)
	v_sub_nc_u32_e32 v93, 0, v90
	v_cvt_f32_i32_e32 v90, v90
	v_ldexp_f32 v92, v92, v93
	v_add_f32_e32 v91, v91, v94
	s_delay_alu instid0(VALU_DEP_1) | instskip(NEXT) | instid1(VALU_DEP_3)
	v_ldexp_f32 v91, v91, v93
	v_add_f32_e32 v95, 1.0, v92
	s_delay_alu instid0(VALU_DEP_1) | instskip(NEXT) | instid1(VALU_DEP_1)
	v_add_f32_e32 v94, -1.0, v95
	v_sub_f32_e32 v94, v92, v94
	v_cmp_eq_f32_e32 vcc_lo, 0x7f800000, v17
	v_cmp_gt_f32_e64 s28, 0x33800000, v17
	s_delay_alu instid0(VALU_DEP_3) | instskip(NEXT) | instid1(VALU_DEP_2)
	v_dual_add_f32 v94, v91, v94 :: v_dual_add_f32 v93, -1.0, v92
	s_or_b32 vcc_lo, s28, vcc_lo
	s_delay_alu instid0(VALU_DEP_1) | instskip(NEXT) | instid1(VALU_DEP_1)
	v_add_f32_e32 v96, 1.0, v93
	v_sub_f32_e32 v92, v92, v96
	s_delay_alu instid0(VALU_DEP_3) | instskip(NEXT) | instid1(VALU_DEP_1)
	v_add_f32_e32 v96, v95, v94
	v_sub_f32_e32 v95, v95, v96
	s_delay_alu instid0(VALU_DEP_3) | instskip(SKIP_1) | instid1(VALU_DEP_2)
	v_add_f32_e32 v91, v91, v92
	v_rcp_f32_e32 v92, v96
	v_add_f32_e32 v94, v94, v95
	s_delay_alu instid0(VALU_DEP_2) | instskip(NEXT) | instid1(VALU_DEP_1)
	v_add_f32_e32 v97, v93, v91
	v_sub_f32_e32 v93, v93, v97
	s_waitcnt_depctr 0xfff
	v_dual_mul_f32 v98, v97, v92 :: v_dual_add_f32 v91, v91, v93
	s_delay_alu instid0(VALU_DEP_1) | instskip(NEXT) | instid1(VALU_DEP_1)
	v_mul_f32_e32 v99, v96, v98
	v_fma_f32 v95, v98, v96, -v99
	s_delay_alu instid0(VALU_DEP_1) | instskip(NEXT) | instid1(VALU_DEP_1)
	v_fmac_f32_e32 v95, v98, v94
	v_add_f32_e32 v100, v99, v95
	s_delay_alu instid0(VALU_DEP_1) | instskip(NEXT) | instid1(VALU_DEP_1)
	v_sub_f32_e32 v101, v97, v100
	v_sub_f32_e32 v97, v97, v101
	;; [unrolled: 1-line block ×3, first 2 shown]
	s_delay_alu instid0(VALU_DEP_2) | instskip(NEXT) | instid1(VALU_DEP_2)
	v_sub_f32_e32 v97, v97, v100
	v_sub_f32_e32 v93, v93, v95
	s_delay_alu instid0(VALU_DEP_2) | instskip(NEXT) | instid1(VALU_DEP_1)
	v_add_f32_e32 v91, v91, v97
	v_add_f32_e32 v91, v93, v91
	s_delay_alu instid0(VALU_DEP_1) | instskip(NEXT) | instid1(VALU_DEP_1)
	v_add_f32_e32 v93, v101, v91
	v_mul_f32_e32 v95, v92, v93
	s_delay_alu instid0(VALU_DEP_1) | instskip(NEXT) | instid1(VALU_DEP_1)
	v_dual_sub_f32 v100, v101, v93 :: v_dual_mul_f32 v97, v96, v95
	v_add_f32_e32 v91, v91, v100
	s_delay_alu instid0(VALU_DEP_2) | instskip(NEXT) | instid1(VALU_DEP_1)
	v_fma_f32 v96, v95, v96, -v97
	v_fmac_f32_e32 v96, v95, v94
	s_delay_alu instid0(VALU_DEP_1) | instskip(NEXT) | instid1(VALU_DEP_1)
	v_add_f32_e32 v94, v97, v96
	v_sub_f32_e32 v99, v93, v94
	v_sub_f32_e32 v97, v94, v97
	s_delay_alu instid0(VALU_DEP_2) | instskip(NEXT) | instid1(VALU_DEP_1)
	v_sub_f32_e32 v93, v93, v99
	v_sub_f32_e32 v93, v93, v94
	s_delay_alu instid0(VALU_DEP_1) | instskip(SKIP_1) | instid1(VALU_DEP_1)
	v_dual_sub_f32 v94, v97, v96 :: v_dual_add_f32 v91, v91, v93
	v_add_f32_e32 v93, v98, v95
	v_dual_add_f32 v91, v94, v91 :: v_dual_sub_f32 v94, v93, v98
	s_delay_alu instid0(VALU_DEP_1) | instskip(NEXT) | instid1(VALU_DEP_1)
	v_add_f32_e32 v91, v99, v91
	v_dual_sub_f32 v94, v95, v94 :: v_dual_mul_f32 v91, v92, v91
	s_delay_alu instid0(VALU_DEP_1) | instskip(NEXT) | instid1(VALU_DEP_1)
	v_add_f32_e32 v91, v94, v91
	v_add_f32_e32 v92, v93, v91
	s_delay_alu instid0(VALU_DEP_1) | instskip(NEXT) | instid1(VALU_DEP_1)
	v_mul_f32_e32 v94, v92, v92
	v_fmaak_f32 v95, s83, v94, 0x3ecc95a3
	v_mul_f32_e32 v96, v92, v94
	s_delay_alu instid0(VALU_DEP_2) | instskip(SKIP_2) | instid1(VALU_DEP_3)
	v_fmaak_f32 v94, v94, v95, 0x3f2aaada
	v_ldexp_f32 v95, v92, 1
	v_sub_f32_e32 v92, v92, v93
	v_mul_f32_e32 v94, v96, v94
	s_delay_alu instid0(VALU_DEP_2) | instskip(NEXT) | instid1(VALU_DEP_2)
	v_dual_mul_f32 v96, 0x3f317218, v90 :: v_dual_sub_f32 v91, v91, v92
	v_add_f32_e32 v93, v95, v94
	s_delay_alu instid0(VALU_DEP_2) | instskip(NEXT) | instid1(VALU_DEP_2)
	v_ldexp_f32 v91, v91, 1
	v_sub_f32_e32 v92, v93, v95
	s_delay_alu instid0(VALU_DEP_4) | instskip(NEXT) | instid1(VALU_DEP_1)
	v_fma_f32 v95, 0x3f317218, v90, -v96
	v_dual_sub_f32 v92, v94, v92 :: v_dual_fmac_f32 v95, 0xb102e308, v90
	s_delay_alu instid0(VALU_DEP_1) | instskip(NEXT) | instid1(VALU_DEP_1)
	v_dual_add_f32 v90, v91, v92 :: v_dual_add_f32 v91, v96, v95
	v_add_f32_e32 v92, v93, v90
	s_delay_alu instid0(VALU_DEP_2) | instskip(NEXT) | instid1(VALU_DEP_2)
	v_sub_f32_e32 v96, v91, v96
	v_dual_add_f32 v94, v91, v92 :: v_dual_sub_f32 v93, v92, v93
	s_delay_alu instid0(VALU_DEP_2) | instskip(NEXT) | instid1(VALU_DEP_2)
	v_sub_f32_e32 v95, v95, v96
	v_sub_f32_e32 v97, v94, v91
	s_delay_alu instid0(VALU_DEP_3) | instskip(NEXT) | instid1(VALU_DEP_2)
	v_sub_f32_e32 v90, v90, v93
	v_sub_f32_e32 v98, v94, v97
	s_delay_alu instid0(VALU_DEP_2) | instskip(NEXT) | instid1(VALU_DEP_2)
	v_dual_sub_f32 v92, v92, v97 :: v_dual_add_f32 v93, v95, v90
	v_sub_f32_e32 v91, v91, v98
	s_delay_alu instid0(VALU_DEP_1) | instskip(NEXT) | instid1(VALU_DEP_3)
	v_add_f32_e32 v91, v92, v91
	v_sub_f32_e32 v92, v93, v95
	s_delay_alu instid0(VALU_DEP_2) | instskip(NEXT) | instid1(VALU_DEP_2)
	v_add_f32_e32 v91, v93, v91
	v_sub_f32_e32 v93, v93, v92
	v_sub_f32_e32 v90, v90, v92
	s_delay_alu instid0(VALU_DEP_2) | instskip(NEXT) | instid1(VALU_DEP_1)
	v_dual_add_f32 v96, v94, v91 :: v_dual_sub_f32 v93, v95, v93
	v_sub_f32_e32 v92, v96, v94
	s_delay_alu instid0(VALU_DEP_1) | instskip(NEXT) | instid1(VALU_DEP_1)
	v_dual_add_f32 v90, v90, v93 :: v_dual_sub_f32 v91, v91, v92
	v_add_f32_e32 v90, v90, v91
	s_delay_alu instid0(VALU_DEP_1) | instskip(NEXT) | instid1(VALU_DEP_1)
	v_add_f32_e32 v90, v96, v90
	v_cndmask_b32_e32 v90, v90, v17, vcc_lo
.LBB118_76:                             ;   in Loop: Header=BB118_12 Depth=1
	s_or_b32 exec_lo, exec_lo, s29
	v_lshrrev_b32_e32 v12, 16, v12
	s_delay_alu instid0(VALU_DEP_1) | instskip(NEXT) | instid1(VALU_DEP_1)
	v_cvt_f32_f16_e32 v12, v12
	v_add_f32_e32 v91, s66, v12
	s_delay_alu instid0(VALU_DEP_1) | instskip(SKIP_1) | instid1(SALU_CYCLE_1)
	v_cmp_ge_f32_e32 vcc_lo, 0x41a00000, v91
	s_and_b32 s28, s79, vcc_lo
	s_and_saveexec_b32 s29, s28
	s_cbranch_execz .LBB118_78
; %bb.77:                               ;   in Loop: Header=BB118_12 Depth=1
	v_mul_f32_e32 v12, 0x3fb8aa3b, v91
	v_cmp_ngt_f32_e32 vcc_lo, 0xc2ce8ed0, v91
	s_delay_alu instid0(VALU_DEP_2) | instskip(SKIP_1) | instid1(VALU_DEP_2)
	v_rndne_f32_e32 v17, v12
	v_fma_f32 v92, 0x3fb8aa3b, v91, -v12
	v_sub_f32_e32 v12, v12, v17
	s_delay_alu instid0(VALU_DEP_2) | instskip(SKIP_1) | instid1(VALU_DEP_2)
	v_fmac_f32_e32 v92, 0x32a5705f, v91
	v_cvt_i32_f32_e32 v17, v17
	v_add_f32_e32 v12, v12, v92
	s_delay_alu instid0(VALU_DEP_1) | instskip(SKIP_2) | instid1(VALU_DEP_1)
	v_exp_f32_e32 v12, v12
	s_waitcnt_depctr 0xfff
	v_ldexp_f32 v12, v12, v17
	v_cndmask_b32_e32 v12, 0, v12, vcc_lo
	v_cmp_nlt_f32_e32 vcc_lo, 0x42b17218, v91
	s_delay_alu instid0(VALU_DEP_2) | instskip(NEXT) | instid1(VALU_DEP_1)
	v_cndmask_b32_e32 v12, 0x7f800000, v12, vcc_lo
	v_add_f32_e32 v17, 1.0, v12
	s_delay_alu instid0(VALU_DEP_1) | instskip(NEXT) | instid1(VALU_DEP_1)
	v_cvt_f64_f32_e32 v[91:92], v17
	v_frexp_exp_i32_f64_e32 v91, v[91:92]
	v_frexp_mant_f32_e32 v92, v17
	s_delay_alu instid0(VALU_DEP_1) | instskip(SKIP_1) | instid1(VALU_DEP_1)
	v_cmp_gt_f32_e32 vcc_lo, 0x3f2aaaab, v92
	v_add_f32_e32 v92, -1.0, v17
	v_sub_f32_e32 v94, v92, v17
	v_sub_f32_e32 v92, v12, v92
	s_delay_alu instid0(VALU_DEP_2) | instskip(NEXT) | instid1(VALU_DEP_1)
	v_add_f32_e32 v94, 1.0, v94
	v_add_f32_e32 v92, v92, v94
	v_subrev_co_ci_u32_e32 v91, vcc_lo, 0, v91, vcc_lo
	s_delay_alu instid0(VALU_DEP_1) | instskip(SKIP_1) | instid1(VALU_DEP_2)
	v_sub_nc_u32_e32 v93, 0, v91
	v_cvt_f32_i32_e32 v91, v91
	v_ldexp_f32 v17, v17, v93
	v_ldexp_f32 v92, v92, v93
	s_delay_alu instid0(VALU_DEP_2) | instskip(NEXT) | instid1(VALU_DEP_1)
	v_add_f32_e32 v95, 1.0, v17
	v_dual_add_f32 v93, -1.0, v17 :: v_dual_add_f32 v94, -1.0, v95
	s_delay_alu instid0(VALU_DEP_1) | instskip(NEXT) | instid1(VALU_DEP_2)
	v_add_f32_e32 v96, 1.0, v93
	v_sub_f32_e32 v94, v17, v94
	s_delay_alu instid0(VALU_DEP_2) | instskip(NEXT) | instid1(VALU_DEP_1)
	v_sub_f32_e32 v17, v17, v96
	v_add_f32_e32 v17, v92, v17
	s_delay_alu instid0(VALU_DEP_1) | instskip(SKIP_2) | instid1(VALU_DEP_3)
	v_add_f32_e32 v97, v93, v17
	v_cmp_eq_f32_e32 vcc_lo, 0x7f800000, v12
	v_cmp_gt_f32_e64 s28, 0x33800000, v12
	v_dual_sub_f32 v93, v93, v97 :: v_dual_add_f32 v94, v92, v94
	s_delay_alu instid0(VALU_DEP_2) | instskip(NEXT) | instid1(VALU_DEP_1)
	s_or_b32 vcc_lo, s28, vcc_lo
	v_dual_add_f32 v17, v17, v93 :: v_dual_add_f32 v96, v95, v94
	s_delay_alu instid0(VALU_DEP_1) | instskip(SKIP_1) | instid1(VALU_DEP_1)
	v_rcp_f32_e32 v92, v96
	v_sub_f32_e32 v95, v95, v96
	v_add_f32_e32 v94, v94, v95
	s_waitcnt_depctr 0xfff
	v_mul_f32_e32 v98, v97, v92
	s_delay_alu instid0(VALU_DEP_1) | instskip(NEXT) | instid1(VALU_DEP_1)
	v_mul_f32_e32 v99, v96, v98
	v_fma_f32 v95, v98, v96, -v99
	s_delay_alu instid0(VALU_DEP_1) | instskip(NEXT) | instid1(VALU_DEP_1)
	v_fmac_f32_e32 v95, v98, v94
	v_add_f32_e32 v100, v99, v95
	s_delay_alu instid0(VALU_DEP_1) | instskip(SKIP_1) | instid1(VALU_DEP_2)
	v_sub_f32_e32 v101, v97, v100
	v_sub_f32_e32 v93, v100, v99
	;; [unrolled: 1-line block ×3, first 2 shown]
	s_delay_alu instid0(VALU_DEP_2) | instskip(NEXT) | instid1(VALU_DEP_2)
	v_sub_f32_e32 v93, v93, v95
	v_sub_f32_e32 v97, v97, v100
	s_delay_alu instid0(VALU_DEP_1) | instskip(NEXT) | instid1(VALU_DEP_1)
	v_add_f32_e32 v17, v17, v97
	v_add_f32_e32 v17, v93, v17
	s_delay_alu instid0(VALU_DEP_1) | instskip(NEXT) | instid1(VALU_DEP_1)
	v_add_f32_e32 v93, v101, v17
	v_mul_f32_e32 v95, v92, v93
	s_delay_alu instid0(VALU_DEP_1) | instskip(NEXT) | instid1(VALU_DEP_1)
	v_mul_f32_e32 v97, v96, v95
	v_fma_f32 v96, v95, v96, -v97
	s_delay_alu instid0(VALU_DEP_1) | instskip(SKIP_1) | instid1(VALU_DEP_2)
	v_fmac_f32_e32 v96, v95, v94
	v_sub_f32_e32 v100, v101, v93
	v_add_f32_e32 v94, v97, v96
	s_delay_alu instid0(VALU_DEP_2) | instskip(NEXT) | instid1(VALU_DEP_2)
	v_add_f32_e32 v17, v17, v100
	v_sub_f32_e32 v99, v93, v94
	s_delay_alu instid0(VALU_DEP_1) | instskip(NEXT) | instid1(VALU_DEP_1)
	v_sub_f32_e32 v93, v93, v99
	v_sub_f32_e32 v93, v93, v94
	s_delay_alu instid0(VALU_DEP_1) | instskip(SKIP_2) | instid1(VALU_DEP_1)
	v_add_f32_e32 v17, v17, v93
	v_add_f32_e32 v93, v98, v95
	v_sub_f32_e32 v97, v94, v97
	v_sub_f32_e32 v94, v97, v96
	s_delay_alu instid0(VALU_DEP_1) | instskip(NEXT) | instid1(VALU_DEP_1)
	v_dual_add_f32 v17, v94, v17 :: v_dual_sub_f32 v94, v93, v98
	v_add_f32_e32 v17, v99, v17
	s_delay_alu instid0(VALU_DEP_1) | instskip(NEXT) | instid1(VALU_DEP_1)
	v_dual_sub_f32 v94, v95, v94 :: v_dual_mul_f32 v17, v92, v17
	v_add_f32_e32 v17, v94, v17
	s_delay_alu instid0(VALU_DEP_1) | instskip(NEXT) | instid1(VALU_DEP_1)
	v_add_f32_e32 v92, v93, v17
	v_mul_f32_e32 v94, v92, v92
	s_delay_alu instid0(VALU_DEP_1) | instskip(SKIP_1) | instid1(VALU_DEP_2)
	v_fmaak_f32 v95, s83, v94, 0x3ecc95a3
	v_mul_f32_e32 v96, v92, v94
	v_fmaak_f32 v94, v94, v95, 0x3f2aaada
	v_ldexp_f32 v95, v92, 1
	s_delay_alu instid0(VALU_DEP_2) | instskip(SKIP_1) | instid1(VALU_DEP_2)
	v_mul_f32_e32 v94, v96, v94
	v_sub_f32_e32 v92, v92, v93
	v_dual_mul_f32 v96, 0x3f317218, v91 :: v_dual_add_f32 v93, v95, v94
	s_delay_alu instid0(VALU_DEP_2) | instskip(NEXT) | instid1(VALU_DEP_2)
	v_sub_f32_e32 v17, v17, v92
	v_sub_f32_e32 v92, v93, v95
	s_delay_alu instid0(VALU_DEP_3) | instskip(NEXT) | instid1(VALU_DEP_3)
	v_fma_f32 v95, 0x3f317218, v91, -v96
	v_ldexp_f32 v17, v17, 1
	s_delay_alu instid0(VALU_DEP_2) | instskip(NEXT) | instid1(VALU_DEP_1)
	v_dual_sub_f32 v92, v94, v92 :: v_dual_fmac_f32 v95, 0xb102e308, v91
	v_add_f32_e32 v17, v17, v92
	s_delay_alu instid0(VALU_DEP_1) | instskip(NEXT) | instid1(VALU_DEP_1)
	v_dual_add_f32 v91, v96, v95 :: v_dual_add_f32 v92, v93, v17
	v_sub_f32_e32 v96, v91, v96
	s_delay_alu instid0(VALU_DEP_2) | instskip(NEXT) | instid1(VALU_DEP_2)
	v_dual_add_f32 v94, v91, v92 :: v_dual_sub_f32 v93, v92, v93
	v_sub_f32_e32 v95, v95, v96
	s_delay_alu instid0(VALU_DEP_2) | instskip(NEXT) | instid1(VALU_DEP_1)
	v_sub_f32_e32 v97, v94, v91
	v_sub_f32_e32 v98, v94, v97
	;; [unrolled: 1-line block ×4, first 2 shown]
	s_delay_alu instid0(VALU_DEP_1) | instskip(NEXT) | instid1(VALU_DEP_4)
	v_add_f32_e32 v93, v95, v17
	v_sub_f32_e32 v91, v91, v98
	s_delay_alu instid0(VALU_DEP_1) | instskip(NEXT) | instid1(VALU_DEP_3)
	v_add_f32_e32 v91, v92, v91
	v_sub_f32_e32 v92, v93, v95
	s_delay_alu instid0(VALU_DEP_2) | instskip(NEXT) | instid1(VALU_DEP_2)
	v_add_f32_e32 v91, v93, v91
	v_sub_f32_e32 v93, v93, v92
	s_delay_alu instid0(VALU_DEP_2) | instskip(NEXT) | instid1(VALU_DEP_1)
	v_dual_sub_f32 v17, v17, v92 :: v_dual_add_f32 v96, v94, v91
	v_dual_sub_f32 v92, v96, v94 :: v_dual_sub_f32 v93, v95, v93
	s_delay_alu instid0(VALU_DEP_1) | instskip(NEXT) | instid1(VALU_DEP_2)
	v_sub_f32_e32 v91, v91, v92
	v_add_f32_e32 v17, v17, v93
	s_delay_alu instid0(VALU_DEP_1) | instskip(NEXT) | instid1(VALU_DEP_1)
	v_add_f32_e32 v17, v17, v91
	v_add_f32_e32 v17, v96, v17
	s_delay_alu instid0(VALU_DEP_1)
	v_cndmask_b32_e32 v91, v17, v12, vcc_lo
.LBB118_78:                             ;   in Loop: Header=BB118_12 Depth=1
	s_or_b32 exec_lo, exec_lo, s29
	v_cvt_f32_f16_e32 v12, v13
	s_delay_alu instid0(VALU_DEP_1) | instskip(NEXT) | instid1(VALU_DEP_1)
	v_add_f32_e32 v92, s66, v12
	v_cmp_ge_f32_e32 vcc_lo, 0x41a00000, v92
	s_and_b32 s28, s79, vcc_lo
	s_delay_alu instid0(SALU_CYCLE_1)
	s_and_saveexec_b32 s29, s28
	s_cbranch_execz .LBB118_80
; %bb.79:                               ;   in Loop: Header=BB118_12 Depth=1
	v_mul_f32_e32 v12, 0x3fb8aa3b, v92
	v_cmp_ngt_f32_e32 vcc_lo, 0xc2ce8ed0, v92
	s_delay_alu instid0(VALU_DEP_2) | instskip(SKIP_1) | instid1(VALU_DEP_1)
	v_rndne_f32_e32 v17, v12
	v_fma_f32 v93, 0x3fb8aa3b, v92, -v12
	v_dual_sub_f32 v12, v12, v17 :: v_dual_fmac_f32 v93, 0x32a5705f, v92
	v_cvt_i32_f32_e32 v17, v17
	s_delay_alu instid0(VALU_DEP_2) | instskip(NEXT) | instid1(VALU_DEP_1)
	v_add_f32_e32 v12, v12, v93
	v_exp_f32_e32 v12, v12
	s_waitcnt_depctr 0xfff
	v_ldexp_f32 v12, v12, v17
	s_delay_alu instid0(VALU_DEP_1) | instskip(SKIP_1) | instid1(VALU_DEP_2)
	v_cndmask_b32_e32 v12, 0, v12, vcc_lo
	v_cmp_nlt_f32_e32 vcc_lo, 0x42b17218, v92
	v_cndmask_b32_e32 v12, 0x7f800000, v12, vcc_lo
	s_delay_alu instid0(VALU_DEP_1) | instskip(NEXT) | instid1(VALU_DEP_1)
	v_add_f32_e32 v17, 1.0, v12
	v_cvt_f64_f32_e32 v[92:93], v17
	s_delay_alu instid0(VALU_DEP_1) | instskip(SKIP_1) | instid1(VALU_DEP_1)
	v_frexp_exp_i32_f64_e32 v92, v[92:93]
	v_frexp_mant_f32_e32 v93, v17
	v_cmp_gt_f32_e32 vcc_lo, 0x3f2aaaab, v93
	v_add_f32_e32 v93, -1.0, v17
	s_delay_alu instid0(VALU_DEP_1) | instskip(SKIP_1) | instid1(VALU_DEP_2)
	v_sub_f32_e32 v95, v93, v17
	v_sub_f32_e32 v93, v12, v93
	v_add_f32_e32 v95, 1.0, v95
	s_delay_alu instid0(VALU_DEP_1) | instskip(SKIP_3) | instid1(VALU_DEP_2)
	v_add_f32_e32 v93, v93, v95
	v_cmp_gt_f32_e64 s28, 0x33800000, v12
	v_subrev_co_ci_u32_e32 v92, vcc_lo, 0, v92, vcc_lo
	v_cmp_eq_f32_e32 vcc_lo, 0x7f800000, v12
	v_sub_nc_u32_e32 v94, 0, v92
	v_cvt_f32_i32_e32 v92, v92
	s_or_b32 vcc_lo, s28, vcc_lo
	s_delay_alu instid0(VALU_DEP_2) | instskip(SKIP_1) | instid1(VALU_DEP_2)
	v_ldexp_f32 v17, v17, v94
	v_ldexp_f32 v93, v93, v94
	v_add_f32_e32 v96, 1.0, v17
	s_delay_alu instid0(VALU_DEP_1) | instskip(NEXT) | instid1(VALU_DEP_1)
	v_dual_add_f32 v94, -1.0, v17 :: v_dual_add_f32 v95, -1.0, v96
	v_add_f32_e32 v97, 1.0, v94
	s_delay_alu instid0(VALU_DEP_2) | instskip(NEXT) | instid1(VALU_DEP_2)
	v_sub_f32_e32 v95, v17, v95
	v_sub_f32_e32 v17, v17, v97
	s_delay_alu instid0(VALU_DEP_1) | instskip(NEXT) | instid1(VALU_DEP_1)
	v_add_f32_e32 v17, v93, v17
	v_dual_add_f32 v98, v94, v17 :: v_dual_add_f32 v95, v93, v95
	s_delay_alu instid0(VALU_DEP_1) | instskip(NEXT) | instid1(VALU_DEP_1)
	v_dual_sub_f32 v94, v94, v98 :: v_dual_add_f32 v97, v96, v95
	v_rcp_f32_e32 v93, v97
	v_sub_f32_e32 v96, v96, v97
	s_delay_alu instid0(VALU_DEP_1) | instskip(SKIP_2) | instid1(VALU_DEP_1)
	v_add_f32_e32 v95, v95, v96
	s_waitcnt_depctr 0xfff
	v_mul_f32_e32 v99, v98, v93
	v_mul_f32_e32 v100, v97, v99
	s_delay_alu instid0(VALU_DEP_1) | instskip(NEXT) | instid1(VALU_DEP_1)
	v_fma_f32 v96, v99, v97, -v100
	v_fmac_f32_e32 v96, v99, v95
	s_delay_alu instid0(VALU_DEP_1) | instskip(NEXT) | instid1(VALU_DEP_1)
	v_add_f32_e32 v101, v100, v96
	v_sub_f32_e32 v102, v98, v101
	s_delay_alu instid0(VALU_DEP_1) | instskip(SKIP_2) | instid1(VALU_DEP_3)
	v_sub_f32_e32 v98, v98, v102
	v_add_f32_e32 v17, v17, v94
	v_sub_f32_e32 v94, v101, v100
	v_sub_f32_e32 v98, v98, v101
	s_delay_alu instid0(VALU_DEP_1) | instskip(NEXT) | instid1(VALU_DEP_1)
	v_dual_sub_f32 v94, v94, v96 :: v_dual_add_f32 v17, v17, v98
	v_add_f32_e32 v17, v94, v17
	s_delay_alu instid0(VALU_DEP_1) | instskip(NEXT) | instid1(VALU_DEP_1)
	v_add_f32_e32 v94, v102, v17
	v_mul_f32_e32 v96, v93, v94
	s_delay_alu instid0(VALU_DEP_1) | instskip(NEXT) | instid1(VALU_DEP_1)
	v_dual_sub_f32 v101, v102, v94 :: v_dual_mul_f32 v98, v97, v96
	v_add_f32_e32 v17, v17, v101
	s_delay_alu instid0(VALU_DEP_2) | instskip(NEXT) | instid1(VALU_DEP_1)
	v_fma_f32 v97, v96, v97, -v98
	v_fmac_f32_e32 v97, v96, v95
	s_delay_alu instid0(VALU_DEP_1) | instskip(NEXT) | instid1(VALU_DEP_1)
	v_add_f32_e32 v95, v98, v97
	v_sub_f32_e32 v100, v94, v95
	s_delay_alu instid0(VALU_DEP_1) | instskip(NEXT) | instid1(VALU_DEP_1)
	v_sub_f32_e32 v94, v94, v100
	v_sub_f32_e32 v94, v94, v95
	s_delay_alu instid0(VALU_DEP_1) | instskip(SKIP_1) | instid1(VALU_DEP_1)
	v_dual_add_f32 v17, v17, v94 :: v_dual_add_f32 v94, v99, v96
	v_sub_f32_e32 v98, v95, v98
	v_sub_f32_e32 v95, v98, v97
	s_delay_alu instid0(VALU_DEP_1) | instskip(NEXT) | instid1(VALU_DEP_4)
	v_add_f32_e32 v17, v95, v17
	v_sub_f32_e32 v95, v94, v99
	s_delay_alu instid0(VALU_DEP_2) | instskip(NEXT) | instid1(VALU_DEP_2)
	v_add_f32_e32 v17, v100, v17
	v_sub_f32_e32 v95, v96, v95
	s_delay_alu instid0(VALU_DEP_2) | instskip(NEXT) | instid1(VALU_DEP_1)
	v_mul_f32_e32 v17, v93, v17
	v_add_f32_e32 v17, v95, v17
	s_delay_alu instid0(VALU_DEP_1) | instskip(NEXT) | instid1(VALU_DEP_1)
	v_add_f32_e32 v93, v94, v17
	v_mul_f32_e32 v95, v93, v93
	s_delay_alu instid0(VALU_DEP_1) | instskip(SKIP_1) | instid1(VALU_DEP_2)
	v_fmaak_f32 v96, s83, v95, 0x3ecc95a3
	v_mul_f32_e32 v97, v93, v95
	v_fmaak_f32 v95, v95, v96, 0x3f2aaada
	v_ldexp_f32 v96, v93, 1
	v_sub_f32_e32 v93, v93, v94
	s_delay_alu instid0(VALU_DEP_3) | instskip(SKIP_1) | instid1(VALU_DEP_2)
	v_mul_f32_e32 v95, v97, v95
	v_mul_f32_e32 v97, 0x3f317218, v92
	v_dual_sub_f32 v17, v17, v93 :: v_dual_add_f32 v94, v96, v95
	s_delay_alu instid0(VALU_DEP_1) | instskip(NEXT) | instid1(VALU_DEP_2)
	v_ldexp_f32 v17, v17, 1
	v_sub_f32_e32 v93, v94, v96
	s_delay_alu instid0(VALU_DEP_4) | instskip(NEXT) | instid1(VALU_DEP_1)
	v_fma_f32 v96, 0x3f317218, v92, -v97
	v_dual_sub_f32 v93, v95, v93 :: v_dual_fmac_f32 v96, 0xb102e308, v92
	s_delay_alu instid0(VALU_DEP_1) | instskip(NEXT) | instid1(VALU_DEP_1)
	v_add_f32_e32 v17, v17, v93
	v_dual_add_f32 v92, v97, v96 :: v_dual_add_f32 v93, v94, v17
	s_delay_alu instid0(VALU_DEP_1) | instskip(NEXT) | instid1(VALU_DEP_2)
	v_sub_f32_e32 v97, v92, v97
	v_dual_add_f32 v95, v92, v93 :: v_dual_sub_f32 v94, v93, v94
	s_delay_alu instid0(VALU_DEP_2) | instskip(NEXT) | instid1(VALU_DEP_2)
	v_sub_f32_e32 v96, v96, v97
	v_dual_sub_f32 v98, v95, v92 :: v_dual_sub_f32 v17, v17, v94
	s_delay_alu instid0(VALU_DEP_1) | instskip(NEXT) | instid1(VALU_DEP_2)
	v_sub_f32_e32 v99, v95, v98
	v_dual_sub_f32 v93, v93, v98 :: v_dual_add_f32 v94, v96, v17
	s_delay_alu instid0(VALU_DEP_2) | instskip(NEXT) | instid1(VALU_DEP_1)
	v_sub_f32_e32 v92, v92, v99
	v_add_f32_e32 v92, v93, v92
	s_delay_alu instid0(VALU_DEP_3) | instskip(NEXT) | instid1(VALU_DEP_2)
	v_sub_f32_e32 v93, v94, v96
	v_add_f32_e32 v92, v94, v92
	s_delay_alu instid0(VALU_DEP_2) | instskip(SKIP_1) | instid1(VALU_DEP_2)
	v_sub_f32_e32 v94, v94, v93
	v_sub_f32_e32 v17, v17, v93
	v_dual_add_f32 v97, v95, v92 :: v_dual_sub_f32 v94, v96, v94
	s_delay_alu instid0(VALU_DEP_1) | instskip(NEXT) | instid1(VALU_DEP_1)
	v_sub_f32_e32 v93, v97, v95
	v_dual_add_f32 v17, v17, v94 :: v_dual_sub_f32 v92, v92, v93
	s_delay_alu instid0(VALU_DEP_1) | instskip(NEXT) | instid1(VALU_DEP_1)
	v_add_f32_e32 v17, v17, v92
	v_add_f32_e32 v17, v97, v17
	s_delay_alu instid0(VALU_DEP_1)
	v_cndmask_b32_e32 v92, v17, v12, vcc_lo
.LBB118_80:                             ;   in Loop: Header=BB118_12 Depth=1
	s_or_b32 exec_lo, exec_lo, s29
	v_lshrrev_b32_e32 v12, 16, v13
	s_delay_alu instid0(VALU_DEP_1) | instskip(NEXT) | instid1(VALU_DEP_1)
	v_cvt_f32_f16_e32 v12, v12
	v_add_f32_e32 v93, s66, v12
	s_delay_alu instid0(VALU_DEP_1) | instskip(SKIP_1) | instid1(SALU_CYCLE_1)
	v_cmp_ge_f32_e32 vcc_lo, 0x41a00000, v93
	s_and_b32 s28, s79, vcc_lo
	s_and_saveexec_b32 s29, s28
	s_cbranch_execz .LBB118_82
; %bb.81:                               ;   in Loop: Header=BB118_12 Depth=1
	v_mul_f32_e32 v12, 0x3fb8aa3b, v93
	v_cmp_ngt_f32_e32 vcc_lo, 0xc2ce8ed0, v93
	s_delay_alu instid0(VALU_DEP_2) | instskip(SKIP_1) | instid1(VALU_DEP_2)
	v_rndne_f32_e32 v13, v12
	v_fma_f32 v17, 0x3fb8aa3b, v93, -v12
	v_sub_f32_e32 v12, v12, v13
	s_delay_alu instid0(VALU_DEP_2) | instskip(SKIP_1) | instid1(VALU_DEP_2)
	v_fmac_f32_e32 v17, 0x32a5705f, v93
	v_cvt_i32_f32_e32 v13, v13
	v_add_f32_e32 v12, v12, v17
	s_delay_alu instid0(VALU_DEP_1) | instskip(SKIP_2) | instid1(VALU_DEP_1)
	v_exp_f32_e32 v12, v12
	s_waitcnt_depctr 0xfff
	v_ldexp_f32 v12, v12, v13
	v_cndmask_b32_e32 v12, 0, v12, vcc_lo
	v_cmp_nlt_f32_e32 vcc_lo, 0x42b17218, v93
	s_delay_alu instid0(VALU_DEP_2) | instskip(NEXT) | instid1(VALU_DEP_1)
	v_cndmask_b32_e32 v17, 0x7f800000, v12, vcc_lo
	v_add_f32_e32 v93, 1.0, v17
	s_delay_alu instid0(VALU_DEP_1) | instskip(NEXT) | instid1(VALU_DEP_1)
	v_cvt_f64_f32_e32 v[12:13], v93
	v_frexp_exp_i32_f64_e32 v12, v[12:13]
	v_frexp_mant_f32_e32 v13, v93
	s_delay_alu instid0(VALU_DEP_1) | instskip(SKIP_1) | instid1(VALU_DEP_1)
	v_cmp_gt_f32_e32 vcc_lo, 0x3f2aaaab, v13
	v_add_f32_e32 v13, -1.0, v93
	v_sub_f32_e32 v95, v13, v93
	s_delay_alu instid0(VALU_DEP_1) | instskip(SKIP_1) | instid1(VALU_DEP_1)
	v_add_f32_e32 v95, 1.0, v95
	v_subrev_co_ci_u32_e32 v12, vcc_lo, 0, v12, vcc_lo
	v_sub_nc_u32_e32 v94, 0, v12
	v_cvt_f32_i32_e32 v12, v12
	s_delay_alu instid0(VALU_DEP_2) | instskip(NEXT) | instid1(VALU_DEP_1)
	v_ldexp_f32 v93, v93, v94
	v_add_f32_e32 v96, 1.0, v93
	v_sub_f32_e32 v13, v17, v13
	v_cmp_eq_f32_e32 vcc_lo, 0x7f800000, v17
	v_cmp_gt_f32_e64 s28, 0x33800000, v17
	s_delay_alu instid0(VALU_DEP_3) | instskip(SKIP_1) | instid1(VALU_DEP_3)
	v_add_f32_e32 v13, v13, v95
	v_add_f32_e32 v95, -1.0, v96
	s_or_b32 vcc_lo, s28, vcc_lo
	s_delay_alu instid0(VALU_DEP_2) | instskip(NEXT) | instid1(VALU_DEP_2)
	v_ldexp_f32 v13, v13, v94
	v_dual_add_f32 v94, -1.0, v93 :: v_dual_sub_f32 v95, v93, v95
	s_delay_alu instid0(VALU_DEP_1) | instskip(NEXT) | instid1(VALU_DEP_2)
	v_add_f32_e32 v97, 1.0, v94
	v_add_f32_e32 v95, v13, v95
	s_delay_alu instid0(VALU_DEP_2) | instskip(NEXT) | instid1(VALU_DEP_1)
	v_sub_f32_e32 v93, v93, v97
	v_add_f32_e32 v13, v13, v93
	s_delay_alu instid0(VALU_DEP_1) | instskip(NEXT) | instid1(VALU_DEP_1)
	v_dual_add_f32 v98, v94, v13 :: v_dual_add_f32 v97, v96, v95
	v_sub_f32_e32 v94, v94, v98
	s_delay_alu instid0(VALU_DEP_2) | instskip(NEXT) | instid1(VALU_DEP_1)
	v_rcp_f32_e32 v93, v97
	v_dual_sub_f32 v96, v96, v97 :: v_dual_add_f32 v13, v13, v94
	s_delay_alu instid0(VALU_DEP_1) | instskip(SKIP_2) | instid1(VALU_DEP_1)
	v_add_f32_e32 v95, v95, v96
	s_waitcnt_depctr 0xfff
	v_mul_f32_e32 v99, v98, v93
	v_mul_f32_e32 v100, v97, v99
	s_delay_alu instid0(VALU_DEP_1) | instskip(NEXT) | instid1(VALU_DEP_1)
	v_fma_f32 v96, v99, v97, -v100
	v_fmac_f32_e32 v96, v99, v95
	s_delay_alu instid0(VALU_DEP_1) | instskip(NEXT) | instid1(VALU_DEP_1)
	v_add_f32_e32 v101, v100, v96
	v_sub_f32_e32 v102, v98, v101
	v_sub_f32_e32 v94, v101, v100
	s_delay_alu instid0(VALU_DEP_2) | instskip(NEXT) | instid1(VALU_DEP_2)
	v_sub_f32_e32 v98, v98, v102
	v_sub_f32_e32 v94, v94, v96
	s_delay_alu instid0(VALU_DEP_2) | instskip(NEXT) | instid1(VALU_DEP_1)
	v_sub_f32_e32 v98, v98, v101
	v_add_f32_e32 v13, v13, v98
	s_delay_alu instid0(VALU_DEP_1) | instskip(NEXT) | instid1(VALU_DEP_1)
	v_add_f32_e32 v13, v94, v13
	v_add_f32_e32 v94, v102, v13
	s_delay_alu instid0(VALU_DEP_1) | instskip(NEXT) | instid1(VALU_DEP_1)
	v_mul_f32_e32 v96, v93, v94
	v_dual_sub_f32 v101, v102, v94 :: v_dual_mul_f32 v98, v97, v96
	s_delay_alu instid0(VALU_DEP_1) | instskip(NEXT) | instid1(VALU_DEP_1)
	v_fma_f32 v97, v96, v97, -v98
	v_fmac_f32_e32 v97, v96, v95
	s_delay_alu instid0(VALU_DEP_1) | instskip(NEXT) | instid1(VALU_DEP_1)
	v_add_f32_e32 v95, v98, v97
	v_dual_add_f32 v13, v13, v101 :: v_dual_sub_f32 v100, v94, v95
	s_delay_alu instid0(VALU_DEP_1) | instskip(NEXT) | instid1(VALU_DEP_1)
	v_sub_f32_e32 v94, v94, v100
	v_sub_f32_e32 v94, v94, v95
	s_delay_alu instid0(VALU_DEP_1) | instskip(SKIP_1) | instid1(VALU_DEP_1)
	v_dual_add_f32 v13, v13, v94 :: v_dual_add_f32 v94, v99, v96
	v_sub_f32_e32 v98, v95, v98
	v_sub_f32_e32 v95, v98, v97
	s_delay_alu instid0(VALU_DEP_1) | instskip(NEXT) | instid1(VALU_DEP_4)
	v_add_f32_e32 v13, v95, v13
	v_sub_f32_e32 v95, v94, v99
	s_delay_alu instid0(VALU_DEP_2) | instskip(NEXT) | instid1(VALU_DEP_2)
	v_add_f32_e32 v13, v100, v13
	v_sub_f32_e32 v95, v96, v95
	s_delay_alu instid0(VALU_DEP_2) | instskip(NEXT) | instid1(VALU_DEP_1)
	v_mul_f32_e32 v13, v93, v13
	v_add_f32_e32 v13, v95, v13
	s_delay_alu instid0(VALU_DEP_1) | instskip(NEXT) | instid1(VALU_DEP_1)
	v_add_f32_e32 v93, v94, v13
	v_mul_f32_e32 v95, v93, v93
	s_delay_alu instid0(VALU_DEP_1) | instskip(SKIP_1) | instid1(VALU_DEP_2)
	v_fmaak_f32 v96, s83, v95, 0x3ecc95a3
	v_mul_f32_e32 v97, v93, v95
	v_fmaak_f32 v95, v95, v96, 0x3f2aaada
	v_ldexp_f32 v96, v93, 1
	v_sub_f32_e32 v93, v93, v94
	s_delay_alu instid0(VALU_DEP_3) | instskip(SKIP_1) | instid1(VALU_DEP_2)
	v_mul_f32_e32 v95, v97, v95
	v_mul_f32_e32 v97, 0x3f317218, v12
	v_dual_sub_f32 v13, v13, v93 :: v_dual_add_f32 v94, v96, v95
	s_delay_alu instid0(VALU_DEP_1) | instskip(NEXT) | instid1(VALU_DEP_2)
	v_ldexp_f32 v13, v13, 1
	v_sub_f32_e32 v93, v94, v96
	s_delay_alu instid0(VALU_DEP_4) | instskip(NEXT) | instid1(VALU_DEP_1)
	v_fma_f32 v96, 0x3f317218, v12, -v97
	v_dual_sub_f32 v93, v95, v93 :: v_dual_fmac_f32 v96, 0xb102e308, v12
	s_delay_alu instid0(VALU_DEP_1) | instskip(NEXT) | instid1(VALU_DEP_2)
	v_add_f32_e32 v12, v13, v93
	v_add_f32_e32 v13, v97, v96
	s_delay_alu instid0(VALU_DEP_2) | instskip(NEXT) | instid1(VALU_DEP_2)
	v_add_f32_e32 v93, v94, v12
	v_sub_f32_e32 v97, v13, v97
	s_delay_alu instid0(VALU_DEP_2) | instskip(SKIP_1) | instid1(VALU_DEP_3)
	v_add_f32_e32 v95, v13, v93
	v_sub_f32_e32 v94, v93, v94
	v_sub_f32_e32 v96, v96, v97
	s_delay_alu instid0(VALU_DEP_3) | instskip(NEXT) | instid1(VALU_DEP_3)
	v_sub_f32_e32 v98, v95, v13
	v_sub_f32_e32 v12, v12, v94
	s_delay_alu instid0(VALU_DEP_2) | instskip(NEXT) | instid1(VALU_DEP_2)
	v_sub_f32_e32 v99, v95, v98
	v_dual_sub_f32 v93, v93, v98 :: v_dual_add_f32 v94, v96, v12
	s_delay_alu instid0(VALU_DEP_2) | instskip(NEXT) | instid1(VALU_DEP_1)
	v_sub_f32_e32 v13, v13, v99
	v_add_f32_e32 v13, v93, v13
	s_delay_alu instid0(VALU_DEP_3) | instskip(NEXT) | instid1(VALU_DEP_2)
	v_sub_f32_e32 v93, v94, v96
	v_add_f32_e32 v13, v94, v13
	s_delay_alu instid0(VALU_DEP_2) | instskip(SKIP_1) | instid1(VALU_DEP_1)
	v_sub_f32_e32 v12, v12, v93
	v_sub_f32_e32 v94, v94, v93
	v_dual_add_f32 v97, v95, v13 :: v_dual_sub_f32 v94, v96, v94
	s_delay_alu instid0(VALU_DEP_1) | instskip(NEXT) | instid1(VALU_DEP_1)
	v_dual_sub_f32 v93, v97, v95 :: v_dual_add_f32 v12, v12, v94
	v_sub_f32_e32 v13, v13, v93
	s_delay_alu instid0(VALU_DEP_1) | instskip(NEXT) | instid1(VALU_DEP_1)
	v_add_f32_e32 v12, v12, v13
	v_add_f32_e32 v12, v97, v12
	s_delay_alu instid0(VALU_DEP_1)
	v_cndmask_b32_e32 v93, v12, v17, vcc_lo
.LBB118_82:                             ;   in Loop: Header=BB118_12 Depth=1
	s_or_b32 exec_lo, exec_lo, s29
	v_cvt_f32_f16_e32 v12, v14
	s_delay_alu instid0(VALU_DEP_1) | instskip(NEXT) | instid1(VALU_DEP_1)
	v_add_f32_e32 v94, s66, v12
	v_cmp_ge_f32_e32 vcc_lo, 0x41a00000, v94
	s_and_b32 s28, s79, vcc_lo
	s_delay_alu instid0(SALU_CYCLE_1)
	s_and_saveexec_b32 s29, s28
	s_cbranch_execz .LBB118_84
; %bb.83:                               ;   in Loop: Header=BB118_12 Depth=1
	v_mul_f32_e32 v12, 0x3fb8aa3b, v94
	v_cmp_ngt_f32_e32 vcc_lo, 0xc2ce8ed0, v94
	s_delay_alu instid0(VALU_DEP_2) | instskip(SKIP_1) | instid1(VALU_DEP_1)
	v_rndne_f32_e32 v13, v12
	v_fma_f32 v17, 0x3fb8aa3b, v94, -v12
	v_dual_sub_f32 v12, v12, v13 :: v_dual_fmac_f32 v17, 0x32a5705f, v94
	v_cvt_i32_f32_e32 v13, v13
	s_delay_alu instid0(VALU_DEP_2) | instskip(NEXT) | instid1(VALU_DEP_1)
	v_add_f32_e32 v12, v12, v17
	v_exp_f32_e32 v12, v12
	s_waitcnt_depctr 0xfff
	v_ldexp_f32 v12, v12, v13
	s_delay_alu instid0(VALU_DEP_1) | instskip(SKIP_1) | instid1(VALU_DEP_2)
	v_cndmask_b32_e32 v12, 0, v12, vcc_lo
	v_cmp_nlt_f32_e32 vcc_lo, 0x42b17218, v94
	v_cndmask_b32_e32 v17, 0x7f800000, v12, vcc_lo
	s_delay_alu instid0(VALU_DEP_1) | instskip(NEXT) | instid1(VALU_DEP_1)
	v_add_f32_e32 v94, 1.0, v17
	v_cvt_f64_f32_e32 v[12:13], v94
	s_delay_alu instid0(VALU_DEP_1) | instskip(SKIP_1) | instid1(VALU_DEP_1)
	v_frexp_exp_i32_f64_e32 v12, v[12:13]
	v_frexp_mant_f32_e32 v13, v94
	v_cmp_gt_f32_e32 vcc_lo, 0x3f2aaaab, v13
	v_add_f32_e32 v13, -1.0, v94
	s_delay_alu instid0(VALU_DEP_1) | instskip(SKIP_2) | instid1(VALU_DEP_3)
	v_sub_f32_e32 v96, v13, v94
	v_sub_f32_e32 v13, v17, v13
	v_cmp_gt_f32_e64 s28, 0x33800000, v17
	v_add_f32_e32 v96, 1.0, v96
	s_delay_alu instid0(VALU_DEP_1) | instskip(SKIP_2) | instid1(VALU_DEP_2)
	v_add_f32_e32 v13, v13, v96
	v_subrev_co_ci_u32_e32 v12, vcc_lo, 0, v12, vcc_lo
	v_cmp_eq_f32_e32 vcc_lo, 0x7f800000, v17
	v_sub_nc_u32_e32 v95, 0, v12
	v_cvt_f32_i32_e32 v12, v12
	s_or_b32 vcc_lo, s28, vcc_lo
	s_delay_alu instid0(VALU_DEP_2) | instskip(SKIP_1) | instid1(VALU_DEP_2)
	v_ldexp_f32 v94, v94, v95
	v_ldexp_f32 v13, v13, v95
	v_add_f32_e32 v95, -1.0, v94
	s_delay_alu instid0(VALU_DEP_1) | instskip(NEXT) | instid1(VALU_DEP_1)
	v_dual_add_f32 v97, 1.0, v94 :: v_dual_add_f32 v98, 1.0, v95
	v_add_f32_e32 v96, -1.0, v97
	s_delay_alu instid0(VALU_DEP_1) | instskip(NEXT) | instid1(VALU_DEP_3)
	v_sub_f32_e32 v96, v94, v96
	v_sub_f32_e32 v94, v94, v98
	s_delay_alu instid0(VALU_DEP_2) | instskip(NEXT) | instid1(VALU_DEP_2)
	v_add_f32_e32 v96, v13, v96
	v_add_f32_e32 v13, v13, v94
	s_delay_alu instid0(VALU_DEP_1) | instskip(NEXT) | instid1(VALU_DEP_1)
	v_dual_add_f32 v99, v95, v13 :: v_dual_add_f32 v98, v97, v96
	v_sub_f32_e32 v95, v95, v99
	s_delay_alu instid0(VALU_DEP_2) | instskip(SKIP_1) | instid1(VALU_DEP_1)
	v_rcp_f32_e32 v94, v98
	v_sub_f32_e32 v97, v97, v98
	v_dual_add_f32 v13, v13, v95 :: v_dual_add_f32 v96, v96, v97
	s_waitcnt_depctr 0xfff
	v_mul_f32_e32 v100, v99, v94
	s_delay_alu instid0(VALU_DEP_1) | instskip(NEXT) | instid1(VALU_DEP_1)
	v_mul_f32_e32 v101, v98, v100
	v_fma_f32 v97, v100, v98, -v101
	s_delay_alu instid0(VALU_DEP_1) | instskip(NEXT) | instid1(VALU_DEP_1)
	v_fmac_f32_e32 v97, v100, v96
	v_add_f32_e32 v102, v101, v97
	s_delay_alu instid0(VALU_DEP_1) | instskip(SKIP_1) | instid1(VALU_DEP_2)
	v_sub_f32_e32 v103, v99, v102
	v_sub_f32_e32 v95, v102, v101
	;; [unrolled: 1-line block ×3, first 2 shown]
	s_delay_alu instid0(VALU_DEP_2) | instskip(NEXT) | instid1(VALU_DEP_2)
	v_sub_f32_e32 v95, v95, v97
	v_sub_f32_e32 v99, v99, v102
	s_delay_alu instid0(VALU_DEP_1) | instskip(NEXT) | instid1(VALU_DEP_1)
	v_add_f32_e32 v13, v13, v99
	v_add_f32_e32 v13, v95, v13
	s_delay_alu instid0(VALU_DEP_1) | instskip(NEXT) | instid1(VALU_DEP_1)
	v_add_f32_e32 v95, v103, v13
	v_mul_f32_e32 v97, v94, v95
	s_delay_alu instid0(VALU_DEP_1) | instskip(NEXT) | instid1(VALU_DEP_1)
	v_dual_sub_f32 v102, v103, v95 :: v_dual_mul_f32 v99, v98, v97
	v_add_f32_e32 v13, v13, v102
	s_delay_alu instid0(VALU_DEP_2) | instskip(NEXT) | instid1(VALU_DEP_1)
	v_fma_f32 v98, v97, v98, -v99
	v_fmac_f32_e32 v98, v97, v96
	s_delay_alu instid0(VALU_DEP_1) | instskip(NEXT) | instid1(VALU_DEP_1)
	v_add_f32_e32 v96, v99, v98
	v_sub_f32_e32 v101, v95, v96
	s_delay_alu instid0(VALU_DEP_1) | instskip(NEXT) | instid1(VALU_DEP_1)
	v_sub_f32_e32 v95, v95, v101
	v_sub_f32_e32 v95, v95, v96
	s_delay_alu instid0(VALU_DEP_1) | instskip(SKIP_2) | instid1(VALU_DEP_1)
	v_add_f32_e32 v13, v13, v95
	v_add_f32_e32 v95, v100, v97
	v_sub_f32_e32 v99, v96, v99
	v_sub_f32_e32 v96, v99, v98
	s_delay_alu instid0(VALU_DEP_1) | instskip(NEXT) | instid1(VALU_DEP_1)
	v_dual_add_f32 v13, v96, v13 :: v_dual_sub_f32 v96, v95, v100
	v_add_f32_e32 v13, v101, v13
	s_delay_alu instid0(VALU_DEP_1) | instskip(NEXT) | instid1(VALU_DEP_1)
	v_dual_sub_f32 v96, v97, v96 :: v_dual_mul_f32 v13, v94, v13
	v_add_f32_e32 v13, v96, v13
	s_delay_alu instid0(VALU_DEP_1) | instskip(NEXT) | instid1(VALU_DEP_1)
	v_add_f32_e32 v94, v95, v13
	v_mul_f32_e32 v96, v94, v94
	s_delay_alu instid0(VALU_DEP_1) | instskip(SKIP_1) | instid1(VALU_DEP_2)
	v_fmaak_f32 v97, s83, v96, 0x3ecc95a3
	v_mul_f32_e32 v98, v94, v96
	v_fmaak_f32 v96, v96, v97, 0x3f2aaada
	v_ldexp_f32 v97, v94, 1
	v_sub_f32_e32 v94, v94, v95
	s_delay_alu instid0(VALU_DEP_3) | instskip(NEXT) | instid1(VALU_DEP_2)
	v_mul_f32_e32 v96, v98, v96
	v_dual_mul_f32 v98, 0x3f317218, v12 :: v_dual_sub_f32 v13, v13, v94
	s_delay_alu instid0(VALU_DEP_2) | instskip(NEXT) | instid1(VALU_DEP_2)
	v_add_f32_e32 v95, v97, v96
	v_ldexp_f32 v13, v13, 1
	s_delay_alu instid0(VALU_DEP_2) | instskip(NEXT) | instid1(VALU_DEP_4)
	v_sub_f32_e32 v94, v95, v97
	v_fma_f32 v97, 0x3f317218, v12, -v98
	s_delay_alu instid0(VALU_DEP_1) | instskip(NEXT) | instid1(VALU_DEP_1)
	v_dual_sub_f32 v94, v96, v94 :: v_dual_fmac_f32 v97, 0xb102e308, v12
	v_add_f32_e32 v12, v13, v94
	s_delay_alu instid0(VALU_DEP_1) | instskip(NEXT) | instid1(VALU_DEP_1)
	v_add_f32_e32 v94, v95, v12
	v_sub_f32_e32 v95, v94, v95
	s_delay_alu instid0(VALU_DEP_1) | instskip(NEXT) | instid1(VALU_DEP_1)
	v_dual_sub_f32 v12, v12, v95 :: v_dual_add_f32 v13, v98, v97
	v_add_f32_e32 v96, v13, v94
	s_delay_alu instid0(VALU_DEP_1) | instskip(NEXT) | instid1(VALU_DEP_1)
	v_dual_sub_f32 v98, v13, v98 :: v_dual_sub_f32 v99, v96, v13
	v_dual_sub_f32 v97, v97, v98 :: v_dual_sub_f32 v100, v96, v99
	s_delay_alu instid0(VALU_DEP_1) | instskip(NEXT) | instid1(VALU_DEP_2)
	v_dual_sub_f32 v94, v94, v99 :: v_dual_add_f32 v95, v97, v12
	v_sub_f32_e32 v13, v13, v100
	s_delay_alu instid0(VALU_DEP_1) | instskip(NEXT) | instid1(VALU_DEP_3)
	v_add_f32_e32 v13, v94, v13
	v_sub_f32_e32 v94, v95, v97
	s_delay_alu instid0(VALU_DEP_2) | instskip(NEXT) | instid1(VALU_DEP_2)
	v_add_f32_e32 v13, v95, v13
	v_sub_f32_e32 v95, v95, v94
	v_sub_f32_e32 v12, v12, v94
	s_delay_alu instid0(VALU_DEP_2) | instskip(NEXT) | instid1(VALU_DEP_1)
	v_dual_add_f32 v98, v96, v13 :: v_dual_sub_f32 v95, v97, v95
	v_sub_f32_e32 v94, v98, v96
	s_delay_alu instid0(VALU_DEP_1) | instskip(NEXT) | instid1(VALU_DEP_1)
	v_dual_add_f32 v12, v12, v95 :: v_dual_sub_f32 v13, v13, v94
	v_add_f32_e32 v12, v12, v13
	s_delay_alu instid0(VALU_DEP_1) | instskip(NEXT) | instid1(VALU_DEP_1)
	v_add_f32_e32 v12, v98, v12
	v_cndmask_b32_e32 v94, v12, v17, vcc_lo
.LBB118_84:                             ;   in Loop: Header=BB118_12 Depth=1
	s_or_b32 exec_lo, exec_lo, s29
	v_lshrrev_b32_e32 v12, 16, v14
	s_delay_alu instid0(VALU_DEP_1) | instskip(NEXT) | instid1(VALU_DEP_1)
	v_cvt_f32_f16_e32 v12, v12
	v_add_f32_e32 v95, s66, v12
	s_delay_alu instid0(VALU_DEP_1) | instskip(SKIP_1) | instid1(SALU_CYCLE_1)
	v_cmp_ge_f32_e32 vcc_lo, 0x41a00000, v95
	s_and_b32 s28, s79, vcc_lo
	s_and_saveexec_b32 s29, s28
	s_cbranch_execz .LBB118_86
; %bb.85:                               ;   in Loop: Header=BB118_12 Depth=1
	v_mul_f32_e32 v12, 0x3fb8aa3b, v95
	v_cmp_ngt_f32_e32 vcc_lo, 0xc2ce8ed0, v95
	s_delay_alu instid0(VALU_DEP_2) | instskip(SKIP_1) | instid1(VALU_DEP_2)
	v_rndne_f32_e32 v13, v12
	v_fma_f32 v14, 0x3fb8aa3b, v95, -v12
	v_sub_f32_e32 v12, v12, v13
	s_delay_alu instid0(VALU_DEP_2) | instskip(SKIP_1) | instid1(VALU_DEP_2)
	v_fmac_f32_e32 v14, 0x32a5705f, v95
	v_cvt_i32_f32_e32 v13, v13
	v_add_f32_e32 v12, v12, v14
	s_delay_alu instid0(VALU_DEP_1) | instskip(SKIP_2) | instid1(VALU_DEP_1)
	v_exp_f32_e32 v12, v12
	s_waitcnt_depctr 0xfff
	v_ldexp_f32 v12, v12, v13
	v_cndmask_b32_e32 v12, 0, v12, vcc_lo
	v_cmp_nlt_f32_e32 vcc_lo, 0x42b17218, v95
	s_delay_alu instid0(VALU_DEP_2) | instskip(NEXT) | instid1(VALU_DEP_1)
	v_cndmask_b32_e32 v14, 0x7f800000, v12, vcc_lo
	v_add_f32_e32 v17, 1.0, v14
	s_delay_alu instid0(VALU_DEP_1) | instskip(NEXT) | instid1(VALU_DEP_1)
	v_cvt_f64_f32_e32 v[12:13], v17
	v_frexp_exp_i32_f64_e32 v12, v[12:13]
	v_frexp_mant_f32_e32 v13, v17
	s_delay_alu instid0(VALU_DEP_1) | instskip(SKIP_1) | instid1(VALU_DEP_1)
	v_cmp_gt_f32_e32 vcc_lo, 0x3f2aaaab, v13
	v_add_f32_e32 v13, -1.0, v17
	v_sub_f32_e32 v96, v13, v17
	v_sub_f32_e32 v13, v14, v13
	v_subrev_co_ci_u32_e32 v12, vcc_lo, 0, v12, vcc_lo
	s_delay_alu instid0(VALU_DEP_1) | instskip(SKIP_1) | instid1(VALU_DEP_2)
	v_sub_nc_u32_e32 v95, 0, v12
	v_cvt_f32_i32_e32 v12, v12
	v_ldexp_f32 v17, v17, v95
	s_delay_alu instid0(VALU_DEP_1) | instskip(NEXT) | instid1(VALU_DEP_1)
	v_dual_add_f32 v96, 1.0, v96 :: v_dual_add_f32 v97, 1.0, v17
	v_dual_add_f32 v13, v13, v96 :: v_dual_add_f32 v96, -1.0, v97
	s_delay_alu instid0(VALU_DEP_1) | instskip(SKIP_4) | instid1(VALU_DEP_4)
	v_ldexp_f32 v13, v13, v95
	v_add_f32_e32 v95, -1.0, v17
	v_cmp_eq_f32_e32 vcc_lo, 0x7f800000, v14
	v_cmp_gt_f32_e64 s28, 0x33800000, v14
	v_sub_f32_e32 v96, v17, v96
	v_add_f32_e32 v98, 1.0, v95
	s_delay_alu instid0(VALU_DEP_3) | instskip(NEXT) | instid1(VALU_DEP_2)
	s_or_b32 vcc_lo, s28, vcc_lo
	v_add_f32_e32 v96, v13, v96
	s_delay_alu instid0(VALU_DEP_2) | instskip(NEXT) | instid1(VALU_DEP_1)
	v_sub_f32_e32 v17, v17, v98
	v_add_f32_e32 v13, v13, v17
	s_delay_alu instid0(VALU_DEP_1) | instskip(NEXT) | instid1(VALU_DEP_1)
	v_dual_add_f32 v99, v95, v13 :: v_dual_add_f32 v98, v97, v96
	v_sub_f32_e32 v95, v95, v99
	s_delay_alu instid0(VALU_DEP_2) | instskip(SKIP_1) | instid1(VALU_DEP_1)
	v_rcp_f32_e32 v17, v98
	v_sub_f32_e32 v97, v97, v98
	v_dual_add_f32 v13, v13, v95 :: v_dual_add_f32 v96, v96, v97
	s_waitcnt_depctr 0xfff
	v_mul_f32_e32 v100, v99, v17
	s_delay_alu instid0(VALU_DEP_1) | instskip(NEXT) | instid1(VALU_DEP_1)
	v_mul_f32_e32 v101, v98, v100
	v_fma_f32 v97, v100, v98, -v101
	s_delay_alu instid0(VALU_DEP_1) | instskip(NEXT) | instid1(VALU_DEP_1)
	v_fmac_f32_e32 v97, v100, v96
	v_add_f32_e32 v102, v101, v97
	s_delay_alu instid0(VALU_DEP_1) | instskip(NEXT) | instid1(VALU_DEP_1)
	v_sub_f32_e32 v103, v99, v102
	v_sub_f32_e32 v99, v99, v103
	;; [unrolled: 1-line block ×3, first 2 shown]
	s_delay_alu instid0(VALU_DEP_2) | instskip(NEXT) | instid1(VALU_DEP_2)
	v_sub_f32_e32 v99, v99, v102
	v_sub_f32_e32 v95, v95, v97
	s_delay_alu instid0(VALU_DEP_2) | instskip(NEXT) | instid1(VALU_DEP_1)
	v_add_f32_e32 v13, v13, v99
	v_add_f32_e32 v13, v95, v13
	s_delay_alu instid0(VALU_DEP_1) | instskip(NEXT) | instid1(VALU_DEP_1)
	v_add_f32_e32 v95, v103, v13
	v_mul_f32_e32 v97, v17, v95
	s_delay_alu instid0(VALU_DEP_1) | instskip(NEXT) | instid1(VALU_DEP_1)
	v_dual_sub_f32 v102, v103, v95 :: v_dual_mul_f32 v99, v98, v97
	v_add_f32_e32 v13, v13, v102
	s_delay_alu instid0(VALU_DEP_2) | instskip(NEXT) | instid1(VALU_DEP_1)
	v_fma_f32 v98, v97, v98, -v99
	v_fmac_f32_e32 v98, v97, v96
	s_delay_alu instid0(VALU_DEP_1) | instskip(NEXT) | instid1(VALU_DEP_1)
	v_add_f32_e32 v96, v99, v98
	v_sub_f32_e32 v101, v95, v96
	v_sub_f32_e32 v99, v96, v99
	s_delay_alu instid0(VALU_DEP_2) | instskip(NEXT) | instid1(VALU_DEP_1)
	v_sub_f32_e32 v95, v95, v101
	v_sub_f32_e32 v95, v95, v96
	s_delay_alu instid0(VALU_DEP_1) | instskip(SKIP_1) | instid1(VALU_DEP_1)
	v_dual_sub_f32 v96, v99, v98 :: v_dual_add_f32 v13, v13, v95
	v_add_f32_e32 v95, v100, v97
	v_dual_add_f32 v13, v96, v13 :: v_dual_sub_f32 v96, v95, v100
	s_delay_alu instid0(VALU_DEP_1) | instskip(NEXT) | instid1(VALU_DEP_2)
	v_add_f32_e32 v13, v101, v13
	v_sub_f32_e32 v96, v97, v96
	s_delay_alu instid0(VALU_DEP_2) | instskip(NEXT) | instid1(VALU_DEP_1)
	v_mul_f32_e32 v13, v17, v13
	v_add_f32_e32 v13, v96, v13
	s_delay_alu instid0(VALU_DEP_1) | instskip(NEXT) | instid1(VALU_DEP_1)
	v_add_f32_e32 v17, v95, v13
	v_mul_f32_e32 v96, v17, v17
	s_delay_alu instid0(VALU_DEP_1) | instskip(SKIP_1) | instid1(VALU_DEP_2)
	v_fmaak_f32 v97, s83, v96, 0x3ecc95a3
	v_mul_f32_e32 v98, v17, v96
	v_fmaak_f32 v96, v96, v97, 0x3f2aaada
	v_ldexp_f32 v97, v17, 1
	s_delay_alu instid0(VALU_DEP_2) | instskip(NEXT) | instid1(VALU_DEP_1)
	v_dual_sub_f32 v17, v17, v95 :: v_dual_mul_f32 v96, v98, v96
	v_dual_mul_f32 v98, 0x3f317218, v12 :: v_dual_sub_f32 v13, v13, v17
	s_delay_alu instid0(VALU_DEP_2) | instskip(NEXT) | instid1(VALU_DEP_2)
	v_add_f32_e32 v95, v97, v96
	v_ldexp_f32 v13, v13, 1
	s_delay_alu instid0(VALU_DEP_2) | instskip(NEXT) | instid1(VALU_DEP_4)
	v_sub_f32_e32 v17, v95, v97
	v_fma_f32 v97, 0x3f317218, v12, -v98
	s_delay_alu instid0(VALU_DEP_2) | instskip(NEXT) | instid1(VALU_DEP_1)
	v_sub_f32_e32 v17, v96, v17
	v_dual_fmac_f32 v97, 0xb102e308, v12 :: v_dual_add_f32 v12, v13, v17
	s_delay_alu instid0(VALU_DEP_1) | instskip(NEXT) | instid1(VALU_DEP_1)
	v_add_f32_e32 v13, v98, v97
	v_dual_add_f32 v17, v95, v12 :: v_dual_sub_f32 v98, v13, v98
	s_delay_alu instid0(VALU_DEP_1) | instskip(SKIP_1) | instid1(VALU_DEP_3)
	v_add_f32_e32 v96, v13, v17
	v_sub_f32_e32 v95, v17, v95
	v_sub_f32_e32 v97, v97, v98
	s_delay_alu instid0(VALU_DEP_3) | instskip(NEXT) | instid1(VALU_DEP_3)
	v_sub_f32_e32 v99, v96, v13
	v_sub_f32_e32 v12, v12, v95
	s_delay_alu instid0(VALU_DEP_2) | instskip(SKIP_1) | instid1(VALU_DEP_3)
	v_sub_f32_e32 v100, v96, v99
	v_sub_f32_e32 v17, v17, v99
	v_add_f32_e32 v95, v97, v12
	s_delay_alu instid0(VALU_DEP_3) | instskip(NEXT) | instid1(VALU_DEP_1)
	v_sub_f32_e32 v13, v13, v100
	v_add_f32_e32 v13, v17, v13
	s_delay_alu instid0(VALU_DEP_3) | instskip(NEXT) | instid1(VALU_DEP_2)
	v_sub_f32_e32 v17, v95, v97
	v_add_f32_e32 v13, v95, v13
	s_delay_alu instid0(VALU_DEP_2) | instskip(SKIP_1) | instid1(VALU_DEP_2)
	v_sub_f32_e32 v95, v95, v17
	v_sub_f32_e32 v12, v12, v17
	v_dual_add_f32 v98, v96, v13 :: v_dual_sub_f32 v95, v97, v95
	s_delay_alu instid0(VALU_DEP_1) | instskip(NEXT) | instid1(VALU_DEP_1)
	v_dual_sub_f32 v17, v98, v96 :: v_dual_add_f32 v12, v12, v95
	v_sub_f32_e32 v13, v13, v17
	s_delay_alu instid0(VALU_DEP_1) | instskip(NEXT) | instid1(VALU_DEP_1)
	v_add_f32_e32 v12, v12, v13
	v_add_f32_e32 v12, v98, v12
	s_delay_alu instid0(VALU_DEP_1)
	v_cndmask_b32_e32 v95, v12, v14, vcc_lo
.LBB118_86:                             ;   in Loop: Header=BB118_12 Depth=1
	s_or_b32 exec_lo, exec_lo, s29
	v_cvt_f32_f16_e32 v12, v15
	s_delay_alu instid0(VALU_DEP_1) | instskip(NEXT) | instid1(VALU_DEP_1)
	v_add_f32_e32 v96, s66, v12
	v_cmp_ge_f32_e32 vcc_lo, 0x41a00000, v96
	s_and_b32 s28, s79, vcc_lo
	s_delay_alu instid0(SALU_CYCLE_1)
	s_and_saveexec_b32 s29, s28
	s_cbranch_execz .LBB118_88
; %bb.87:                               ;   in Loop: Header=BB118_12 Depth=1
	v_mul_f32_e32 v12, 0x3fb8aa3b, v96
	v_cmp_ngt_f32_e32 vcc_lo, 0xc2ce8ed0, v96
	s_delay_alu instid0(VALU_DEP_2) | instskip(SKIP_1) | instid1(VALU_DEP_2)
	v_rndne_f32_e32 v13, v12
	v_fma_f32 v14, 0x3fb8aa3b, v96, -v12
	v_sub_f32_e32 v12, v12, v13
	s_delay_alu instid0(VALU_DEP_2) | instskip(SKIP_1) | instid1(VALU_DEP_2)
	v_fmac_f32_e32 v14, 0x32a5705f, v96
	v_cvt_i32_f32_e32 v13, v13
	v_add_f32_e32 v12, v12, v14
	s_delay_alu instid0(VALU_DEP_1) | instskip(SKIP_2) | instid1(VALU_DEP_1)
	v_exp_f32_e32 v12, v12
	s_waitcnt_depctr 0xfff
	v_ldexp_f32 v12, v12, v13
	v_cndmask_b32_e32 v12, 0, v12, vcc_lo
	v_cmp_nlt_f32_e32 vcc_lo, 0x42b17218, v96
	s_delay_alu instid0(VALU_DEP_2) | instskip(NEXT) | instid1(VALU_DEP_1)
	v_cndmask_b32_e32 v14, 0x7f800000, v12, vcc_lo
	v_add_f32_e32 v17, 1.0, v14
	s_delay_alu instid0(VALU_DEP_1) | instskip(NEXT) | instid1(VALU_DEP_1)
	v_cvt_f64_f32_e32 v[12:13], v17
	v_frexp_exp_i32_f64_e32 v12, v[12:13]
	v_frexp_mant_f32_e32 v13, v17
	s_delay_alu instid0(VALU_DEP_1) | instskip(SKIP_1) | instid1(VALU_DEP_1)
	v_cmp_gt_f32_e32 vcc_lo, 0x3f2aaaab, v13
	v_add_f32_e32 v13, -1.0, v17
	v_sub_f32_e32 v97, v13, v17
	s_delay_alu instid0(VALU_DEP_1) | instskip(SKIP_2) | instid1(VALU_DEP_2)
	v_add_f32_e32 v97, 1.0, v97
	v_sub_f32_e32 v13, v14, v13
	v_cmp_gt_f32_e64 s28, 0x33800000, v14
	v_add_f32_e32 v13, v13, v97
	v_subrev_co_ci_u32_e32 v12, vcc_lo, 0, v12, vcc_lo
	v_cmp_eq_f32_e32 vcc_lo, 0x7f800000, v14
	s_delay_alu instid0(VALU_DEP_2) | instskip(SKIP_2) | instid1(VALU_DEP_2)
	v_sub_nc_u32_e32 v96, 0, v12
	v_cvt_f32_i32_e32 v12, v12
	s_or_b32 vcc_lo, s28, vcc_lo
	v_ldexp_f32 v17, v17, v96
	v_ldexp_f32 v13, v13, v96
	s_delay_alu instid0(VALU_DEP_2) | instskip(NEXT) | instid1(VALU_DEP_1)
	v_add_f32_e32 v96, -1.0, v17
	v_dual_add_f32 v98, 1.0, v17 :: v_dual_add_f32 v99, 1.0, v96
	s_delay_alu instid0(VALU_DEP_1) | instskip(NEXT) | instid1(VALU_DEP_1)
	v_add_f32_e32 v97, -1.0, v98
	v_sub_f32_e32 v97, v17, v97
	s_delay_alu instid0(VALU_DEP_3) | instskip(NEXT) | instid1(VALU_DEP_2)
	v_sub_f32_e32 v17, v17, v99
	v_add_f32_e32 v97, v13, v97
	s_delay_alu instid0(VALU_DEP_2) | instskip(NEXT) | instid1(VALU_DEP_1)
	v_add_f32_e32 v13, v13, v17
	v_add_f32_e32 v100, v96, v13
	s_delay_alu instid0(VALU_DEP_1) | instskip(NEXT) | instid1(VALU_DEP_1)
	v_dual_sub_f32 v96, v96, v100 :: v_dual_add_f32 v99, v98, v97
	v_add_f32_e32 v13, v13, v96
	s_delay_alu instid0(VALU_DEP_2) | instskip(SKIP_1) | instid1(VALU_DEP_1)
	v_rcp_f32_e32 v17, v99
	v_sub_f32_e32 v98, v98, v99
	v_add_f32_e32 v97, v97, v98
	s_waitcnt_depctr 0xfff
	v_mul_f32_e32 v101, v100, v17
	s_delay_alu instid0(VALU_DEP_1) | instskip(NEXT) | instid1(VALU_DEP_1)
	v_mul_f32_e32 v102, v99, v101
	v_fma_f32 v98, v101, v99, -v102
	s_delay_alu instid0(VALU_DEP_1) | instskip(NEXT) | instid1(VALU_DEP_1)
	v_fmac_f32_e32 v98, v101, v97
	v_add_f32_e32 v103, v102, v98
	s_delay_alu instid0(VALU_DEP_1) | instskip(SKIP_1) | instid1(VALU_DEP_2)
	v_sub_f32_e32 v104, v100, v103
	v_sub_f32_e32 v96, v103, v102
	;; [unrolled: 1-line block ×3, first 2 shown]
	s_delay_alu instid0(VALU_DEP_1) | instskip(NEXT) | instid1(VALU_DEP_1)
	v_sub_f32_e32 v100, v100, v103
	v_dual_sub_f32 v96, v96, v98 :: v_dual_add_f32 v13, v13, v100
	s_delay_alu instid0(VALU_DEP_1) | instskip(NEXT) | instid1(VALU_DEP_1)
	v_add_f32_e32 v13, v96, v13
	v_add_f32_e32 v96, v104, v13
	s_delay_alu instid0(VALU_DEP_1) | instskip(NEXT) | instid1(VALU_DEP_1)
	v_mul_f32_e32 v98, v17, v96
	v_dual_sub_f32 v103, v104, v96 :: v_dual_mul_f32 v100, v99, v98
	s_delay_alu instid0(VALU_DEP_1) | instskip(NEXT) | instid1(VALU_DEP_2)
	v_add_f32_e32 v13, v13, v103
	v_fma_f32 v99, v98, v99, -v100
	s_delay_alu instid0(VALU_DEP_1) | instskip(NEXT) | instid1(VALU_DEP_1)
	v_fmac_f32_e32 v99, v98, v97
	v_add_f32_e32 v97, v100, v99
	s_delay_alu instid0(VALU_DEP_1) | instskip(NEXT) | instid1(VALU_DEP_1)
	v_sub_f32_e32 v102, v96, v97
	v_sub_f32_e32 v96, v96, v102
	s_delay_alu instid0(VALU_DEP_1) | instskip(NEXT) | instid1(VALU_DEP_1)
	v_sub_f32_e32 v96, v96, v97
	v_add_f32_e32 v13, v13, v96
	v_add_f32_e32 v96, v101, v98
	v_sub_f32_e32 v100, v97, v100
	s_delay_alu instid0(VALU_DEP_1) | instskip(NEXT) | instid1(VALU_DEP_1)
	v_sub_f32_e32 v97, v100, v99
	v_add_f32_e32 v13, v97, v13
	s_delay_alu instid0(VALU_DEP_4) | instskip(NEXT) | instid1(VALU_DEP_2)
	v_sub_f32_e32 v97, v96, v101
	v_add_f32_e32 v13, v102, v13
	s_delay_alu instid0(VALU_DEP_2) | instskip(NEXT) | instid1(VALU_DEP_2)
	v_sub_f32_e32 v97, v98, v97
	v_mul_f32_e32 v13, v17, v13
	s_delay_alu instid0(VALU_DEP_1) | instskip(NEXT) | instid1(VALU_DEP_1)
	v_add_f32_e32 v13, v97, v13
	v_add_f32_e32 v17, v96, v13
	s_delay_alu instid0(VALU_DEP_1) | instskip(NEXT) | instid1(VALU_DEP_1)
	v_mul_f32_e32 v97, v17, v17
	v_fmaak_f32 v98, s83, v97, 0x3ecc95a3
	v_mul_f32_e32 v99, v17, v97
	s_delay_alu instid0(VALU_DEP_2) | instskip(SKIP_1) | instid1(VALU_DEP_2)
	v_fmaak_f32 v97, v97, v98, 0x3f2aaada
	v_ldexp_f32 v98, v17, 1
	v_mul_f32_e32 v97, v99, v97
	s_delay_alu instid0(VALU_DEP_1) | instskip(NEXT) | instid1(VALU_DEP_1)
	v_dual_sub_f32 v17, v17, v96 :: v_dual_add_f32 v96, v98, v97
	v_sub_f32_e32 v13, v13, v17
	s_delay_alu instid0(VALU_DEP_2) | instskip(NEXT) | instid1(VALU_DEP_2)
	v_sub_f32_e32 v17, v96, v98
	v_ldexp_f32 v13, v13, 1
	s_delay_alu instid0(VALU_DEP_2) | instskip(SKIP_1) | instid1(VALU_DEP_1)
	v_sub_f32_e32 v17, v97, v17
	v_mul_f32_e32 v99, 0x3f317218, v12
	v_fma_f32 v98, 0x3f317218, v12, -v99
	s_delay_alu instid0(VALU_DEP_1) | instskip(NEXT) | instid1(VALU_DEP_1)
	v_fmac_f32_e32 v98, 0xb102e308, v12
	v_dual_add_f32 v12, v13, v17 :: v_dual_add_f32 v13, v99, v98
	s_delay_alu instid0(VALU_DEP_1) | instskip(NEXT) | instid1(VALU_DEP_1)
	v_add_f32_e32 v17, v96, v12
	v_add_f32_e32 v97, v13, v17
	v_sub_f32_e32 v96, v17, v96
	s_delay_alu instid0(VALU_DEP_2) | instskip(NEXT) | instid1(VALU_DEP_2)
	v_sub_f32_e32 v100, v97, v13
	v_dual_sub_f32 v12, v12, v96 :: v_dual_sub_f32 v99, v13, v99
	s_delay_alu instid0(VALU_DEP_2) | instskip(NEXT) | instid1(VALU_DEP_2)
	v_sub_f32_e32 v101, v97, v100
	v_dual_sub_f32 v17, v17, v100 :: v_dual_sub_f32 v98, v98, v99
	s_delay_alu instid0(VALU_DEP_1) | instskip(NEXT) | instid1(VALU_DEP_1)
	v_dual_sub_f32 v13, v13, v101 :: v_dual_add_f32 v96, v98, v12
	v_add_f32_e32 v13, v17, v13
	s_delay_alu instid0(VALU_DEP_2) | instskip(NEXT) | instid1(VALU_DEP_2)
	v_sub_f32_e32 v17, v96, v98
	v_add_f32_e32 v13, v96, v13
	s_delay_alu instid0(VALU_DEP_2) | instskip(SKIP_1) | instid1(VALU_DEP_2)
	v_sub_f32_e32 v96, v96, v17
	v_sub_f32_e32 v12, v12, v17
	v_dual_add_f32 v99, v97, v13 :: v_dual_sub_f32 v96, v98, v96
	s_delay_alu instid0(VALU_DEP_1) | instskip(NEXT) | instid1(VALU_DEP_1)
	v_dual_sub_f32 v17, v99, v97 :: v_dual_add_f32 v12, v12, v96
	v_sub_f32_e32 v13, v13, v17
	s_delay_alu instid0(VALU_DEP_1) | instskip(NEXT) | instid1(VALU_DEP_1)
	v_add_f32_e32 v12, v12, v13
	v_add_f32_e32 v12, v99, v12
	s_delay_alu instid0(VALU_DEP_1)
	v_cndmask_b32_e32 v96, v12, v14, vcc_lo
.LBB118_88:                             ;   in Loop: Header=BB118_12 Depth=1
	s_or_b32 exec_lo, exec_lo, s29
	v_lshrrev_b32_e32 v12, 16, v15
	s_delay_alu instid0(VALU_DEP_1) | instskip(NEXT) | instid1(VALU_DEP_1)
	v_cvt_f32_f16_e32 v12, v12
	v_add_f32_e32 v97, s66, v12
	s_delay_alu instid0(VALU_DEP_1) | instskip(SKIP_1) | instid1(SALU_CYCLE_1)
	v_cmp_ge_f32_e32 vcc_lo, 0x41a00000, v97
	s_and_b32 s28, s79, vcc_lo
	s_and_saveexec_b32 s29, s28
	s_cbranch_execz .LBB118_90
; %bb.89:                               ;   in Loop: Header=BB118_12 Depth=1
	v_mul_f32_e32 v12, 0x3fb8aa3b, v97
	v_cmp_ngt_f32_e32 vcc_lo, 0xc2ce8ed0, v97
	s_delay_alu instid0(VALU_DEP_2) | instskip(SKIP_1) | instid1(VALU_DEP_2)
	v_rndne_f32_e32 v13, v12
	v_fma_f32 v14, 0x3fb8aa3b, v97, -v12
	v_sub_f32_e32 v12, v12, v13
	s_delay_alu instid0(VALU_DEP_2) | instskip(SKIP_1) | instid1(VALU_DEP_2)
	v_fmac_f32_e32 v14, 0x32a5705f, v97
	v_cvt_i32_f32_e32 v13, v13
	v_add_f32_e32 v12, v12, v14
	s_delay_alu instid0(VALU_DEP_1) | instskip(SKIP_2) | instid1(VALU_DEP_1)
	v_exp_f32_e32 v12, v12
	s_waitcnt_depctr 0xfff
	v_ldexp_f32 v12, v12, v13
	v_cndmask_b32_e32 v12, 0, v12, vcc_lo
	v_cmp_nlt_f32_e32 vcc_lo, 0x42b17218, v97
	s_delay_alu instid0(VALU_DEP_2) | instskip(NEXT) | instid1(VALU_DEP_1)
	v_cndmask_b32_e32 v14, 0x7f800000, v12, vcc_lo
	v_add_f32_e32 v15, 1.0, v14
	s_delay_alu instid0(VALU_DEP_1) | instskip(NEXT) | instid1(VALU_DEP_1)
	v_cvt_f64_f32_e32 v[12:13], v15
	v_frexp_exp_i32_f64_e32 v12, v[12:13]
	v_frexp_mant_f32_e32 v13, v15
	s_delay_alu instid0(VALU_DEP_1) | instskip(SKIP_1) | instid1(VALU_DEP_1)
	v_cmp_gt_f32_e32 vcc_lo, 0x3f2aaaab, v13
	v_add_f32_e32 v13, -1.0, v15
	v_sub_f32_e32 v97, v13, v15
	v_sub_f32_e32 v13, v14, v13
	s_delay_alu instid0(VALU_DEP_2) | instskip(NEXT) | instid1(VALU_DEP_1)
	v_add_f32_e32 v97, 1.0, v97
	v_add_f32_e32 v13, v13, v97
	v_cmp_gt_f32_e64 s28, 0x33800000, v14
	v_subrev_co_ci_u32_e32 v12, vcc_lo, 0, v12, vcc_lo
	v_cmp_eq_f32_e32 vcc_lo, 0x7f800000, v14
	s_delay_alu instid0(VALU_DEP_2) | instskip(SKIP_2) | instid1(VALU_DEP_2)
	v_sub_nc_u32_e32 v17, 0, v12
	v_cvt_f32_i32_e32 v12, v12
	s_or_b32 vcc_lo, s28, vcc_lo
	v_ldexp_f32 v15, v15, v17
	v_ldexp_f32 v13, v13, v17
	s_delay_alu instid0(VALU_DEP_2) | instskip(SKIP_1) | instid1(VALU_DEP_2)
	v_add_f32_e32 v98, 1.0, v15
	v_add_f32_e32 v17, -1.0, v15
	v_add_f32_e32 v97, -1.0, v98
	s_delay_alu instid0(VALU_DEP_2) | instskip(NEXT) | instid1(VALU_DEP_2)
	v_add_f32_e32 v99, 1.0, v17
	v_sub_f32_e32 v97, v15, v97
	s_delay_alu instid0(VALU_DEP_2) | instskip(NEXT) | instid1(VALU_DEP_2)
	v_sub_f32_e32 v15, v15, v99
	v_add_f32_e32 v97, v13, v97
	s_delay_alu instid0(VALU_DEP_2) | instskip(NEXT) | instid1(VALU_DEP_1)
	v_add_f32_e32 v13, v13, v15
	v_add_f32_e32 v100, v17, v13
	s_delay_alu instid0(VALU_DEP_3) | instskip(NEXT) | instid1(VALU_DEP_1)
	v_add_f32_e32 v99, v98, v97
	v_rcp_f32_e32 v15, v99
	v_sub_f32_e32 v98, v98, v99
	s_delay_alu instid0(VALU_DEP_1) | instskip(SKIP_2) | instid1(VALU_DEP_1)
	v_add_f32_e32 v97, v97, v98
	s_waitcnt_depctr 0xfff
	v_mul_f32_e32 v101, v100, v15
	v_dual_mul_f32 v102, v99, v101 :: v_dual_sub_f32 v17, v17, v100
	s_delay_alu instid0(VALU_DEP_1) | instskip(NEXT) | instid1(VALU_DEP_2)
	v_fma_f32 v98, v101, v99, -v102
	v_add_f32_e32 v13, v13, v17
	s_delay_alu instid0(VALU_DEP_2) | instskip(NEXT) | instid1(VALU_DEP_1)
	v_fmac_f32_e32 v98, v101, v97
	v_add_f32_e32 v103, v102, v98
	s_delay_alu instid0(VALU_DEP_1) | instskip(NEXT) | instid1(VALU_DEP_1)
	v_dual_sub_f32 v104, v100, v103 :: v_dual_sub_f32 v17, v103, v102
	v_dual_sub_f32 v100, v100, v104 :: v_dual_sub_f32 v17, v17, v98
	s_delay_alu instid0(VALU_DEP_1) | instskip(NEXT) | instid1(VALU_DEP_1)
	v_sub_f32_e32 v100, v100, v103
	v_add_f32_e32 v13, v13, v100
	s_delay_alu instid0(VALU_DEP_1) | instskip(NEXT) | instid1(VALU_DEP_1)
	v_add_f32_e32 v13, v17, v13
	v_add_f32_e32 v17, v104, v13
	s_delay_alu instid0(VALU_DEP_1) | instskip(NEXT) | instid1(VALU_DEP_1)
	v_mul_f32_e32 v98, v15, v17
	v_dual_sub_f32 v103, v104, v17 :: v_dual_mul_f32 v100, v99, v98
	s_delay_alu instid0(VALU_DEP_1) | instskip(NEXT) | instid1(VALU_DEP_2)
	v_add_f32_e32 v13, v13, v103
	v_fma_f32 v99, v98, v99, -v100
	s_delay_alu instid0(VALU_DEP_1) | instskip(NEXT) | instid1(VALU_DEP_1)
	v_fmac_f32_e32 v99, v98, v97
	v_add_f32_e32 v97, v100, v99
	s_delay_alu instid0(VALU_DEP_1) | instskip(SKIP_1) | instid1(VALU_DEP_2)
	v_sub_f32_e32 v102, v17, v97
	v_sub_f32_e32 v100, v97, v100
	;; [unrolled: 1-line block ×3, first 2 shown]
	s_delay_alu instid0(VALU_DEP_1) | instskip(NEXT) | instid1(VALU_DEP_3)
	v_sub_f32_e32 v17, v17, v97
	v_sub_f32_e32 v97, v100, v99
	s_delay_alu instid0(VALU_DEP_2) | instskip(SKIP_1) | instid1(VALU_DEP_2)
	v_add_f32_e32 v13, v13, v17
	v_add_f32_e32 v17, v101, v98
	v_add_f32_e32 v13, v97, v13
	s_delay_alu instid0(VALU_DEP_2) | instskip(NEXT) | instid1(VALU_DEP_2)
	v_sub_f32_e32 v97, v17, v101
	v_add_f32_e32 v13, v102, v13
	s_delay_alu instid0(VALU_DEP_2) | instskip(NEXT) | instid1(VALU_DEP_2)
	v_sub_f32_e32 v97, v98, v97
	v_mul_f32_e32 v13, v15, v13
	s_delay_alu instid0(VALU_DEP_1) | instskip(NEXT) | instid1(VALU_DEP_1)
	v_add_f32_e32 v13, v97, v13
	v_add_f32_e32 v15, v17, v13
	s_delay_alu instid0(VALU_DEP_1) | instskip(NEXT) | instid1(VALU_DEP_1)
	v_mul_f32_e32 v97, v15, v15
	v_fmaak_f32 v98, s83, v97, 0x3ecc95a3
	v_mul_f32_e32 v99, v15, v97
	s_delay_alu instid0(VALU_DEP_2) | instskip(SKIP_2) | instid1(VALU_DEP_3)
	v_fmaak_f32 v97, v97, v98, 0x3f2aaada
	v_ldexp_f32 v98, v15, 1
	v_sub_f32_e32 v15, v15, v17
	v_mul_f32_e32 v97, v99, v97
	v_mul_f32_e32 v99, 0x3f317218, v12
	s_delay_alu instid0(VALU_DEP_3) | instskip(NEXT) | instid1(VALU_DEP_3)
	v_sub_f32_e32 v13, v13, v15
	v_add_f32_e32 v17, v98, v97
	s_delay_alu instid0(VALU_DEP_2) | instskip(NEXT) | instid1(VALU_DEP_2)
	v_ldexp_f32 v13, v13, 1
	v_sub_f32_e32 v15, v17, v98
	v_fma_f32 v98, 0x3f317218, v12, -v99
	s_delay_alu instid0(VALU_DEP_1) | instskip(NEXT) | instid1(VALU_DEP_1)
	v_dual_sub_f32 v15, v97, v15 :: v_dual_fmac_f32 v98, 0xb102e308, v12
	v_dual_add_f32 v12, v13, v15 :: v_dual_add_f32 v13, v99, v98
	s_delay_alu instid0(VALU_DEP_1) | instskip(NEXT) | instid1(VALU_DEP_1)
	v_add_f32_e32 v15, v17, v12
	v_add_f32_e32 v97, v13, v15
	v_sub_f32_e32 v17, v15, v17
	s_delay_alu instid0(VALU_DEP_2) | instskip(NEXT) | instid1(VALU_DEP_2)
	v_sub_f32_e32 v100, v97, v13
	v_dual_sub_f32 v99, v13, v99 :: v_dual_sub_f32 v12, v12, v17
	s_delay_alu instid0(VALU_DEP_1) | instskip(SKIP_1) | instid1(VALU_DEP_2)
	v_dual_sub_f32 v101, v97, v100 :: v_dual_sub_f32 v98, v98, v99
	v_sub_f32_e32 v15, v15, v100
	v_sub_f32_e32 v13, v13, v101
	s_delay_alu instid0(VALU_DEP_3) | instskip(NEXT) | instid1(VALU_DEP_2)
	v_add_f32_e32 v17, v98, v12
	v_add_f32_e32 v13, v15, v13
	s_delay_alu instid0(VALU_DEP_2) | instskip(NEXT) | instid1(VALU_DEP_2)
	v_sub_f32_e32 v15, v17, v98
	v_add_f32_e32 v13, v17, v13
	s_delay_alu instid0(VALU_DEP_2) | instskip(NEXT) | instid1(VALU_DEP_2)
	v_sub_f32_e32 v17, v17, v15
	v_dual_sub_f32 v12, v12, v15 :: v_dual_add_f32 v99, v97, v13
	s_delay_alu instid0(VALU_DEP_2) | instskip(NEXT) | instid1(VALU_DEP_2)
	v_sub_f32_e32 v17, v98, v17
	v_sub_f32_e32 v15, v99, v97
	s_delay_alu instid0(VALU_DEP_1) | instskip(NEXT) | instid1(VALU_DEP_1)
	v_dual_add_f32 v12, v12, v17 :: v_dual_sub_f32 v13, v13, v15
	v_add_f32_e32 v12, v12, v13
	s_delay_alu instid0(VALU_DEP_1) | instskip(NEXT) | instid1(VALU_DEP_1)
	v_add_f32_e32 v12, v99, v12
	v_cndmask_b32_e32 v97, v12, v14, vcc_lo
.LBB118_90:                             ;   in Loop: Header=BB118_12 Depth=1
	s_or_b32 exec_lo, exec_lo, s29
	s_waitcnt lgkmcnt(0)
	v_cvt_f32_f16_e32 v12, v8
	s_delay_alu instid0(VALU_DEP_1) | instskip(NEXT) | instid1(VALU_DEP_1)
	v_add_f32_e32 v98, s66, v12
	v_cmp_ge_f32_e32 vcc_lo, 0x41a00000, v98
	s_and_b32 s28, s79, vcc_lo
	s_delay_alu instid0(SALU_CYCLE_1)
	s_and_saveexec_b32 s29, s28
	s_cbranch_execz .LBB118_92
; %bb.91:                               ;   in Loop: Header=BB118_12 Depth=1
	v_mul_f32_e32 v12, 0x3fb8aa3b, v98
	v_cmp_ngt_f32_e32 vcc_lo, 0xc2ce8ed0, v98
	s_delay_alu instid0(VALU_DEP_2) | instskip(SKIP_1) | instid1(VALU_DEP_2)
	v_rndne_f32_e32 v13, v12
	v_fma_f32 v14, 0x3fb8aa3b, v98, -v12
	v_sub_f32_e32 v12, v12, v13
	s_delay_alu instid0(VALU_DEP_2) | instskip(SKIP_1) | instid1(VALU_DEP_2)
	v_fmac_f32_e32 v14, 0x32a5705f, v98
	v_cvt_i32_f32_e32 v13, v13
	v_add_f32_e32 v12, v12, v14
	s_delay_alu instid0(VALU_DEP_1) | instskip(SKIP_2) | instid1(VALU_DEP_1)
	v_exp_f32_e32 v12, v12
	s_waitcnt_depctr 0xfff
	v_ldexp_f32 v12, v12, v13
	v_cndmask_b32_e32 v12, 0, v12, vcc_lo
	v_cmp_nlt_f32_e32 vcc_lo, 0x42b17218, v98
	s_delay_alu instid0(VALU_DEP_2) | instskip(NEXT) | instid1(VALU_DEP_1)
	v_cndmask_b32_e32 v14, 0x7f800000, v12, vcc_lo
	v_add_f32_e32 v15, 1.0, v14
	s_delay_alu instid0(VALU_DEP_1) | instskip(NEXT) | instid1(VALU_DEP_1)
	v_cvt_f64_f32_e32 v[12:13], v15
	v_frexp_exp_i32_f64_e32 v12, v[12:13]
	v_frexp_mant_f32_e32 v13, v15
	s_delay_alu instid0(VALU_DEP_1) | instskip(SKIP_1) | instid1(VALU_DEP_1)
	v_cmp_gt_f32_e32 vcc_lo, 0x3f2aaaab, v13
	v_add_f32_e32 v13, -1.0, v15
	v_dual_sub_f32 v98, v13, v15 :: v_dual_sub_f32 v13, v14, v13
	s_delay_alu instid0(VALU_DEP_1) | instskip(NEXT) | instid1(VALU_DEP_1)
	v_add_f32_e32 v98, 1.0, v98
	v_add_f32_e32 v13, v13, v98
	v_subrev_co_ci_u32_e32 v12, vcc_lo, 0, v12, vcc_lo
	s_delay_alu instid0(VALU_DEP_1) | instskip(SKIP_1) | instid1(VALU_DEP_2)
	v_sub_nc_u32_e32 v17, 0, v12
	v_cvt_f32_i32_e32 v12, v12
	v_ldexp_f32 v15, v15, v17
	v_ldexp_f32 v13, v13, v17
	s_delay_alu instid0(VALU_DEP_2) | instskip(SKIP_3) | instid1(VALU_DEP_4)
	v_add_f32_e32 v99, 1.0, v15
	v_add_f32_e32 v17, -1.0, v15
	v_cmp_eq_f32_e32 vcc_lo, 0x7f800000, v14
	v_cmp_gt_f32_e64 s28, 0x33800000, v14
	v_add_f32_e32 v98, -1.0, v99
	s_delay_alu instid0(VALU_DEP_4) | instskip(NEXT) | instid1(VALU_DEP_3)
	v_add_f32_e32 v100, 1.0, v17
	s_or_b32 vcc_lo, s28, vcc_lo
	s_delay_alu instid0(VALU_DEP_2) | instskip(NEXT) | instid1(VALU_DEP_1)
	v_sub_f32_e32 v98, v15, v98
	v_dual_sub_f32 v15, v15, v100 :: v_dual_add_f32 v98, v13, v98
	s_delay_alu instid0(VALU_DEP_1) | instskip(NEXT) | instid1(VALU_DEP_1)
	v_add_f32_e32 v13, v13, v15
	v_dual_add_f32 v101, v17, v13 :: v_dual_add_f32 v100, v99, v98
	s_delay_alu instid0(VALU_DEP_1) | instskip(NEXT) | instid1(VALU_DEP_2)
	v_sub_f32_e32 v17, v17, v101
	v_rcp_f32_e32 v15, v100
	v_sub_f32_e32 v99, v99, v100
	s_delay_alu instid0(VALU_DEP_1) | instskip(SKIP_2) | instid1(VALU_DEP_1)
	v_dual_add_f32 v98, v98, v99 :: v_dual_add_f32 v13, v13, v17
	s_waitcnt_depctr 0xfff
	v_mul_f32_e32 v102, v101, v15
	v_mul_f32_e32 v103, v100, v102
	s_delay_alu instid0(VALU_DEP_1) | instskip(NEXT) | instid1(VALU_DEP_1)
	v_fma_f32 v99, v102, v100, -v103
	v_fmac_f32_e32 v99, v102, v98
	s_delay_alu instid0(VALU_DEP_1) | instskip(NEXT) | instid1(VALU_DEP_1)
	v_add_f32_e32 v104, v103, v99
	v_sub_f32_e32 v105, v101, v104
	s_delay_alu instid0(VALU_DEP_1) | instskip(SKIP_1) | instid1(VALU_DEP_2)
	v_sub_f32_e32 v101, v101, v105
	v_sub_f32_e32 v17, v104, v103
	;; [unrolled: 1-line block ×3, first 2 shown]
	s_delay_alu instid0(VALU_DEP_2) | instskip(NEXT) | instid1(VALU_DEP_2)
	v_sub_f32_e32 v17, v17, v99
	v_add_f32_e32 v13, v13, v101
	s_delay_alu instid0(VALU_DEP_1) | instskip(NEXT) | instid1(VALU_DEP_1)
	v_add_f32_e32 v13, v17, v13
	v_add_f32_e32 v17, v105, v13
	s_delay_alu instid0(VALU_DEP_1) | instskip(NEXT) | instid1(VALU_DEP_1)
	v_mul_f32_e32 v99, v15, v17
	v_dual_sub_f32 v104, v105, v17 :: v_dual_mul_f32 v101, v100, v99
	s_delay_alu instid0(VALU_DEP_1) | instskip(NEXT) | instid1(VALU_DEP_2)
	v_add_f32_e32 v13, v13, v104
	v_fma_f32 v100, v99, v100, -v101
	s_delay_alu instid0(VALU_DEP_1) | instskip(NEXT) | instid1(VALU_DEP_1)
	v_fmac_f32_e32 v100, v99, v98
	v_add_f32_e32 v98, v101, v100
	s_delay_alu instid0(VALU_DEP_1) | instskip(NEXT) | instid1(VALU_DEP_1)
	v_sub_f32_e32 v103, v17, v98
	v_sub_f32_e32 v17, v17, v103
	s_delay_alu instid0(VALU_DEP_1) | instskip(NEXT) | instid1(VALU_DEP_1)
	v_sub_f32_e32 v17, v17, v98
	v_add_f32_e32 v13, v13, v17
	v_add_f32_e32 v17, v102, v99
	v_sub_f32_e32 v101, v98, v101
	s_delay_alu instid0(VALU_DEP_1) | instskip(NEXT) | instid1(VALU_DEP_1)
	v_sub_f32_e32 v98, v101, v100
	v_dual_add_f32 v13, v98, v13 :: v_dual_sub_f32 v98, v17, v102
	s_delay_alu instid0(VALU_DEP_1) | instskip(NEXT) | instid1(VALU_DEP_2)
	v_add_f32_e32 v13, v103, v13
	v_sub_f32_e32 v98, v99, v98
	s_delay_alu instid0(VALU_DEP_2) | instskip(NEXT) | instid1(VALU_DEP_1)
	v_mul_f32_e32 v13, v15, v13
	v_add_f32_e32 v13, v98, v13
	s_delay_alu instid0(VALU_DEP_1) | instskip(NEXT) | instid1(VALU_DEP_1)
	v_add_f32_e32 v15, v17, v13
	v_mul_f32_e32 v98, v15, v15
	s_delay_alu instid0(VALU_DEP_1) | instskip(SKIP_1) | instid1(VALU_DEP_2)
	v_fmaak_f32 v99, s83, v98, 0x3ecc95a3
	v_mul_f32_e32 v100, v15, v98
	v_fmaak_f32 v98, v98, v99, 0x3f2aaada
	v_ldexp_f32 v99, v15, 1
	s_delay_alu instid0(VALU_DEP_2) | instskip(NEXT) | instid1(VALU_DEP_1)
	v_dual_sub_f32 v15, v15, v17 :: v_dual_mul_f32 v98, v100, v98
	v_dual_mul_f32 v100, 0x3f317218, v12 :: v_dual_sub_f32 v13, v13, v15
	s_delay_alu instid0(VALU_DEP_2) | instskip(NEXT) | instid1(VALU_DEP_2)
	v_add_f32_e32 v17, v99, v98
	v_ldexp_f32 v13, v13, 1
	s_delay_alu instid0(VALU_DEP_2) | instskip(NEXT) | instid1(VALU_DEP_4)
	v_sub_f32_e32 v15, v17, v99
	v_fma_f32 v99, 0x3f317218, v12, -v100
	s_delay_alu instid0(VALU_DEP_2) | instskip(NEXT) | instid1(VALU_DEP_1)
	v_sub_f32_e32 v15, v98, v15
	v_dual_fmac_f32 v99, 0xb102e308, v12 :: v_dual_add_f32 v12, v13, v15
	s_delay_alu instid0(VALU_DEP_1) | instskip(NEXT) | instid1(VALU_DEP_2)
	v_add_f32_e32 v13, v100, v99
	v_add_f32_e32 v15, v17, v12
	s_delay_alu instid0(VALU_DEP_2) | instskip(NEXT) | instid1(VALU_DEP_2)
	v_sub_f32_e32 v100, v13, v100
	v_dual_add_f32 v98, v13, v15 :: v_dual_sub_f32 v17, v15, v17
	s_delay_alu instid0(VALU_DEP_2) | instskip(NEXT) | instid1(VALU_DEP_2)
	v_sub_f32_e32 v99, v99, v100
	v_sub_f32_e32 v101, v98, v13
	s_delay_alu instid0(VALU_DEP_3) | instskip(NEXT) | instid1(VALU_DEP_2)
	v_sub_f32_e32 v12, v12, v17
	v_sub_f32_e32 v102, v98, v101
	;; [unrolled: 1-line block ×3, first 2 shown]
	s_delay_alu instid0(VALU_DEP_3) | instskip(NEXT) | instid1(VALU_DEP_3)
	v_add_f32_e32 v17, v99, v12
	v_sub_f32_e32 v13, v13, v102
	s_delay_alu instid0(VALU_DEP_1) | instskip(NEXT) | instid1(VALU_DEP_3)
	v_add_f32_e32 v13, v15, v13
	v_sub_f32_e32 v15, v17, v99
	s_delay_alu instid0(VALU_DEP_2) | instskip(NEXT) | instid1(VALU_DEP_2)
	v_add_f32_e32 v13, v17, v13
	v_sub_f32_e32 v17, v17, v15
	v_sub_f32_e32 v12, v12, v15
	s_delay_alu instid0(VALU_DEP_3) | instskip(NEXT) | instid1(VALU_DEP_3)
	v_add_f32_e32 v100, v98, v13
	v_sub_f32_e32 v17, v99, v17
	s_delay_alu instid0(VALU_DEP_2) | instskip(NEXT) | instid1(VALU_DEP_1)
	v_sub_f32_e32 v15, v100, v98
	v_dual_add_f32 v12, v12, v17 :: v_dual_sub_f32 v13, v13, v15
	s_delay_alu instid0(VALU_DEP_1) | instskip(NEXT) | instid1(VALU_DEP_1)
	v_add_f32_e32 v12, v12, v13
	v_add_f32_e32 v12, v100, v12
	s_delay_alu instid0(VALU_DEP_1)
	v_cndmask_b32_e32 v98, v12, v14, vcc_lo
.LBB118_92:                             ;   in Loop: Header=BB118_12 Depth=1
	s_or_b32 exec_lo, exec_lo, s29
	v_lshrrev_b32_e32 v8, 16, v8
	s_delay_alu instid0(VALU_DEP_1) | instskip(NEXT) | instid1(VALU_DEP_1)
	v_cvt_f32_f16_e32 v8, v8
	v_add_f32_e32 v99, s66, v8
	s_delay_alu instid0(VALU_DEP_1) | instskip(SKIP_1) | instid1(SALU_CYCLE_1)
	v_cmp_ge_f32_e32 vcc_lo, 0x41a00000, v99
	s_and_b32 s28, s79, vcc_lo
	s_and_saveexec_b32 s29, s28
	s_cbranch_execz .LBB118_94
; %bb.93:                               ;   in Loop: Header=BB118_12 Depth=1
	v_mul_f32_e32 v8, 0x3fb8aa3b, v99
	v_cmp_ngt_f32_e32 vcc_lo, 0xc2ce8ed0, v99
	s_delay_alu instid0(VALU_DEP_2) | instskip(SKIP_1) | instid1(VALU_DEP_1)
	v_rndne_f32_e32 v12, v8
	v_fma_f32 v13, 0x3fb8aa3b, v99, -v8
	v_dual_sub_f32 v8, v8, v12 :: v_dual_fmac_f32 v13, 0x32a5705f, v99
	v_cvt_i32_f32_e32 v12, v12
	s_delay_alu instid0(VALU_DEP_2) | instskip(NEXT) | instid1(VALU_DEP_1)
	v_add_f32_e32 v8, v8, v13
	v_exp_f32_e32 v8, v8
	s_waitcnt_depctr 0xfff
	v_ldexp_f32 v8, v8, v12
	s_delay_alu instid0(VALU_DEP_1) | instskip(SKIP_1) | instid1(VALU_DEP_2)
	v_cndmask_b32_e32 v8, 0, v8, vcc_lo
	v_cmp_nlt_f32_e32 vcc_lo, 0x42b17218, v99
	v_cndmask_b32_e32 v8, 0x7f800000, v8, vcc_lo
	s_delay_alu instid0(VALU_DEP_1) | instskip(NEXT) | instid1(VALU_DEP_1)
	v_add_f32_e32 v14, 1.0, v8
	v_cvt_f64_f32_e32 v[12:13], v14
	s_delay_alu instid0(VALU_DEP_1) | instskip(SKIP_1) | instid1(VALU_DEP_1)
	v_frexp_exp_i32_f64_e32 v12, v[12:13]
	v_frexp_mant_f32_e32 v13, v14
	v_cmp_gt_f32_e32 vcc_lo, 0x3f2aaaab, v13
	v_add_f32_e32 v13, -1.0, v14
	s_delay_alu instid0(VALU_DEP_1) | instskip(NEXT) | instid1(VALU_DEP_1)
	v_sub_f32_e32 v17, v13, v14
	v_add_f32_e32 v17, 1.0, v17
	v_subrev_co_ci_u32_e32 v12, vcc_lo, 0, v12, vcc_lo
	s_delay_alu instid0(VALU_DEP_1) | instskip(SKIP_1) | instid1(VALU_DEP_2)
	v_sub_nc_u32_e32 v15, 0, v12
	v_cvt_f32_i32_e32 v12, v12
	v_ldexp_f32 v14, v14, v15
	s_delay_alu instid0(VALU_DEP_1) | instskip(SKIP_3) | instid1(VALU_DEP_3)
	v_add_f32_e32 v99, 1.0, v14
	v_sub_f32_e32 v13, v8, v13
	v_cmp_eq_f32_e32 vcc_lo, 0x7f800000, v8
	v_cmp_gt_f32_e64 s28, 0x33800000, v8
	v_add_f32_e32 v13, v13, v17
	s_delay_alu instid0(VALU_DEP_2) | instskip(NEXT) | instid1(VALU_DEP_1)
	s_or_b32 vcc_lo, s28, vcc_lo
	v_ldexp_f32 v13, v13, v15
	v_add_f32_e32 v15, -1.0, v14
	s_delay_alu instid0(VALU_DEP_1) | instskip(SKIP_1) | instid1(VALU_DEP_1)
	v_add_f32_e32 v100, 1.0, v15
	v_add_f32_e32 v17, -1.0, v99
	v_sub_f32_e32 v17, v14, v17
	s_delay_alu instid0(VALU_DEP_1) | instskip(NEXT) | instid1(VALU_DEP_1)
	v_dual_sub_f32 v14, v14, v100 :: v_dual_add_f32 v17, v13, v17
	v_add_f32_e32 v100, v99, v17
	s_delay_alu instid0(VALU_DEP_1) | instskip(NEXT) | instid1(VALU_DEP_1)
	v_sub_f32_e32 v99, v99, v100
	v_add_f32_e32 v17, v17, v99
	s_delay_alu instid0(VALU_DEP_4) | instskip(SKIP_1) | instid1(VALU_DEP_1)
	v_add_f32_e32 v13, v13, v14
	v_rcp_f32_e32 v14, v100
	v_add_f32_e32 v101, v15, v13
	s_waitcnt_depctr 0xfff
	v_dual_sub_f32 v15, v15, v101 :: v_dual_mul_f32 v102, v101, v14
	s_delay_alu instid0(VALU_DEP_1) | instskip(NEXT) | instid1(VALU_DEP_2)
	v_add_f32_e32 v13, v13, v15
	v_mul_f32_e32 v103, v100, v102
	s_delay_alu instid0(VALU_DEP_1) | instskip(NEXT) | instid1(VALU_DEP_1)
	v_fma_f32 v99, v102, v100, -v103
	v_fmac_f32_e32 v99, v102, v17
	s_delay_alu instid0(VALU_DEP_1) | instskip(NEXT) | instid1(VALU_DEP_1)
	v_add_f32_e32 v104, v103, v99
	v_sub_f32_e32 v105, v101, v104
	v_sub_f32_e32 v15, v104, v103
	s_delay_alu instid0(VALU_DEP_2) | instskip(NEXT) | instid1(VALU_DEP_2)
	v_sub_f32_e32 v101, v101, v105
	v_sub_f32_e32 v15, v15, v99
	s_delay_alu instid0(VALU_DEP_2) | instskip(NEXT) | instid1(VALU_DEP_1)
	v_sub_f32_e32 v101, v101, v104
	v_add_f32_e32 v13, v13, v101
	s_delay_alu instid0(VALU_DEP_1) | instskip(NEXT) | instid1(VALU_DEP_1)
	v_add_f32_e32 v13, v15, v13
	v_add_f32_e32 v15, v105, v13
	s_delay_alu instid0(VALU_DEP_1) | instskip(SKIP_1) | instid1(VALU_DEP_2)
	v_mul_f32_e32 v99, v14, v15
	v_sub_f32_e32 v104, v105, v15
	v_mul_f32_e32 v101, v100, v99
	s_delay_alu instid0(VALU_DEP_2) | instskip(NEXT) | instid1(VALU_DEP_2)
	v_add_f32_e32 v13, v13, v104
	v_fma_f32 v100, v99, v100, -v101
	s_delay_alu instid0(VALU_DEP_1) | instskip(NEXT) | instid1(VALU_DEP_1)
	v_fmac_f32_e32 v100, v99, v17
	v_add_f32_e32 v17, v101, v100
	s_delay_alu instid0(VALU_DEP_1) | instskip(SKIP_1) | instid1(VALU_DEP_2)
	v_sub_f32_e32 v103, v15, v17
	v_sub_f32_e32 v101, v17, v101
	v_sub_f32_e32 v15, v15, v103
	s_delay_alu instid0(VALU_DEP_1) | instskip(NEXT) | instid1(VALU_DEP_3)
	v_sub_f32_e32 v15, v15, v17
	v_sub_f32_e32 v17, v101, v100
	s_delay_alu instid0(VALU_DEP_2) | instskip(SKIP_1) | instid1(VALU_DEP_2)
	v_add_f32_e32 v13, v13, v15
	v_add_f32_e32 v15, v102, v99
	v_add_f32_e32 v13, v17, v13
	s_delay_alu instid0(VALU_DEP_2) | instskip(NEXT) | instid1(VALU_DEP_2)
	v_sub_f32_e32 v17, v15, v102
	v_add_f32_e32 v13, v103, v13
	s_delay_alu instid0(VALU_DEP_2) | instskip(NEXT) | instid1(VALU_DEP_2)
	v_sub_f32_e32 v17, v99, v17
	v_mul_f32_e32 v13, v14, v13
	s_delay_alu instid0(VALU_DEP_1) | instskip(NEXT) | instid1(VALU_DEP_1)
	v_add_f32_e32 v13, v17, v13
	v_add_f32_e32 v14, v15, v13
	s_delay_alu instid0(VALU_DEP_1) | instskip(NEXT) | instid1(VALU_DEP_1)
	v_mul_f32_e32 v17, v14, v14
	v_fmaak_f32 v99, s83, v17, 0x3ecc95a3
	s_delay_alu instid0(VALU_DEP_1) | instskip(SKIP_1) | instid1(VALU_DEP_2)
	v_dual_mul_f32 v100, v14, v17 :: v_dual_fmaak_f32 v17, v17, v99, 0x3f2aaada
	v_ldexp_f32 v99, v14, 1
	v_dual_sub_f32 v14, v14, v15 :: v_dual_mul_f32 v17, v100, v17
	s_delay_alu instid0(VALU_DEP_1) | instskip(NEXT) | instid1(VALU_DEP_2)
	v_dual_mul_f32 v100, 0x3f317218, v12 :: v_dual_sub_f32 v13, v13, v14
	v_add_f32_e32 v15, v99, v17
	s_delay_alu instid0(VALU_DEP_2) | instskip(NEXT) | instid1(VALU_DEP_2)
	v_ldexp_f32 v13, v13, 1
	v_sub_f32_e32 v14, v15, v99
	s_delay_alu instid0(VALU_DEP_4) | instskip(NEXT) | instid1(VALU_DEP_1)
	v_fma_f32 v99, 0x3f317218, v12, -v100
	v_dual_sub_f32 v14, v17, v14 :: v_dual_fmac_f32 v99, 0xb102e308, v12
	s_delay_alu instid0(VALU_DEP_1) | instskip(NEXT) | instid1(VALU_DEP_1)
	v_dual_add_f32 v12, v13, v14 :: v_dual_add_f32 v13, v100, v99
	v_add_f32_e32 v14, v15, v12
	s_delay_alu instid0(VALU_DEP_2) | instskip(NEXT) | instid1(VALU_DEP_2)
	v_sub_f32_e32 v100, v13, v100
	v_add_f32_e32 v17, v13, v14
	v_sub_f32_e32 v15, v14, v15
	s_delay_alu instid0(VALU_DEP_3) | instskip(NEXT) | instid1(VALU_DEP_2)
	v_sub_f32_e32 v99, v99, v100
	v_dual_sub_f32 v101, v17, v13 :: v_dual_sub_f32 v12, v12, v15
	s_delay_alu instid0(VALU_DEP_1) | instskip(NEXT) | instid1(VALU_DEP_2)
	v_sub_f32_e32 v102, v17, v101
	v_dual_sub_f32 v14, v14, v101 :: v_dual_add_f32 v15, v99, v12
	s_delay_alu instid0(VALU_DEP_2) | instskip(NEXT) | instid1(VALU_DEP_1)
	v_sub_f32_e32 v13, v13, v102
	v_dual_add_f32 v13, v14, v13 :: v_dual_sub_f32 v14, v15, v99
	s_delay_alu instid0(VALU_DEP_1) | instskip(NEXT) | instid1(VALU_DEP_2)
	v_add_f32_e32 v13, v15, v13
	v_sub_f32_e32 v15, v15, v14
	v_sub_f32_e32 v12, v12, v14
	s_delay_alu instid0(VALU_DEP_2) | instskip(NEXT) | instid1(VALU_DEP_1)
	v_dual_add_f32 v100, v17, v13 :: v_dual_sub_f32 v15, v99, v15
	v_sub_f32_e32 v14, v100, v17
	s_delay_alu instid0(VALU_DEP_1) | instskip(NEXT) | instid1(VALU_DEP_1)
	v_dual_add_f32 v12, v12, v15 :: v_dual_sub_f32 v13, v13, v14
	v_add_f32_e32 v12, v12, v13
	s_delay_alu instid0(VALU_DEP_1) | instskip(NEXT) | instid1(VALU_DEP_1)
	v_add_f32_e32 v12, v100, v12
	v_cndmask_b32_e32 v99, v12, v8, vcc_lo
.LBB118_94:                             ;   in Loop: Header=BB118_12 Depth=1
	s_or_b32 exec_lo, exec_lo, s29
	v_cvt_f32_f16_e32 v8, v9
	s_delay_alu instid0(VALU_DEP_1) | instskip(NEXT) | instid1(VALU_DEP_1)
	v_add_f32_e32 v100, s66, v8
	v_cmp_ge_f32_e32 vcc_lo, 0x41a00000, v100
	s_and_b32 s28, s79, vcc_lo
	s_delay_alu instid0(SALU_CYCLE_1)
	s_and_saveexec_b32 s29, s28
	s_cbranch_execz .LBB118_96
; %bb.95:                               ;   in Loop: Header=BB118_12 Depth=1
	v_mul_f32_e32 v8, 0x3fb8aa3b, v100
	v_cmp_ngt_f32_e32 vcc_lo, 0xc2ce8ed0, v100
	s_delay_alu instid0(VALU_DEP_2) | instskip(SKIP_1) | instid1(VALU_DEP_2)
	v_rndne_f32_e32 v12, v8
	v_fma_f32 v13, 0x3fb8aa3b, v100, -v8
	v_sub_f32_e32 v8, v8, v12
	s_delay_alu instid0(VALU_DEP_2) | instskip(SKIP_1) | instid1(VALU_DEP_2)
	v_fmac_f32_e32 v13, 0x32a5705f, v100
	v_cvt_i32_f32_e32 v12, v12
	v_add_f32_e32 v8, v8, v13
	s_delay_alu instid0(VALU_DEP_1) | instskip(SKIP_2) | instid1(VALU_DEP_1)
	v_exp_f32_e32 v8, v8
	s_waitcnt_depctr 0xfff
	v_ldexp_f32 v8, v8, v12
	v_cndmask_b32_e32 v8, 0, v8, vcc_lo
	v_cmp_nlt_f32_e32 vcc_lo, 0x42b17218, v100
	s_delay_alu instid0(VALU_DEP_2) | instskip(NEXT) | instid1(VALU_DEP_1)
	v_cndmask_b32_e32 v8, 0x7f800000, v8, vcc_lo
	v_add_f32_e32 v14, 1.0, v8
	s_delay_alu instid0(VALU_DEP_1) | instskip(NEXT) | instid1(VALU_DEP_1)
	v_cvt_f64_f32_e32 v[12:13], v14
	v_frexp_exp_i32_f64_e32 v12, v[12:13]
	v_frexp_mant_f32_e32 v13, v14
	s_delay_alu instid0(VALU_DEP_1) | instskip(SKIP_1) | instid1(VALU_DEP_1)
	v_cmp_gt_f32_e32 vcc_lo, 0x3f2aaaab, v13
	v_add_f32_e32 v13, -1.0, v14
	v_sub_f32_e32 v17, v13, v14
	v_sub_f32_e32 v13, v8, v13
	s_delay_alu instid0(VALU_DEP_2) | instskip(NEXT) | instid1(VALU_DEP_1)
	v_add_f32_e32 v17, 1.0, v17
	v_add_f32_e32 v13, v13, v17
	v_cmp_gt_f32_e64 s28, 0x33800000, v8
	v_subrev_co_ci_u32_e32 v12, vcc_lo, 0, v12, vcc_lo
	v_cmp_eq_f32_e32 vcc_lo, 0x7f800000, v8
	s_delay_alu instid0(VALU_DEP_2) | instskip(SKIP_2) | instid1(VALU_DEP_2)
	v_sub_nc_u32_e32 v15, 0, v12
	v_cvt_f32_i32_e32 v12, v12
	s_or_b32 vcc_lo, s28, vcc_lo
	v_ldexp_f32 v14, v14, v15
	v_ldexp_f32 v13, v13, v15
	s_delay_alu instid0(VALU_DEP_2) | instskip(SKIP_1) | instid1(VALU_DEP_2)
	v_add_f32_e32 v100, 1.0, v14
	v_add_f32_e32 v15, -1.0, v14
	v_add_f32_e32 v17, -1.0, v100
	s_delay_alu instid0(VALU_DEP_2) | instskip(NEXT) | instid1(VALU_DEP_2)
	v_add_f32_e32 v101, 1.0, v15
	v_sub_f32_e32 v17, v14, v17
	s_delay_alu instid0(VALU_DEP_2) | instskip(NEXT) | instid1(VALU_DEP_2)
	v_sub_f32_e32 v14, v14, v101
	v_add_f32_e32 v17, v13, v17
	s_delay_alu instid0(VALU_DEP_1) | instskip(NEXT) | instid1(VALU_DEP_1)
	v_add_f32_e32 v101, v100, v17
	v_dual_add_f32 v13, v13, v14 :: v_dual_sub_f32 v100, v100, v101
	v_rcp_f32_e32 v14, v101
	s_delay_alu instid0(VALU_DEP_1) | instskip(NEXT) | instid1(VALU_DEP_1)
	v_dual_add_f32 v102, v15, v13 :: v_dual_add_f32 v17, v17, v100
	v_sub_f32_e32 v15, v15, v102
	s_waitcnt_depctr 0xfff
	v_mul_f32_e32 v103, v102, v14
	v_add_f32_e32 v13, v13, v15
	s_delay_alu instid0(VALU_DEP_2) | instskip(NEXT) | instid1(VALU_DEP_1)
	v_mul_f32_e32 v104, v101, v103
	v_fma_f32 v100, v103, v101, -v104
	s_delay_alu instid0(VALU_DEP_1) | instskip(NEXT) | instid1(VALU_DEP_1)
	v_fmac_f32_e32 v100, v103, v17
	v_add_f32_e32 v105, v104, v100
	s_delay_alu instid0(VALU_DEP_1) | instskip(NEXT) | instid1(VALU_DEP_1)
	v_dual_sub_f32 v106, v102, v105 :: v_dual_sub_f32 v15, v105, v104
	v_dual_sub_f32 v102, v102, v106 :: v_dual_sub_f32 v15, v15, v100
	s_delay_alu instid0(VALU_DEP_1) | instskip(NEXT) | instid1(VALU_DEP_1)
	v_sub_f32_e32 v102, v102, v105
	v_add_f32_e32 v13, v13, v102
	s_delay_alu instid0(VALU_DEP_1) | instskip(NEXT) | instid1(VALU_DEP_1)
	v_add_f32_e32 v13, v15, v13
	v_add_f32_e32 v15, v106, v13
	s_delay_alu instid0(VALU_DEP_1) | instskip(NEXT) | instid1(VALU_DEP_1)
	v_mul_f32_e32 v100, v14, v15
	v_dual_sub_f32 v105, v106, v15 :: v_dual_mul_f32 v102, v101, v100
	s_delay_alu instid0(VALU_DEP_1) | instskip(NEXT) | instid1(VALU_DEP_2)
	v_add_f32_e32 v13, v13, v105
	v_fma_f32 v101, v100, v101, -v102
	s_delay_alu instid0(VALU_DEP_1) | instskip(NEXT) | instid1(VALU_DEP_1)
	v_fmac_f32_e32 v101, v100, v17
	v_add_f32_e32 v17, v102, v101
	s_delay_alu instid0(VALU_DEP_1) | instskip(NEXT) | instid1(VALU_DEP_1)
	v_sub_f32_e32 v104, v15, v17
	v_dual_sub_f32 v102, v17, v102 :: v_dual_sub_f32 v15, v15, v104
	s_delay_alu instid0(VALU_DEP_1) | instskip(NEXT) | instid1(VALU_DEP_2)
	v_sub_f32_e32 v15, v15, v17
	v_sub_f32_e32 v17, v102, v101
	s_delay_alu instid0(VALU_DEP_2) | instskip(SKIP_1) | instid1(VALU_DEP_2)
	v_add_f32_e32 v13, v13, v15
	v_add_f32_e32 v15, v103, v100
	;; [unrolled: 1-line block ×3, first 2 shown]
	s_delay_alu instid0(VALU_DEP_2) | instskip(NEXT) | instid1(VALU_DEP_2)
	v_sub_f32_e32 v17, v15, v103
	v_add_f32_e32 v13, v104, v13
	s_delay_alu instid0(VALU_DEP_2) | instskip(NEXT) | instid1(VALU_DEP_2)
	v_sub_f32_e32 v17, v100, v17
	v_mul_f32_e32 v13, v14, v13
	s_delay_alu instid0(VALU_DEP_1) | instskip(NEXT) | instid1(VALU_DEP_1)
	v_add_f32_e32 v13, v17, v13
	v_add_f32_e32 v14, v15, v13
	s_delay_alu instid0(VALU_DEP_1) | instskip(NEXT) | instid1(VALU_DEP_1)
	v_mul_f32_e32 v17, v14, v14
	v_fmaak_f32 v100, s83, v17, 0x3ecc95a3
	v_mul_f32_e32 v101, v14, v17
	s_delay_alu instid0(VALU_DEP_2) | instskip(SKIP_1) | instid1(VALU_DEP_2)
	v_fmaak_f32 v17, v17, v100, 0x3f2aaada
	v_ldexp_f32 v100, v14, 1
	v_dual_sub_f32 v14, v14, v15 :: v_dual_mul_f32 v17, v101, v17
	v_mul_f32_e32 v101, 0x3f317218, v12
	s_delay_alu instid0(VALU_DEP_2) | instskip(NEXT) | instid1(VALU_DEP_3)
	v_sub_f32_e32 v13, v13, v14
	v_add_f32_e32 v15, v100, v17
	s_delay_alu instid0(VALU_DEP_2) | instskip(NEXT) | instid1(VALU_DEP_2)
	v_ldexp_f32 v13, v13, 1
	v_sub_f32_e32 v14, v15, v100
	v_fma_f32 v100, 0x3f317218, v12, -v101
	s_delay_alu instid0(VALU_DEP_2) | instskip(NEXT) | instid1(VALU_DEP_2)
	v_sub_f32_e32 v14, v17, v14
	v_fmac_f32_e32 v100, 0xb102e308, v12
	s_delay_alu instid0(VALU_DEP_2) | instskip(NEXT) | instid1(VALU_DEP_2)
	v_add_f32_e32 v12, v13, v14
	v_add_f32_e32 v13, v101, v100
	s_delay_alu instid0(VALU_DEP_1) | instskip(NEXT) | instid1(VALU_DEP_1)
	v_dual_add_f32 v14, v15, v12 :: v_dual_sub_f32 v101, v13, v101
	v_add_f32_e32 v17, v13, v14
	s_delay_alu instid0(VALU_DEP_2) | instskip(NEXT) | instid1(VALU_DEP_2)
	v_dual_sub_f32 v15, v14, v15 :: v_dual_sub_f32 v100, v100, v101
	v_sub_f32_e32 v102, v17, v13
	s_delay_alu instid0(VALU_DEP_1) | instskip(NEXT) | instid1(VALU_DEP_1)
	v_dual_sub_f32 v12, v12, v15 :: v_dual_sub_f32 v103, v17, v102
	v_dual_sub_f32 v14, v14, v102 :: v_dual_add_f32 v15, v100, v12
	s_delay_alu instid0(VALU_DEP_2) | instskip(NEXT) | instid1(VALU_DEP_1)
	v_sub_f32_e32 v13, v13, v103
	v_dual_add_f32 v13, v14, v13 :: v_dual_sub_f32 v14, v15, v100
	s_delay_alu instid0(VALU_DEP_1) | instskip(NEXT) | instid1(VALU_DEP_2)
	v_add_f32_e32 v13, v15, v13
	v_sub_f32_e32 v15, v15, v14
	s_delay_alu instid0(VALU_DEP_2) | instskip(NEXT) | instid1(VALU_DEP_1)
	v_dual_sub_f32 v12, v12, v14 :: v_dual_add_f32 v101, v17, v13
	v_dual_sub_f32 v15, v100, v15 :: v_dual_sub_f32 v14, v101, v17
	s_delay_alu instid0(VALU_DEP_1) | instskip(NEXT) | instid1(VALU_DEP_1)
	v_dual_add_f32 v12, v12, v15 :: v_dual_sub_f32 v13, v13, v14
	v_add_f32_e32 v12, v12, v13
	s_delay_alu instid0(VALU_DEP_1) | instskip(NEXT) | instid1(VALU_DEP_1)
	v_add_f32_e32 v12, v101, v12
	v_cndmask_b32_e32 v100, v12, v8, vcc_lo
.LBB118_96:                             ;   in Loop: Header=BB118_12 Depth=1
	s_or_b32 exec_lo, exec_lo, s29
	v_lshrrev_b32_e32 v8, 16, v9
	s_delay_alu instid0(VALU_DEP_1) | instskip(NEXT) | instid1(VALU_DEP_1)
	v_cvt_f32_f16_e32 v8, v8
	v_add_f32_e32 v101, s66, v8
	s_delay_alu instid0(VALU_DEP_1) | instskip(SKIP_1) | instid1(SALU_CYCLE_1)
	v_cmp_ge_f32_e32 vcc_lo, 0x41a00000, v101
	s_and_b32 s28, s79, vcc_lo
	s_and_saveexec_b32 s29, s28
	s_cbranch_execz .LBB118_98
; %bb.97:                               ;   in Loop: Header=BB118_12 Depth=1
	v_mul_f32_e32 v8, 0x3fb8aa3b, v101
	v_cmp_ngt_f32_e32 vcc_lo, 0xc2ce8ed0, v101
	s_delay_alu instid0(VALU_DEP_2) | instskip(SKIP_1) | instid1(VALU_DEP_2)
	v_rndne_f32_e32 v9, v8
	v_fma_f32 v12, 0x3fb8aa3b, v101, -v8
	v_sub_f32_e32 v8, v8, v9
	s_delay_alu instid0(VALU_DEP_2) | instskip(SKIP_1) | instid1(VALU_DEP_2)
	v_fmac_f32_e32 v12, 0x32a5705f, v101
	v_cvt_i32_f32_e32 v9, v9
	v_add_f32_e32 v8, v8, v12
	s_delay_alu instid0(VALU_DEP_1) | instskip(SKIP_2) | instid1(VALU_DEP_1)
	v_exp_f32_e32 v8, v8
	s_waitcnt_depctr 0xfff
	v_ldexp_f32 v8, v8, v9
	v_cndmask_b32_e32 v8, 0, v8, vcc_lo
	v_cmp_nlt_f32_e32 vcc_lo, 0x42b17218, v101
	s_delay_alu instid0(VALU_DEP_2) | instskip(NEXT) | instid1(VALU_DEP_1)
	v_cndmask_b32_e32 v12, 0x7f800000, v8, vcc_lo
	v_add_f32_e32 v13, 1.0, v12
	s_delay_alu instid0(VALU_DEP_1) | instskip(NEXT) | instid1(VALU_DEP_1)
	v_cvt_f64_f32_e32 v[8:9], v13
	v_frexp_exp_i32_f64_e32 v8, v[8:9]
	v_frexp_mant_f32_e32 v9, v13
	s_delay_alu instid0(VALU_DEP_1) | instskip(SKIP_1) | instid1(VALU_DEP_1)
	v_cmp_gt_f32_e32 vcc_lo, 0x3f2aaaab, v9
	v_add_f32_e32 v9, -1.0, v13
	v_sub_f32_e32 v15, v9, v13
	s_delay_alu instid0(VALU_DEP_1) | instskip(SKIP_1) | instid1(VALU_DEP_1)
	v_add_f32_e32 v15, 1.0, v15
	v_subrev_co_ci_u32_e32 v8, vcc_lo, 0, v8, vcc_lo
	v_sub_nc_u32_e32 v14, 0, v8
	v_cvt_f32_i32_e32 v8, v8
	s_delay_alu instid0(VALU_DEP_2) | instskip(NEXT) | instid1(VALU_DEP_1)
	v_ldexp_f32 v13, v13, v14
	v_add_f32_e32 v17, 1.0, v13
	v_sub_f32_e32 v9, v12, v9
	v_cmp_eq_f32_e32 vcc_lo, 0x7f800000, v12
	v_cmp_gt_f32_e64 s28, 0x33800000, v12
	s_delay_alu instid0(VALU_DEP_3) | instskip(NEXT) | instid1(VALU_DEP_2)
	v_add_f32_e32 v9, v9, v15
	s_or_b32 vcc_lo, s28, vcc_lo
	s_delay_alu instid0(VALU_DEP_1) | instskip(SKIP_2) | instid1(VALU_DEP_1)
	v_ldexp_f32 v9, v9, v14
	v_add_f32_e32 v14, -1.0, v13
	v_add_f32_e32 v15, -1.0, v17
	v_sub_f32_e32 v15, v13, v15
	s_delay_alu instid0(VALU_DEP_3) | instskip(NEXT) | instid1(VALU_DEP_2)
	v_add_f32_e32 v101, 1.0, v14
	v_add_f32_e32 v15, v9, v15
	s_delay_alu instid0(VALU_DEP_2) | instskip(NEXT) | instid1(VALU_DEP_2)
	v_sub_f32_e32 v13, v13, v101
	v_add_f32_e32 v101, v17, v15
	s_delay_alu instid0(VALU_DEP_2) | instskip(NEXT) | instid1(VALU_DEP_2)
	v_add_f32_e32 v9, v9, v13
	v_rcp_f32_e32 v13, v101
	s_delay_alu instid0(VALU_DEP_1) | instskip(NEXT) | instid1(VALU_DEP_1)
	v_add_f32_e32 v102, v14, v9
	v_dual_sub_f32 v17, v17, v101 :: v_dual_sub_f32 v14, v14, v102
	s_delay_alu instid0(VALU_DEP_1) | instskip(SKIP_2) | instid1(VALU_DEP_1)
	v_add_f32_e32 v15, v15, v17
	s_waitcnt_depctr 0xfff
	v_mul_f32_e32 v103, v102, v13
	v_mul_f32_e32 v104, v101, v103
	s_delay_alu instid0(VALU_DEP_1) | instskip(NEXT) | instid1(VALU_DEP_1)
	v_fma_f32 v17, v103, v101, -v104
	v_fmac_f32_e32 v17, v103, v15
	v_add_f32_e32 v9, v9, v14
	s_delay_alu instid0(VALU_DEP_2) | instskip(NEXT) | instid1(VALU_DEP_1)
	v_add_f32_e32 v105, v104, v17
	v_sub_f32_e32 v106, v102, v105
	v_sub_f32_e32 v14, v105, v104
	s_delay_alu instid0(VALU_DEP_2) | instskip(NEXT) | instid1(VALU_DEP_2)
	v_sub_f32_e32 v102, v102, v106
	v_sub_f32_e32 v14, v14, v17
	s_delay_alu instid0(VALU_DEP_2) | instskip(NEXT) | instid1(VALU_DEP_1)
	v_sub_f32_e32 v102, v102, v105
	v_add_f32_e32 v9, v9, v102
	s_delay_alu instid0(VALU_DEP_1) | instskip(NEXT) | instid1(VALU_DEP_1)
	v_add_f32_e32 v9, v14, v9
	v_add_f32_e32 v14, v106, v9
	s_delay_alu instid0(VALU_DEP_1) | instskip(NEXT) | instid1(VALU_DEP_1)
	v_mul_f32_e32 v17, v13, v14
	v_dual_sub_f32 v105, v106, v14 :: v_dual_mul_f32 v102, v101, v17
	s_delay_alu instid0(VALU_DEP_1) | instskip(NEXT) | instid1(VALU_DEP_2)
	v_add_f32_e32 v9, v9, v105
	v_fma_f32 v101, v17, v101, -v102
	s_delay_alu instid0(VALU_DEP_1) | instskip(NEXT) | instid1(VALU_DEP_1)
	v_fmac_f32_e32 v101, v17, v15
	v_add_f32_e32 v15, v102, v101
	s_delay_alu instid0(VALU_DEP_1) | instskip(SKIP_1) | instid1(VALU_DEP_2)
	v_sub_f32_e32 v104, v14, v15
	v_sub_f32_e32 v102, v15, v102
	;; [unrolled: 1-line block ×3, first 2 shown]
	s_delay_alu instid0(VALU_DEP_1) | instskip(NEXT) | instid1(VALU_DEP_1)
	v_sub_f32_e32 v14, v14, v15
	v_dual_add_f32 v9, v9, v14 :: v_dual_add_f32 v14, v103, v17
	s_delay_alu instid0(VALU_DEP_4) | instskip(NEXT) | instid1(VALU_DEP_1)
	v_sub_f32_e32 v15, v102, v101
	v_add_f32_e32 v9, v15, v9
	s_delay_alu instid0(VALU_DEP_3) | instskip(NEXT) | instid1(VALU_DEP_2)
	v_sub_f32_e32 v15, v14, v103
	v_add_f32_e32 v9, v104, v9
	s_delay_alu instid0(VALU_DEP_2) | instskip(NEXT) | instid1(VALU_DEP_2)
	v_sub_f32_e32 v15, v17, v15
	v_mul_f32_e32 v9, v13, v9
	s_delay_alu instid0(VALU_DEP_1) | instskip(NEXT) | instid1(VALU_DEP_1)
	v_add_f32_e32 v9, v15, v9
	v_add_f32_e32 v13, v14, v9
	s_delay_alu instid0(VALU_DEP_1) | instskip(NEXT) | instid1(VALU_DEP_1)
	v_mul_f32_e32 v15, v13, v13
	v_fmaak_f32 v17, s83, v15, 0x3ecc95a3
	v_mul_f32_e32 v101, v13, v15
	s_delay_alu instid0(VALU_DEP_2) | instskip(SKIP_2) | instid1(VALU_DEP_3)
	v_fmaak_f32 v15, v15, v17, 0x3f2aaada
	v_ldexp_f32 v17, v13, 1
	v_sub_f32_e32 v13, v13, v14
	v_mul_f32_e32 v15, v101, v15
	v_mul_f32_e32 v101, 0x3f317218, v8
	s_delay_alu instid0(VALU_DEP_3) | instskip(NEXT) | instid1(VALU_DEP_3)
	v_sub_f32_e32 v9, v9, v13
	v_add_f32_e32 v14, v17, v15
	s_delay_alu instid0(VALU_DEP_2) | instskip(NEXT) | instid1(VALU_DEP_2)
	v_ldexp_f32 v9, v9, 1
	v_sub_f32_e32 v13, v14, v17
	v_fma_f32 v17, 0x3f317218, v8, -v101
	s_delay_alu instid0(VALU_DEP_2) | instskip(NEXT) | instid1(VALU_DEP_1)
	v_sub_f32_e32 v13, v15, v13
	v_dual_fmac_f32 v17, 0xb102e308, v8 :: v_dual_add_f32 v8, v9, v13
	s_delay_alu instid0(VALU_DEP_1) | instskip(NEXT) | instid1(VALU_DEP_2)
	v_add_f32_e32 v9, v101, v17
	v_add_f32_e32 v13, v14, v8
	s_delay_alu instid0(VALU_DEP_2) | instskip(NEXT) | instid1(VALU_DEP_2)
	v_sub_f32_e32 v101, v9, v101
	v_add_f32_e32 v15, v9, v13
	v_sub_f32_e32 v14, v13, v14
	s_delay_alu instid0(VALU_DEP_3) | instskip(NEXT) | instid1(VALU_DEP_3)
	v_sub_f32_e32 v17, v17, v101
	v_sub_f32_e32 v102, v15, v9
	s_delay_alu instid0(VALU_DEP_3) | instskip(NEXT) | instid1(VALU_DEP_2)
	v_sub_f32_e32 v8, v8, v14
	v_sub_f32_e32 v103, v15, v102
	;; [unrolled: 1-line block ×3, first 2 shown]
	s_delay_alu instid0(VALU_DEP_3) | instskip(NEXT) | instid1(VALU_DEP_3)
	v_add_f32_e32 v14, v17, v8
	v_sub_f32_e32 v9, v9, v103
	s_delay_alu instid0(VALU_DEP_1) | instskip(NEXT) | instid1(VALU_DEP_3)
	v_add_f32_e32 v9, v13, v9
	v_sub_f32_e32 v13, v14, v17
	s_delay_alu instid0(VALU_DEP_2) | instskip(NEXT) | instid1(VALU_DEP_2)
	v_add_f32_e32 v9, v14, v9
	v_sub_f32_e32 v14, v14, v13
	v_sub_f32_e32 v8, v8, v13
	s_delay_alu instid0(VALU_DEP_2) | instskip(NEXT) | instid1(VALU_DEP_1)
	v_dual_add_f32 v101, v15, v9 :: v_dual_sub_f32 v14, v17, v14
	v_dual_sub_f32 v13, v101, v15 :: v_dual_add_f32 v8, v8, v14
	s_delay_alu instid0(VALU_DEP_1) | instskip(NEXT) | instid1(VALU_DEP_1)
	v_sub_f32_e32 v9, v9, v13
	v_add_f32_e32 v8, v8, v9
	s_delay_alu instid0(VALU_DEP_1) | instskip(NEXT) | instid1(VALU_DEP_1)
	v_add_f32_e32 v8, v101, v8
	v_cndmask_b32_e32 v101, v8, v12, vcc_lo
.LBB118_98:                             ;   in Loop: Header=BB118_12 Depth=1
	s_or_b32 exec_lo, exec_lo, s29
	v_cvt_f32_f16_e32 v8, v10
	s_delay_alu instid0(VALU_DEP_1) | instskip(NEXT) | instid1(VALU_DEP_1)
	v_add_f32_e32 v102, s66, v8
	v_cmp_ge_f32_e32 vcc_lo, 0x41a00000, v102
	s_and_b32 s28, s79, vcc_lo
	s_delay_alu instid0(SALU_CYCLE_1)
	s_and_saveexec_b32 s29, s28
	s_cbranch_execz .LBB118_100
; %bb.99:                               ;   in Loop: Header=BB118_12 Depth=1
	v_mul_f32_e32 v8, 0x3fb8aa3b, v102
	v_cmp_ngt_f32_e32 vcc_lo, 0xc2ce8ed0, v102
	s_delay_alu instid0(VALU_DEP_2) | instskip(SKIP_1) | instid1(VALU_DEP_2)
	v_rndne_f32_e32 v9, v8
	v_fma_f32 v12, 0x3fb8aa3b, v102, -v8
	v_sub_f32_e32 v8, v8, v9
	s_delay_alu instid0(VALU_DEP_2) | instskip(SKIP_1) | instid1(VALU_DEP_2)
	v_fmac_f32_e32 v12, 0x32a5705f, v102
	v_cvt_i32_f32_e32 v9, v9
	v_add_f32_e32 v8, v8, v12
	s_delay_alu instid0(VALU_DEP_1) | instskip(SKIP_2) | instid1(VALU_DEP_1)
	v_exp_f32_e32 v8, v8
	s_waitcnt_depctr 0xfff
	v_ldexp_f32 v8, v8, v9
	v_cndmask_b32_e32 v8, 0, v8, vcc_lo
	v_cmp_nlt_f32_e32 vcc_lo, 0x42b17218, v102
	s_delay_alu instid0(VALU_DEP_2) | instskip(NEXT) | instid1(VALU_DEP_1)
	v_cndmask_b32_e32 v12, 0x7f800000, v8, vcc_lo
	v_add_f32_e32 v13, 1.0, v12
	s_delay_alu instid0(VALU_DEP_1) | instskip(NEXT) | instid1(VALU_DEP_1)
	v_cvt_f64_f32_e32 v[8:9], v13
	v_frexp_exp_i32_f64_e32 v8, v[8:9]
	v_frexp_mant_f32_e32 v9, v13
	s_delay_alu instid0(VALU_DEP_1) | instskip(SKIP_1) | instid1(VALU_DEP_1)
	v_cmp_gt_f32_e32 vcc_lo, 0x3f2aaaab, v9
	v_add_f32_e32 v9, -1.0, v13
	v_sub_f32_e32 v15, v9, v13
	s_delay_alu instid0(VALU_DEP_1) | instskip(SKIP_1) | instid1(VALU_DEP_1)
	v_add_f32_e32 v15, 1.0, v15
	v_subrev_co_ci_u32_e32 v8, vcc_lo, 0, v8, vcc_lo
	v_sub_nc_u32_e32 v14, 0, v8
	v_cvt_f32_i32_e32 v8, v8
	s_delay_alu instid0(VALU_DEP_2) | instskip(NEXT) | instid1(VALU_DEP_1)
	v_ldexp_f32 v13, v13, v14
	v_add_f32_e32 v17, 1.0, v13
	v_sub_f32_e32 v9, v12, v9
	v_cmp_eq_f32_e32 vcc_lo, 0x7f800000, v12
	v_cmp_gt_f32_e64 s28, 0x33800000, v12
	s_delay_alu instid0(VALU_DEP_3) | instskip(NEXT) | instid1(VALU_DEP_2)
	v_add_f32_e32 v9, v9, v15
	s_or_b32 vcc_lo, s28, vcc_lo
	s_delay_alu instid0(VALU_DEP_1) | instskip(SKIP_1) | instid1(VALU_DEP_1)
	v_ldexp_f32 v9, v9, v14
	v_add_f32_e32 v14, -1.0, v13
	v_dual_add_f32 v15, -1.0, v17 :: v_dual_add_f32 v102, 1.0, v14
	s_delay_alu instid0(VALU_DEP_1) | instskip(NEXT) | instid1(VALU_DEP_2)
	v_sub_f32_e32 v15, v13, v15
	v_sub_f32_e32 v13, v13, v102
	s_delay_alu instid0(VALU_DEP_2) | instskip(NEXT) | instid1(VALU_DEP_2)
	v_add_f32_e32 v15, v9, v15
	v_add_f32_e32 v9, v9, v13
	s_delay_alu instid0(VALU_DEP_1) | instskip(NEXT) | instid1(VALU_DEP_1)
	v_dual_add_f32 v102, v17, v15 :: v_dual_add_f32 v103, v14, v9
	v_rcp_f32_e32 v13, v102
	s_delay_alu instid0(VALU_DEP_1) | instskip(NEXT) | instid1(VALU_DEP_1)
	v_dual_sub_f32 v17, v17, v102 :: v_dual_sub_f32 v14, v14, v103
	v_add_f32_e32 v15, v15, v17
	s_waitcnt_depctr 0xfff
	v_dual_add_f32 v9, v9, v14 :: v_dual_mul_f32 v104, v103, v13
	s_delay_alu instid0(VALU_DEP_1) | instskip(NEXT) | instid1(VALU_DEP_1)
	v_mul_f32_e32 v105, v102, v104
	v_fma_f32 v17, v104, v102, -v105
	s_delay_alu instid0(VALU_DEP_1) | instskip(NEXT) | instid1(VALU_DEP_1)
	v_fmac_f32_e32 v17, v104, v15
	v_add_f32_e32 v106, v105, v17
	s_delay_alu instid0(VALU_DEP_1) | instskip(NEXT) | instid1(VALU_DEP_1)
	v_sub_f32_e32 v107, v103, v106
	v_dual_sub_f32 v103, v103, v107 :: v_dual_sub_f32 v14, v106, v105
	s_delay_alu instid0(VALU_DEP_1) | instskip(NEXT) | instid1(VALU_DEP_1)
	v_dual_sub_f32 v103, v103, v106 :: v_dual_sub_f32 v14, v14, v17
	v_add_f32_e32 v9, v9, v103
	s_delay_alu instid0(VALU_DEP_1) | instskip(NEXT) | instid1(VALU_DEP_1)
	v_add_f32_e32 v9, v14, v9
	v_add_f32_e32 v14, v107, v9
	s_delay_alu instid0(VALU_DEP_1) | instskip(NEXT) | instid1(VALU_DEP_1)
	v_mul_f32_e32 v17, v13, v14
	v_dual_sub_f32 v106, v107, v14 :: v_dual_mul_f32 v103, v102, v17
	s_delay_alu instid0(VALU_DEP_1) | instskip(NEXT) | instid1(VALU_DEP_2)
	v_add_f32_e32 v9, v9, v106
	v_fma_f32 v102, v17, v102, -v103
	s_delay_alu instid0(VALU_DEP_1) | instskip(NEXT) | instid1(VALU_DEP_1)
	v_fmac_f32_e32 v102, v17, v15
	v_add_f32_e32 v15, v103, v102
	s_delay_alu instid0(VALU_DEP_1) | instskip(NEXT) | instid1(VALU_DEP_1)
	v_sub_f32_e32 v105, v14, v15
	v_dual_sub_f32 v103, v15, v103 :: v_dual_sub_f32 v14, v14, v105
	s_delay_alu instid0(VALU_DEP_1) | instskip(NEXT) | instid1(VALU_DEP_1)
	v_dual_sub_f32 v14, v14, v15 :: v_dual_sub_f32 v15, v103, v102
	v_dual_add_f32 v9, v9, v14 :: v_dual_add_f32 v14, v104, v17
	s_delay_alu instid0(VALU_DEP_1) | instskip(NEXT) | instid1(VALU_DEP_2)
	v_add_f32_e32 v9, v15, v9
	v_sub_f32_e32 v15, v14, v104
	s_delay_alu instid0(VALU_DEP_2) | instskip(NEXT) | instid1(VALU_DEP_2)
	v_add_f32_e32 v9, v105, v9
	v_sub_f32_e32 v15, v17, v15
	s_delay_alu instid0(VALU_DEP_2) | instskip(NEXT) | instid1(VALU_DEP_1)
	v_mul_f32_e32 v9, v13, v9
	v_add_f32_e32 v9, v15, v9
	s_delay_alu instid0(VALU_DEP_1) | instskip(NEXT) | instid1(VALU_DEP_1)
	v_add_f32_e32 v13, v14, v9
	v_mul_f32_e32 v15, v13, v13
	s_delay_alu instid0(VALU_DEP_1) | instskip(NEXT) | instid1(VALU_DEP_1)
	v_fmaak_f32 v17, s83, v15, 0x3ecc95a3
	v_dual_mul_f32 v102, v13, v15 :: v_dual_fmaak_f32 v15, v15, v17, 0x3f2aaada
	v_ldexp_f32 v17, v13, 1
	v_sub_f32_e32 v13, v13, v14
	s_delay_alu instid0(VALU_DEP_3) | instskip(NEXT) | instid1(VALU_DEP_2)
	v_dual_mul_f32 v15, v102, v15 :: v_dual_mul_f32 v102, 0x3f317218, v8
	v_sub_f32_e32 v9, v9, v13
	s_delay_alu instid0(VALU_DEP_2) | instskip(NEXT) | instid1(VALU_DEP_2)
	v_add_f32_e32 v14, v17, v15
	v_ldexp_f32 v9, v9, 1
	s_delay_alu instid0(VALU_DEP_2) | instskip(SKIP_1) | instid1(VALU_DEP_2)
	v_sub_f32_e32 v13, v14, v17
	v_fma_f32 v17, 0x3f317218, v8, -v102
	v_sub_f32_e32 v13, v15, v13
	s_delay_alu instid0(VALU_DEP_1) | instskip(NEXT) | instid1(VALU_DEP_1)
	v_dual_fmac_f32 v17, 0xb102e308, v8 :: v_dual_add_f32 v8, v9, v13
	v_add_f32_e32 v9, v102, v17
	s_delay_alu instid0(VALU_DEP_1) | instskip(NEXT) | instid1(VALU_DEP_1)
	v_dual_add_f32 v13, v14, v8 :: v_dual_sub_f32 v102, v9, v102
	v_add_f32_e32 v15, v9, v13
	v_sub_f32_e32 v14, v13, v14
	s_delay_alu instid0(VALU_DEP_3) | instskip(NEXT) | instid1(VALU_DEP_2)
	v_sub_f32_e32 v17, v17, v102
	v_dual_sub_f32 v103, v15, v9 :: v_dual_sub_f32 v8, v8, v14
	s_delay_alu instid0(VALU_DEP_1) | instskip(SKIP_1) | instid1(VALU_DEP_3)
	v_sub_f32_e32 v104, v15, v103
	v_sub_f32_e32 v13, v13, v103
	v_add_f32_e32 v14, v17, v8
	s_delay_alu instid0(VALU_DEP_3) | instskip(NEXT) | instid1(VALU_DEP_1)
	v_sub_f32_e32 v9, v9, v104
	v_add_f32_e32 v9, v13, v9
	s_delay_alu instid0(VALU_DEP_3) | instskip(NEXT) | instid1(VALU_DEP_2)
	v_sub_f32_e32 v13, v14, v17
	v_add_f32_e32 v9, v14, v9
	s_delay_alu instid0(VALU_DEP_2) | instskip(SKIP_1) | instid1(VALU_DEP_3)
	v_sub_f32_e32 v14, v14, v13
	v_sub_f32_e32 v8, v8, v13
	v_add_f32_e32 v102, v15, v9
	s_delay_alu instid0(VALU_DEP_1) | instskip(NEXT) | instid1(VALU_DEP_1)
	v_dual_sub_f32 v14, v17, v14 :: v_dual_sub_f32 v13, v102, v15
	v_dual_add_f32 v8, v8, v14 :: v_dual_sub_f32 v9, v9, v13
	s_delay_alu instid0(VALU_DEP_1) | instskip(NEXT) | instid1(VALU_DEP_1)
	v_add_f32_e32 v8, v8, v9
	v_add_f32_e32 v8, v102, v8
	s_delay_alu instid0(VALU_DEP_1)
	v_cndmask_b32_e32 v102, v8, v12, vcc_lo
.LBB118_100:                            ;   in Loop: Header=BB118_12 Depth=1
	s_or_b32 exec_lo, exec_lo, s29
	v_lshrrev_b32_e32 v8, 16, v10
	s_delay_alu instid0(VALU_DEP_1) | instskip(NEXT) | instid1(VALU_DEP_1)
	v_cvt_f32_f16_e32 v8, v8
	v_add_f32_e32 v103, s66, v8
	s_delay_alu instid0(VALU_DEP_1) | instskip(SKIP_1) | instid1(SALU_CYCLE_1)
	v_cmp_ge_f32_e32 vcc_lo, 0x41a00000, v103
	s_and_b32 s28, s79, vcc_lo
	s_and_saveexec_b32 s29, s28
	s_cbranch_execz .LBB118_102
; %bb.101:                              ;   in Loop: Header=BB118_12 Depth=1
	v_mul_f32_e32 v8, 0x3fb8aa3b, v103
	v_cmp_ngt_f32_e32 vcc_lo, 0xc2ce8ed0, v103
	s_delay_alu instid0(VALU_DEP_2) | instskip(SKIP_1) | instid1(VALU_DEP_2)
	v_rndne_f32_e32 v9, v8
	v_fma_f32 v10, 0x3fb8aa3b, v103, -v8
	v_sub_f32_e32 v8, v8, v9
	s_delay_alu instid0(VALU_DEP_2) | instskip(SKIP_1) | instid1(VALU_DEP_2)
	v_fmac_f32_e32 v10, 0x32a5705f, v103
	v_cvt_i32_f32_e32 v9, v9
	v_add_f32_e32 v8, v8, v10
	s_delay_alu instid0(VALU_DEP_1) | instskip(SKIP_2) | instid1(VALU_DEP_1)
	v_exp_f32_e32 v8, v8
	s_waitcnt_depctr 0xfff
	v_ldexp_f32 v8, v8, v9
	v_cndmask_b32_e32 v8, 0, v8, vcc_lo
	v_cmp_nlt_f32_e32 vcc_lo, 0x42b17218, v103
	s_delay_alu instid0(VALU_DEP_2) | instskip(NEXT) | instid1(VALU_DEP_1)
	v_cndmask_b32_e32 v10, 0x7f800000, v8, vcc_lo
	v_add_f32_e32 v12, 1.0, v10
	s_delay_alu instid0(VALU_DEP_1) | instskip(NEXT) | instid1(VALU_DEP_1)
	v_cvt_f64_f32_e32 v[8:9], v12
	v_frexp_exp_i32_f64_e32 v8, v[8:9]
	v_frexp_mant_f32_e32 v9, v12
	s_delay_alu instid0(VALU_DEP_1) | instskip(SKIP_1) | instid1(VALU_DEP_1)
	v_cmp_gt_f32_e32 vcc_lo, 0x3f2aaaab, v9
	v_add_f32_e32 v9, -1.0, v12
	v_dual_sub_f32 v14, v9, v12 :: v_dual_sub_f32 v9, v10, v9
	v_subrev_co_ci_u32_e32 v8, vcc_lo, 0, v8, vcc_lo
	s_delay_alu instid0(VALU_DEP_1) | instskip(SKIP_1) | instid1(VALU_DEP_2)
	v_sub_nc_u32_e32 v13, 0, v8
	v_cvt_f32_i32_e32 v8, v8
	v_ldexp_f32 v12, v12, v13
	s_delay_alu instid0(VALU_DEP_1) | instskip(NEXT) | instid1(VALU_DEP_1)
	v_dual_add_f32 v14, 1.0, v14 :: v_dual_add_f32 v15, 1.0, v12
	v_add_f32_e32 v9, v9, v14
	s_delay_alu instid0(VALU_DEP_1) | instskip(NEXT) | instid1(VALU_DEP_3)
	v_ldexp_f32 v9, v9, v13
	v_dual_add_f32 v13, -1.0, v12 :: v_dual_add_f32 v14, -1.0, v15
	s_delay_alu instid0(VALU_DEP_1) | instskip(NEXT) | instid1(VALU_DEP_1)
	v_dual_add_f32 v17, 1.0, v13 :: v_dual_sub_f32 v14, v12, v14
	v_sub_f32_e32 v12, v12, v17
	s_delay_alu instid0(VALU_DEP_2) | instskip(NEXT) | instid1(VALU_DEP_2)
	v_add_f32_e32 v14, v9, v14
	v_add_f32_e32 v9, v9, v12
	s_delay_alu instid0(VALU_DEP_2) | instskip(SKIP_2) | instid1(VALU_DEP_4)
	v_add_f32_e32 v17, v15, v14
	v_cmp_eq_f32_e32 vcc_lo, 0x7f800000, v10
	v_cmp_gt_f32_e64 s28, 0x33800000, v10
	v_add_f32_e32 v103, v13, v9
	s_delay_alu instid0(VALU_DEP_4) | instskip(SKIP_1) | instid1(VALU_DEP_3)
	v_rcp_f32_e32 v12, v17
	v_sub_f32_e32 v15, v15, v17
	s_or_b32 vcc_lo, s28, vcc_lo
	s_delay_alu instid0(VALU_DEP_2) | instskip(NEXT) | instid1(VALU_DEP_1)
	v_sub_f32_e32 v13, v13, v103
	v_dual_add_f32 v14, v14, v15 :: v_dual_add_f32 v9, v9, v13
	s_waitcnt_depctr 0xfff
	v_mul_f32_e32 v104, v103, v12
	s_delay_alu instid0(VALU_DEP_1) | instskip(NEXT) | instid1(VALU_DEP_1)
	v_mul_f32_e32 v105, v17, v104
	v_fma_f32 v15, v104, v17, -v105
	s_delay_alu instid0(VALU_DEP_1) | instskip(NEXT) | instid1(VALU_DEP_1)
	v_fmac_f32_e32 v15, v104, v14
	v_add_f32_e32 v106, v105, v15
	s_delay_alu instid0(VALU_DEP_1) | instskip(SKIP_1) | instid1(VALU_DEP_2)
	v_sub_f32_e32 v107, v103, v106
	v_sub_f32_e32 v13, v106, v105
	;; [unrolled: 1-line block ×3, first 2 shown]
	s_delay_alu instid0(VALU_DEP_2) | instskip(NEXT) | instid1(VALU_DEP_2)
	v_sub_f32_e32 v13, v13, v15
	v_sub_f32_e32 v103, v103, v106
	s_delay_alu instid0(VALU_DEP_1) | instskip(NEXT) | instid1(VALU_DEP_1)
	v_add_f32_e32 v9, v9, v103
	v_add_f32_e32 v9, v13, v9
	s_delay_alu instid0(VALU_DEP_1) | instskip(NEXT) | instid1(VALU_DEP_1)
	v_add_f32_e32 v13, v107, v9
	v_mul_f32_e32 v15, v12, v13
	s_delay_alu instid0(VALU_DEP_1) | instskip(NEXT) | instid1(VALU_DEP_1)
	v_dual_sub_f32 v106, v107, v13 :: v_dual_mul_f32 v103, v17, v15
	v_add_f32_e32 v9, v9, v106
	s_delay_alu instid0(VALU_DEP_2) | instskip(NEXT) | instid1(VALU_DEP_1)
	v_fma_f32 v17, v15, v17, -v103
	v_fmac_f32_e32 v17, v15, v14
	s_delay_alu instid0(VALU_DEP_1) | instskip(NEXT) | instid1(VALU_DEP_1)
	v_add_f32_e32 v14, v103, v17
	v_sub_f32_e32 v105, v13, v14
	v_sub_f32_e32 v103, v14, v103
	s_delay_alu instid0(VALU_DEP_2) | instskip(NEXT) | instid1(VALU_DEP_1)
	v_sub_f32_e32 v13, v13, v105
	v_dual_sub_f32 v13, v13, v14 :: v_dual_sub_f32 v14, v103, v17
	s_delay_alu instid0(VALU_DEP_1) | instskip(SKIP_1) | instid1(VALU_DEP_1)
	v_add_f32_e32 v9, v9, v13
	v_add_f32_e32 v13, v104, v15
	v_dual_add_f32 v9, v14, v9 :: v_dual_sub_f32 v14, v13, v104
	s_delay_alu instid0(VALU_DEP_1) | instskip(NEXT) | instid1(VALU_DEP_1)
	v_dual_add_f32 v9, v105, v9 :: v_dual_sub_f32 v14, v15, v14
	v_mul_f32_e32 v9, v12, v9
	s_delay_alu instid0(VALU_DEP_1) | instskip(NEXT) | instid1(VALU_DEP_1)
	v_add_f32_e32 v9, v14, v9
	v_add_f32_e32 v12, v13, v9
	s_delay_alu instid0(VALU_DEP_1) | instskip(NEXT) | instid1(VALU_DEP_1)
	v_mul_f32_e32 v14, v12, v12
	v_fmaak_f32 v15, s83, v14, 0x3ecc95a3
	s_delay_alu instid0(VALU_DEP_1) | instskip(SKIP_2) | instid1(VALU_DEP_3)
	v_dual_mul_f32 v17, v12, v14 :: v_dual_fmaak_f32 v14, v14, v15, 0x3f2aaada
	v_ldexp_f32 v15, v12, 1
	v_sub_f32_e32 v12, v12, v13
	v_dual_mul_f32 v14, v17, v14 :: v_dual_mul_f32 v17, 0x3f317218, v8
	s_delay_alu instid0(VALU_DEP_2) | instskip(NEXT) | instid1(VALU_DEP_2)
	v_sub_f32_e32 v9, v9, v12
	v_add_f32_e32 v13, v15, v14
	s_delay_alu instid0(VALU_DEP_2) | instskip(NEXT) | instid1(VALU_DEP_2)
	v_ldexp_f32 v9, v9, 1
	v_sub_f32_e32 v12, v13, v15
	v_fma_f32 v15, 0x3f317218, v8, -v17
	s_delay_alu instid0(VALU_DEP_2) | instskip(NEXT) | instid1(VALU_DEP_2)
	v_sub_f32_e32 v12, v14, v12
	v_fmac_f32_e32 v15, 0xb102e308, v8
	s_delay_alu instid0(VALU_DEP_2) | instskip(NEXT) | instid1(VALU_DEP_2)
	v_add_f32_e32 v8, v9, v12
	v_add_f32_e32 v9, v17, v15
	s_delay_alu instid0(VALU_DEP_2) | instskip(NEXT) | instid1(VALU_DEP_2)
	v_add_f32_e32 v12, v13, v8
	v_sub_f32_e32 v17, v9, v17
	s_delay_alu instid0(VALU_DEP_2) | instskip(NEXT) | instid1(VALU_DEP_2)
	v_dual_add_f32 v14, v9, v12 :: v_dual_sub_f32 v13, v12, v13
	v_sub_f32_e32 v15, v15, v17
	s_delay_alu instid0(VALU_DEP_2) | instskip(NEXT) | instid1(VALU_DEP_3)
	v_sub_f32_e32 v103, v14, v9
	v_sub_f32_e32 v8, v8, v13
	s_delay_alu instid0(VALU_DEP_2) | instskip(NEXT) | instid1(VALU_DEP_2)
	v_sub_f32_e32 v104, v14, v103
	v_dual_sub_f32 v12, v12, v103 :: v_dual_add_f32 v13, v15, v8
	s_delay_alu instid0(VALU_DEP_2) | instskip(NEXT) | instid1(VALU_DEP_1)
	v_sub_f32_e32 v9, v9, v104
	v_dual_add_f32 v9, v12, v9 :: v_dual_sub_f32 v12, v13, v15
	s_delay_alu instid0(VALU_DEP_1) | instskip(NEXT) | instid1(VALU_DEP_2)
	v_add_f32_e32 v9, v13, v9
	v_sub_f32_e32 v13, v13, v12
	s_delay_alu instid0(VALU_DEP_2) | instskip(NEXT) | instid1(VALU_DEP_1)
	v_dual_sub_f32 v8, v8, v12 :: v_dual_add_f32 v17, v14, v9
	v_dual_sub_f32 v13, v15, v13 :: v_dual_sub_f32 v12, v17, v14
	s_delay_alu instid0(VALU_DEP_1) | instskip(NEXT) | instid1(VALU_DEP_1)
	v_dual_add_f32 v8, v8, v13 :: v_dual_sub_f32 v9, v9, v12
	v_add_f32_e32 v8, v8, v9
	s_delay_alu instid0(VALU_DEP_1) | instskip(NEXT) | instid1(VALU_DEP_1)
	v_add_f32_e32 v8, v17, v8
	v_cndmask_b32_e32 v103, v8, v10, vcc_lo
.LBB118_102:                            ;   in Loop: Header=BB118_12 Depth=1
	s_or_b32 exec_lo, exec_lo, s29
	v_cvt_f32_f16_e32 v8, v11
	s_delay_alu instid0(VALU_DEP_1) | instskip(NEXT) | instid1(VALU_DEP_1)
	v_add_f32_e32 v104, s66, v8
	v_cmp_ge_f32_e32 vcc_lo, 0x41a00000, v104
	s_and_b32 s28, s79, vcc_lo
	s_delay_alu instid0(SALU_CYCLE_1)
	s_and_saveexec_b32 s29, s28
	s_cbranch_execz .LBB118_104
; %bb.103:                              ;   in Loop: Header=BB118_12 Depth=1
	v_mul_f32_e32 v8, 0x3fb8aa3b, v104
	v_cmp_ngt_f32_e32 vcc_lo, 0xc2ce8ed0, v104
	s_delay_alu instid0(VALU_DEP_2) | instskip(SKIP_1) | instid1(VALU_DEP_2)
	v_rndne_f32_e32 v9, v8
	v_fma_f32 v10, 0x3fb8aa3b, v104, -v8
	v_sub_f32_e32 v8, v8, v9
	s_delay_alu instid0(VALU_DEP_2) | instskip(SKIP_1) | instid1(VALU_DEP_2)
	v_fmac_f32_e32 v10, 0x32a5705f, v104
	v_cvt_i32_f32_e32 v9, v9
	v_add_f32_e32 v8, v8, v10
	s_delay_alu instid0(VALU_DEP_1) | instskip(SKIP_2) | instid1(VALU_DEP_1)
	v_exp_f32_e32 v8, v8
	s_waitcnt_depctr 0xfff
	v_ldexp_f32 v8, v8, v9
	v_cndmask_b32_e32 v8, 0, v8, vcc_lo
	v_cmp_nlt_f32_e32 vcc_lo, 0x42b17218, v104
	s_delay_alu instid0(VALU_DEP_2) | instskip(NEXT) | instid1(VALU_DEP_1)
	v_cndmask_b32_e32 v10, 0x7f800000, v8, vcc_lo
	v_add_f32_e32 v12, 1.0, v10
	s_delay_alu instid0(VALU_DEP_1) | instskip(NEXT) | instid1(VALU_DEP_1)
	v_cvt_f64_f32_e32 v[8:9], v12
	v_frexp_exp_i32_f64_e32 v8, v[8:9]
	v_frexp_mant_f32_e32 v9, v12
	s_delay_alu instid0(VALU_DEP_1) | instskip(SKIP_1) | instid1(VALU_DEP_1)
	v_cmp_gt_f32_e32 vcc_lo, 0x3f2aaaab, v9
	v_add_f32_e32 v9, -1.0, v12
	v_dual_sub_f32 v14, v9, v12 :: v_dual_sub_f32 v9, v10, v9
	v_subrev_co_ci_u32_e32 v8, vcc_lo, 0, v8, vcc_lo
	s_delay_alu instid0(VALU_DEP_1) | instskip(SKIP_1) | instid1(VALU_DEP_2)
	v_sub_nc_u32_e32 v13, 0, v8
	v_cvt_f32_i32_e32 v8, v8
	v_ldexp_f32 v12, v12, v13
	s_delay_alu instid0(VALU_DEP_1) | instskip(NEXT) | instid1(VALU_DEP_1)
	v_dual_add_f32 v14, 1.0, v14 :: v_dual_add_f32 v15, 1.0, v12
	v_add_f32_e32 v9, v9, v14
	s_delay_alu instid0(VALU_DEP_1) | instskip(NEXT) | instid1(VALU_DEP_3)
	v_ldexp_f32 v9, v9, v13
	v_dual_add_f32 v13, -1.0, v12 :: v_dual_add_f32 v14, -1.0, v15
	s_delay_alu instid0(VALU_DEP_1) | instskip(NEXT) | instid1(VALU_DEP_1)
	v_dual_add_f32 v17, 1.0, v13 :: v_dual_sub_f32 v14, v12, v14
	v_sub_f32_e32 v12, v12, v17
	s_delay_alu instid0(VALU_DEP_2) | instskip(NEXT) | instid1(VALU_DEP_2)
	v_add_f32_e32 v14, v9, v14
	v_add_f32_e32 v9, v9, v12
	s_delay_alu instid0(VALU_DEP_2) | instskip(SKIP_2) | instid1(VALU_DEP_4)
	v_add_f32_e32 v17, v15, v14
	v_cmp_eq_f32_e32 vcc_lo, 0x7f800000, v10
	v_cmp_gt_f32_e64 s28, 0x33800000, v10
	v_add_f32_e32 v104, v13, v9
	s_delay_alu instid0(VALU_DEP_4) | instskip(SKIP_1) | instid1(VALU_DEP_3)
	v_rcp_f32_e32 v12, v17
	v_sub_f32_e32 v15, v15, v17
	s_or_b32 vcc_lo, s28, vcc_lo
	s_delay_alu instid0(VALU_DEP_2) | instskip(NEXT) | instid1(VALU_DEP_1)
	v_sub_f32_e32 v13, v13, v104
	v_add_f32_e32 v9, v9, v13
	s_waitcnt_depctr 0xfff
	v_dual_mul_f32 v105, v104, v12 :: v_dual_add_f32 v14, v14, v15
	s_delay_alu instid0(VALU_DEP_1) | instskip(NEXT) | instid1(VALU_DEP_1)
	v_mul_f32_e32 v106, v17, v105
	v_fma_f32 v15, v105, v17, -v106
	s_delay_alu instid0(VALU_DEP_1) | instskip(NEXT) | instid1(VALU_DEP_1)
	v_fmac_f32_e32 v15, v105, v14
	v_add_f32_e32 v107, v106, v15
	s_delay_alu instid0(VALU_DEP_1) | instskip(NEXT) | instid1(VALU_DEP_1)
	v_dual_sub_f32 v13, v107, v106 :: v_dual_sub_f32 v108, v104, v107
	v_dual_sub_f32 v13, v13, v15 :: v_dual_sub_f32 v104, v104, v108
	s_delay_alu instid0(VALU_DEP_1) | instskip(NEXT) | instid1(VALU_DEP_1)
	v_sub_f32_e32 v104, v104, v107
	v_add_f32_e32 v9, v9, v104
	s_delay_alu instid0(VALU_DEP_1) | instskip(NEXT) | instid1(VALU_DEP_1)
	v_add_f32_e32 v9, v13, v9
	v_add_f32_e32 v13, v108, v9
	s_delay_alu instid0(VALU_DEP_1) | instskip(NEXT) | instid1(VALU_DEP_1)
	v_mul_f32_e32 v15, v12, v13
	v_mul_f32_e32 v104, v17, v15
	s_delay_alu instid0(VALU_DEP_1) | instskip(NEXT) | instid1(VALU_DEP_1)
	v_fma_f32 v17, v15, v17, -v104
	v_fmac_f32_e32 v17, v15, v14
	s_delay_alu instid0(VALU_DEP_1) | instskip(NEXT) | instid1(VALU_DEP_1)
	v_add_f32_e32 v14, v104, v17
	v_dual_sub_f32 v107, v108, v13 :: v_dual_sub_f32 v106, v13, v14
	s_delay_alu instid0(VALU_DEP_1) | instskip(NEXT) | instid1(VALU_DEP_2)
	v_dual_sub_f32 v13, v13, v106 :: v_dual_sub_f32 v104, v14, v104
	v_add_f32_e32 v9, v9, v107
	s_delay_alu instid0(VALU_DEP_2) | instskip(NEXT) | instid1(VALU_DEP_1)
	v_dual_sub_f32 v13, v13, v14 :: v_dual_sub_f32 v14, v104, v17
	v_add_f32_e32 v9, v9, v13
	v_add_f32_e32 v13, v105, v15
	s_delay_alu instid0(VALU_DEP_2) | instskip(NEXT) | instid1(VALU_DEP_2)
	v_add_f32_e32 v9, v14, v9
	v_sub_f32_e32 v14, v13, v105
	s_delay_alu instid0(VALU_DEP_1) | instskip(NEXT) | instid1(VALU_DEP_1)
	v_dual_add_f32 v9, v106, v9 :: v_dual_sub_f32 v14, v15, v14
	v_mul_f32_e32 v9, v12, v9
	s_delay_alu instid0(VALU_DEP_1) | instskip(NEXT) | instid1(VALU_DEP_1)
	v_add_f32_e32 v9, v14, v9
	v_add_f32_e32 v12, v13, v9
	s_delay_alu instid0(VALU_DEP_1) | instskip(NEXT) | instid1(VALU_DEP_1)
	v_mul_f32_e32 v14, v12, v12
	v_fmaak_f32 v15, s83, v14, 0x3ecc95a3
	s_delay_alu instid0(VALU_DEP_1) | instskip(SKIP_1) | instid1(VALU_DEP_2)
	v_dual_mul_f32 v17, v12, v14 :: v_dual_fmaak_f32 v14, v14, v15, 0x3f2aaada
	v_ldexp_f32 v15, v12, 1
	v_mul_f32_e32 v14, v17, v14
	v_dual_sub_f32 v12, v12, v13 :: v_dual_mul_f32 v17, 0x3f317218, v8
	s_delay_alu instid0(VALU_DEP_2) | instskip(NEXT) | instid1(VALU_DEP_2)
	v_add_f32_e32 v13, v15, v14
	v_sub_f32_e32 v9, v9, v12
	s_delay_alu instid0(VALU_DEP_2) | instskip(NEXT) | instid1(VALU_DEP_4)
	v_sub_f32_e32 v12, v13, v15
	v_fma_f32 v15, 0x3f317218, v8, -v17
	s_delay_alu instid0(VALU_DEP_3) | instskip(NEXT) | instid1(VALU_DEP_3)
	v_ldexp_f32 v9, v9, 1
	v_sub_f32_e32 v12, v14, v12
	s_delay_alu instid0(VALU_DEP_3) | instskip(NEXT) | instid1(VALU_DEP_2)
	v_fmac_f32_e32 v15, 0xb102e308, v8
	v_add_f32_e32 v8, v9, v12
	s_delay_alu instid0(VALU_DEP_1) | instskip(NEXT) | instid1(VALU_DEP_3)
	v_add_f32_e32 v12, v13, v8
	v_add_f32_e32 v9, v17, v15
	s_delay_alu instid0(VALU_DEP_1) | instskip(NEXT) | instid1(VALU_DEP_1)
	v_dual_sub_f32 v13, v12, v13 :: v_dual_add_f32 v14, v9, v12
	v_sub_f32_e32 v8, v8, v13
	s_delay_alu instid0(VALU_DEP_2) | instskip(NEXT) | instid1(VALU_DEP_1)
	v_sub_f32_e32 v104, v14, v9
	v_dual_sub_f32 v12, v12, v104 :: v_dual_sub_f32 v17, v9, v17
	s_delay_alu instid0(VALU_DEP_1) | instskip(NEXT) | instid1(VALU_DEP_1)
	v_sub_f32_e32 v15, v15, v17
	v_add_f32_e32 v13, v15, v8
	v_sub_f32_e32 v105, v14, v104
	s_delay_alu instid0(VALU_DEP_1) | instskip(NEXT) | instid1(VALU_DEP_1)
	v_sub_f32_e32 v9, v9, v105
	v_dual_add_f32 v9, v12, v9 :: v_dual_sub_f32 v12, v13, v15
	s_delay_alu instid0(VALU_DEP_1) | instskip(NEXT) | instid1(VALU_DEP_2)
	v_add_f32_e32 v9, v13, v9
	v_sub_f32_e32 v13, v13, v12
	s_delay_alu instid0(VALU_DEP_2) | instskip(NEXT) | instid1(VALU_DEP_1)
	v_dual_sub_f32 v8, v8, v12 :: v_dual_add_f32 v17, v14, v9
	v_dual_sub_f32 v12, v17, v14 :: v_dual_sub_f32 v13, v15, v13
	s_delay_alu instid0(VALU_DEP_1) | instskip(NEXT) | instid1(VALU_DEP_1)
	v_dual_sub_f32 v9, v9, v12 :: v_dual_add_f32 v8, v8, v13
	v_add_f32_e32 v8, v8, v9
	s_delay_alu instid0(VALU_DEP_1) | instskip(NEXT) | instid1(VALU_DEP_1)
	v_add_f32_e32 v8, v17, v8
	v_cndmask_b32_e32 v104, v8, v10, vcc_lo
.LBB118_104:                            ;   in Loop: Header=BB118_12 Depth=1
	s_or_b32 exec_lo, exec_lo, s29
	v_lshrrev_b32_e32 v8, 16, v11
	s_delay_alu instid0(VALU_DEP_1) | instskip(NEXT) | instid1(VALU_DEP_1)
	v_cvt_f32_f16_e32 v8, v8
	v_add_f32_e32 v111, s66, v8
	s_delay_alu instid0(VALU_DEP_1) | instskip(SKIP_1) | instid1(SALU_CYCLE_1)
	v_cmp_ge_f32_e32 vcc_lo, 0x41a00000, v111
	s_and_b32 s28, s79, vcc_lo
	s_and_saveexec_b32 s29, s28
	s_cbranch_execz .LBB118_106
; %bb.105:                              ;   in Loop: Header=BB118_12 Depth=1
	v_mul_f32_e32 v8, 0x3fb8aa3b, v111
	v_cmp_ngt_f32_e32 vcc_lo, 0xc2ce8ed0, v111
	s_delay_alu instid0(VALU_DEP_2) | instskip(SKIP_1) | instid1(VALU_DEP_2)
	v_rndne_f32_e32 v9, v8
	v_fma_f32 v10, 0x3fb8aa3b, v111, -v8
	v_sub_f32_e32 v8, v8, v9
	s_delay_alu instid0(VALU_DEP_2) | instskip(SKIP_1) | instid1(VALU_DEP_2)
	v_fmac_f32_e32 v10, 0x32a5705f, v111
	v_cvt_i32_f32_e32 v9, v9
	v_add_f32_e32 v8, v8, v10
	s_delay_alu instid0(VALU_DEP_1) | instskip(SKIP_2) | instid1(VALU_DEP_1)
	v_exp_f32_e32 v8, v8
	s_waitcnt_depctr 0xfff
	v_ldexp_f32 v8, v8, v9
	v_cndmask_b32_e32 v8, 0, v8, vcc_lo
	v_cmp_nlt_f32_e32 vcc_lo, 0x42b17218, v111
	s_delay_alu instid0(VALU_DEP_2) | instskip(NEXT) | instid1(VALU_DEP_1)
	v_cndmask_b32_e32 v10, 0x7f800000, v8, vcc_lo
	v_add_f32_e32 v11, 1.0, v10
	s_delay_alu instid0(VALU_DEP_1) | instskip(NEXT) | instid1(VALU_DEP_1)
	v_cvt_f64_f32_e32 v[8:9], v11
	v_frexp_exp_i32_f64_e32 v8, v[8:9]
	v_frexp_mant_f32_e32 v9, v11
	s_delay_alu instid0(VALU_DEP_1) | instskip(SKIP_1) | instid1(VALU_DEP_1)
	v_cmp_gt_f32_e32 vcc_lo, 0x3f2aaaab, v9
	v_add_f32_e32 v9, -1.0, v11
	v_sub_f32_e32 v13, v9, v11
	v_sub_f32_e32 v9, v10, v9
	s_delay_alu instid0(VALU_DEP_2) | instskip(NEXT) | instid1(VALU_DEP_1)
	v_add_f32_e32 v13, 1.0, v13
	v_add_f32_e32 v9, v9, v13
	v_cmp_gt_f32_e64 s28, 0x33800000, v10
	v_subrev_co_ci_u32_e32 v8, vcc_lo, 0, v8, vcc_lo
	v_cmp_eq_f32_e32 vcc_lo, 0x7f800000, v10
	s_delay_alu instid0(VALU_DEP_2) | instskip(SKIP_2) | instid1(VALU_DEP_2)
	v_sub_nc_u32_e32 v12, 0, v8
	v_cvt_f32_i32_e32 v8, v8
	s_or_b32 vcc_lo, s28, vcc_lo
	v_ldexp_f32 v11, v11, v12
	v_ldexp_f32 v9, v9, v12
	s_delay_alu instid0(VALU_DEP_2) | instskip(NEXT) | instid1(VALU_DEP_1)
	v_add_f32_e32 v14, 1.0, v11
	v_dual_add_f32 v12, -1.0, v11 :: v_dual_add_f32 v13, -1.0, v14
	s_delay_alu instid0(VALU_DEP_1) | instskip(NEXT) | instid1(VALU_DEP_2)
	v_add_f32_e32 v15, 1.0, v12
	v_sub_f32_e32 v13, v11, v13
	s_delay_alu instid0(VALU_DEP_2) | instskip(NEXT) | instid1(VALU_DEP_2)
	v_sub_f32_e32 v11, v11, v15
	v_add_f32_e32 v13, v9, v13
	s_delay_alu instid0(VALU_DEP_2) | instskip(NEXT) | instid1(VALU_DEP_1)
	v_add_f32_e32 v9, v9, v11
	v_add_f32_e32 v17, v12, v9
	s_delay_alu instid0(VALU_DEP_3) | instskip(NEXT) | instid1(VALU_DEP_2)
	v_add_f32_e32 v15, v14, v13
	v_sub_f32_e32 v12, v12, v17
	s_delay_alu instid0(VALU_DEP_2) | instskip(SKIP_1) | instid1(VALU_DEP_1)
	v_rcp_f32_e32 v11, v15
	v_sub_f32_e32 v14, v14, v15
	v_add_f32_e32 v13, v13, v14
	s_waitcnt_depctr 0xfff
	v_mul_f32_e32 v105, v17, v11
	s_delay_alu instid0(VALU_DEP_1) | instskip(NEXT) | instid1(VALU_DEP_1)
	v_dual_mul_f32 v106, v15, v105 :: v_dual_add_f32 v9, v9, v12
	v_fma_f32 v14, v105, v15, -v106
	s_delay_alu instid0(VALU_DEP_1) | instskip(NEXT) | instid1(VALU_DEP_1)
	v_fmac_f32_e32 v14, v105, v13
	v_add_f32_e32 v107, v106, v14
	s_delay_alu instid0(VALU_DEP_1) | instskip(SKIP_1) | instid1(VALU_DEP_1)
	v_sub_f32_e32 v12, v107, v106
	v_sub_f32_e32 v108, v17, v107
	v_dual_sub_f32 v12, v12, v14 :: v_dual_sub_f32 v17, v17, v108
	s_delay_alu instid0(VALU_DEP_1) | instskip(NEXT) | instid1(VALU_DEP_1)
	v_sub_f32_e32 v17, v17, v107
	v_add_f32_e32 v9, v9, v17
	s_delay_alu instid0(VALU_DEP_1) | instskip(NEXT) | instid1(VALU_DEP_1)
	v_add_f32_e32 v9, v12, v9
	v_add_f32_e32 v12, v108, v9
	s_delay_alu instid0(VALU_DEP_1) | instskip(SKIP_1) | instid1(VALU_DEP_2)
	v_mul_f32_e32 v14, v11, v12
	v_sub_f32_e32 v107, v108, v12
	v_mul_f32_e32 v17, v15, v14
	s_delay_alu instid0(VALU_DEP_2) | instskip(NEXT) | instid1(VALU_DEP_2)
	v_add_f32_e32 v9, v9, v107
	v_fma_f32 v15, v14, v15, -v17
	s_delay_alu instid0(VALU_DEP_1) | instskip(NEXT) | instid1(VALU_DEP_1)
	v_fmac_f32_e32 v15, v14, v13
	v_add_f32_e32 v13, v17, v15
	s_delay_alu instid0(VALU_DEP_1) | instskip(NEXT) | instid1(VALU_DEP_1)
	v_sub_f32_e32 v106, v12, v13
	v_dual_sub_f32 v17, v13, v17 :: v_dual_sub_f32 v12, v12, v106
	s_delay_alu instid0(VALU_DEP_1) | instskip(NEXT) | instid1(VALU_DEP_1)
	v_dual_sub_f32 v12, v12, v13 :: v_dual_sub_f32 v13, v17, v15
	v_add_f32_e32 v9, v9, v12
	v_add_f32_e32 v12, v105, v14
	s_delay_alu instid0(VALU_DEP_2) | instskip(NEXT) | instid1(VALU_DEP_2)
	v_add_f32_e32 v9, v13, v9
	v_sub_f32_e32 v13, v12, v105
	s_delay_alu instid0(VALU_DEP_2) | instskip(NEXT) | instid1(VALU_DEP_2)
	v_add_f32_e32 v9, v106, v9
	v_sub_f32_e32 v13, v14, v13
	s_delay_alu instid0(VALU_DEP_2) | instskip(NEXT) | instid1(VALU_DEP_1)
	v_mul_f32_e32 v9, v11, v9
	v_add_f32_e32 v9, v13, v9
	s_delay_alu instid0(VALU_DEP_1) | instskip(NEXT) | instid1(VALU_DEP_1)
	v_add_f32_e32 v11, v12, v9
	v_mul_f32_e32 v13, v11, v11
	s_delay_alu instid0(VALU_DEP_1) | instskip(SKIP_1) | instid1(VALU_DEP_2)
	v_fmaak_f32 v14, s83, v13, 0x3ecc95a3
	v_mul_f32_e32 v15, v11, v13
	v_fmaak_f32 v13, v13, v14, 0x3f2aaada
	v_ldexp_f32 v14, v11, 1
	v_sub_f32_e32 v11, v11, v12
	s_delay_alu instid0(VALU_DEP_3) | instskip(SKIP_1) | instid1(VALU_DEP_2)
	v_mul_f32_e32 v13, v15, v13
	v_mul_f32_e32 v15, 0x3f317218, v8
	v_dual_sub_f32 v9, v9, v11 :: v_dual_add_f32 v12, v14, v13
	s_delay_alu instid0(VALU_DEP_1) | instskip(NEXT) | instid1(VALU_DEP_2)
	v_ldexp_f32 v9, v9, 1
	v_sub_f32_e32 v11, v12, v14
	s_delay_alu instid0(VALU_DEP_4) | instskip(NEXT) | instid1(VALU_DEP_1)
	v_fma_f32 v14, 0x3f317218, v8, -v15
	v_dual_sub_f32 v11, v13, v11 :: v_dual_fmac_f32 v14, 0xb102e308, v8
	s_delay_alu instid0(VALU_DEP_1) | instskip(NEXT) | instid1(VALU_DEP_1)
	v_dual_add_f32 v8, v9, v11 :: v_dual_add_f32 v9, v15, v14
	v_add_f32_e32 v11, v12, v8
	s_delay_alu instid0(VALU_DEP_2) | instskip(NEXT) | instid1(VALU_DEP_2)
	v_sub_f32_e32 v15, v9, v15
	v_dual_add_f32 v13, v9, v11 :: v_dual_sub_f32 v12, v11, v12
	s_delay_alu instid0(VALU_DEP_1) | instskip(NEXT) | instid1(VALU_DEP_1)
	v_dual_sub_f32 v14, v14, v15 :: v_dual_sub_f32 v17, v13, v9
	v_dual_sub_f32 v8, v8, v12 :: v_dual_sub_f32 v105, v13, v17
	s_delay_alu instid0(VALU_DEP_1) | instskip(NEXT) | instid1(VALU_DEP_2)
	v_dual_sub_f32 v11, v11, v17 :: v_dual_add_f32 v12, v14, v8
	v_sub_f32_e32 v9, v9, v105
	s_delay_alu instid0(VALU_DEP_1) | instskip(NEXT) | instid1(VALU_DEP_3)
	v_add_f32_e32 v9, v11, v9
	v_sub_f32_e32 v11, v12, v14
	s_delay_alu instid0(VALU_DEP_2) | instskip(NEXT) | instid1(VALU_DEP_2)
	v_add_f32_e32 v9, v12, v9
	v_sub_f32_e32 v12, v12, v11
	s_delay_alu instid0(VALU_DEP_2) | instskip(NEXT) | instid1(VALU_DEP_1)
	v_dual_sub_f32 v8, v8, v11 :: v_dual_add_f32 v15, v13, v9
	v_dual_sub_f32 v12, v14, v12 :: v_dual_sub_f32 v11, v15, v13
	s_delay_alu instid0(VALU_DEP_1) | instskip(NEXT) | instid1(VALU_DEP_1)
	v_dual_add_f32 v8, v8, v12 :: v_dual_sub_f32 v9, v9, v11
	v_add_f32_e32 v8, v8, v9
	s_delay_alu instid0(VALU_DEP_1) | instskip(NEXT) | instid1(VALU_DEP_1)
	v_add_f32_e32 v8, v15, v8
	v_cndmask_b32_e32 v111, v8, v10, vcc_lo
.LBB118_106:                            ;   in Loop: Header=BB118_12 Depth=1
	s_or_b32 exec_lo, exec_lo, s29
	v_lshrrev_b32_e32 v9, 16, v6
	v_lshrrev_b32_e32 v10, 16, v7
	;; [unrolled: 1-line block ×6, first 2 shown]
	v_cvt_f32_f16_e32 v8, v7
	v_cvt_f32_f16_e32 v7, v9
	;; [unrolled: 1-line block ×7, first 2 shown]
	v_lshrrev_b32_e32 v14, 16, v1
	v_lshrrev_b32_e32 v15, 16, v0
	v_cvt_f32_f16_e32 v6, v6
	v_cvt_f32_f16_e32 v5, v5
	;; [unrolled: 1-line block ×9, first 2 shown]
	v_dual_mul_f32 v105, s67, v8 :: v_dual_mul_f32 v106, s67, v7
	v_dual_mul_f32 v107, s67, v6 :: v_dual_mul_f32 v108, s67, v9
	;; [unrolled: 1-line block ×8, first 2 shown]
	s_and_b32 vcc_lo, exec_lo, s80
	s_barrier
	buffer_gl0_inv
	s_cbranch_vccz .LBB118_202
; %bb.107:                              ;   in Loop: Header=BB118_12 Depth=1
	v_dual_mul_f32 v122, v111, v11 :: v_dual_mul_f32 v127, v104, v8
	v_add_co_u32 v11, s28, s53, v16
	s_delay_alu instid0(VALU_DEP_1) | instskip(SKIP_1) | instid1(VALU_DEP_1)
	v_add_co_ci_u32_e64 v17, null, s73, 0, s28
	v_add_co_u32 v16, s28, s57, v16
	v_add_co_ci_u32_e64 v126, null, s74, 0, s28
	s_delay_alu instid0(VALU_DEP_4) | instskip(NEXT) | instid1(VALU_DEP_4)
	v_add_co_u32 v123, vcc_lo, v11, v89
	v_add_co_ci_u32_e32 v124, vcc_lo, 0, v17, vcc_lo
	s_delay_alu instid0(VALU_DEP_4) | instskip(NEXT) | instid1(VALU_DEP_4)
	v_add_co_u32 v125, vcc_lo, v16, v89
	v_add_co_ci_u32_e32 v126, vcc_lo, 0, v126, vcc_lo
	v_cmp_gt_u32_e32 vcc_lo, s40, v18
	s_cmp_lg_u32 s85, 0
	v_cmp_gt_u32_e64 s30, s40, v75
	s_cselect_b32 s51, -1, 0
	s_cmp_eq_u32 s85, s82
	v_cmp_gt_u32_e64 s31, s40, v76
	s_cselect_b32 s86, -1, 0
	s_or_b32 s28, s81, vcc_lo
	v_cmp_gt_u32_e32 vcc_lo, s40, v74
	v_cmp_gt_u32_e64 s33, s40, v77
	v_cmp_gt_u32_e64 s34, s40, v78
	;; [unrolled: 1-line block ×4, first 2 shown]
	s_or_b32 s29, s81, vcc_lo
	v_cmp_gt_u32_e32 vcc_lo, s40, v79
	v_cmp_gt_u32_e64 s38, s40, v82
	v_cmp_gt_u32_e64 s39, s40, v83
	;; [unrolled: 1-line block ×4, first 2 shown]
	s_or_b32 s35, s81, vcc_lo
	v_cmp_gt_u32_e32 vcc_lo, s40, v84
	v_cmp_gt_u32_e64 s43, s40, v87
	v_cmp_gt_u32_e64 s44, s40, v88
	v_dual_mul_f32 v128, v103, v7 :: v_dual_mul_f32 v129, v102, v6
	v_dual_mul_f32 v130, v101, v9 :: v_dual_mul_f32 v133, v98, v4
	;; [unrolled: 1-line block ×7, first 2 shown]
	s_mov_b32 s64, 0
	s_or_b32 s30, s81, s30
	s_or_b32 s31, s81, s31
	;; [unrolled: 1-line block ×8, first 2 shown]
	s_or_b32 s40, s81, vcc_lo
	s_or_b32 s41, s81, s41
	s_or_b32 s42, s81, s42
	;; [unrolled: 1-line block ×4, first 2 shown]
	s_mov_b32 s54, s64
	s_mov_b32 s58, s64
	;; [unrolled: 1-line block ×5, first 2 shown]
	s_branch .LBB118_109
.LBB118_108:                            ;   in Loop: Header=BB118_109 Depth=2
	s_or_b32 exec_lo, exec_lo, s45
	v_cndmask_b32_e64 v9, v171, v11, s11
	v_cndmask_b32_e64 v10, v170, v10, s11
	s_add_i32 s87, s87, -1
	s_add_i32 s88, s88, 8
	s_add_i32 s60, s60, s62
	v_fma_f32 v9, v9, v142, v15
	v_mul_f32_e32 v10, v10, v142
	s_add_i32 s58, s58, s56
	s_add_i32 s54, s54, s52
	s_add_i32 s64, s64, s49
	v_cndmask_b32_e64 v9, v9, v15, s10
	v_cndmask_b32_e64 v10, v10, v142, s10
	s_cmp_eq_u32 s87, 0
	s_waitcnt lgkmcnt(0)
	s_delay_alu instid0(VALU_DEP_1) | instskip(NEXT) | instid1(VALU_DEP_1)
	v_fmac_f32_e32 v9, v8, v10
	v_fmac_f32_e32 v12, v9, v144
	s_delay_alu instid0(VALU_DEP_1) | instskip(NEXT) | instid1(VALU_DEP_1)
	v_fmac_f32_e32 v13, v12, v146
	v_fmac_f32_e32 v14, v13, v148
	v_fma_mix_f32 v121, v9, v4, v121 op_sel_hi:[0,1,0]
	s_delay_alu instid0(VALU_DEP_2) | instskip(SKIP_2) | instid1(VALU_DEP_3)
	v_fmac_f32_e32 v143, v14, v150
	v_fma_mix_f32 v120, v12, v4, v120 op_sel:[0,1,0] op_sel_hi:[0,1,0]
	v_fma_mix_f32 v118, v14, v5, v118 op_sel:[0,1,0] op_sel_hi:[0,1,0]
	v_fmac_f32_e32 v145, v143, v151
	v_fma_mix_f32 v117, v143, v6, v117 op_sel_hi:[0,1,0]
	s_delay_alu instid0(VALU_DEP_2) | instskip(SKIP_1) | instid1(VALU_DEP_2)
	v_fmac_f32_e32 v147, v145, v153
	v_fma_mix_f32 v115, v145, v6, v115 op_sel:[0,1,0] op_sel_hi:[0,1,0]
	v_fmac_f32_e32 v149, v147, v156
	s_delay_alu instid0(VALU_DEP_1) | instskip(SKIP_1) | instid1(VALU_DEP_2)
	v_fmac_f32_e32 v152, v149, v157
	v_fma_mix_f32 v119, v13, v5, v119 op_sel_hi:[0,1,0]
	v_fmac_f32_e32 v154, v152, v158
	v_fma_mix_f32 v114, v147, v7, v114 op_sel_hi:[0,1,0]
	v_fma_mix_f32 v112, v152, v0, v112 op_sel_hi:[0,1,0]
	s_delay_alu instid0(VALU_DEP_3) | instskip(SKIP_1) | instid1(VALU_DEP_2)
	v_fmac_f32_e32 v155, v154, v159
	v_fma_mix_f32 v110, v154, v0, v110 op_sel:[0,1,0] op_sel_hi:[0,1,0]
	v_fmac_f32_e32 v160, v155, v166
	v_fma_mix_f32 v109, v155, v1, v109 op_sel_hi:[0,1,0]
	s_delay_alu instid0(VALU_DEP_2) | instskip(NEXT) | instid1(VALU_DEP_1)
	v_fmac_f32_e32 v161, v160, v163
	v_fmac_f32_e32 v162, v161, v165
	v_fma_mix_f32 v113, v149, v7, v113 op_sel:[0,1,0] op_sel_hi:[0,1,0]
	s_delay_alu instid0(VALU_DEP_2) | instskip(SKIP_2) | instid1(VALU_DEP_3)
	v_fmac_f32_e32 v164, v162, v168
	v_fma_mix_f32 v107, v161, v2, v107 op_sel_hi:[0,1,0]
	v_fma_mix_f32 v106, v162, v2, v106 op_sel:[0,1,0] op_sel_hi:[0,1,0]
	v_fmac_f32_e32 v167, v164, v169
	v_fma_mix_f32 v108, v160, v1, v108 op_sel:[0,1,0] op_sel_hi:[0,1,0]
	v_fma_mix_f32 v105, v164, v3, v105 op_sel_hi:[0,1,0]
	s_delay_alu instid0(VALU_DEP_3)
	v_fma_mix_f32 v116, v167, v3, v116 op_sel:[0,1,0] op_sel_hi:[0,1,0]
	s_cbranch_scc1 .LBB118_202
.LBB118_109:                            ;   Parent Loop BB118_12 Depth=1
                                        ; =>  This Inner Loop Header: Depth=2
	s_lshl_b64 s[90:91], s[64:65], 2
	s_mov_b32 s55, s65
	s_add_u32 s90, s72, s90
	s_addc_u32 s91, s63, s91
	v_dual_mov_b32 v2, 0 :: v_dual_mov_b32 v3, 0
	global_load_b32 v142, v21, s[90:91]
	s_lshl_b64 s[90:91], s[54:55], 1
	s_delay_alu instid0(SALU_CYCLE_1)
	v_add_co_u32 v0, vcc_lo, v123, s90
	v_add_co_ci_u32_e32 v1, vcc_lo, s91, v124, vcc_lo
	s_and_saveexec_b32 s45, s12
	s_cbranch_execnz .LBB118_145
; %bb.110:                              ;   in Loop: Header=BB118_109 Depth=2
	s_or_b32 exec_lo, exec_lo, s45
	s_and_saveexec_b32 s45, s13
	s_cbranch_execnz .LBB118_146
.LBB118_111:                            ;   in Loop: Header=BB118_109 Depth=2
	s_or_b32 exec_lo, exec_lo, s45
	v_mov_b32_e32 v4, 0
	s_and_saveexec_b32 s45, s14
	s_cbranch_execnz .LBB118_147
.LBB118_112:                            ;   in Loop: Header=BB118_109 Depth=2
	s_or_b32 exec_lo, exec_lo, s45
	s_and_saveexec_b32 s45, s15
	s_cbranch_execnz .LBB118_148
.LBB118_113:                            ;   in Loop: Header=BB118_109 Depth=2
	s_or_b32 exec_lo, exec_lo, s45
	v_mov_b32_e32 v5, 0
	s_and_saveexec_b32 s45, s16
	s_cbranch_execnz .LBB118_149
.LBB118_114:                            ;   in Loop: Header=BB118_109 Depth=2
	s_or_b32 exec_lo, exec_lo, s45
	s_and_saveexec_b32 s45, s17
	s_cbranch_execnz .LBB118_150
.LBB118_115:                            ;   in Loop: Header=BB118_109 Depth=2
	s_or_b32 exec_lo, exec_lo, s45
	v_mov_b32_e32 v6, 0
	s_and_saveexec_b32 s45, s18
	s_cbranch_execnz .LBB118_151
.LBB118_116:                            ;   in Loop: Header=BB118_109 Depth=2
	s_or_b32 exec_lo, exec_lo, s45
	s_and_saveexec_b32 s45, s19
	s_cbranch_execnz .LBB118_152
.LBB118_117:                            ;   in Loop: Header=BB118_109 Depth=2
	s_or_b32 exec_lo, exec_lo, s45
	v_mov_b32_e32 v7, 0
	s_and_saveexec_b32 s45, s20
	s_cbranch_execnz .LBB118_153
.LBB118_118:                            ;   in Loop: Header=BB118_109 Depth=2
	s_or_b32 exec_lo, exec_lo, s45
	s_and_saveexec_b32 s45, s21
	s_cbranch_execnz .LBB118_154
.LBB118_119:                            ;   in Loop: Header=BB118_109 Depth=2
	s_or_b32 exec_lo, exec_lo, s45
	v_mov_b32_e32 v8, 0
	s_and_saveexec_b32 s45, s22
	s_cbranch_execnz .LBB118_155
.LBB118_120:                            ;   in Loop: Header=BB118_109 Depth=2
	s_or_b32 exec_lo, exec_lo, s45
	s_and_saveexec_b32 s45, s23
	s_cbranch_execnz .LBB118_156
.LBB118_121:                            ;   in Loop: Header=BB118_109 Depth=2
	s_or_b32 exec_lo, exec_lo, s45
	v_mov_b32_e32 v9, 0
	s_and_saveexec_b32 s45, s24
	s_cbranch_execnz .LBB118_157
.LBB118_122:                            ;   in Loop: Header=BB118_109 Depth=2
	s_or_b32 exec_lo, exec_lo, s45
	s_and_saveexec_b32 s45, s25
	s_cbranch_execnz .LBB118_158
.LBB118_123:                            ;   in Loop: Header=BB118_109 Depth=2
	s_or_b32 exec_lo, exec_lo, s45
	v_mov_b32_e32 v10, 0
	s_and_saveexec_b32 s45, s26
	s_cbranch_execnz .LBB118_159
.LBB118_124:                            ;   in Loop: Header=BB118_109 Depth=2
	s_or_b32 exec_lo, exec_lo, s45
	s_and_saveexec_b32 s45, s27
	s_cbranch_execz .LBB118_126
.LBB118_125:                            ;   in Loop: Header=BB118_109 Depth=2
	global_load_u16 v0, v[0:1], off offset:960
	s_waitcnt vmcnt(0)
	v_lshl_or_b32 v10, v0, 16, v10
.LBB118_126:                            ;   in Loop: Header=BB118_109 Depth=2
	s_or_b32 exec_lo, exec_lo, s45
	s_waitcnt vmcnt(0)
	ds_store_b16 v37, v3
	ds_store_b16 v37, v2 offset:64
	ds_store_b16 v38, v4 offset:128
	ds_store_b16_d16_hi v39, v4 offset:192
	ds_store_b16 v40, v5 offset:256
	ds_store_b16_d16_hi v41, v5 offset:320
	;; [unrolled: 2-line block ×7, first 2 shown]
	; wave barrier
	ds_load_b128 v[12:15], v52
	ds_load_b128 v[8:11], v52 offset:16
	s_mov_b32 s59, s65
	v_dual_mov_b32 v2, 0 :: v_dual_mov_b32 v3, 0
	s_lshl_b64 s[90:91], s[58:59], 1
	s_delay_alu instid0(SALU_CYCLE_1)
	v_add_co_u32 v0, vcc_lo, v125, s90
	v_add_co_ci_u32_e32 v1, vcc_lo, s91, v126, vcc_lo
	s_and_saveexec_b32 s45, s12
	s_cbranch_execnz .LBB118_160
; %bb.127:                              ;   in Loop: Header=BB118_109 Depth=2
	s_or_b32 exec_lo, exec_lo, s45
	s_and_saveexec_b32 s45, s13
	s_cbranch_execnz .LBB118_161
.LBB118_128:                            ;   in Loop: Header=BB118_109 Depth=2
	s_or_b32 exec_lo, exec_lo, s45
	v_mov_b32_e32 v4, 0
	s_and_saveexec_b32 s45, s14
	s_cbranch_execnz .LBB118_162
.LBB118_129:                            ;   in Loop: Header=BB118_109 Depth=2
	s_or_b32 exec_lo, exec_lo, s45
	s_and_saveexec_b32 s45, s15
	s_cbranch_execnz .LBB118_163
.LBB118_130:                            ;   in Loop: Header=BB118_109 Depth=2
	s_or_b32 exec_lo, exec_lo, s45
	v_mov_b32_e32 v5, 0
	s_and_saveexec_b32 s45, s16
	s_cbranch_execnz .LBB118_164
.LBB118_131:                            ;   in Loop: Header=BB118_109 Depth=2
	s_or_b32 exec_lo, exec_lo, s45
	s_and_saveexec_b32 s45, s17
	s_cbranch_execnz .LBB118_165
.LBB118_132:                            ;   in Loop: Header=BB118_109 Depth=2
	s_or_b32 exec_lo, exec_lo, s45
	v_mov_b32_e32 v6, 0
	s_and_saveexec_b32 s45, s18
	s_cbranch_execnz .LBB118_166
.LBB118_133:                            ;   in Loop: Header=BB118_109 Depth=2
	s_or_b32 exec_lo, exec_lo, s45
	s_and_saveexec_b32 s45, s19
	s_cbranch_execnz .LBB118_167
.LBB118_134:                            ;   in Loop: Header=BB118_109 Depth=2
	s_or_b32 exec_lo, exec_lo, s45
	v_mov_b32_e32 v7, 0
	s_and_saveexec_b32 s45, s20
	s_cbranch_execnz .LBB118_168
.LBB118_135:                            ;   in Loop: Header=BB118_109 Depth=2
	s_or_b32 exec_lo, exec_lo, s45
	s_and_saveexec_b32 s45, s21
	s_cbranch_execnz .LBB118_169
.LBB118_136:                            ;   in Loop: Header=BB118_109 Depth=2
	s_or_b32 exec_lo, exec_lo, s45
	v_mov_b32_e32 v16, 0
	s_and_saveexec_b32 s45, s22
	s_cbranch_execnz .LBB118_170
.LBB118_137:                            ;   in Loop: Header=BB118_109 Depth=2
	s_or_b32 exec_lo, exec_lo, s45
	s_and_saveexec_b32 s45, s23
	s_cbranch_execnz .LBB118_171
.LBB118_138:                            ;   in Loop: Header=BB118_109 Depth=2
	s_or_b32 exec_lo, exec_lo, s45
	v_mov_b32_e32 v17, 0
	s_and_saveexec_b32 s45, s24
	s_cbranch_execnz .LBB118_172
.LBB118_139:                            ;   in Loop: Header=BB118_109 Depth=2
	s_or_b32 exec_lo, exec_lo, s45
	s_and_saveexec_b32 s45, s25
	s_cbranch_execnz .LBB118_173
.LBB118_140:                            ;   in Loop: Header=BB118_109 Depth=2
	s_or_b32 exec_lo, exec_lo, s45
	v_mov_b32_e32 v143, 0
	s_and_saveexec_b32 s45, s26
	s_cbranch_execnz .LBB118_174
.LBB118_141:                            ;   in Loop: Header=BB118_109 Depth=2
	s_or_b32 exec_lo, exec_lo, s45
	s_and_saveexec_b32 s45, s27
	s_cbranch_execz .LBB118_143
.LBB118_142:                            ;   in Loop: Header=BB118_109 Depth=2
	global_load_u16 v0, v[0:1], off offset:960
	s_waitcnt vmcnt(0)
	v_lshl_or_b32 v143, v0, 16, v143
.LBB118_143:                            ;   in Loop: Header=BB118_109 Depth=2
	s_or_b32 exec_lo, exec_lo, s45
	s_waitcnt vmcnt(0)
	ds_store_b16 v37, v3 offset:2112
	ds_store_b16 v53, v2 offset:64
	;; [unrolled: 1-line block ×3, first 2 shown]
	ds_store_b16_d16_hi v55, v4 offset:192
	ds_store_b16 v56, v5 offset:256
	ds_store_b16_d16_hi v57, v5 offset:320
	ds_store_b16 v58, v6 offset:384
	;; [unrolled: 2-line block ×6, first 2 shown]
	ds_store_b16_d16_hi v67, v143 offset:960
	; wave barrier
	ds_load_b128 v[4:7], v52 offset:2112
	ds_load_b128 v[0:3], v68 offset:16
	s_and_not1_b32 vcc_lo, exec_lo, s51
	s_cbranch_vccnz .LBB118_175
; %bb.144:                              ;   in Loop: Header=BB118_109 Depth=2
	v_mov_b32_e32 v16, s88
	ds_load_b64 v[16:17], v16
	s_cbranch_execz .LBB118_176
	s_branch .LBB118_179
.LBB118_145:                            ;   in Loop: Header=BB118_109 Depth=2
	global_load_u16 v3, v[0:1], off
	s_or_b32 exec_lo, exec_lo, s45
	s_and_saveexec_b32 s45, s13
	s_cbranch_execz .LBB118_111
.LBB118_146:                            ;   in Loop: Header=BB118_109 Depth=2
	global_load_u16 v2, v[0:1], off offset:64
	s_or_b32 exec_lo, exec_lo, s45
	v_mov_b32_e32 v4, 0
	s_and_saveexec_b32 s45, s14
	s_cbranch_execz .LBB118_112
.LBB118_147:                            ;   in Loop: Header=BB118_109 Depth=2
	global_load_u16 v4, v[0:1], off offset:128
	s_or_b32 exec_lo, exec_lo, s45
	s_and_saveexec_b32 s45, s15
	s_cbranch_execz .LBB118_113
.LBB118_148:                            ;   in Loop: Header=BB118_109 Depth=2
	global_load_u16 v5, v[0:1], off offset:192
	s_waitcnt vmcnt(0)
	v_lshl_or_b32 v4, v5, 16, v4
	s_or_b32 exec_lo, exec_lo, s45
	v_mov_b32_e32 v5, 0
	s_and_saveexec_b32 s45, s16
	s_cbranch_execz .LBB118_114
.LBB118_149:                            ;   in Loop: Header=BB118_109 Depth=2
	global_load_u16 v5, v[0:1], off offset:256
	s_or_b32 exec_lo, exec_lo, s45
	s_and_saveexec_b32 s45, s17
	s_cbranch_execz .LBB118_115
.LBB118_150:                            ;   in Loop: Header=BB118_109 Depth=2
	global_load_u16 v6, v[0:1], off offset:320
	s_waitcnt vmcnt(0)
	v_lshl_or_b32 v5, v6, 16, v5
	s_or_b32 exec_lo, exec_lo, s45
	v_mov_b32_e32 v6, 0
	s_and_saveexec_b32 s45, s18
	s_cbranch_execz .LBB118_116
.LBB118_151:                            ;   in Loop: Header=BB118_109 Depth=2
	global_load_u16 v6, v[0:1], off offset:384
	s_or_b32 exec_lo, exec_lo, s45
	s_and_saveexec_b32 s45, s19
	s_cbranch_execz .LBB118_117
.LBB118_152:                            ;   in Loop: Header=BB118_109 Depth=2
	global_load_u16 v7, v[0:1], off offset:448
	s_waitcnt vmcnt(0)
	v_lshl_or_b32 v6, v7, 16, v6
	s_or_b32 exec_lo, exec_lo, s45
	v_mov_b32_e32 v7, 0
	s_and_saveexec_b32 s45, s20
	s_cbranch_execz .LBB118_118
.LBB118_153:                            ;   in Loop: Header=BB118_109 Depth=2
	global_load_u16 v7, v[0:1], off offset:512
	s_or_b32 exec_lo, exec_lo, s45
	s_and_saveexec_b32 s45, s21
	s_cbranch_execz .LBB118_119
.LBB118_154:                            ;   in Loop: Header=BB118_109 Depth=2
	global_load_u16 v8, v[0:1], off offset:576
	s_waitcnt vmcnt(0)
	v_lshl_or_b32 v7, v8, 16, v7
	s_or_b32 exec_lo, exec_lo, s45
	v_mov_b32_e32 v8, 0
	s_and_saveexec_b32 s45, s22
	s_cbranch_execz .LBB118_120
.LBB118_155:                            ;   in Loop: Header=BB118_109 Depth=2
	global_load_u16 v8, v[0:1], off offset:640
	s_or_b32 exec_lo, exec_lo, s45
	s_and_saveexec_b32 s45, s23
	s_cbranch_execz .LBB118_121
.LBB118_156:                            ;   in Loop: Header=BB118_109 Depth=2
	global_load_u16 v9, v[0:1], off offset:704
	s_waitcnt vmcnt(0)
	v_lshl_or_b32 v8, v9, 16, v8
	s_or_b32 exec_lo, exec_lo, s45
	v_mov_b32_e32 v9, 0
	s_and_saveexec_b32 s45, s24
	s_cbranch_execz .LBB118_122
.LBB118_157:                            ;   in Loop: Header=BB118_109 Depth=2
	global_load_u16 v9, v[0:1], off offset:768
	s_or_b32 exec_lo, exec_lo, s45
	s_and_saveexec_b32 s45, s25
	s_cbranch_execz .LBB118_123
.LBB118_158:                            ;   in Loop: Header=BB118_109 Depth=2
	global_load_u16 v10, v[0:1], off offset:832
	s_waitcnt vmcnt(0)
	v_lshl_or_b32 v9, v10, 16, v9
	s_or_b32 exec_lo, exec_lo, s45
	v_mov_b32_e32 v10, 0
	s_and_saveexec_b32 s45, s26
	s_cbranch_execz .LBB118_124
.LBB118_159:                            ;   in Loop: Header=BB118_109 Depth=2
	global_load_u16 v10, v[0:1], off offset:896
	s_or_b32 exec_lo, exec_lo, s45
	s_and_saveexec_b32 s45, s27
	s_cbranch_execnz .LBB118_125
	s_branch .LBB118_126
.LBB118_160:                            ;   in Loop: Header=BB118_109 Depth=2
	global_load_u16 v3, v[0:1], off
	s_or_b32 exec_lo, exec_lo, s45
	s_and_saveexec_b32 s45, s13
	s_cbranch_execz .LBB118_128
.LBB118_161:                            ;   in Loop: Header=BB118_109 Depth=2
	global_load_u16 v2, v[0:1], off offset:64
	s_or_b32 exec_lo, exec_lo, s45
	v_mov_b32_e32 v4, 0
	s_and_saveexec_b32 s45, s14
	s_cbranch_execz .LBB118_129
.LBB118_162:                            ;   in Loop: Header=BB118_109 Depth=2
	global_load_u16 v4, v[0:1], off offset:128
	s_or_b32 exec_lo, exec_lo, s45
	s_and_saveexec_b32 s45, s15
	s_cbranch_execz .LBB118_130
.LBB118_163:                            ;   in Loop: Header=BB118_109 Depth=2
	global_load_u16 v5, v[0:1], off offset:192
	s_waitcnt vmcnt(0)
	v_lshl_or_b32 v4, v5, 16, v4
	s_or_b32 exec_lo, exec_lo, s45
	v_mov_b32_e32 v5, 0
	s_and_saveexec_b32 s45, s16
	s_cbranch_execz .LBB118_131
.LBB118_164:                            ;   in Loop: Header=BB118_109 Depth=2
	global_load_u16 v5, v[0:1], off offset:256
	s_or_b32 exec_lo, exec_lo, s45
	s_and_saveexec_b32 s45, s17
	s_cbranch_execz .LBB118_132
.LBB118_165:                            ;   in Loop: Header=BB118_109 Depth=2
	global_load_u16 v6, v[0:1], off offset:320
	s_waitcnt vmcnt(0)
	v_lshl_or_b32 v5, v6, 16, v5
	s_or_b32 exec_lo, exec_lo, s45
	v_mov_b32_e32 v6, 0
	s_and_saveexec_b32 s45, s18
	s_cbranch_execz .LBB118_133
.LBB118_166:                            ;   in Loop: Header=BB118_109 Depth=2
	global_load_u16 v6, v[0:1], off offset:384
	s_or_b32 exec_lo, exec_lo, s45
	s_and_saveexec_b32 s45, s19
	s_cbranch_execz .LBB118_134
.LBB118_167:                            ;   in Loop: Header=BB118_109 Depth=2
	global_load_u16 v7, v[0:1], off offset:448
	s_waitcnt vmcnt(0)
	v_lshl_or_b32 v6, v7, 16, v6
	s_or_b32 exec_lo, exec_lo, s45
	v_mov_b32_e32 v7, 0
	s_and_saveexec_b32 s45, s20
	s_cbranch_execz .LBB118_135
.LBB118_168:                            ;   in Loop: Header=BB118_109 Depth=2
	global_load_u16 v7, v[0:1], off offset:512
	s_or_b32 exec_lo, exec_lo, s45
	s_and_saveexec_b32 s45, s21
	s_cbranch_execz .LBB118_136
.LBB118_169:                            ;   in Loop: Header=BB118_109 Depth=2
	global_load_u16 v16, v[0:1], off offset:576
	s_waitcnt vmcnt(0)
	v_lshl_or_b32 v7, v16, 16, v7
	s_or_b32 exec_lo, exec_lo, s45
	v_mov_b32_e32 v16, 0
	s_and_saveexec_b32 s45, s22
	s_cbranch_execz .LBB118_137
.LBB118_170:                            ;   in Loop: Header=BB118_109 Depth=2
	global_load_u16 v16, v[0:1], off offset:640
	s_or_b32 exec_lo, exec_lo, s45
	s_and_saveexec_b32 s45, s23
	s_cbranch_execz .LBB118_138
.LBB118_171:                            ;   in Loop: Header=BB118_109 Depth=2
	global_load_u16 v17, v[0:1], off offset:704
	s_waitcnt vmcnt(0)
	v_lshl_or_b32 v16, v17, 16, v16
	s_or_b32 exec_lo, exec_lo, s45
	v_mov_b32_e32 v17, 0
	s_and_saveexec_b32 s45, s24
	s_cbranch_execz .LBB118_139
.LBB118_172:                            ;   in Loop: Header=BB118_109 Depth=2
	global_load_u16 v17, v[0:1], off offset:768
	s_or_b32 exec_lo, exec_lo, s45
	s_and_saveexec_b32 s45, s25
	s_cbranch_execz .LBB118_140
.LBB118_173:                            ;   in Loop: Header=BB118_109 Depth=2
	global_load_u16 v143, v[0:1], off offset:832
	s_waitcnt vmcnt(0)
	v_lshl_or_b32 v17, v143, 16, v17
	s_or_b32 exec_lo, exec_lo, s45
	v_mov_b32_e32 v143, 0
	s_and_saveexec_b32 s45, s26
	s_cbranch_execz .LBB118_141
.LBB118_174:                            ;   in Loop: Header=BB118_109 Depth=2
	global_load_u16 v143, v[0:1], off offset:896
	s_or_b32 exec_lo, exec_lo, s45
	s_and_saveexec_b32 s45, s27
	s_cbranch_execnz .LBB118_142
	s_branch .LBB118_143
.LBB118_175:                            ;   in Loop: Header=BB118_109 Depth=2
                                        ; implicit-def: $vgpr16
.LBB118_176:                            ;   in Loop: Header=BB118_109 Depth=2
	s_waitcnt lgkmcnt(0)
	v_mov_b32_e32 v17, 0
	s_and_not1_b32 vcc_lo, exec_lo, s47
	s_cbranch_vccnz .LBB118_178
; %bb.177:                              ;   in Loop: Header=BB118_109 Depth=2
	s_mov_b32 s61, s65
	s_delay_alu instid0(SALU_CYCLE_1) | instskip(NEXT) | instid1(SALU_CYCLE_1)
	s_lshl_b64 s[90:91], s[60:61], 2
	s_add_u32 s90, s75, s90
	s_addc_u32 s91, s76, s91
	global_load_b32 v17, v21, s[90:91]
.LBB118_178:                            ;   in Loop: Header=BB118_109 Depth=2
	v_mov_b32_e32 v16, 1.0
.LBB118_179:                            ;   in Loop: Header=BB118_109 Depth=2
	v_mul_f32_e32 v164, 0x3fb8aa3b, v142
	s_waitcnt lgkmcnt(19)
	v_lshrrev_b32_e32 v144, 16, v13
	v_lshrrev_b32_e32 v145, 16, v14
	v_cvt_f32_f16_e32 v13, v13
	v_cvt_f32_f16_e64 v152, v14
	v_mul_f32_e32 v14, v164, v90
	v_lshrrev_b32_e32 v143, 16, v12
	v_lshrrev_b32_e32 v146, 16, v15
	v_mul_f32_e32 v13, v139, v13
	v_cvt_f32_f16_e32 v12, v12
	v_cmp_gt_f32_e32 vcc_lo, 0xc2fc0000, v14
	v_cvt_f32_f16_e64 v153, v15
	v_mul_f32_e32 v15, v164, v91
	v_cvt_f32_f16_e64 v151, v144
	v_mul_f32_e32 v12, v141, v12
	v_cndmask_b32_e64 v14, 0, 0x42800000, vcc_lo
	v_mul_f32_e32 v142, v164, v92
	v_cmp_gt_f32_e64 s45, 0xc2fc0000, v15
	v_cndmask_b32_e64 v144, 1.0, 0x1f800000, vcc_lo
	s_waitcnt lgkmcnt(18)
	v_lshrrev_b32_e32 v147, 16, v8
	v_fmac_f32_e32 v14, v164, v90
	v_cvt_f32_f16_e64 v143, v143
	v_cndmask_b32_e64 v15, 0, 0x42800000, s45
	v_cvt_f32_f16_e64 v154, v146
	v_cmp_gt_f32_e32 vcc_lo, 0xc2fc0000, v142
	v_exp_f32_e32 v14, v14
	v_mul_f32_e32 v142, v164, v93
	v_fmac_f32_e32 v15, v164, v91
	v_cvt_f32_f16_e64 v155, v147
	v_cndmask_b32_e64 v147, 0, 0x42800000, vcc_lo
	v_lshrrev_b32_e32 v148, 16, v9
	v_lshrrev_b32_e32 v149, 16, v10
	;; [unrolled: 1-line block ×3, first 2 shown]
	v_cvt_f32_f16_e32 v9, v9
	v_cvt_f32_f16_e32 v8, v8
	v_mul_f32_e32 v14, v14, v144
	v_exp_f32_e32 v146, v15
	v_cndmask_b32_e64 v15, 0, v12, s28
	v_cndmask_b32_e64 v12, 1.0, 0x1f800000, s45
	v_cmp_gt_f32_e64 s45, 0xc2fc0000, v142
	v_cndmask_b32_e64 v142, 1.0, v14, s28
	v_mul_f32_e32 v14, v140, v143
	v_cvt_f32_f16_e64 v160, v148
	v_cvt_f32_f16_e64 v162, v149
	v_cndmask_b32_e64 v144, 0, 0x42800000, s45
	v_cvt_f32_f16_e64 v167, v150
	v_mul_f32_e32 v143, v146, v12
	v_cndmask_b32_e64 v12, 0, v14, s29
	v_cndmask_b32_e64 v14, 1.0, 0x1f800000, vcc_lo
	v_fmac_f32_e32 v147, v164, v92
	v_fmac_f32_e32 v144, v164, v93
	v_dual_mul_f32 v149, v164, v95 :: v_dual_mul_f32 v154, v134, v154
	v_dual_mul_f32 v150, v164, v96 :: v_dual_mul_f32 v9, v131, v9
	s_delay_alu instid0(VALU_DEP_4)
	v_exp_f32_e32 v146, v147
	v_mul_f32_e32 v147, v164, v94
	v_exp_f32_e32 v148, v144
	v_cndmask_b32_e64 v144, 1.0, v143, s29
	v_cndmask_b32_e64 v143, 1.0, 0x1f800000, s45
	v_cmp_gt_f32_e64 s45, 0xc2fc0000, v149
	v_cvt_f32_f16_e32 v10, v10
	v_cvt_f32_f16_e32 v11, v11
	v_mul_f32_e32 v165, v164, v102
	s_delay_alu instid0(TRANS32_DEP_2) | instskip(SKIP_1) | instid1(TRANS32_DEP_1)
	v_dual_mul_f32 v155, v132, v155 :: v_dual_mul_f32 v14, v146, v14
	v_cndmask_b32_e64 v149, 0, 0x42800000, s45
	v_dual_mul_f32 v143, v148, v143 :: v_dual_mul_f32 v10, v129, v10
	v_cndmask_b32_e64 v13, 0, v13, s30
	s_delay_alu instid0(VALU_DEP_4)
	v_cndmask_b32_e64 v146, 1.0, v14, s30
	v_mul_f32_e32 v14, v138, v151
	v_cmp_gt_f32_e32 vcc_lo, 0xc2fc0000, v147
	v_cndmask_b32_e64 v148, 1.0, v143, s31
	v_dual_fmac_f32 v149, v164, v95 :: v_dual_mul_f32 v8, v133, v8
	v_mul_f32_e32 v151, v164, v97
	v_cndmask_b32_e64 v147, 0, 0x42800000, vcc_lo
	v_cndmask_b32_e64 v143, 1.0, 0x1f800000, vcc_lo
	v_cmp_gt_f32_e32 vcc_lo, 0xc2fc0000, v150
	v_exp_f32_e32 v149, v149
	v_cmp_gt_f32_e64 s46, 0xc2fc0000, v151
	v_fmac_f32_e32 v147, v164, v94
	v_mul_f32_e32 v158, v164, v99
	v_cndmask_b32_e64 v150, 0, 0x42800000, vcc_lo
	v_cvt_f32_f16_e64 v145, v145
	v_cndmask_b32_e64 v151, 0, 0x42800000, s46
	v_exp_f32_e32 v147, v147
	v_cndmask_b32_e64 v14, 0, v14, s31
	v_dual_fmac_f32 v150, v164, v96 :: v_dual_mul_f32 v11, v127, v11
	s_delay_alu instid0(VALU_DEP_3) | instskip(SKIP_2) | instid1(VALU_DEP_4)
	v_fmac_f32_e32 v151, v164, v97
	v_mul_f32_e32 v166, v164, v103
	v_mul_f32_e32 v162, v128, v162
	v_exp_f32_e32 v156, v150
	s_delay_alu instid0(TRANS32_DEP_2)
	v_mul_f32_e32 v147, v147, v143
	v_mul_f32_e32 v143, v137, v152
	v_cndmask_b32_e64 v152, 1.0, 0x1f800000, s45
	v_cmp_gt_f32_e64 s45, 0xc2fc0000, v158
	v_mul_f32_e32 v158, v164, v101
	v_cndmask_b32_e64 v150, 1.0, v147, s33
	v_cndmask_b32_e64 v143, 0, v143, s33
	v_mul_f32_e32 v147, v149, v152
	v_cndmask_b32_e64 v149, 1.0, 0x1f800000, vcc_lo
	v_exp_f32_e32 v152, v151
	v_cndmask_b32_e64 v162, 0, v162, s42
	s_delay_alu instid0(VALU_DEP_3) | instskip(NEXT) | instid1(VALU_DEP_3)
	v_cndmask_b32_e64 v151, 1.0, v147, s34
	v_mul_f32_e32 v149, v156, v149
	v_mul_f32_e32 v147, v135, v153
	v_cndmask_b32_e64 v156, 1.0, 0x1f800000, s46
	s_delay_alu instid0(VALU_DEP_3)
	v_cndmask_b32_e64 v153, 1.0, v149, s35
	v_mul_f32_e32 v157, v164, v98
	v_cndmask_b32_e64 v149, 0, v154, s36
	v_mul_f32_e32 v154, v164, v100
	v_mul_f32_e32 v152, v152, v156
	v_cndmask_b32_e64 v147, 0, v147, s35
	v_cmp_gt_f32_e32 vcc_lo, 0xc2fc0000, v157
	s_delay_alu instid0(VALU_DEP_4) | instskip(NEXT) | instid1(VALU_DEP_4)
	v_cmp_gt_f32_e64 s46, 0xc2fc0000, v154
	v_cndmask_b32_e64 v156, 1.0, v152, s36
	v_cndmask_b32_e64 v157, 0, 0x42800000, vcc_lo
	v_cndmask_b32_e64 v159, 1.0, 0x1f800000, vcc_lo
	s_delay_alu instid0(VALU_DEP_4) | instskip(SKIP_1) | instid1(VALU_DEP_4)
	v_cndmask_b32_e64 v154, 0, 0x42800000, s46
	v_cmp_gt_f32_e32 vcc_lo, 0xc2fc0000, v158
	v_fmac_f32_e32 v157, v164, v98
	s_delay_alu instid0(VALU_DEP_3) | instskip(SKIP_1) | instid1(VALU_DEP_3)
	v_fmac_f32_e32 v154, v164, v100
	v_cndmask_b32_e64 v158, 0, 0x42800000, vcc_lo
	v_exp_f32_e32 v152, v157
	v_cndmask_b32_e64 v157, 0, 0x42800000, s45
	s_delay_alu instid0(VALU_DEP_2) | instskip(NEXT) | instid1(VALU_DEP_2)
	v_fmac_f32_e32 v158, v164, v101
	v_fmac_f32_e32 v157, v164, v99
	s_delay_alu instid0(VALU_DEP_2) | instskip(NEXT) | instid1(VALU_DEP_1)
	v_exp_f32_e32 v163, v158
	v_exp_f32_e32 v161, v157
	s_delay_alu instid0(TRANS32_DEP_3)
	v_mul_f32_e32 v157, v152, v159
	v_cndmask_b32_e64 v152, 0, v8, s37
	v_exp_f32_e32 v8, v154
	v_cndmask_b32_e64 v154, 1.0, 0x1f800000, s45
	v_cndmask_b32_e64 v159, 1.0, 0x1f800000, s46
	v_cmp_gt_f32_e64 s45, 0xc2fc0000, v166
	v_cndmask_b32_e64 v157, 1.0, v157, s37
	s_delay_alu instid0(TRANS32_DEP_2) | instid1(VALU_DEP_4)
	v_mul_f32_e32 v158, v161, v154
	v_cndmask_b32_e64 v161, 1.0, 0x1f800000, vcc_lo
	v_cmp_gt_f32_e32 vcc_lo, 0xc2fc0000, v165
	s_delay_alu instid0(TRANS32_DEP_1)
	v_mul_f32_e32 v8, v8, v159
	v_cndmask_b32_e64 v154, 0, v155, s38
	v_cndmask_b32_e64 v155, 0, v9, s39
	v_mul_f32_e32 v9, v130, v160
	v_fma_f32 v165, v144, v15, v12
	v_cndmask_b32_e64 v159, 1.0, v8, s39
	v_mul_f32_e32 v8, v163, v161
	v_cndmask_b32_e64 v161, 0, 0x42800000, vcc_lo
	v_mul_f32_e32 v163, v144, v142
	v_cndmask_b32_e64 v160, 0, v9, s40
	v_cndmask_b32_e64 v158, 1.0, v158, s38
	v_cndmask_b32_e64 v166, 1.0, v8, s40
	v_fmac_f32_e32 v161, v164, v102
	v_mul_f32_e32 v9, v163, v146
	v_fma_f32 v163, v165, v146, v13
	v_cndmask_b32_e64 v8, 1.0, 0x1f800000, vcc_lo
	v_cndmask_b32_e64 v165, 0, 0x42800000, s45
	v_exp_f32_e32 v161, v161
	v_mul_f32_e32 v145, v136, v145
	v_mul_f32_e32 v9, v9, v148
	v_fma_f32 v163, v163, v148, v14
	v_fmac_f32_e32 v165, v164, v103
	s_delay_alu instid0(VALU_DEP_3) | instskip(NEXT) | instid1(VALU_DEP_3)
	v_mul_f32_e32 v9, v9, v150
	v_fma_f32 v163, v163, v150, v143
	s_delay_alu instid0(VALU_DEP_3) | instskip(NEXT) | instid1(TRANS32_DEP_2)
	v_exp_f32_e32 v165, v165
	v_mul_f32_e32 v8, v161, v8
	v_cndmask_b32_e64 v145, 0, v145, s34
	v_mul_f32_e32 v9, v9, v151
	v_cndmask_b32_e64 v161, 0, v10, s41
	v_cndmask_b32_e64 v10, 1.0, 0x1f800000, s45
	s_delay_alu instid0(VALU_DEP_4)
	v_fma_f32 v168, v163, v151, v145
	v_cndmask_b32_e64 v163, 1.0, v8, s41
	v_mul_f32_e32 v8, v9, v153
	s_delay_alu instid0(TRANS32_DEP_1) | instid1(VALU_DEP_4)
	v_mul_f32_e32 v10, v165, v10
	s_delay_alu instid0(VALU_DEP_4) | instskip(SKIP_1) | instid1(VALU_DEP_4)
	v_fma_f32 v9, v168, v153, v147
	v_mul_f32_e32 v168, v164, v104
	v_mul_f32_e32 v8, v8, v156
	s_delay_alu instid0(VALU_DEP_3) | instskip(NEXT) | instid1(VALU_DEP_3)
	v_fma_f32 v9, v9, v156, v149
	v_cmp_gt_f32_e32 vcc_lo, 0xc2fc0000, v168
	v_mul_f32_e32 v168, v164, v111
	s_delay_alu instid0(VALU_DEP_4) | instskip(NEXT) | instid1(VALU_DEP_4)
	v_mul_f32_e32 v8, v8, v157
	v_fma_f32 v9, v9, v157, v152
	v_cndmask_b32_e64 v165, 0, 0x42800000, vcc_lo
	s_delay_alu instid0(VALU_DEP_4) | instskip(NEXT) | instid1(VALU_DEP_4)
	v_cmp_gt_f32_e64 s45, 0xc2fc0000, v168
	v_mul_f32_e32 v8, v8, v158
	s_delay_alu instid0(VALU_DEP_4) | instskip(NEXT) | instid1(VALU_DEP_4)
	v_fma_f32 v9, v9, v158, v154
	v_fmac_f32_e32 v165, v164, v104
	s_delay_alu instid0(VALU_DEP_4) | instskip(NEXT) | instid1(VALU_DEP_4)
	v_cndmask_b32_e64 v168, 0, 0x42800000, s45
	v_mul_f32_e32 v8, v8, v159
	s_delay_alu instid0(VALU_DEP_4) | instskip(NEXT) | instid1(VALU_DEP_4)
	v_fma_f32 v9, v9, v159, v155
	v_exp_f32_e32 v169, v165
	s_delay_alu instid0(VALU_DEP_3)
	v_fmac_f32_e32 v168, v164, v111
	v_cndmask_b32_e64 v165, 1.0, v10, s42
	v_cndmask_b32_e64 v10, 1.0, 0x1f800000, vcc_lo
	v_mul_f32_e32 v8, v8, v166
	v_fma_f32 v9, v9, v166, v160
	v_exp_f32_e32 v170, v168
	v_cndmask_b32_e64 v164, 0, v11, s43
	v_cndmask_b32_e64 v11, 1.0, 0x1f800000, s45
	v_mul_f32_e32 v8, v8, v163
	v_mul_f32_e32 v10, v169, v10
	v_fma_f32 v9, v9, v163, v161
	s_delay_alu instid0(VALU_DEP_3) | instskip(NEXT) | instid1(VALU_DEP_3)
	v_mul_f32_e32 v8, v8, v165
	v_cndmask_b32_e64 v168, 1.0, v10, s43
	v_mul_f32_e32 v10, v122, v167
	s_delay_alu instid0(TRANS32_DEP_1) | instskip(SKIP_1) | instid1(VALU_DEP_4)
	v_mul_f32_e32 v11, v170, v11
	v_fma_f32 v9, v9, v165, v162
	v_mul_f32_e32 v8, v8, v168
	s_delay_alu instid0(VALU_DEP_4) | instskip(NEXT) | instid1(VALU_DEP_4)
	v_cndmask_b32_e64 v167, 0, v10, s44
	v_cndmask_b32_e64 v169, 1.0, v11, s44
	s_delay_alu instid0(VALU_DEP_4) | instskip(NEXT) | instid1(VALU_DEP_2)
	v_fma_f32 v9, v9, v168, v164
	v_mul_f32_e32 v8, v8, v169
	s_delay_alu instid0(VALU_DEP_2) | instskip(NEXT) | instid1(VALU_DEP_2)
	v_fma_f32 v9, v9, v169, v167
	v_mov_b32_dpp v11, v8 row_shr:1 row_mask:0xf bank_mask:0xf
	s_delay_alu instid0(VALU_DEP_2)
	v_mov_b32_dpp v10, v9 row_shr:1 row_mask:0xf bank_mask:0xf
	s_and_saveexec_b32 s45, s0
; %bb.180:                              ;   in Loop: Header=BB118_109 Depth=2
	s_delay_alu instid0(VALU_DEP_2) | instskip(NEXT) | instid1(VALU_DEP_1)
	v_mul_f32_e32 v11, v8, v11
	v_dual_fmac_f32 v9, v8, v10 :: v_dual_mov_b32 v8, v11
; %bb.181:                              ;   in Loop: Header=BB118_109 Depth=2
	s_or_b32 exec_lo, exec_lo, s45
	s_delay_alu instid0(VALU_DEP_1) | instskip(NEXT) | instid1(VALU_DEP_2)
	v_mov_b32_dpp v10, v8 row_shr:2 row_mask:0xf bank_mask:0xf
	v_mov_b32_dpp v11, v9 row_shr:2 row_mask:0xf bank_mask:0xf
	s_and_saveexec_b32 s45, s1
; %bb.182:                              ;   in Loop: Header=BB118_109 Depth=2
	s_delay_alu instid0(VALU_DEP_1) | instskip(NEXT) | instid1(VALU_DEP_3)
	v_fmac_f32_e32 v9, v8, v11
	v_mul_f32_e32 v8, v8, v10
; %bb.183:                              ;   in Loop: Header=BB118_109 Depth=2
	s_or_b32 exec_lo, exec_lo, s45
	s_delay_alu instid0(VALU_DEP_1) | instskip(NEXT) | instid1(VALU_DEP_3)
	v_mov_b32_dpp v10, v8 row_shr:4 row_mask:0xf bank_mask:0xf
	v_mov_b32_dpp v11, v9 row_shr:4 row_mask:0xf bank_mask:0xf
	s_and_saveexec_b32 s45, s2
; %bb.184:                              ;   in Loop: Header=BB118_109 Depth=2
	s_delay_alu instid0(VALU_DEP_1) | instskip(NEXT) | instid1(VALU_DEP_3)
	v_fmac_f32_e32 v9, v8, v11
	v_mul_f32_e32 v8, v8, v10
; %bb.185:                              ;   in Loop: Header=BB118_109 Depth=2
	s_or_b32 exec_lo, exec_lo, s45
	s_delay_alu instid0(VALU_DEP_1) | instskip(NEXT) | instid1(VALU_DEP_3)
	v_mov_b32_dpp v10, v8 row_shr:8 row_mask:0xf bank_mask:0xf
	v_mov_b32_dpp v11, v9 row_shr:8 row_mask:0xf bank_mask:0xf
	s_and_saveexec_b32 s45, s3
; %bb.186:                              ;   in Loop: Header=BB118_109 Depth=2
	s_delay_alu instid0(VALU_DEP_1) | instskip(NEXT) | instid1(VALU_DEP_3)
	v_fmac_f32_e32 v9, v8, v11
	v_mul_f32_e32 v8, v8, v10
; %bb.187:                              ;   in Loop: Header=BB118_109 Depth=2
	s_or_b32 exec_lo, exec_lo, s45
	ds_swizzle_b32 v11, v8 offset:swizzle(BROADCAST,32,15)
	ds_swizzle_b32 v10, v9 offset:swizzle(BROADCAST,32,15)
	s_and_saveexec_b32 s45, s4
	s_cbranch_execz .LBB118_189
; %bb.188:                              ;   in Loop: Header=BB118_109 Depth=2
	s_waitcnt lgkmcnt(1)
	v_mul_f32_e32 v11, v8, v11
	s_waitcnt lgkmcnt(0)
	s_delay_alu instid0(VALU_DEP_1)
	v_dual_fmac_f32 v9, v8, v10 :: v_dual_mov_b32 v8, v11
.LBB118_189:                            ;   in Loop: Header=BB118_109 Depth=2
	s_or_b32 exec_lo, exec_lo, s45
	s_and_saveexec_b32 s45, s5
	s_cbranch_execz .LBB118_191
; %bb.190:                              ;   in Loop: Header=BB118_109 Depth=2
	ds_store_b64 v69, v[8:9] offset:4224
.LBB118_191:                            ;   in Loop: Header=BB118_109 Depth=2
	s_or_b32 exec_lo, exec_lo, s45
	s_waitcnt vmcnt(0) lgkmcnt(0)
	s_waitcnt_vscnt null, 0x0
	s_barrier
	buffer_gl0_inv
	s_and_saveexec_b32 s45, s6
	s_cbranch_execz .LBB118_193
; %bb.192:                              ;   in Loop: Header=BB118_109 Depth=2
	ds_load_b64 v[10:11], v70 offset:4224
	s_waitcnt lgkmcnt(0)
	v_mov_b32_dpp v170, v10 row_shr:1 row_mask:0xf bank_mask:0xf
	v_mov_b32_dpp v171, v11 row_shr:1 row_mask:0xf bank_mask:0xf
	s_delay_alu instid0(VALU_DEP_2) | instskip(NEXT) | instid1(VALU_DEP_2)
	v_mul_f32_e32 v170, v10, v170
	v_fma_f32 v171, v10, v171, v11
	s_delay_alu instid0(VALU_DEP_2) | instskip(NEXT) | instid1(VALU_DEP_2)
	v_cndmask_b32_e64 v10, v170, v10, s7
	v_cndmask_b32_e64 v11, v171, v11, s7
	ds_store_b64 v70, v[10:11] offset:4224
.LBB118_193:                            ;   in Loop: Header=BB118_109 Depth=2
	s_or_b32 exec_lo, exec_lo, s45
	s_waitcnt lgkmcnt(0)
	s_barrier
	buffer_gl0_inv
                                        ; implicit-def: $vgpr11
	s_and_saveexec_b32 s45, s9
	s_cbranch_execz .LBB118_195
; %bb.194:                              ;   in Loop: Header=BB118_109 Depth=2
	ds_load_b64 v[10:11], v69 offset:4216
	s_waitcnt lgkmcnt(0)
	v_mul_f32_e32 v170, v8, v10
	s_delay_alu instid0(VALU_DEP_1)
	v_dual_fmac_f32 v9, v8, v11 :: v_dual_mov_b32 v8, v170
.LBB118_195:                            ;   in Loop: Header=BB118_109 Depth=2
	s_or_b32 exec_lo, exec_lo, s45
	ds_bpermute_b32 v170, v71, v8
	ds_bpermute_b32 v171, v71, v9
	s_and_saveexec_b32 s45, s8
	s_cbranch_execz .LBB118_199
; %bb.196:                              ;   in Loop: Header=BB118_109 Depth=2
	ds_load_b64 v[8:9], v21 offset:4232
	s_and_saveexec_b32 s46, s10
	s_cbranch_execz .LBB118_198
; %bb.197:                              ;   in Loop: Header=BB118_109 Depth=2
	ds_store_b64 v21, v[16:17] offset:4232
.LBB118_198:                            ;   in Loop: Header=BB118_109 Depth=2
	s_or_b32 exec_lo, exec_lo, s46
	s_waitcnt lgkmcnt(0)
	v_fmac_f32_e32 v9, v17, v8
	s_delay_alu instid0(VALU_DEP_1)
	v_dual_mul_f32 v16, v16, v8 :: v_dual_mov_b32 v17, v9
.LBB118_199:                            ;   in Loop: Header=BB118_109 Depth=2
	s_or_b32 exec_lo, exec_lo, s45
	s_waitcnt lgkmcnt(0)
	s_barrier
	buffer_gl0_inv
	ds_load_b32 v8, v21 offset:4236
	s_and_saveexec_b32 s45, s10
	s_cbranch_execz .LBB118_108
; %bb.200:                              ;   in Loop: Header=BB118_109 Depth=2
	v_mov_b32_e32 v9, s88
	s_and_not1_b32 vcc_lo, exec_lo, s86
	ds_store_b64 v9, v[16:17]
	s_cbranch_vccnz .LBB118_108
; %bb.201:                              ;   in Loop: Header=BB118_109 Depth=2
	s_mov_b32 s61, s65
	s_delay_alu instid0(SALU_CYCLE_1) | instskip(NEXT) | instid1(SALU_CYCLE_1)
	s_lshl_b64 s[90:91], s[60:61], 2
	s_add_u32 s90, s75, s90
	s_addc_u32 s91, s76, s91
	global_store_b32 v21, v17, s[90:91]
	s_branch .LBB118_108
.LBB118_202:                            ;   in Loop: Header=BB118_12 Depth=1
	v_cvt_f16_f32_e32 v0, v121
	v_cvt_f16_f32_e32 v4, v120
	;; [unrolled: 1-line block ×16, first 2 shown]
	v_pack_b32_f16 v3, v3, v7
	v_pack_b32_f16 v2, v2, v6
	;; [unrolled: 1-line block ×8, first 2 shown]
	s_waitcnt_vscnt null, 0x0
	s_barrier
	buffer_gl0_inv
	ds_store_b128 v52, v[0:3]
	ds_store_b128 v52, v[4:7] offset:16
	; wave barrier
	ds_load_u16 v16, v37 offset:64
	ds_load_u16 v15, v38 offset:128
	;; [unrolled: 1-line block ×15, first 2 shown]
	s_mov_b32 s51, s65
	s_delay_alu instid0(SALU_CYCLE_1) | instskip(NEXT) | instid1(SALU_CYCLE_1)
	s_lshl_b64 s[28:29], s[50:51], 1
	v_add_co_u32 v0, vcc_lo, v72, s28
	v_add_co_ci_u32_e32 v1, vcc_lo, s29, v73, vcc_lo
	s_and_saveexec_b32 s28, s12
	s_cbranch_execnz .LBB118_220
; %bb.203:                              ;   in Loop: Header=BB118_12 Depth=1
	s_or_b32 exec_lo, exec_lo, s28
	s_and_saveexec_b32 s12, s13
	s_cbranch_execnz .LBB118_221
.LBB118_204:                            ;   in Loop: Header=BB118_12 Depth=1
	s_or_b32 exec_lo, exec_lo, s12
	s_and_saveexec_b32 s12, s14
	s_cbranch_execnz .LBB118_222
.LBB118_205:                            ;   in Loop: Header=BB118_12 Depth=1
	s_or_b32 exec_lo, exec_lo, s12
	s_and_saveexec_b32 s12, s15
	s_cbranch_execnz .LBB118_223
.LBB118_206:                            ;   in Loop: Header=BB118_12 Depth=1
	s_or_b32 exec_lo, exec_lo, s12
	s_and_saveexec_b32 s12, s16
	s_cbranch_execnz .LBB118_224
.LBB118_207:                            ;   in Loop: Header=BB118_12 Depth=1
	s_or_b32 exec_lo, exec_lo, s12
	s_and_saveexec_b32 s12, s17
	s_cbranch_execnz .LBB118_225
.LBB118_208:                            ;   in Loop: Header=BB118_12 Depth=1
	s_or_b32 exec_lo, exec_lo, s12
	s_and_saveexec_b32 s12, s18
	s_cbranch_execnz .LBB118_226
.LBB118_209:                            ;   in Loop: Header=BB118_12 Depth=1
	s_or_b32 exec_lo, exec_lo, s12
	s_and_saveexec_b32 s12, s19
	s_cbranch_execnz .LBB118_227
.LBB118_210:                            ;   in Loop: Header=BB118_12 Depth=1
	s_or_b32 exec_lo, exec_lo, s12
	s_and_saveexec_b32 s12, s20
	s_cbranch_execnz .LBB118_228
.LBB118_211:                            ;   in Loop: Header=BB118_12 Depth=1
	s_or_b32 exec_lo, exec_lo, s12
	s_and_saveexec_b32 s12, s21
	s_cbranch_execnz .LBB118_229
.LBB118_212:                            ;   in Loop: Header=BB118_12 Depth=1
	s_or_b32 exec_lo, exec_lo, s12
	s_and_saveexec_b32 s12, s22
	s_cbranch_execnz .LBB118_230
.LBB118_213:                            ;   in Loop: Header=BB118_12 Depth=1
	s_or_b32 exec_lo, exec_lo, s12
	s_and_saveexec_b32 s12, s23
	s_cbranch_execnz .LBB118_231
.LBB118_214:                            ;   in Loop: Header=BB118_12 Depth=1
	s_or_b32 exec_lo, exec_lo, s12
	s_and_saveexec_b32 s12, s24
	s_cbranch_execnz .LBB118_232
.LBB118_215:                            ;   in Loop: Header=BB118_12 Depth=1
	s_or_b32 exec_lo, exec_lo, s12
	s_and_saveexec_b32 s12, s25
	s_cbranch_execnz .LBB118_233
.LBB118_216:                            ;   in Loop: Header=BB118_12 Depth=1
	s_or_b32 exec_lo, exec_lo, s12
	s_and_saveexec_b32 s12, s26
	s_cbranch_execnz .LBB118_234
.LBB118_217:                            ;   in Loop: Header=BB118_12 Depth=1
	s_or_b32 exec_lo, exec_lo, s12
	s_and_saveexec_b32 s12, s27
	s_cbranch_execz .LBB118_11
	s_branch .LBB118_235
.LBB118_218:                            ;   in Loop: Header=BB118_12 Depth=1
	global_load_u16 v97, v[8:9], off offset:832
	s_or_b32 exec_lo, exec_lo, s28
	s_and_saveexec_b32 s28, s26
	s_cbranch_execz .LBB118_72
.LBB118_219:                            ;   in Loop: Header=BB118_12 Depth=1
	global_load_u16 v96, v[8:9], off offset:896
	s_or_b32 exec_lo, exec_lo, s28
	v_mov_b32_e32 v98, 0
	s_and_saveexec_b32 s28, s27
	s_cbranch_execnz .LBB118_73
	s_branch .LBB118_74
.LBB118_220:                            ;   in Loop: Header=BB118_12 Depth=1
	ds_load_u16 v17, v37
	s_waitcnt lgkmcnt(0)
	global_store_b16 v[0:1], v17, off
	s_or_b32 exec_lo, exec_lo, s28
	s_and_saveexec_b32 s12, s13
	s_cbranch_execz .LBB118_204
.LBB118_221:                            ;   in Loop: Header=BB118_12 Depth=1
	s_waitcnt lgkmcnt(14)
	global_store_b16 v[0:1], v16, off offset:64
	s_or_b32 exec_lo, exec_lo, s12
	s_and_saveexec_b32 s12, s14
	s_cbranch_execz .LBB118_205
.LBB118_222:                            ;   in Loop: Header=BB118_12 Depth=1
	s_waitcnt lgkmcnt(13)
	global_store_b16 v[0:1], v15, off offset:128
	s_or_b32 exec_lo, exec_lo, s12
	s_and_saveexec_b32 s12, s15
	s_cbranch_execz .LBB118_206
.LBB118_223:                            ;   in Loop: Header=BB118_12 Depth=1
	s_waitcnt lgkmcnt(12)
	global_store_b16 v[0:1], v14, off offset:192
	s_or_b32 exec_lo, exec_lo, s12
	s_and_saveexec_b32 s12, s16
	s_cbranch_execz .LBB118_207
.LBB118_224:                            ;   in Loop: Header=BB118_12 Depth=1
	s_waitcnt lgkmcnt(11)
	global_store_b16 v[0:1], v13, off offset:256
	s_or_b32 exec_lo, exec_lo, s12
	s_and_saveexec_b32 s12, s17
	s_cbranch_execz .LBB118_208
.LBB118_225:                            ;   in Loop: Header=BB118_12 Depth=1
	s_waitcnt lgkmcnt(10)
	global_store_b16 v[0:1], v12, off offset:320
	s_or_b32 exec_lo, exec_lo, s12
	s_and_saveexec_b32 s12, s18
	s_cbranch_execz .LBB118_209
.LBB118_226:                            ;   in Loop: Header=BB118_12 Depth=1
	s_waitcnt lgkmcnt(9)
	global_store_b16 v[0:1], v11, off offset:384
	s_or_b32 exec_lo, exec_lo, s12
	s_and_saveexec_b32 s12, s19
	s_cbranch_execz .LBB118_210
.LBB118_227:                            ;   in Loop: Header=BB118_12 Depth=1
	s_waitcnt lgkmcnt(8)
	global_store_b16 v[0:1], v10, off offset:448
	s_or_b32 exec_lo, exec_lo, s12
	s_and_saveexec_b32 s12, s20
	s_cbranch_execz .LBB118_211
.LBB118_228:                            ;   in Loop: Header=BB118_12 Depth=1
	s_waitcnt lgkmcnt(7)
	global_store_b16 v[0:1], v9, off offset:512
	s_or_b32 exec_lo, exec_lo, s12
	s_and_saveexec_b32 s12, s21
	s_cbranch_execz .LBB118_212
.LBB118_229:                            ;   in Loop: Header=BB118_12 Depth=1
	s_waitcnt lgkmcnt(6)
	global_store_b16 v[0:1], v8, off offset:576
	s_or_b32 exec_lo, exec_lo, s12
	s_and_saveexec_b32 s12, s22
	s_cbranch_execz .LBB118_213
.LBB118_230:                            ;   in Loop: Header=BB118_12 Depth=1
	s_waitcnt lgkmcnt(5)
	global_store_b16 v[0:1], v7, off offset:640
	s_or_b32 exec_lo, exec_lo, s12
	s_and_saveexec_b32 s12, s23
	s_cbranch_execz .LBB118_214
.LBB118_231:                            ;   in Loop: Header=BB118_12 Depth=1
	s_waitcnt lgkmcnt(4)
	global_store_b16 v[0:1], v6, off offset:704
	s_or_b32 exec_lo, exec_lo, s12
	s_and_saveexec_b32 s12, s24
	s_cbranch_execz .LBB118_215
.LBB118_232:                            ;   in Loop: Header=BB118_12 Depth=1
	s_waitcnt lgkmcnt(3)
	global_store_b16 v[0:1], v5, off offset:768
	s_or_b32 exec_lo, exec_lo, s12
	s_and_saveexec_b32 s12, s25
	s_cbranch_execz .LBB118_216
.LBB118_233:                            ;   in Loop: Header=BB118_12 Depth=1
	s_waitcnt lgkmcnt(2)
	global_store_b16 v[0:1], v4, off offset:832
	s_or_b32 exec_lo, exec_lo, s12
	s_and_saveexec_b32 s12, s26
	s_cbranch_execz .LBB118_217
.LBB118_234:                            ;   in Loop: Header=BB118_12 Depth=1
	s_waitcnt lgkmcnt(1)
	global_store_b16 v[0:1], v3, off offset:896
	s_or_b32 exec_lo, exec_lo, s12
	s_and_saveexec_b32 s12, s27
	s_cbranch_execz .LBB118_11
.LBB118_235:                            ;   in Loop: Header=BB118_12 Depth=1
	s_waitcnt lgkmcnt(0)
	global_store_b16 v[0:1], v2, off offset:960
	s_branch .LBB118_11
.LBB118_236:
	s_nop 0
	s_sendmsg sendmsg(MSG_DEALLOC_VGPRS)
	s_endpgm
	.section	.rodata,"a",@progbits
	.p2align	6, 0x0
	.amdhsa_kernel _Z25selective_scan_fwd_kernelI32Selective_Scan_fwd_kernel_traitsILi64ELi16ELi1ELb0ELb1ELb1ELb0ELb1EN3c104HalfEffEEv13SSMParamsBase
		.amdhsa_group_segment_fixed_size 0
		.amdhsa_private_segment_fixed_size 0
		.amdhsa_kernarg_size 248
		.amdhsa_user_sgpr_count 14
		.amdhsa_user_sgpr_dispatch_ptr 0
		.amdhsa_user_sgpr_queue_ptr 0
		.amdhsa_user_sgpr_kernarg_segment_ptr 1
		.amdhsa_user_sgpr_dispatch_id 0
		.amdhsa_user_sgpr_private_segment_size 0
		.amdhsa_wavefront_size32 1
		.amdhsa_uses_dynamic_stack 0
		.amdhsa_enable_private_segment 0
		.amdhsa_system_sgpr_workgroup_id_x 1
		.amdhsa_system_sgpr_workgroup_id_y 1
		.amdhsa_system_sgpr_workgroup_id_z 0
		.amdhsa_system_sgpr_workgroup_info 0
		.amdhsa_system_vgpr_workitem_id 0
		.amdhsa_next_free_vgpr 172
		.amdhsa_next_free_sgpr 92
		.amdhsa_reserve_vcc 1
		.amdhsa_float_round_mode_32 0
		.amdhsa_float_round_mode_16_64 0
		.amdhsa_float_denorm_mode_32 3
		.amdhsa_float_denorm_mode_16_64 3
		.amdhsa_dx10_clamp 1
		.amdhsa_ieee_mode 1
		.amdhsa_fp16_overflow 0
		.amdhsa_workgroup_processor_mode 1
		.amdhsa_memory_ordered 1
		.amdhsa_forward_progress 0
		.amdhsa_shared_vgpr_count 0
		.amdhsa_exception_fp_ieee_invalid_op 0
		.amdhsa_exception_fp_denorm_src 0
		.amdhsa_exception_fp_ieee_div_zero 0
		.amdhsa_exception_fp_ieee_overflow 0
		.amdhsa_exception_fp_ieee_underflow 0
		.amdhsa_exception_fp_ieee_inexact 0
		.amdhsa_exception_int_div_zero 0
	.end_amdhsa_kernel
	.section	.text._Z25selective_scan_fwd_kernelI32Selective_Scan_fwd_kernel_traitsILi64ELi16ELi1ELb0ELb1ELb1ELb0ELb1EN3c104HalfEffEEv13SSMParamsBase,"axG",@progbits,_Z25selective_scan_fwd_kernelI32Selective_Scan_fwd_kernel_traitsILi64ELi16ELi1ELb0ELb1ELb1ELb0ELb1EN3c104HalfEffEEv13SSMParamsBase,comdat
.Lfunc_end118:
	.size	_Z25selective_scan_fwd_kernelI32Selective_Scan_fwd_kernel_traitsILi64ELi16ELi1ELb0ELb1ELb1ELb0ELb1EN3c104HalfEffEEv13SSMParamsBase, .Lfunc_end118-_Z25selective_scan_fwd_kernelI32Selective_Scan_fwd_kernel_traitsILi64ELi16ELi1ELb0ELb1ELb1ELb0ELb1EN3c104HalfEffEEv13SSMParamsBase
                                        ; -- End function
	.section	.AMDGPU.csdata,"",@progbits
; Kernel info:
; codeLenInByte = 21408
; NumSgprs: 94
; NumVgprs: 172
; ScratchSize: 0
; MemoryBound: 0
; FloatMode: 240
; IeeeMode: 1
; LDSByteSize: 0 bytes/workgroup (compile time only)
; SGPRBlocks: 11
; VGPRBlocks: 21
; NumSGPRsForWavesPerEU: 94
; NumVGPRsForWavesPerEU: 172
; Occupancy: 8
; WaveLimiterHint : 1
; COMPUTE_PGM_RSRC2:SCRATCH_EN: 0
; COMPUTE_PGM_RSRC2:USER_SGPR: 14
; COMPUTE_PGM_RSRC2:TRAP_HANDLER: 0
; COMPUTE_PGM_RSRC2:TGID_X_EN: 1
; COMPUTE_PGM_RSRC2:TGID_Y_EN: 1
; COMPUTE_PGM_RSRC2:TGID_Z_EN: 0
; COMPUTE_PGM_RSRC2:TIDIG_COMP_CNT: 0
	.section	.text._Z25selective_scan_fwd_kernelI32Selective_Scan_fwd_kernel_traitsILi64ELi16ELi1ELb0ELb1ELb1ELb0ELb0EN3c104HalfEffEEv13SSMParamsBase,"axG",@progbits,_Z25selective_scan_fwd_kernelI32Selective_Scan_fwd_kernel_traitsILi64ELi16ELi1ELb0ELb1ELb1ELb0ELb0EN3c104HalfEffEEv13SSMParamsBase,comdat
	.protected	_Z25selective_scan_fwd_kernelI32Selective_Scan_fwd_kernel_traitsILi64ELi16ELi1ELb0ELb1ELb1ELb0ELb0EN3c104HalfEffEEv13SSMParamsBase ; -- Begin function _Z25selective_scan_fwd_kernelI32Selective_Scan_fwd_kernel_traitsILi64ELi16ELi1ELb0ELb1ELb1ELb0ELb0EN3c104HalfEffEEv13SSMParamsBase
	.globl	_Z25selective_scan_fwd_kernelI32Selective_Scan_fwd_kernel_traitsILi64ELi16ELi1ELb0ELb1ELb1ELb0ELb0EN3c104HalfEffEEv13SSMParamsBase
	.p2align	8
	.type	_Z25selective_scan_fwd_kernelI32Selective_Scan_fwd_kernel_traitsILi64ELi16ELi1ELb0ELb1ELb1ELb0ELb0EN3c104HalfEffEEv13SSMParamsBase,@function
_Z25selective_scan_fwd_kernelI32Selective_Scan_fwd_kernel_traitsILi64ELi16ELi1ELb0ELb1ELb1ELb0ELb0EN3c104HalfEffEEv13SSMParamsBase: ; @_Z25selective_scan_fwd_kernelI32Selective_Scan_fwd_kernel_traitsILi64ELi16ELi1ELb0ELb1ELb1ELb0ELb0EN3c104HalfEffEEv13SSMParamsBase
; %bb.0:
	s_clause 0x1
	s_load_b32 s9, s[0:1], 0x18
	s_load_b128 s[4:7], s[0:1], 0xe8
	s_mov_b32 s12, s15
	s_mov_b32 s47, 0
	s_waitcnt lgkmcnt(0)
	s_abs_i32 s8, s9
	s_cmp_eq_u64 s[6:7], 0
	v_cvt_f32_u32_e32 v1, s8
	s_delay_alu instid0(VALU_DEP_1) | instskip(SKIP_2) | instid1(VALU_DEP_1)
	v_rcp_iflag_f32_e32 v1, v1
	s_waitcnt_depctr 0xfff
	v_mul_f32_e32 v1, 0x4f7ffffe, v1
	v_cvt_u32_f32_e32 v1, v1
	s_delay_alu instid0(VALU_DEP_1)
	v_readfirstlane_b32 s10, v1
	s_cbranch_scc1 .LBB119_2
; %bb.1:
	v_mov_b32_e32 v1, 0
	s_ashr_i32 s3, s14, 31
	s_add_u32 s2, s6, s14
	s_addc_u32 s3, s7, s3
	global_load_u8 v1, v1, s[2:3]
	s_waitcnt vmcnt(0)
	v_and_b32_e32 v1, 1, v1
	s_delay_alu instid0(VALU_DEP_1)
	v_cmp_eq_u32_e64 s47, 1, v1
.LBB119_2:
	s_load_b64 s[6:7], s[0:1], 0x20
	s_cmp_eq_u64 s[4:5], 0
	s_cbranch_scc1 .LBB119_4
; %bb.3:
	s_ashr_i32 s15, s14, 31
	s_delay_alu instid0(SALU_CYCLE_1) | instskip(NEXT) | instid1(SALU_CYCLE_1)
	s_lshl_b64 s[2:3], s[14:15], 2
	s_add_u32 s2, s4, s2
	s_addc_u32 s3, s5, s3
	s_load_b32 s2, s[2:3], 0x0
	s_waitcnt lgkmcnt(0)
	s_ashr_i32 s3, s2, 31
	s_delay_alu instid0(SALU_CYCLE_1)
	s_cmp_eq_u64 s[6:7], s[2:3]
	s_cbranch_scc0 .LBB119_5
	s_branch .LBB119_236
.LBB119_4:
	s_mov_b32 s2, s14
	s_delay_alu instid0(SALU_CYCLE_1)
	s_ashr_i32 s3, s2, 31
	s_waitcnt lgkmcnt(0)
	s_cmp_eq_u64 s[6:7], s[2:3]
	s_cbranch_scc1 .LBB119_236
.LBB119_5:
	s_clause 0x1
	s_load_b512 s[16:31], s[0:1], 0x88
	s_load_b64 s[64:65], s[0:1], 0x8
	s_mov_b32 s68, 0
	s_mov_b32 s69, 0
	s_waitcnt lgkmcnt(0)
	s_cmp_eq_u64 s[22:23], 0
	s_cbranch_scc1 .LBB119_7
; %bb.6:
	s_ashr_i32 s13, s12, 31
	s_delay_alu instid0(SALU_CYCLE_1) | instskip(NEXT) | instid1(SALU_CYCLE_1)
	s_lshl_b64 s[4:5], s[12:13], 2
	s_add_u32 s4, s22, s4
	s_addc_u32 s5, s23, s5
	s_load_b32 s69, s[4:5], 0x0
.LBB119_7:
	s_cmp_eq_u64 s[28:29], 0
	s_cbranch_scc1 .LBB119_9
; %bb.8:
	s_ashr_i32 s13, s12, 31
	s_delay_alu instid0(SALU_CYCLE_1) | instskip(NEXT) | instid1(SALU_CYCLE_1)
	s_lshl_b64 s[4:5], s[12:13], 2
	s_add_u32 s4, s28, s4
	s_addc_u32 s5, s29, s5
	s_load_b32 s68, s[4:5], 0x0
.LBB119_9:
	s_cmp_lt_i32 s64, 1
	s_cbranch_scc1 .LBB119_236
; %bb.10:
	s_sub_i32 s3, 0, s8
	s_clause 0x1
	s_load_b64 s[4:5], s[0:1], 0x5c
	s_load_b128 s[56:59], s[0:1], 0x4c
	s_mul_i32 s3, s3, s10
	s_abs_i32 s6, s12
	s_mul_hi_u32 s3, s10, s3
	s_ashr_i32 s9, s9, 31
	s_add_i32 s10, s10, s3
	s_ashr_i32 s3, s12, 31
	s_mul_hi_u32 s7, s6, s10
	s_xor_b32 s3, s3, s9
	s_mul_i32 s10, s7, s8
	s_add_i32 s9, s7, 1
	s_sub_i32 s6, s6, s10
	s_load_b256 s[48:55], s[0:1], 0x2c
	s_sub_i32 s10, s6, s8
	s_cmp_ge_u32 s6, s8
	s_mov_b32 s67, 0
	s_cselect_b32 s7, s9, s7
	s_cselect_b32 s6, s10, s6
	s_add_i32 s9, s7, 1
	s_cmp_ge_u32 s6, s8
	s_waitcnt lgkmcnt(0)
	s_mul_i32 s66, s58, s14
	s_cselect_b32 s6, s9, s7
	s_clause 0x1
	s_load_b128 s[60:63], s[0:1], 0x7c
	s_load_b64 s[10:11], s[0:1], 0x6c
	s_xor_b32 s8, s6, s3
	s_lshl_b64 s[6:7], s[66:67], 1
	s_sub_i32 s3, s8, s3
	s_mul_i32 s66, s59, s12
	s_add_u32 s8, s24, s6
	s_addc_u32 s9, s25, s7
	s_lshl_b64 s[6:7], s[66:67], 1
	s_mul_i32 s66, s4, s14
	s_add_u32 s70, s8, s6
	s_addc_u32 s71, s9, s7
	s_lshl_b64 s[6:7], s[66:67], 1
	;; [unrolled: 4-line block ×3, first 2 shown]
	v_dual_mov_b32 v21, 0 :: v_dual_lshlrev_b32 v18, 4, v0
	s_add_u32 s72, s6, s4
	s_mul_i32 s66, s48, s12
	s_addc_u32 s48, s7, s5
	s_load_b64 s[6:7], s[0:1], 0xc8
	s_lshl_b64 s[4:5], s[66:67], 2
	v_mbcnt_lo_u32_b32 v19, -1, 0
	v_and_b32_e32 v1, 0x200, v18
	s_mul_i32 s66, s50, s14
	s_add_u32 s73, s16, s4
	s_waitcnt lgkmcnt(0)
	s_addc_u32 s63, s17, s5
	s_lshl_b64 s[4:5], s[66:67], 1
	s_mul_i32 s66, s3, s53
	s_load_b32 s0, s[0:1], 0x28
	s_add_u32 s8, s18, s4
	v_or_b32_e32 v20, v19, v1
	s_addc_u32 s9, s19, s5
	s_lshl_b64 s[4:5], s[66:67], 1
	s_mul_i32 s66, s54, s14
	s_add_u32 s53, s8, s4
	s_addc_u32 s74, s9, s5
	s_lshl_b64 s[4:5], s[66:67], 1
	s_mul_i32 s66, s3, s57
	v_or_b32_e32 v24, 0x60, v20
	v_and_b32_e32 v14, 32, v0
	s_add_u32 s8, s20, s4
	s_addc_u32 s3, s21, s5
	s_lshl_b64 s[4:5], s[66:67], 1
	s_mul_i32 s66, s2, s60
	s_add_u32 s57, s8, s4
	s_addc_u32 s75, s3, s5
	s_lshl_b64 s[2:3], s[66:67], 2
	v_or_b32_e32 v26, 0xa0, v20
	v_or_b32_e32 v28, 0xe0, v20
	;; [unrolled: 1-line block ×5, first 2 shown]
	v_lshrrev_b32_e32 v2, 5, v24
	v_or_b32_e32 v36, 0x1e0, v20
	v_or_b32_e32 v16, v19, v14
	s_mul_i32 s66, s61, s12
	s_add_u32 s4, s6, s2
	s_addc_u32 s5, s7, s3
	s_lshl_b64 s[2:3], s[66:67], 2
	v_or_b32_e32 v23, 64, v20
	s_add_u32 s76, s4, s2
	v_or_b32_e32 v25, 0x80, v20
	v_or_b32_e32 v27, 0xc0, v20
	;; [unrolled: 1-line block ×6, first 2 shown]
	v_and_b32_e32 v2, 18, v2
	v_lshrrev_b32_e32 v5, 5, v26
	v_lshrrev_b32_e32 v8, 5, v28
	;; [unrolled: 1-line block ×6, first 2 shown]
	v_lshrrev_b16 v50, 1, v16
	s_addc_u32 s77, s5, s3
	s_add_i32 s2, s64, 0x7ff
	v_lshrrev_b32_e32 v3, 5, v1
	s_lshr_b32 s78, s2, 11
	s_waitcnt lgkmcnt(0)
	s_bitcmp1_b32 s0, 0
	v_lshrrev_b32_e32 v4, 5, v23
	v_lshrrev_b32_e32 v6, 5, v25
	v_add_lshl_u32 v2, v2, v20, 1
	v_and_b32_e32 v5, 20, v5
	v_lshrrev_b32_e32 v7, 5, v27
	v_and_b32_e32 v8, 22, v8
	v_lshrrev_b32_e32 v10, 5, v29
	;; [unrolled: 2-line block ×5, first 2 shown]
	v_and_b32_e32 v51, 30, v49
	v_lshlrev_b32_e32 v16, 4, v16
	v_and_b32_e32 v52, 30, v50
	s_cselect_b32 s79, -1, 0
	s_cmp_gt_i32 s65, 0
	v_add_lshl_u32 v3, v3, v20, 1
	s_cselect_b32 s80, -1, 0
	s_add_i32 s0, 0, 0x840
	v_add_lshl_u32 v4, v4, v20, 1
	v_add_lshl_u32 v6, v6, v20, 1
	v_add_nc_u32_e32 v39, 0, v2
	v_add_lshl_u32 v5, v5, v20, 1
	v_add_lshl_u32 v7, v7, v20, 1
	;; [unrolled: 1-line block ×12, first 2 shown]
	v_add_nc_u32_e32 v55, s0, v2
	v_and_b32_e32 v2, 15, v19
	s_and_b32 s1, s64, 0x3ff
	v_add_nc_u32_e32 v51, 0, v67
	v_add_nc_u32_e32 v53, s0, v3
	;; [unrolled: 1-line block ×15, first 2 shown]
	s_cmp_eq_u32 s1, 0
	v_add_nc_u32_e32 v68, s0, v16
	v_cmp_ne_u32_e64 s0, 0, v2
	v_cmp_lt_u32_e64 s1, 1, v2
	v_cmp_lt_u32_e64 s2, 3, v2
	;; [unrolled: 1-line block ×3, first 2 shown]
	v_add_nc_u32_e32 v2, -1, v19
	v_add_nc_u32_e32 v37, 0, v3
	v_lshrrev_b32_e32 v3, 2, v0
	v_add_nc_u32_e32 v41, 0, v5
	v_or_b32_e32 v5, 31, v14
	v_cmp_gt_i32_e32 vcc_lo, 0, v2
	s_mul_i32 s66, s10, s14
	v_and_b32_e32 v3, 8, v3
	s_cselect_b32 s81, -1, 0
	s_lshl_b64 s[14:15], s[66:67], 1
	v_cndmask_b32_e32 v2, v2, v19, vcc_lo
	s_add_i32 s82, s78, -1
	s_mul_i32 s66, s11, s12
	v_cmp_eq_u32_e64 s5, v5, v0
	v_cmp_gt_u32_e64 s6, 2, v0
	v_lshl_add_u32 v70, v0, 3, 0
	v_cmp_gt_u32_e64 s8, 32, v0
	v_cmp_lt_u32_e64 s9, 31, v0
	v_cmp_eq_u32_e64 s10, 0, v0
	s_add_u32 s14, s30, s14
	v_lshlrev_b32_e32 v0, 1, v19
	s_addc_u32 s11, s31, s15
	s_lshl_b64 s[12:13], s[66:67], 1
	v_add_nc_u32_e32 v69, 0, v3
	v_and_b32_e32 v3, 1, v19
	s_add_u32 s12, s14, s12
	v_lshlrev_b32_e32 v71, 2, v2
	s_addc_u32 s11, s11, s13
	v_lshlrev_b32_e32 v2, 1, v1
	v_add_co_u32 v0, s12, s12, v0
	v_add_nc_u32_e32 v38, 0, v4
	v_and_b32_e32 v4, 16, v19
	v_cmp_eq_u32_e64 s7, 0, v3
	v_add_co_ci_u32_e64 v3, null, s11, 0, s12
	v_add_co_u32 v72, vcc_lo, v0, v2
	v_or_b32_e32 v22, 32, v20
	v_add_nc_u32_e32 v40, 0, v6
	v_add_nc_u32_e32 v42, 0, v7
	;; [unrolled: 1-line block ×11, first 2 shown]
	v_cmp_ne_u32_e64 s4, 0, v4
	v_cmp_eq_u32_e64 s11, 0, v19
	v_add_co_ci_u32_e32 v73, vcc_lo, 0, v3, vcc_lo
	v_or_b32_e32 v74, 1, v18
	v_or_b32_e32 v75, 2, v18
	;; [unrolled: 1-line block ×15, first 2 shown]
	v_lshlrev_b32_e32 v89, 1, v1
	s_mov_b32 s83, 0x3e9b6dac
	s_add_i32 s84, 0, 0x1090
	s_mov_b32 s85, 0
	s_branch .LBB119_12
.LBB119_11:                             ;   in Loop: Header=BB119_12 Depth=1
	s_or_b32 exec_lo, exec_lo, s12
	s_add_u32 s72, s72, 0x800
	s_addc_u32 s48, s48, 0
	s_add_u32 s70, s70, 0x800
	s_addc_u32 s71, s71, 0
	;; [unrolled: 2-line block ×4, first 2 shown]
	s_add_i32 s85, s85, 1
	s_delay_alu instid0(SALU_CYCLE_1)
	s_cmp_eq_u32 s85, s78
	s_cbranch_scc1 .LBB119_236
.LBB119_12:                             ; =>This Loop Header: Depth=1
                                        ;     Child Loop BB119_109 Depth 2
	s_waitcnt lgkmcnt(14)
	v_lshlrev_b32_e32 v16, 1, v19
	s_lshl_b32 s50, s85, 10
	s_waitcnt lgkmcnt(0)
	v_mov_b32_e32 v2, 0
	s_sub_i32 s40, s64, s50
	v_add_co_u32 v0, s12, s70, v16
	s_delay_alu instid0(VALU_DEP_1) | instskip(SKIP_1) | instid1(VALU_DEP_3)
	v_add_co_ci_u32_e64 v1, null, s71, 0, s12
	v_cmp_gt_u32_e64 s12, s40, v20
	v_add_co_u32 v0, vcc_lo, v0, v89
	s_delay_alu instid0(VALU_DEP_3)
	v_add_co_ci_u32_e32 v1, vcc_lo, 0, v1, vcc_lo
	s_waitcnt_vscnt null, 0x0
	s_barrier
	buffer_gl0_inv
	s_and_saveexec_b32 s13, s12
	s_cbranch_execz .LBB119_14
; %bb.13:                               ;   in Loop: Header=BB119_12 Depth=1
	global_load_u16 v2, v[0:1], off
.LBB119_14:                             ;   in Loop: Header=BB119_12 Depth=1
	s_or_b32 exec_lo, exec_lo, s13
	v_cmp_gt_u32_e64 s13, s40, v22
	v_dual_mov_b32 v3, 0 :: v_dual_mov_b32 v4, 0
	s_delay_alu instid0(VALU_DEP_2)
	s_and_saveexec_b32 s14, s13
	s_cbranch_execz .LBB119_16
; %bb.15:                               ;   in Loop: Header=BB119_12 Depth=1
	global_load_u16 v4, v[0:1], off offset:64
.LBB119_16:                             ;   in Loop: Header=BB119_12 Depth=1
	s_or_b32 exec_lo, exec_lo, s14
	v_cmp_gt_u32_e64 s14, s40, v23
	s_delay_alu instid0(VALU_DEP_1)
	s_and_saveexec_b32 s15, s14
	s_cbranch_execz .LBB119_18
; %bb.17:                               ;   in Loop: Header=BB119_12 Depth=1
	global_load_u16 v3, v[0:1], off offset:128
.LBB119_18:                             ;   in Loop: Header=BB119_12 Depth=1
	s_or_b32 exec_lo, exec_lo, s15
	v_cmp_gt_u32_e64 s15, s40, v24
	v_dual_mov_b32 v5, 0 :: v_dual_mov_b32 v6, 0
	s_delay_alu instid0(VALU_DEP_2)
	s_and_saveexec_b32 s16, s15
	s_cbranch_execz .LBB119_20
; %bb.19:                               ;   in Loop: Header=BB119_12 Depth=1
	global_load_u16 v6, v[0:1], off offset:192
.LBB119_20:                             ;   in Loop: Header=BB119_12 Depth=1
	s_or_b32 exec_lo, exec_lo, s16
	v_cmp_gt_u32_e64 s16, s40, v25
	s_delay_alu instid0(VALU_DEP_1)
	s_and_saveexec_b32 s17, s16
	s_cbranch_execz .LBB119_22
; %bb.21:                               ;   in Loop: Header=BB119_12 Depth=1
	global_load_u16 v5, v[0:1], off offset:256
.LBB119_22:                             ;   in Loop: Header=BB119_12 Depth=1
	;; [unrolled: 17-line block ×3, first 2 shown]
	s_or_b32 exec_lo, exec_lo, s19
	v_cmp_gt_u32_e64 s19, s40, v28
	v_mov_b32_e32 v9, 0
	v_mov_b32_e32 v11, 0
	s_delay_alu instid0(VALU_DEP_3)
	s_and_saveexec_b32 s20, s19
	s_cbranch_execz .LBB119_28
; %bb.27:                               ;   in Loop: Header=BB119_12 Depth=1
	global_load_u16 v11, v[0:1], off offset:448
.LBB119_28:                             ;   in Loop: Header=BB119_12 Depth=1
	s_or_b32 exec_lo, exec_lo, s20
	v_cmp_gt_u32_e64 s20, s40, v29
	s_delay_alu instid0(VALU_DEP_1)
	s_and_saveexec_b32 s21, s20
	s_cbranch_execz .LBB119_30
; %bb.29:                               ;   in Loop: Header=BB119_12 Depth=1
	global_load_u16 v9, v[0:1], off offset:512
.LBB119_30:                             ;   in Loop: Header=BB119_12 Depth=1
	s_or_b32 exec_lo, exec_lo, s21
	v_cmp_gt_u32_e64 s21, s40, v30
	v_dual_mov_b32 v12, 0 :: v_dual_mov_b32 v13, 0
	s_delay_alu instid0(VALU_DEP_2)
	s_and_saveexec_b32 s22, s21
	s_cbranch_execz .LBB119_32
; %bb.31:                               ;   in Loop: Header=BB119_12 Depth=1
	global_load_u16 v13, v[0:1], off offset:576
.LBB119_32:                             ;   in Loop: Header=BB119_12 Depth=1
	s_or_b32 exec_lo, exec_lo, s22
	v_cmp_gt_u32_e64 s22, s40, v31
	s_delay_alu instid0(VALU_DEP_1)
	s_and_saveexec_b32 s23, s22
	s_cbranch_execz .LBB119_34
; %bb.33:                               ;   in Loop: Header=BB119_12 Depth=1
	global_load_u16 v12, v[0:1], off offset:640
.LBB119_34:                             ;   in Loop: Header=BB119_12 Depth=1
	s_or_b32 exec_lo, exec_lo, s23
	v_cmp_gt_u32_e64 s23, s40, v32
	v_dual_mov_b32 v14, 0 :: v_dual_mov_b32 v15, 0
	s_delay_alu instid0(VALU_DEP_2)
	;; [unrolled: 17-line block ×4, first 2 shown]
	s_and_saveexec_b32 s28, s27
	s_cbranch_execz .LBB119_44
; %bb.43:                               ;   in Loop: Header=BB119_12 Depth=1
	global_load_u16 v91, v[0:1], off offset:960
.LBB119_44:                             ;   in Loop: Header=BB119_12 Depth=1
	s_or_b32 exec_lo, exec_lo, s28
	s_waitcnt vmcnt(0)
	ds_store_b16 v37, v2
	ds_store_b16 v37, v4 offset:64
	ds_store_b16 v38, v3 offset:128
	;; [unrolled: 1-line block ×15, first 2 shown]
	; wave barrier
	ds_load_b128 v[0:3], v52
	ds_load_b128 v[4:7], v52 offset:16
	v_add_co_u32 v8, s28, s72, v16
	s_delay_alu instid0(VALU_DEP_1) | instskip(SKIP_1) | instid1(VALU_DEP_2)
	v_add_co_ci_u32_e64 v9, null, s48, 0, s28
	s_waitcnt lgkmcnt(0)
	v_add_co_u32 v8, vcc_lo, v8, v89
	s_delay_alu instid0(VALU_DEP_2)
	v_add_co_ci_u32_e32 v9, vcc_lo, 0, v9, vcc_lo
	s_barrier
	buffer_gl0_inv
	s_and_saveexec_b32 s28, s12
	s_cbranch_execz .LBB119_46
; %bb.45:                               ;   in Loop: Header=BB119_12 Depth=1
	global_load_u16 v10, v[8:9], off
.LBB119_46:                             ;   in Loop: Header=BB119_12 Depth=1
	s_or_b32 exec_lo, exec_lo, s28
	v_dual_mov_b32 v11, 0 :: v_dual_mov_b32 v12, 0
	s_and_saveexec_b32 s28, s13
	s_cbranch_execz .LBB119_48
; %bb.47:                               ;   in Loop: Header=BB119_12 Depth=1
	global_load_u16 v12, v[8:9], off offset:64
.LBB119_48:                             ;   in Loop: Header=BB119_12 Depth=1
	s_or_b32 exec_lo, exec_lo, s28
	s_and_saveexec_b32 s28, s14
	s_cbranch_execz .LBB119_50
; %bb.49:                               ;   in Loop: Header=BB119_12 Depth=1
	global_load_u16 v11, v[8:9], off offset:128
.LBB119_50:                             ;   in Loop: Header=BB119_12 Depth=1
	s_or_b32 exec_lo, exec_lo, s28
	v_dual_mov_b32 v13, 0 :: v_dual_mov_b32 v14, 0
	s_and_saveexec_b32 s28, s15
	s_cbranch_execz .LBB119_52
; %bb.51:                               ;   in Loop: Header=BB119_12 Depth=1
	global_load_u16 v14, v[8:9], off offset:192
.LBB119_52:                             ;   in Loop: Header=BB119_12 Depth=1
	s_or_b32 exec_lo, exec_lo, s28
	s_and_saveexec_b32 s28, s16
	s_cbranch_execz .LBB119_54
; %bb.53:                               ;   in Loop: Header=BB119_12 Depth=1
	global_load_u16 v13, v[8:9], off offset:256
.LBB119_54:                             ;   in Loop: Header=BB119_12 Depth=1
	s_or_b32 exec_lo, exec_lo, s28
	v_mov_b32_e32 v15, 0
	v_mov_b32_e32 v17, 0
	s_and_saveexec_b32 s28, s17
	s_cbranch_execz .LBB119_56
; %bb.55:                               ;   in Loop: Header=BB119_12 Depth=1
	global_load_u16 v17, v[8:9], off offset:320
.LBB119_56:                             ;   in Loop: Header=BB119_12 Depth=1
	s_or_b32 exec_lo, exec_lo, s28
	s_and_saveexec_b32 s28, s18
	s_cbranch_execz .LBB119_58
; %bb.57:                               ;   in Loop: Header=BB119_12 Depth=1
	global_load_u16 v15, v[8:9], off offset:384
.LBB119_58:                             ;   in Loop: Header=BB119_12 Depth=1
	s_or_b32 exec_lo, exec_lo, s28
	v_dual_mov_b32 v90, 0 :: v_dual_mov_b32 v91, 0
	s_and_saveexec_b32 s28, s19
	s_cbranch_execz .LBB119_60
; %bb.59:                               ;   in Loop: Header=BB119_12 Depth=1
	global_load_u16 v91, v[8:9], off offset:448
.LBB119_60:                             ;   in Loop: Header=BB119_12 Depth=1
	s_or_b32 exec_lo, exec_lo, s28
	s_and_saveexec_b32 s28, s20
	s_cbranch_execz .LBB119_62
; %bb.61:                               ;   in Loop: Header=BB119_12 Depth=1
	global_load_u16 v90, v[8:9], off offset:512
.LBB119_62:                             ;   in Loop: Header=BB119_12 Depth=1
	s_or_b32 exec_lo, exec_lo, s28
	v_dual_mov_b32 v92, 0 :: v_dual_mov_b32 v93, 0
	;; [unrolled: 13-line block ×4, first 2 shown]
	s_and_saveexec_b32 s28, s25
	s_cbranch_execnz .LBB119_218
; %bb.71:                               ;   in Loop: Header=BB119_12 Depth=1
	s_or_b32 exec_lo, exec_lo, s28
	s_and_saveexec_b32 s28, s26
	s_cbranch_execnz .LBB119_219
.LBB119_72:                             ;   in Loop: Header=BB119_12 Depth=1
	s_or_b32 exec_lo, exec_lo, s28
	v_mov_b32_e32 v98, 0
	s_and_saveexec_b32 s28, s27
	s_cbranch_execz .LBB119_74
.LBB119_73:                             ;   in Loop: Header=BB119_12 Depth=1
	global_load_u16 v98, v[8:9], off offset:960
.LBB119_74:                             ;   in Loop: Header=BB119_12 Depth=1
	s_or_b32 exec_lo, exec_lo, s28
	s_waitcnt vmcnt(0)
	ds_store_b16 v37, v10
	ds_store_b16 v37, v12 offset:64
	ds_store_b16 v38, v11 offset:128
	;; [unrolled: 1-line block ×15, first 2 shown]
	; wave barrier
	ds_load_b128 v[12:15], v52
	ds_load_b128 v[8:11], v52 offset:16
	s_waitcnt lgkmcnt(1)
	v_cvt_f32_f16_e32 v17, v12
	s_delay_alu instid0(VALU_DEP_1) | instskip(NEXT) | instid1(VALU_DEP_1)
	v_add_f32_e32 v90, s68, v17
	v_cmp_ge_f32_e32 vcc_lo, 0x41a00000, v90
	s_and_b32 s28, s79, vcc_lo
	s_delay_alu instid0(SALU_CYCLE_1)
	s_and_saveexec_b32 s29, s28
	s_cbranch_execz .LBB119_76
; %bb.75:                               ;   in Loop: Header=BB119_12 Depth=1
	v_mul_f32_e32 v17, 0x3fb8aa3b, v90
	v_cmp_ngt_f32_e32 vcc_lo, 0xc2ce8ed0, v90
	s_delay_alu instid0(VALU_DEP_2) | instskip(SKIP_1) | instid1(VALU_DEP_1)
	v_rndne_f32_e32 v91, v17
	v_fma_f32 v92, 0x3fb8aa3b, v90, -v17
	v_dual_sub_f32 v17, v17, v91 :: v_dual_fmac_f32 v92, 0x32a5705f, v90
	v_cvt_i32_f32_e32 v91, v91
	s_delay_alu instid0(VALU_DEP_2) | instskip(NEXT) | instid1(VALU_DEP_1)
	v_add_f32_e32 v17, v17, v92
	v_exp_f32_e32 v17, v17
	s_waitcnt_depctr 0xfff
	v_ldexp_f32 v17, v17, v91
	s_delay_alu instid0(VALU_DEP_1) | instskip(SKIP_1) | instid1(VALU_DEP_2)
	v_cndmask_b32_e32 v17, 0, v17, vcc_lo
	v_cmp_nlt_f32_e32 vcc_lo, 0x42b17218, v90
	v_cndmask_b32_e32 v17, 0x7f800000, v17, vcc_lo
	s_delay_alu instid0(VALU_DEP_1) | instskip(NEXT) | instid1(VALU_DEP_1)
	v_add_f32_e32 v92, 1.0, v17
	v_cvt_f64_f32_e32 v[90:91], v92
	s_delay_alu instid0(VALU_DEP_1) | instskip(SKIP_1) | instid1(VALU_DEP_1)
	v_frexp_exp_i32_f64_e32 v90, v[90:91]
	v_frexp_mant_f32_e32 v91, v92
	v_cmp_gt_f32_e32 vcc_lo, 0x3f2aaaab, v91
	v_add_f32_e32 v91, -1.0, v92
	s_delay_alu instid0(VALU_DEP_1) | instskip(NEXT) | instid1(VALU_DEP_1)
	v_dual_sub_f32 v94, v91, v92 :: v_dual_sub_f32 v91, v17, v91
	v_add_f32_e32 v94, 1.0, v94
	v_subrev_co_ci_u32_e32 v90, vcc_lo, 0, v90, vcc_lo
	s_delay_alu instid0(VALU_DEP_1) | instskip(SKIP_1) | instid1(VALU_DEP_2)
	v_sub_nc_u32_e32 v93, 0, v90
	v_cvt_f32_i32_e32 v90, v90
	v_ldexp_f32 v92, v92, v93
	v_add_f32_e32 v91, v91, v94
	s_delay_alu instid0(VALU_DEP_1) | instskip(NEXT) | instid1(VALU_DEP_3)
	v_ldexp_f32 v91, v91, v93
	v_add_f32_e32 v95, 1.0, v92
	s_delay_alu instid0(VALU_DEP_1) | instskip(NEXT) | instid1(VALU_DEP_1)
	v_add_f32_e32 v94, -1.0, v95
	v_sub_f32_e32 v94, v92, v94
	v_cmp_eq_f32_e32 vcc_lo, 0x7f800000, v17
	v_cmp_gt_f32_e64 s28, 0x33800000, v17
	s_delay_alu instid0(VALU_DEP_3) | instskip(NEXT) | instid1(VALU_DEP_2)
	v_dual_add_f32 v94, v91, v94 :: v_dual_add_f32 v93, -1.0, v92
	s_or_b32 vcc_lo, s28, vcc_lo
	s_delay_alu instid0(VALU_DEP_1) | instskip(NEXT) | instid1(VALU_DEP_1)
	v_add_f32_e32 v96, 1.0, v93
	v_sub_f32_e32 v92, v92, v96
	s_delay_alu instid0(VALU_DEP_3) | instskip(NEXT) | instid1(VALU_DEP_1)
	v_add_f32_e32 v96, v95, v94
	v_sub_f32_e32 v95, v95, v96
	s_delay_alu instid0(VALU_DEP_3) | instskip(SKIP_1) | instid1(VALU_DEP_2)
	v_add_f32_e32 v91, v91, v92
	v_rcp_f32_e32 v92, v96
	v_add_f32_e32 v94, v94, v95
	s_delay_alu instid0(VALU_DEP_2) | instskip(NEXT) | instid1(VALU_DEP_1)
	v_add_f32_e32 v97, v93, v91
	v_sub_f32_e32 v93, v93, v97
	s_waitcnt_depctr 0xfff
	v_dual_mul_f32 v98, v97, v92 :: v_dual_add_f32 v91, v91, v93
	s_delay_alu instid0(VALU_DEP_1) | instskip(NEXT) | instid1(VALU_DEP_1)
	v_mul_f32_e32 v99, v96, v98
	v_fma_f32 v95, v98, v96, -v99
	s_delay_alu instid0(VALU_DEP_1) | instskip(NEXT) | instid1(VALU_DEP_1)
	v_fmac_f32_e32 v95, v98, v94
	v_add_f32_e32 v100, v99, v95
	s_delay_alu instid0(VALU_DEP_1) | instskip(NEXT) | instid1(VALU_DEP_1)
	v_sub_f32_e32 v101, v97, v100
	v_sub_f32_e32 v97, v97, v101
	;; [unrolled: 1-line block ×3, first 2 shown]
	s_delay_alu instid0(VALU_DEP_2) | instskip(NEXT) | instid1(VALU_DEP_2)
	v_sub_f32_e32 v97, v97, v100
	v_sub_f32_e32 v93, v93, v95
	s_delay_alu instid0(VALU_DEP_2) | instskip(NEXT) | instid1(VALU_DEP_1)
	v_add_f32_e32 v91, v91, v97
	v_add_f32_e32 v91, v93, v91
	s_delay_alu instid0(VALU_DEP_1) | instskip(NEXT) | instid1(VALU_DEP_1)
	v_add_f32_e32 v93, v101, v91
	v_mul_f32_e32 v95, v92, v93
	s_delay_alu instid0(VALU_DEP_1) | instskip(NEXT) | instid1(VALU_DEP_1)
	v_dual_sub_f32 v100, v101, v93 :: v_dual_mul_f32 v97, v96, v95
	v_add_f32_e32 v91, v91, v100
	s_delay_alu instid0(VALU_DEP_2) | instskip(NEXT) | instid1(VALU_DEP_1)
	v_fma_f32 v96, v95, v96, -v97
	v_fmac_f32_e32 v96, v95, v94
	s_delay_alu instid0(VALU_DEP_1) | instskip(NEXT) | instid1(VALU_DEP_1)
	v_add_f32_e32 v94, v97, v96
	v_sub_f32_e32 v99, v93, v94
	v_sub_f32_e32 v97, v94, v97
	s_delay_alu instid0(VALU_DEP_2) | instskip(NEXT) | instid1(VALU_DEP_1)
	v_sub_f32_e32 v93, v93, v99
	v_sub_f32_e32 v93, v93, v94
	s_delay_alu instid0(VALU_DEP_1) | instskip(SKIP_1) | instid1(VALU_DEP_1)
	v_dual_sub_f32 v94, v97, v96 :: v_dual_add_f32 v91, v91, v93
	v_add_f32_e32 v93, v98, v95
	v_dual_add_f32 v91, v94, v91 :: v_dual_sub_f32 v94, v93, v98
	s_delay_alu instid0(VALU_DEP_1) | instskip(NEXT) | instid1(VALU_DEP_1)
	v_add_f32_e32 v91, v99, v91
	v_dual_sub_f32 v94, v95, v94 :: v_dual_mul_f32 v91, v92, v91
	s_delay_alu instid0(VALU_DEP_1) | instskip(NEXT) | instid1(VALU_DEP_1)
	v_add_f32_e32 v91, v94, v91
	v_add_f32_e32 v92, v93, v91
	s_delay_alu instid0(VALU_DEP_1) | instskip(NEXT) | instid1(VALU_DEP_1)
	v_mul_f32_e32 v94, v92, v92
	v_fmaak_f32 v95, s83, v94, 0x3ecc95a3
	v_mul_f32_e32 v96, v92, v94
	s_delay_alu instid0(VALU_DEP_2) | instskip(SKIP_2) | instid1(VALU_DEP_3)
	v_fmaak_f32 v94, v94, v95, 0x3f2aaada
	v_ldexp_f32 v95, v92, 1
	v_sub_f32_e32 v92, v92, v93
	v_mul_f32_e32 v94, v96, v94
	s_delay_alu instid0(VALU_DEP_2) | instskip(NEXT) | instid1(VALU_DEP_2)
	v_dual_mul_f32 v96, 0x3f317218, v90 :: v_dual_sub_f32 v91, v91, v92
	v_add_f32_e32 v93, v95, v94
	s_delay_alu instid0(VALU_DEP_2) | instskip(NEXT) | instid1(VALU_DEP_2)
	v_ldexp_f32 v91, v91, 1
	v_sub_f32_e32 v92, v93, v95
	s_delay_alu instid0(VALU_DEP_4) | instskip(NEXT) | instid1(VALU_DEP_1)
	v_fma_f32 v95, 0x3f317218, v90, -v96
	v_dual_sub_f32 v92, v94, v92 :: v_dual_fmac_f32 v95, 0xb102e308, v90
	s_delay_alu instid0(VALU_DEP_1) | instskip(NEXT) | instid1(VALU_DEP_1)
	v_dual_add_f32 v90, v91, v92 :: v_dual_add_f32 v91, v96, v95
	v_add_f32_e32 v92, v93, v90
	s_delay_alu instid0(VALU_DEP_2) | instskip(NEXT) | instid1(VALU_DEP_2)
	v_sub_f32_e32 v96, v91, v96
	v_dual_add_f32 v94, v91, v92 :: v_dual_sub_f32 v93, v92, v93
	s_delay_alu instid0(VALU_DEP_2) | instskip(NEXT) | instid1(VALU_DEP_2)
	v_sub_f32_e32 v95, v95, v96
	v_sub_f32_e32 v97, v94, v91
	s_delay_alu instid0(VALU_DEP_3) | instskip(NEXT) | instid1(VALU_DEP_2)
	v_sub_f32_e32 v90, v90, v93
	v_sub_f32_e32 v98, v94, v97
	s_delay_alu instid0(VALU_DEP_2) | instskip(NEXT) | instid1(VALU_DEP_2)
	v_dual_sub_f32 v92, v92, v97 :: v_dual_add_f32 v93, v95, v90
	v_sub_f32_e32 v91, v91, v98
	s_delay_alu instid0(VALU_DEP_1) | instskip(NEXT) | instid1(VALU_DEP_3)
	v_add_f32_e32 v91, v92, v91
	v_sub_f32_e32 v92, v93, v95
	s_delay_alu instid0(VALU_DEP_2) | instskip(NEXT) | instid1(VALU_DEP_2)
	v_add_f32_e32 v91, v93, v91
	v_sub_f32_e32 v93, v93, v92
	v_sub_f32_e32 v90, v90, v92
	s_delay_alu instid0(VALU_DEP_2) | instskip(NEXT) | instid1(VALU_DEP_1)
	v_dual_add_f32 v96, v94, v91 :: v_dual_sub_f32 v93, v95, v93
	v_sub_f32_e32 v92, v96, v94
	s_delay_alu instid0(VALU_DEP_1) | instskip(NEXT) | instid1(VALU_DEP_1)
	v_dual_add_f32 v90, v90, v93 :: v_dual_sub_f32 v91, v91, v92
	v_add_f32_e32 v90, v90, v91
	s_delay_alu instid0(VALU_DEP_1) | instskip(NEXT) | instid1(VALU_DEP_1)
	v_add_f32_e32 v90, v96, v90
	v_cndmask_b32_e32 v90, v90, v17, vcc_lo
.LBB119_76:                             ;   in Loop: Header=BB119_12 Depth=1
	s_or_b32 exec_lo, exec_lo, s29
	v_lshrrev_b32_e32 v12, 16, v12
	s_delay_alu instid0(VALU_DEP_1) | instskip(NEXT) | instid1(VALU_DEP_1)
	v_cvt_f32_f16_e32 v12, v12
	v_add_f32_e32 v91, s68, v12
	s_delay_alu instid0(VALU_DEP_1) | instskip(SKIP_1) | instid1(SALU_CYCLE_1)
	v_cmp_ge_f32_e32 vcc_lo, 0x41a00000, v91
	s_and_b32 s28, s79, vcc_lo
	s_and_saveexec_b32 s29, s28
	s_cbranch_execz .LBB119_78
; %bb.77:                               ;   in Loop: Header=BB119_12 Depth=1
	v_mul_f32_e32 v12, 0x3fb8aa3b, v91
	v_cmp_ngt_f32_e32 vcc_lo, 0xc2ce8ed0, v91
	s_delay_alu instid0(VALU_DEP_2) | instskip(SKIP_1) | instid1(VALU_DEP_2)
	v_rndne_f32_e32 v17, v12
	v_fma_f32 v92, 0x3fb8aa3b, v91, -v12
	v_sub_f32_e32 v12, v12, v17
	s_delay_alu instid0(VALU_DEP_2) | instskip(SKIP_1) | instid1(VALU_DEP_2)
	v_fmac_f32_e32 v92, 0x32a5705f, v91
	v_cvt_i32_f32_e32 v17, v17
	v_add_f32_e32 v12, v12, v92
	s_delay_alu instid0(VALU_DEP_1) | instskip(SKIP_2) | instid1(VALU_DEP_1)
	v_exp_f32_e32 v12, v12
	s_waitcnt_depctr 0xfff
	v_ldexp_f32 v12, v12, v17
	v_cndmask_b32_e32 v12, 0, v12, vcc_lo
	v_cmp_nlt_f32_e32 vcc_lo, 0x42b17218, v91
	s_delay_alu instid0(VALU_DEP_2) | instskip(NEXT) | instid1(VALU_DEP_1)
	v_cndmask_b32_e32 v12, 0x7f800000, v12, vcc_lo
	v_add_f32_e32 v17, 1.0, v12
	s_delay_alu instid0(VALU_DEP_1) | instskip(NEXT) | instid1(VALU_DEP_1)
	v_cvt_f64_f32_e32 v[91:92], v17
	v_frexp_exp_i32_f64_e32 v91, v[91:92]
	v_frexp_mant_f32_e32 v92, v17
	s_delay_alu instid0(VALU_DEP_1) | instskip(SKIP_1) | instid1(VALU_DEP_1)
	v_cmp_gt_f32_e32 vcc_lo, 0x3f2aaaab, v92
	v_add_f32_e32 v92, -1.0, v17
	v_sub_f32_e32 v94, v92, v17
	v_sub_f32_e32 v92, v12, v92
	s_delay_alu instid0(VALU_DEP_2) | instskip(NEXT) | instid1(VALU_DEP_1)
	v_add_f32_e32 v94, 1.0, v94
	v_add_f32_e32 v92, v92, v94
	v_subrev_co_ci_u32_e32 v91, vcc_lo, 0, v91, vcc_lo
	s_delay_alu instid0(VALU_DEP_1) | instskip(SKIP_1) | instid1(VALU_DEP_2)
	v_sub_nc_u32_e32 v93, 0, v91
	v_cvt_f32_i32_e32 v91, v91
	v_ldexp_f32 v17, v17, v93
	v_ldexp_f32 v92, v92, v93
	s_delay_alu instid0(VALU_DEP_2) | instskip(NEXT) | instid1(VALU_DEP_1)
	v_add_f32_e32 v95, 1.0, v17
	v_dual_add_f32 v93, -1.0, v17 :: v_dual_add_f32 v94, -1.0, v95
	s_delay_alu instid0(VALU_DEP_1) | instskip(NEXT) | instid1(VALU_DEP_2)
	v_add_f32_e32 v96, 1.0, v93
	v_sub_f32_e32 v94, v17, v94
	s_delay_alu instid0(VALU_DEP_2) | instskip(NEXT) | instid1(VALU_DEP_1)
	v_sub_f32_e32 v17, v17, v96
	v_add_f32_e32 v17, v92, v17
	s_delay_alu instid0(VALU_DEP_1) | instskip(SKIP_2) | instid1(VALU_DEP_3)
	v_add_f32_e32 v97, v93, v17
	v_cmp_eq_f32_e32 vcc_lo, 0x7f800000, v12
	v_cmp_gt_f32_e64 s28, 0x33800000, v12
	v_dual_sub_f32 v93, v93, v97 :: v_dual_add_f32 v94, v92, v94
	s_delay_alu instid0(VALU_DEP_2) | instskip(NEXT) | instid1(VALU_DEP_1)
	s_or_b32 vcc_lo, s28, vcc_lo
	v_dual_add_f32 v17, v17, v93 :: v_dual_add_f32 v96, v95, v94
	s_delay_alu instid0(VALU_DEP_1) | instskip(SKIP_1) | instid1(VALU_DEP_1)
	v_rcp_f32_e32 v92, v96
	v_sub_f32_e32 v95, v95, v96
	v_add_f32_e32 v94, v94, v95
	s_waitcnt_depctr 0xfff
	v_mul_f32_e32 v98, v97, v92
	s_delay_alu instid0(VALU_DEP_1) | instskip(NEXT) | instid1(VALU_DEP_1)
	v_mul_f32_e32 v99, v96, v98
	v_fma_f32 v95, v98, v96, -v99
	s_delay_alu instid0(VALU_DEP_1) | instskip(NEXT) | instid1(VALU_DEP_1)
	v_fmac_f32_e32 v95, v98, v94
	v_add_f32_e32 v100, v99, v95
	s_delay_alu instid0(VALU_DEP_1) | instskip(SKIP_1) | instid1(VALU_DEP_2)
	v_sub_f32_e32 v101, v97, v100
	v_sub_f32_e32 v93, v100, v99
	;; [unrolled: 1-line block ×3, first 2 shown]
	s_delay_alu instid0(VALU_DEP_2) | instskip(NEXT) | instid1(VALU_DEP_2)
	v_sub_f32_e32 v93, v93, v95
	v_sub_f32_e32 v97, v97, v100
	s_delay_alu instid0(VALU_DEP_1) | instskip(NEXT) | instid1(VALU_DEP_1)
	v_add_f32_e32 v17, v17, v97
	v_add_f32_e32 v17, v93, v17
	s_delay_alu instid0(VALU_DEP_1) | instskip(NEXT) | instid1(VALU_DEP_1)
	v_add_f32_e32 v93, v101, v17
	v_mul_f32_e32 v95, v92, v93
	s_delay_alu instid0(VALU_DEP_1) | instskip(NEXT) | instid1(VALU_DEP_1)
	v_mul_f32_e32 v97, v96, v95
	v_fma_f32 v96, v95, v96, -v97
	s_delay_alu instid0(VALU_DEP_1) | instskip(SKIP_1) | instid1(VALU_DEP_2)
	v_fmac_f32_e32 v96, v95, v94
	v_sub_f32_e32 v100, v101, v93
	v_add_f32_e32 v94, v97, v96
	s_delay_alu instid0(VALU_DEP_2) | instskip(NEXT) | instid1(VALU_DEP_2)
	v_add_f32_e32 v17, v17, v100
	v_sub_f32_e32 v99, v93, v94
	s_delay_alu instid0(VALU_DEP_1) | instskip(NEXT) | instid1(VALU_DEP_1)
	v_sub_f32_e32 v93, v93, v99
	v_sub_f32_e32 v93, v93, v94
	s_delay_alu instid0(VALU_DEP_1) | instskip(SKIP_2) | instid1(VALU_DEP_1)
	v_add_f32_e32 v17, v17, v93
	v_add_f32_e32 v93, v98, v95
	v_sub_f32_e32 v97, v94, v97
	v_sub_f32_e32 v94, v97, v96
	s_delay_alu instid0(VALU_DEP_1) | instskip(NEXT) | instid1(VALU_DEP_1)
	v_dual_add_f32 v17, v94, v17 :: v_dual_sub_f32 v94, v93, v98
	v_add_f32_e32 v17, v99, v17
	s_delay_alu instid0(VALU_DEP_1) | instskip(NEXT) | instid1(VALU_DEP_1)
	v_dual_sub_f32 v94, v95, v94 :: v_dual_mul_f32 v17, v92, v17
	v_add_f32_e32 v17, v94, v17
	s_delay_alu instid0(VALU_DEP_1) | instskip(NEXT) | instid1(VALU_DEP_1)
	v_add_f32_e32 v92, v93, v17
	v_mul_f32_e32 v94, v92, v92
	s_delay_alu instid0(VALU_DEP_1) | instskip(SKIP_1) | instid1(VALU_DEP_2)
	v_fmaak_f32 v95, s83, v94, 0x3ecc95a3
	v_mul_f32_e32 v96, v92, v94
	v_fmaak_f32 v94, v94, v95, 0x3f2aaada
	v_ldexp_f32 v95, v92, 1
	s_delay_alu instid0(VALU_DEP_2) | instskip(SKIP_1) | instid1(VALU_DEP_2)
	v_mul_f32_e32 v94, v96, v94
	v_sub_f32_e32 v92, v92, v93
	v_dual_mul_f32 v96, 0x3f317218, v91 :: v_dual_add_f32 v93, v95, v94
	s_delay_alu instid0(VALU_DEP_2) | instskip(NEXT) | instid1(VALU_DEP_2)
	v_sub_f32_e32 v17, v17, v92
	v_sub_f32_e32 v92, v93, v95
	s_delay_alu instid0(VALU_DEP_3) | instskip(NEXT) | instid1(VALU_DEP_3)
	v_fma_f32 v95, 0x3f317218, v91, -v96
	v_ldexp_f32 v17, v17, 1
	s_delay_alu instid0(VALU_DEP_2) | instskip(NEXT) | instid1(VALU_DEP_1)
	v_dual_sub_f32 v92, v94, v92 :: v_dual_fmac_f32 v95, 0xb102e308, v91
	v_add_f32_e32 v17, v17, v92
	s_delay_alu instid0(VALU_DEP_1) | instskip(NEXT) | instid1(VALU_DEP_1)
	v_dual_add_f32 v91, v96, v95 :: v_dual_add_f32 v92, v93, v17
	v_sub_f32_e32 v96, v91, v96
	s_delay_alu instid0(VALU_DEP_2) | instskip(NEXT) | instid1(VALU_DEP_2)
	v_dual_add_f32 v94, v91, v92 :: v_dual_sub_f32 v93, v92, v93
	v_sub_f32_e32 v95, v95, v96
	s_delay_alu instid0(VALU_DEP_2) | instskip(NEXT) | instid1(VALU_DEP_1)
	v_sub_f32_e32 v97, v94, v91
	v_sub_f32_e32 v98, v94, v97
	;; [unrolled: 1-line block ×4, first 2 shown]
	s_delay_alu instid0(VALU_DEP_1) | instskip(NEXT) | instid1(VALU_DEP_4)
	v_add_f32_e32 v93, v95, v17
	v_sub_f32_e32 v91, v91, v98
	s_delay_alu instid0(VALU_DEP_1) | instskip(NEXT) | instid1(VALU_DEP_3)
	v_add_f32_e32 v91, v92, v91
	v_sub_f32_e32 v92, v93, v95
	s_delay_alu instid0(VALU_DEP_2) | instskip(NEXT) | instid1(VALU_DEP_2)
	v_add_f32_e32 v91, v93, v91
	v_sub_f32_e32 v93, v93, v92
	s_delay_alu instid0(VALU_DEP_2) | instskip(NEXT) | instid1(VALU_DEP_1)
	v_dual_sub_f32 v17, v17, v92 :: v_dual_add_f32 v96, v94, v91
	v_dual_sub_f32 v92, v96, v94 :: v_dual_sub_f32 v93, v95, v93
	s_delay_alu instid0(VALU_DEP_1) | instskip(NEXT) | instid1(VALU_DEP_2)
	v_sub_f32_e32 v91, v91, v92
	v_add_f32_e32 v17, v17, v93
	s_delay_alu instid0(VALU_DEP_1) | instskip(NEXT) | instid1(VALU_DEP_1)
	v_add_f32_e32 v17, v17, v91
	v_add_f32_e32 v17, v96, v17
	s_delay_alu instid0(VALU_DEP_1)
	v_cndmask_b32_e32 v91, v17, v12, vcc_lo
.LBB119_78:                             ;   in Loop: Header=BB119_12 Depth=1
	s_or_b32 exec_lo, exec_lo, s29
	v_cvt_f32_f16_e32 v12, v13
	s_delay_alu instid0(VALU_DEP_1) | instskip(NEXT) | instid1(VALU_DEP_1)
	v_add_f32_e32 v92, s68, v12
	v_cmp_ge_f32_e32 vcc_lo, 0x41a00000, v92
	s_and_b32 s28, s79, vcc_lo
	s_delay_alu instid0(SALU_CYCLE_1)
	s_and_saveexec_b32 s29, s28
	s_cbranch_execz .LBB119_80
; %bb.79:                               ;   in Loop: Header=BB119_12 Depth=1
	v_mul_f32_e32 v12, 0x3fb8aa3b, v92
	v_cmp_ngt_f32_e32 vcc_lo, 0xc2ce8ed0, v92
	s_delay_alu instid0(VALU_DEP_2) | instskip(SKIP_1) | instid1(VALU_DEP_1)
	v_rndne_f32_e32 v17, v12
	v_fma_f32 v93, 0x3fb8aa3b, v92, -v12
	v_dual_sub_f32 v12, v12, v17 :: v_dual_fmac_f32 v93, 0x32a5705f, v92
	v_cvt_i32_f32_e32 v17, v17
	s_delay_alu instid0(VALU_DEP_2) | instskip(NEXT) | instid1(VALU_DEP_1)
	v_add_f32_e32 v12, v12, v93
	v_exp_f32_e32 v12, v12
	s_waitcnt_depctr 0xfff
	v_ldexp_f32 v12, v12, v17
	s_delay_alu instid0(VALU_DEP_1) | instskip(SKIP_1) | instid1(VALU_DEP_2)
	v_cndmask_b32_e32 v12, 0, v12, vcc_lo
	v_cmp_nlt_f32_e32 vcc_lo, 0x42b17218, v92
	v_cndmask_b32_e32 v12, 0x7f800000, v12, vcc_lo
	s_delay_alu instid0(VALU_DEP_1) | instskip(NEXT) | instid1(VALU_DEP_1)
	v_add_f32_e32 v17, 1.0, v12
	v_cvt_f64_f32_e32 v[92:93], v17
	s_delay_alu instid0(VALU_DEP_1) | instskip(SKIP_1) | instid1(VALU_DEP_1)
	v_frexp_exp_i32_f64_e32 v92, v[92:93]
	v_frexp_mant_f32_e32 v93, v17
	v_cmp_gt_f32_e32 vcc_lo, 0x3f2aaaab, v93
	v_add_f32_e32 v93, -1.0, v17
	s_delay_alu instid0(VALU_DEP_1) | instskip(SKIP_1) | instid1(VALU_DEP_2)
	v_sub_f32_e32 v95, v93, v17
	v_sub_f32_e32 v93, v12, v93
	v_add_f32_e32 v95, 1.0, v95
	s_delay_alu instid0(VALU_DEP_1) | instskip(SKIP_3) | instid1(VALU_DEP_2)
	v_add_f32_e32 v93, v93, v95
	v_cmp_gt_f32_e64 s28, 0x33800000, v12
	v_subrev_co_ci_u32_e32 v92, vcc_lo, 0, v92, vcc_lo
	v_cmp_eq_f32_e32 vcc_lo, 0x7f800000, v12
	v_sub_nc_u32_e32 v94, 0, v92
	v_cvt_f32_i32_e32 v92, v92
	s_or_b32 vcc_lo, s28, vcc_lo
	s_delay_alu instid0(VALU_DEP_2) | instskip(SKIP_1) | instid1(VALU_DEP_2)
	v_ldexp_f32 v17, v17, v94
	v_ldexp_f32 v93, v93, v94
	v_add_f32_e32 v96, 1.0, v17
	s_delay_alu instid0(VALU_DEP_1) | instskip(NEXT) | instid1(VALU_DEP_1)
	v_dual_add_f32 v94, -1.0, v17 :: v_dual_add_f32 v95, -1.0, v96
	v_add_f32_e32 v97, 1.0, v94
	s_delay_alu instid0(VALU_DEP_2) | instskip(NEXT) | instid1(VALU_DEP_2)
	v_sub_f32_e32 v95, v17, v95
	v_sub_f32_e32 v17, v17, v97
	s_delay_alu instid0(VALU_DEP_1) | instskip(NEXT) | instid1(VALU_DEP_1)
	v_add_f32_e32 v17, v93, v17
	v_dual_add_f32 v98, v94, v17 :: v_dual_add_f32 v95, v93, v95
	s_delay_alu instid0(VALU_DEP_1) | instskip(NEXT) | instid1(VALU_DEP_1)
	v_dual_sub_f32 v94, v94, v98 :: v_dual_add_f32 v97, v96, v95
	v_rcp_f32_e32 v93, v97
	v_sub_f32_e32 v96, v96, v97
	s_delay_alu instid0(VALU_DEP_1) | instskip(SKIP_2) | instid1(VALU_DEP_1)
	v_add_f32_e32 v95, v95, v96
	s_waitcnt_depctr 0xfff
	v_mul_f32_e32 v99, v98, v93
	v_mul_f32_e32 v100, v97, v99
	s_delay_alu instid0(VALU_DEP_1) | instskip(NEXT) | instid1(VALU_DEP_1)
	v_fma_f32 v96, v99, v97, -v100
	v_fmac_f32_e32 v96, v99, v95
	s_delay_alu instid0(VALU_DEP_1) | instskip(NEXT) | instid1(VALU_DEP_1)
	v_add_f32_e32 v101, v100, v96
	v_sub_f32_e32 v102, v98, v101
	s_delay_alu instid0(VALU_DEP_1) | instskip(SKIP_2) | instid1(VALU_DEP_3)
	v_sub_f32_e32 v98, v98, v102
	v_add_f32_e32 v17, v17, v94
	v_sub_f32_e32 v94, v101, v100
	v_sub_f32_e32 v98, v98, v101
	s_delay_alu instid0(VALU_DEP_1) | instskip(NEXT) | instid1(VALU_DEP_1)
	v_dual_sub_f32 v94, v94, v96 :: v_dual_add_f32 v17, v17, v98
	v_add_f32_e32 v17, v94, v17
	s_delay_alu instid0(VALU_DEP_1) | instskip(NEXT) | instid1(VALU_DEP_1)
	v_add_f32_e32 v94, v102, v17
	v_mul_f32_e32 v96, v93, v94
	s_delay_alu instid0(VALU_DEP_1) | instskip(NEXT) | instid1(VALU_DEP_1)
	v_dual_sub_f32 v101, v102, v94 :: v_dual_mul_f32 v98, v97, v96
	v_add_f32_e32 v17, v17, v101
	s_delay_alu instid0(VALU_DEP_2) | instskip(NEXT) | instid1(VALU_DEP_1)
	v_fma_f32 v97, v96, v97, -v98
	v_fmac_f32_e32 v97, v96, v95
	s_delay_alu instid0(VALU_DEP_1) | instskip(NEXT) | instid1(VALU_DEP_1)
	v_add_f32_e32 v95, v98, v97
	v_sub_f32_e32 v100, v94, v95
	s_delay_alu instid0(VALU_DEP_1) | instskip(NEXT) | instid1(VALU_DEP_1)
	v_sub_f32_e32 v94, v94, v100
	v_sub_f32_e32 v94, v94, v95
	s_delay_alu instid0(VALU_DEP_1) | instskip(SKIP_1) | instid1(VALU_DEP_1)
	v_dual_add_f32 v17, v17, v94 :: v_dual_add_f32 v94, v99, v96
	v_sub_f32_e32 v98, v95, v98
	v_sub_f32_e32 v95, v98, v97
	s_delay_alu instid0(VALU_DEP_1) | instskip(NEXT) | instid1(VALU_DEP_4)
	v_add_f32_e32 v17, v95, v17
	v_sub_f32_e32 v95, v94, v99
	s_delay_alu instid0(VALU_DEP_2) | instskip(NEXT) | instid1(VALU_DEP_2)
	v_add_f32_e32 v17, v100, v17
	v_sub_f32_e32 v95, v96, v95
	s_delay_alu instid0(VALU_DEP_2) | instskip(NEXT) | instid1(VALU_DEP_1)
	v_mul_f32_e32 v17, v93, v17
	v_add_f32_e32 v17, v95, v17
	s_delay_alu instid0(VALU_DEP_1) | instskip(NEXT) | instid1(VALU_DEP_1)
	v_add_f32_e32 v93, v94, v17
	v_mul_f32_e32 v95, v93, v93
	s_delay_alu instid0(VALU_DEP_1) | instskip(SKIP_1) | instid1(VALU_DEP_2)
	v_fmaak_f32 v96, s83, v95, 0x3ecc95a3
	v_mul_f32_e32 v97, v93, v95
	v_fmaak_f32 v95, v95, v96, 0x3f2aaada
	v_ldexp_f32 v96, v93, 1
	v_sub_f32_e32 v93, v93, v94
	s_delay_alu instid0(VALU_DEP_3) | instskip(SKIP_1) | instid1(VALU_DEP_2)
	v_mul_f32_e32 v95, v97, v95
	v_mul_f32_e32 v97, 0x3f317218, v92
	v_dual_sub_f32 v17, v17, v93 :: v_dual_add_f32 v94, v96, v95
	s_delay_alu instid0(VALU_DEP_1) | instskip(NEXT) | instid1(VALU_DEP_2)
	v_ldexp_f32 v17, v17, 1
	v_sub_f32_e32 v93, v94, v96
	s_delay_alu instid0(VALU_DEP_4) | instskip(NEXT) | instid1(VALU_DEP_1)
	v_fma_f32 v96, 0x3f317218, v92, -v97
	v_dual_sub_f32 v93, v95, v93 :: v_dual_fmac_f32 v96, 0xb102e308, v92
	s_delay_alu instid0(VALU_DEP_1) | instskip(NEXT) | instid1(VALU_DEP_1)
	v_add_f32_e32 v17, v17, v93
	v_dual_add_f32 v92, v97, v96 :: v_dual_add_f32 v93, v94, v17
	s_delay_alu instid0(VALU_DEP_1) | instskip(NEXT) | instid1(VALU_DEP_2)
	v_sub_f32_e32 v97, v92, v97
	v_dual_add_f32 v95, v92, v93 :: v_dual_sub_f32 v94, v93, v94
	s_delay_alu instid0(VALU_DEP_2) | instskip(NEXT) | instid1(VALU_DEP_2)
	v_sub_f32_e32 v96, v96, v97
	v_dual_sub_f32 v98, v95, v92 :: v_dual_sub_f32 v17, v17, v94
	s_delay_alu instid0(VALU_DEP_1) | instskip(NEXT) | instid1(VALU_DEP_2)
	v_sub_f32_e32 v99, v95, v98
	v_dual_sub_f32 v93, v93, v98 :: v_dual_add_f32 v94, v96, v17
	s_delay_alu instid0(VALU_DEP_2) | instskip(NEXT) | instid1(VALU_DEP_1)
	v_sub_f32_e32 v92, v92, v99
	v_add_f32_e32 v92, v93, v92
	s_delay_alu instid0(VALU_DEP_3) | instskip(NEXT) | instid1(VALU_DEP_2)
	v_sub_f32_e32 v93, v94, v96
	v_add_f32_e32 v92, v94, v92
	s_delay_alu instid0(VALU_DEP_2) | instskip(SKIP_1) | instid1(VALU_DEP_2)
	v_sub_f32_e32 v94, v94, v93
	v_sub_f32_e32 v17, v17, v93
	v_dual_add_f32 v97, v95, v92 :: v_dual_sub_f32 v94, v96, v94
	s_delay_alu instid0(VALU_DEP_1) | instskip(NEXT) | instid1(VALU_DEP_1)
	v_sub_f32_e32 v93, v97, v95
	v_dual_add_f32 v17, v17, v94 :: v_dual_sub_f32 v92, v92, v93
	s_delay_alu instid0(VALU_DEP_1) | instskip(NEXT) | instid1(VALU_DEP_1)
	v_add_f32_e32 v17, v17, v92
	v_add_f32_e32 v17, v97, v17
	s_delay_alu instid0(VALU_DEP_1)
	v_cndmask_b32_e32 v92, v17, v12, vcc_lo
.LBB119_80:                             ;   in Loop: Header=BB119_12 Depth=1
	s_or_b32 exec_lo, exec_lo, s29
	v_lshrrev_b32_e32 v12, 16, v13
	s_delay_alu instid0(VALU_DEP_1) | instskip(NEXT) | instid1(VALU_DEP_1)
	v_cvt_f32_f16_e32 v12, v12
	v_add_f32_e32 v93, s68, v12
	s_delay_alu instid0(VALU_DEP_1) | instskip(SKIP_1) | instid1(SALU_CYCLE_1)
	v_cmp_ge_f32_e32 vcc_lo, 0x41a00000, v93
	s_and_b32 s28, s79, vcc_lo
	s_and_saveexec_b32 s29, s28
	s_cbranch_execz .LBB119_82
; %bb.81:                               ;   in Loop: Header=BB119_12 Depth=1
	v_mul_f32_e32 v12, 0x3fb8aa3b, v93
	v_cmp_ngt_f32_e32 vcc_lo, 0xc2ce8ed0, v93
	s_delay_alu instid0(VALU_DEP_2) | instskip(SKIP_1) | instid1(VALU_DEP_2)
	v_rndne_f32_e32 v13, v12
	v_fma_f32 v17, 0x3fb8aa3b, v93, -v12
	v_sub_f32_e32 v12, v12, v13
	s_delay_alu instid0(VALU_DEP_2) | instskip(SKIP_1) | instid1(VALU_DEP_2)
	v_fmac_f32_e32 v17, 0x32a5705f, v93
	v_cvt_i32_f32_e32 v13, v13
	v_add_f32_e32 v12, v12, v17
	s_delay_alu instid0(VALU_DEP_1) | instskip(SKIP_2) | instid1(VALU_DEP_1)
	v_exp_f32_e32 v12, v12
	s_waitcnt_depctr 0xfff
	v_ldexp_f32 v12, v12, v13
	v_cndmask_b32_e32 v12, 0, v12, vcc_lo
	v_cmp_nlt_f32_e32 vcc_lo, 0x42b17218, v93
	s_delay_alu instid0(VALU_DEP_2) | instskip(NEXT) | instid1(VALU_DEP_1)
	v_cndmask_b32_e32 v17, 0x7f800000, v12, vcc_lo
	v_add_f32_e32 v93, 1.0, v17
	s_delay_alu instid0(VALU_DEP_1) | instskip(NEXT) | instid1(VALU_DEP_1)
	v_cvt_f64_f32_e32 v[12:13], v93
	v_frexp_exp_i32_f64_e32 v12, v[12:13]
	v_frexp_mant_f32_e32 v13, v93
	s_delay_alu instid0(VALU_DEP_1) | instskip(SKIP_1) | instid1(VALU_DEP_1)
	v_cmp_gt_f32_e32 vcc_lo, 0x3f2aaaab, v13
	v_add_f32_e32 v13, -1.0, v93
	v_sub_f32_e32 v95, v13, v93
	s_delay_alu instid0(VALU_DEP_1) | instskip(SKIP_1) | instid1(VALU_DEP_1)
	v_add_f32_e32 v95, 1.0, v95
	v_subrev_co_ci_u32_e32 v12, vcc_lo, 0, v12, vcc_lo
	v_sub_nc_u32_e32 v94, 0, v12
	v_cvt_f32_i32_e32 v12, v12
	s_delay_alu instid0(VALU_DEP_2) | instskip(NEXT) | instid1(VALU_DEP_1)
	v_ldexp_f32 v93, v93, v94
	v_add_f32_e32 v96, 1.0, v93
	v_sub_f32_e32 v13, v17, v13
	v_cmp_eq_f32_e32 vcc_lo, 0x7f800000, v17
	v_cmp_gt_f32_e64 s28, 0x33800000, v17
	s_delay_alu instid0(VALU_DEP_3) | instskip(SKIP_1) | instid1(VALU_DEP_3)
	v_add_f32_e32 v13, v13, v95
	v_add_f32_e32 v95, -1.0, v96
	s_or_b32 vcc_lo, s28, vcc_lo
	s_delay_alu instid0(VALU_DEP_2) | instskip(NEXT) | instid1(VALU_DEP_2)
	v_ldexp_f32 v13, v13, v94
	v_dual_add_f32 v94, -1.0, v93 :: v_dual_sub_f32 v95, v93, v95
	s_delay_alu instid0(VALU_DEP_1) | instskip(NEXT) | instid1(VALU_DEP_2)
	v_add_f32_e32 v97, 1.0, v94
	v_add_f32_e32 v95, v13, v95
	s_delay_alu instid0(VALU_DEP_2) | instskip(NEXT) | instid1(VALU_DEP_1)
	v_sub_f32_e32 v93, v93, v97
	v_add_f32_e32 v13, v13, v93
	s_delay_alu instid0(VALU_DEP_1) | instskip(NEXT) | instid1(VALU_DEP_1)
	v_dual_add_f32 v98, v94, v13 :: v_dual_add_f32 v97, v96, v95
	v_sub_f32_e32 v94, v94, v98
	s_delay_alu instid0(VALU_DEP_2) | instskip(NEXT) | instid1(VALU_DEP_1)
	v_rcp_f32_e32 v93, v97
	v_dual_sub_f32 v96, v96, v97 :: v_dual_add_f32 v13, v13, v94
	s_delay_alu instid0(VALU_DEP_1) | instskip(SKIP_2) | instid1(VALU_DEP_1)
	v_add_f32_e32 v95, v95, v96
	s_waitcnt_depctr 0xfff
	v_mul_f32_e32 v99, v98, v93
	v_mul_f32_e32 v100, v97, v99
	s_delay_alu instid0(VALU_DEP_1) | instskip(NEXT) | instid1(VALU_DEP_1)
	v_fma_f32 v96, v99, v97, -v100
	v_fmac_f32_e32 v96, v99, v95
	s_delay_alu instid0(VALU_DEP_1) | instskip(NEXT) | instid1(VALU_DEP_1)
	v_add_f32_e32 v101, v100, v96
	v_sub_f32_e32 v102, v98, v101
	v_sub_f32_e32 v94, v101, v100
	s_delay_alu instid0(VALU_DEP_2) | instskip(NEXT) | instid1(VALU_DEP_2)
	v_sub_f32_e32 v98, v98, v102
	v_sub_f32_e32 v94, v94, v96
	s_delay_alu instid0(VALU_DEP_2) | instskip(NEXT) | instid1(VALU_DEP_1)
	v_sub_f32_e32 v98, v98, v101
	v_add_f32_e32 v13, v13, v98
	s_delay_alu instid0(VALU_DEP_1) | instskip(NEXT) | instid1(VALU_DEP_1)
	v_add_f32_e32 v13, v94, v13
	v_add_f32_e32 v94, v102, v13
	s_delay_alu instid0(VALU_DEP_1) | instskip(NEXT) | instid1(VALU_DEP_1)
	v_mul_f32_e32 v96, v93, v94
	v_dual_sub_f32 v101, v102, v94 :: v_dual_mul_f32 v98, v97, v96
	s_delay_alu instid0(VALU_DEP_1) | instskip(NEXT) | instid1(VALU_DEP_1)
	v_fma_f32 v97, v96, v97, -v98
	v_fmac_f32_e32 v97, v96, v95
	s_delay_alu instid0(VALU_DEP_1) | instskip(NEXT) | instid1(VALU_DEP_1)
	v_add_f32_e32 v95, v98, v97
	v_dual_add_f32 v13, v13, v101 :: v_dual_sub_f32 v100, v94, v95
	s_delay_alu instid0(VALU_DEP_1) | instskip(NEXT) | instid1(VALU_DEP_1)
	v_sub_f32_e32 v94, v94, v100
	v_sub_f32_e32 v94, v94, v95
	s_delay_alu instid0(VALU_DEP_1) | instskip(SKIP_1) | instid1(VALU_DEP_1)
	v_dual_add_f32 v13, v13, v94 :: v_dual_add_f32 v94, v99, v96
	v_sub_f32_e32 v98, v95, v98
	v_sub_f32_e32 v95, v98, v97
	s_delay_alu instid0(VALU_DEP_1) | instskip(NEXT) | instid1(VALU_DEP_4)
	v_add_f32_e32 v13, v95, v13
	v_sub_f32_e32 v95, v94, v99
	s_delay_alu instid0(VALU_DEP_2) | instskip(NEXT) | instid1(VALU_DEP_2)
	v_add_f32_e32 v13, v100, v13
	v_sub_f32_e32 v95, v96, v95
	s_delay_alu instid0(VALU_DEP_2) | instskip(NEXT) | instid1(VALU_DEP_1)
	v_mul_f32_e32 v13, v93, v13
	v_add_f32_e32 v13, v95, v13
	s_delay_alu instid0(VALU_DEP_1) | instskip(NEXT) | instid1(VALU_DEP_1)
	v_add_f32_e32 v93, v94, v13
	v_mul_f32_e32 v95, v93, v93
	s_delay_alu instid0(VALU_DEP_1) | instskip(SKIP_1) | instid1(VALU_DEP_2)
	v_fmaak_f32 v96, s83, v95, 0x3ecc95a3
	v_mul_f32_e32 v97, v93, v95
	v_fmaak_f32 v95, v95, v96, 0x3f2aaada
	v_ldexp_f32 v96, v93, 1
	v_sub_f32_e32 v93, v93, v94
	s_delay_alu instid0(VALU_DEP_3) | instskip(SKIP_1) | instid1(VALU_DEP_2)
	v_mul_f32_e32 v95, v97, v95
	v_mul_f32_e32 v97, 0x3f317218, v12
	v_dual_sub_f32 v13, v13, v93 :: v_dual_add_f32 v94, v96, v95
	s_delay_alu instid0(VALU_DEP_1) | instskip(NEXT) | instid1(VALU_DEP_2)
	v_ldexp_f32 v13, v13, 1
	v_sub_f32_e32 v93, v94, v96
	s_delay_alu instid0(VALU_DEP_4) | instskip(NEXT) | instid1(VALU_DEP_1)
	v_fma_f32 v96, 0x3f317218, v12, -v97
	v_dual_sub_f32 v93, v95, v93 :: v_dual_fmac_f32 v96, 0xb102e308, v12
	s_delay_alu instid0(VALU_DEP_1) | instskip(NEXT) | instid1(VALU_DEP_2)
	v_add_f32_e32 v12, v13, v93
	v_add_f32_e32 v13, v97, v96
	s_delay_alu instid0(VALU_DEP_2) | instskip(NEXT) | instid1(VALU_DEP_2)
	v_add_f32_e32 v93, v94, v12
	v_sub_f32_e32 v97, v13, v97
	s_delay_alu instid0(VALU_DEP_2) | instskip(SKIP_1) | instid1(VALU_DEP_3)
	v_add_f32_e32 v95, v13, v93
	v_sub_f32_e32 v94, v93, v94
	v_sub_f32_e32 v96, v96, v97
	s_delay_alu instid0(VALU_DEP_3) | instskip(NEXT) | instid1(VALU_DEP_3)
	v_sub_f32_e32 v98, v95, v13
	v_sub_f32_e32 v12, v12, v94
	s_delay_alu instid0(VALU_DEP_2) | instskip(NEXT) | instid1(VALU_DEP_2)
	v_sub_f32_e32 v99, v95, v98
	v_dual_sub_f32 v93, v93, v98 :: v_dual_add_f32 v94, v96, v12
	s_delay_alu instid0(VALU_DEP_2) | instskip(NEXT) | instid1(VALU_DEP_1)
	v_sub_f32_e32 v13, v13, v99
	v_add_f32_e32 v13, v93, v13
	s_delay_alu instid0(VALU_DEP_3) | instskip(NEXT) | instid1(VALU_DEP_2)
	v_sub_f32_e32 v93, v94, v96
	v_add_f32_e32 v13, v94, v13
	s_delay_alu instid0(VALU_DEP_2) | instskip(SKIP_1) | instid1(VALU_DEP_1)
	v_sub_f32_e32 v12, v12, v93
	v_sub_f32_e32 v94, v94, v93
	v_dual_add_f32 v97, v95, v13 :: v_dual_sub_f32 v94, v96, v94
	s_delay_alu instid0(VALU_DEP_1) | instskip(NEXT) | instid1(VALU_DEP_1)
	v_dual_sub_f32 v93, v97, v95 :: v_dual_add_f32 v12, v12, v94
	v_sub_f32_e32 v13, v13, v93
	s_delay_alu instid0(VALU_DEP_1) | instskip(NEXT) | instid1(VALU_DEP_1)
	v_add_f32_e32 v12, v12, v13
	v_add_f32_e32 v12, v97, v12
	s_delay_alu instid0(VALU_DEP_1)
	v_cndmask_b32_e32 v93, v12, v17, vcc_lo
.LBB119_82:                             ;   in Loop: Header=BB119_12 Depth=1
	s_or_b32 exec_lo, exec_lo, s29
	v_cvt_f32_f16_e32 v12, v14
	s_delay_alu instid0(VALU_DEP_1) | instskip(NEXT) | instid1(VALU_DEP_1)
	v_add_f32_e32 v94, s68, v12
	v_cmp_ge_f32_e32 vcc_lo, 0x41a00000, v94
	s_and_b32 s28, s79, vcc_lo
	s_delay_alu instid0(SALU_CYCLE_1)
	s_and_saveexec_b32 s29, s28
	s_cbranch_execz .LBB119_84
; %bb.83:                               ;   in Loop: Header=BB119_12 Depth=1
	v_mul_f32_e32 v12, 0x3fb8aa3b, v94
	v_cmp_ngt_f32_e32 vcc_lo, 0xc2ce8ed0, v94
	s_delay_alu instid0(VALU_DEP_2) | instskip(SKIP_1) | instid1(VALU_DEP_1)
	v_rndne_f32_e32 v13, v12
	v_fma_f32 v17, 0x3fb8aa3b, v94, -v12
	v_dual_sub_f32 v12, v12, v13 :: v_dual_fmac_f32 v17, 0x32a5705f, v94
	v_cvt_i32_f32_e32 v13, v13
	s_delay_alu instid0(VALU_DEP_2) | instskip(NEXT) | instid1(VALU_DEP_1)
	v_add_f32_e32 v12, v12, v17
	v_exp_f32_e32 v12, v12
	s_waitcnt_depctr 0xfff
	v_ldexp_f32 v12, v12, v13
	s_delay_alu instid0(VALU_DEP_1) | instskip(SKIP_1) | instid1(VALU_DEP_2)
	v_cndmask_b32_e32 v12, 0, v12, vcc_lo
	v_cmp_nlt_f32_e32 vcc_lo, 0x42b17218, v94
	v_cndmask_b32_e32 v17, 0x7f800000, v12, vcc_lo
	s_delay_alu instid0(VALU_DEP_1) | instskip(NEXT) | instid1(VALU_DEP_1)
	v_add_f32_e32 v94, 1.0, v17
	v_cvt_f64_f32_e32 v[12:13], v94
	s_delay_alu instid0(VALU_DEP_1) | instskip(SKIP_1) | instid1(VALU_DEP_1)
	v_frexp_exp_i32_f64_e32 v12, v[12:13]
	v_frexp_mant_f32_e32 v13, v94
	v_cmp_gt_f32_e32 vcc_lo, 0x3f2aaaab, v13
	v_add_f32_e32 v13, -1.0, v94
	s_delay_alu instid0(VALU_DEP_1) | instskip(SKIP_2) | instid1(VALU_DEP_3)
	v_sub_f32_e32 v96, v13, v94
	v_sub_f32_e32 v13, v17, v13
	v_cmp_gt_f32_e64 s28, 0x33800000, v17
	v_add_f32_e32 v96, 1.0, v96
	s_delay_alu instid0(VALU_DEP_1) | instskip(SKIP_2) | instid1(VALU_DEP_2)
	v_add_f32_e32 v13, v13, v96
	v_subrev_co_ci_u32_e32 v12, vcc_lo, 0, v12, vcc_lo
	v_cmp_eq_f32_e32 vcc_lo, 0x7f800000, v17
	v_sub_nc_u32_e32 v95, 0, v12
	v_cvt_f32_i32_e32 v12, v12
	s_or_b32 vcc_lo, s28, vcc_lo
	s_delay_alu instid0(VALU_DEP_2) | instskip(SKIP_1) | instid1(VALU_DEP_2)
	v_ldexp_f32 v94, v94, v95
	v_ldexp_f32 v13, v13, v95
	v_add_f32_e32 v95, -1.0, v94
	s_delay_alu instid0(VALU_DEP_1) | instskip(NEXT) | instid1(VALU_DEP_1)
	v_dual_add_f32 v97, 1.0, v94 :: v_dual_add_f32 v98, 1.0, v95
	v_add_f32_e32 v96, -1.0, v97
	s_delay_alu instid0(VALU_DEP_1) | instskip(NEXT) | instid1(VALU_DEP_3)
	v_sub_f32_e32 v96, v94, v96
	v_sub_f32_e32 v94, v94, v98
	s_delay_alu instid0(VALU_DEP_2) | instskip(NEXT) | instid1(VALU_DEP_2)
	v_add_f32_e32 v96, v13, v96
	v_add_f32_e32 v13, v13, v94
	s_delay_alu instid0(VALU_DEP_1) | instskip(NEXT) | instid1(VALU_DEP_1)
	v_dual_add_f32 v99, v95, v13 :: v_dual_add_f32 v98, v97, v96
	v_sub_f32_e32 v95, v95, v99
	s_delay_alu instid0(VALU_DEP_2) | instskip(SKIP_1) | instid1(VALU_DEP_1)
	v_rcp_f32_e32 v94, v98
	v_sub_f32_e32 v97, v97, v98
	v_dual_add_f32 v13, v13, v95 :: v_dual_add_f32 v96, v96, v97
	s_waitcnt_depctr 0xfff
	v_mul_f32_e32 v100, v99, v94
	s_delay_alu instid0(VALU_DEP_1) | instskip(NEXT) | instid1(VALU_DEP_1)
	v_mul_f32_e32 v101, v98, v100
	v_fma_f32 v97, v100, v98, -v101
	s_delay_alu instid0(VALU_DEP_1) | instskip(NEXT) | instid1(VALU_DEP_1)
	v_fmac_f32_e32 v97, v100, v96
	v_add_f32_e32 v102, v101, v97
	s_delay_alu instid0(VALU_DEP_1) | instskip(SKIP_1) | instid1(VALU_DEP_2)
	v_sub_f32_e32 v103, v99, v102
	v_sub_f32_e32 v95, v102, v101
	;; [unrolled: 1-line block ×3, first 2 shown]
	s_delay_alu instid0(VALU_DEP_2) | instskip(NEXT) | instid1(VALU_DEP_2)
	v_sub_f32_e32 v95, v95, v97
	v_sub_f32_e32 v99, v99, v102
	s_delay_alu instid0(VALU_DEP_1) | instskip(NEXT) | instid1(VALU_DEP_1)
	v_add_f32_e32 v13, v13, v99
	v_add_f32_e32 v13, v95, v13
	s_delay_alu instid0(VALU_DEP_1) | instskip(NEXT) | instid1(VALU_DEP_1)
	v_add_f32_e32 v95, v103, v13
	v_mul_f32_e32 v97, v94, v95
	s_delay_alu instid0(VALU_DEP_1) | instskip(NEXT) | instid1(VALU_DEP_1)
	v_dual_sub_f32 v102, v103, v95 :: v_dual_mul_f32 v99, v98, v97
	v_add_f32_e32 v13, v13, v102
	s_delay_alu instid0(VALU_DEP_2) | instskip(NEXT) | instid1(VALU_DEP_1)
	v_fma_f32 v98, v97, v98, -v99
	v_fmac_f32_e32 v98, v97, v96
	s_delay_alu instid0(VALU_DEP_1) | instskip(NEXT) | instid1(VALU_DEP_1)
	v_add_f32_e32 v96, v99, v98
	v_sub_f32_e32 v101, v95, v96
	s_delay_alu instid0(VALU_DEP_1) | instskip(NEXT) | instid1(VALU_DEP_1)
	v_sub_f32_e32 v95, v95, v101
	v_sub_f32_e32 v95, v95, v96
	s_delay_alu instid0(VALU_DEP_1) | instskip(SKIP_2) | instid1(VALU_DEP_1)
	v_add_f32_e32 v13, v13, v95
	v_add_f32_e32 v95, v100, v97
	v_sub_f32_e32 v99, v96, v99
	v_sub_f32_e32 v96, v99, v98
	s_delay_alu instid0(VALU_DEP_1) | instskip(NEXT) | instid1(VALU_DEP_1)
	v_dual_add_f32 v13, v96, v13 :: v_dual_sub_f32 v96, v95, v100
	v_add_f32_e32 v13, v101, v13
	s_delay_alu instid0(VALU_DEP_1) | instskip(NEXT) | instid1(VALU_DEP_1)
	v_dual_sub_f32 v96, v97, v96 :: v_dual_mul_f32 v13, v94, v13
	v_add_f32_e32 v13, v96, v13
	s_delay_alu instid0(VALU_DEP_1) | instskip(NEXT) | instid1(VALU_DEP_1)
	v_add_f32_e32 v94, v95, v13
	v_mul_f32_e32 v96, v94, v94
	s_delay_alu instid0(VALU_DEP_1) | instskip(SKIP_1) | instid1(VALU_DEP_2)
	v_fmaak_f32 v97, s83, v96, 0x3ecc95a3
	v_mul_f32_e32 v98, v94, v96
	v_fmaak_f32 v96, v96, v97, 0x3f2aaada
	v_ldexp_f32 v97, v94, 1
	v_sub_f32_e32 v94, v94, v95
	s_delay_alu instid0(VALU_DEP_3) | instskip(NEXT) | instid1(VALU_DEP_2)
	v_mul_f32_e32 v96, v98, v96
	v_dual_mul_f32 v98, 0x3f317218, v12 :: v_dual_sub_f32 v13, v13, v94
	s_delay_alu instid0(VALU_DEP_2) | instskip(NEXT) | instid1(VALU_DEP_2)
	v_add_f32_e32 v95, v97, v96
	v_ldexp_f32 v13, v13, 1
	s_delay_alu instid0(VALU_DEP_2) | instskip(NEXT) | instid1(VALU_DEP_4)
	v_sub_f32_e32 v94, v95, v97
	v_fma_f32 v97, 0x3f317218, v12, -v98
	s_delay_alu instid0(VALU_DEP_1) | instskip(NEXT) | instid1(VALU_DEP_1)
	v_dual_sub_f32 v94, v96, v94 :: v_dual_fmac_f32 v97, 0xb102e308, v12
	v_add_f32_e32 v12, v13, v94
	s_delay_alu instid0(VALU_DEP_1) | instskip(NEXT) | instid1(VALU_DEP_1)
	v_add_f32_e32 v94, v95, v12
	v_sub_f32_e32 v95, v94, v95
	s_delay_alu instid0(VALU_DEP_1) | instskip(NEXT) | instid1(VALU_DEP_1)
	v_dual_sub_f32 v12, v12, v95 :: v_dual_add_f32 v13, v98, v97
	v_add_f32_e32 v96, v13, v94
	s_delay_alu instid0(VALU_DEP_1) | instskip(NEXT) | instid1(VALU_DEP_1)
	v_dual_sub_f32 v98, v13, v98 :: v_dual_sub_f32 v99, v96, v13
	v_dual_sub_f32 v97, v97, v98 :: v_dual_sub_f32 v100, v96, v99
	s_delay_alu instid0(VALU_DEP_1) | instskip(NEXT) | instid1(VALU_DEP_2)
	v_dual_sub_f32 v94, v94, v99 :: v_dual_add_f32 v95, v97, v12
	v_sub_f32_e32 v13, v13, v100
	s_delay_alu instid0(VALU_DEP_1) | instskip(NEXT) | instid1(VALU_DEP_3)
	v_add_f32_e32 v13, v94, v13
	v_sub_f32_e32 v94, v95, v97
	s_delay_alu instid0(VALU_DEP_2) | instskip(NEXT) | instid1(VALU_DEP_2)
	v_add_f32_e32 v13, v95, v13
	v_sub_f32_e32 v95, v95, v94
	v_sub_f32_e32 v12, v12, v94
	s_delay_alu instid0(VALU_DEP_2) | instskip(NEXT) | instid1(VALU_DEP_1)
	v_dual_add_f32 v98, v96, v13 :: v_dual_sub_f32 v95, v97, v95
	v_sub_f32_e32 v94, v98, v96
	s_delay_alu instid0(VALU_DEP_1) | instskip(NEXT) | instid1(VALU_DEP_1)
	v_dual_add_f32 v12, v12, v95 :: v_dual_sub_f32 v13, v13, v94
	v_add_f32_e32 v12, v12, v13
	s_delay_alu instid0(VALU_DEP_1) | instskip(NEXT) | instid1(VALU_DEP_1)
	v_add_f32_e32 v12, v98, v12
	v_cndmask_b32_e32 v94, v12, v17, vcc_lo
.LBB119_84:                             ;   in Loop: Header=BB119_12 Depth=1
	s_or_b32 exec_lo, exec_lo, s29
	v_lshrrev_b32_e32 v12, 16, v14
	s_delay_alu instid0(VALU_DEP_1) | instskip(NEXT) | instid1(VALU_DEP_1)
	v_cvt_f32_f16_e32 v12, v12
	v_add_f32_e32 v95, s68, v12
	s_delay_alu instid0(VALU_DEP_1) | instskip(SKIP_1) | instid1(SALU_CYCLE_1)
	v_cmp_ge_f32_e32 vcc_lo, 0x41a00000, v95
	s_and_b32 s28, s79, vcc_lo
	s_and_saveexec_b32 s29, s28
	s_cbranch_execz .LBB119_86
; %bb.85:                               ;   in Loop: Header=BB119_12 Depth=1
	v_mul_f32_e32 v12, 0x3fb8aa3b, v95
	v_cmp_ngt_f32_e32 vcc_lo, 0xc2ce8ed0, v95
	s_delay_alu instid0(VALU_DEP_2) | instskip(SKIP_1) | instid1(VALU_DEP_2)
	v_rndne_f32_e32 v13, v12
	v_fma_f32 v14, 0x3fb8aa3b, v95, -v12
	v_sub_f32_e32 v12, v12, v13
	s_delay_alu instid0(VALU_DEP_2) | instskip(SKIP_1) | instid1(VALU_DEP_2)
	v_fmac_f32_e32 v14, 0x32a5705f, v95
	v_cvt_i32_f32_e32 v13, v13
	v_add_f32_e32 v12, v12, v14
	s_delay_alu instid0(VALU_DEP_1) | instskip(SKIP_2) | instid1(VALU_DEP_1)
	v_exp_f32_e32 v12, v12
	s_waitcnt_depctr 0xfff
	v_ldexp_f32 v12, v12, v13
	v_cndmask_b32_e32 v12, 0, v12, vcc_lo
	v_cmp_nlt_f32_e32 vcc_lo, 0x42b17218, v95
	s_delay_alu instid0(VALU_DEP_2) | instskip(NEXT) | instid1(VALU_DEP_1)
	v_cndmask_b32_e32 v14, 0x7f800000, v12, vcc_lo
	v_add_f32_e32 v17, 1.0, v14
	s_delay_alu instid0(VALU_DEP_1) | instskip(NEXT) | instid1(VALU_DEP_1)
	v_cvt_f64_f32_e32 v[12:13], v17
	v_frexp_exp_i32_f64_e32 v12, v[12:13]
	v_frexp_mant_f32_e32 v13, v17
	s_delay_alu instid0(VALU_DEP_1) | instskip(SKIP_1) | instid1(VALU_DEP_1)
	v_cmp_gt_f32_e32 vcc_lo, 0x3f2aaaab, v13
	v_add_f32_e32 v13, -1.0, v17
	v_sub_f32_e32 v96, v13, v17
	v_sub_f32_e32 v13, v14, v13
	v_subrev_co_ci_u32_e32 v12, vcc_lo, 0, v12, vcc_lo
	s_delay_alu instid0(VALU_DEP_1) | instskip(SKIP_1) | instid1(VALU_DEP_2)
	v_sub_nc_u32_e32 v95, 0, v12
	v_cvt_f32_i32_e32 v12, v12
	v_ldexp_f32 v17, v17, v95
	s_delay_alu instid0(VALU_DEP_1) | instskip(NEXT) | instid1(VALU_DEP_1)
	v_dual_add_f32 v96, 1.0, v96 :: v_dual_add_f32 v97, 1.0, v17
	v_dual_add_f32 v13, v13, v96 :: v_dual_add_f32 v96, -1.0, v97
	s_delay_alu instid0(VALU_DEP_1) | instskip(SKIP_4) | instid1(VALU_DEP_4)
	v_ldexp_f32 v13, v13, v95
	v_add_f32_e32 v95, -1.0, v17
	v_cmp_eq_f32_e32 vcc_lo, 0x7f800000, v14
	v_cmp_gt_f32_e64 s28, 0x33800000, v14
	v_sub_f32_e32 v96, v17, v96
	v_add_f32_e32 v98, 1.0, v95
	s_delay_alu instid0(VALU_DEP_3) | instskip(NEXT) | instid1(VALU_DEP_2)
	s_or_b32 vcc_lo, s28, vcc_lo
	v_add_f32_e32 v96, v13, v96
	s_delay_alu instid0(VALU_DEP_2) | instskip(NEXT) | instid1(VALU_DEP_1)
	v_sub_f32_e32 v17, v17, v98
	v_add_f32_e32 v13, v13, v17
	s_delay_alu instid0(VALU_DEP_1) | instskip(NEXT) | instid1(VALU_DEP_1)
	v_dual_add_f32 v99, v95, v13 :: v_dual_add_f32 v98, v97, v96
	v_sub_f32_e32 v95, v95, v99
	s_delay_alu instid0(VALU_DEP_2) | instskip(SKIP_1) | instid1(VALU_DEP_1)
	v_rcp_f32_e32 v17, v98
	v_sub_f32_e32 v97, v97, v98
	v_dual_add_f32 v13, v13, v95 :: v_dual_add_f32 v96, v96, v97
	s_waitcnt_depctr 0xfff
	v_mul_f32_e32 v100, v99, v17
	s_delay_alu instid0(VALU_DEP_1) | instskip(NEXT) | instid1(VALU_DEP_1)
	v_mul_f32_e32 v101, v98, v100
	v_fma_f32 v97, v100, v98, -v101
	s_delay_alu instid0(VALU_DEP_1) | instskip(NEXT) | instid1(VALU_DEP_1)
	v_fmac_f32_e32 v97, v100, v96
	v_add_f32_e32 v102, v101, v97
	s_delay_alu instid0(VALU_DEP_1) | instskip(NEXT) | instid1(VALU_DEP_1)
	v_sub_f32_e32 v103, v99, v102
	v_sub_f32_e32 v99, v99, v103
	;; [unrolled: 1-line block ×3, first 2 shown]
	s_delay_alu instid0(VALU_DEP_2) | instskip(NEXT) | instid1(VALU_DEP_2)
	v_sub_f32_e32 v99, v99, v102
	v_sub_f32_e32 v95, v95, v97
	s_delay_alu instid0(VALU_DEP_2) | instskip(NEXT) | instid1(VALU_DEP_1)
	v_add_f32_e32 v13, v13, v99
	v_add_f32_e32 v13, v95, v13
	s_delay_alu instid0(VALU_DEP_1) | instskip(NEXT) | instid1(VALU_DEP_1)
	v_add_f32_e32 v95, v103, v13
	v_mul_f32_e32 v97, v17, v95
	s_delay_alu instid0(VALU_DEP_1) | instskip(NEXT) | instid1(VALU_DEP_1)
	v_dual_sub_f32 v102, v103, v95 :: v_dual_mul_f32 v99, v98, v97
	v_add_f32_e32 v13, v13, v102
	s_delay_alu instid0(VALU_DEP_2) | instskip(NEXT) | instid1(VALU_DEP_1)
	v_fma_f32 v98, v97, v98, -v99
	v_fmac_f32_e32 v98, v97, v96
	s_delay_alu instid0(VALU_DEP_1) | instskip(NEXT) | instid1(VALU_DEP_1)
	v_add_f32_e32 v96, v99, v98
	v_sub_f32_e32 v101, v95, v96
	v_sub_f32_e32 v99, v96, v99
	s_delay_alu instid0(VALU_DEP_2) | instskip(NEXT) | instid1(VALU_DEP_1)
	v_sub_f32_e32 v95, v95, v101
	v_sub_f32_e32 v95, v95, v96
	s_delay_alu instid0(VALU_DEP_1) | instskip(SKIP_1) | instid1(VALU_DEP_1)
	v_dual_sub_f32 v96, v99, v98 :: v_dual_add_f32 v13, v13, v95
	v_add_f32_e32 v95, v100, v97
	v_dual_add_f32 v13, v96, v13 :: v_dual_sub_f32 v96, v95, v100
	s_delay_alu instid0(VALU_DEP_1) | instskip(NEXT) | instid1(VALU_DEP_2)
	v_add_f32_e32 v13, v101, v13
	v_sub_f32_e32 v96, v97, v96
	s_delay_alu instid0(VALU_DEP_2) | instskip(NEXT) | instid1(VALU_DEP_1)
	v_mul_f32_e32 v13, v17, v13
	v_add_f32_e32 v13, v96, v13
	s_delay_alu instid0(VALU_DEP_1) | instskip(NEXT) | instid1(VALU_DEP_1)
	v_add_f32_e32 v17, v95, v13
	v_mul_f32_e32 v96, v17, v17
	s_delay_alu instid0(VALU_DEP_1) | instskip(SKIP_1) | instid1(VALU_DEP_2)
	v_fmaak_f32 v97, s83, v96, 0x3ecc95a3
	v_mul_f32_e32 v98, v17, v96
	v_fmaak_f32 v96, v96, v97, 0x3f2aaada
	v_ldexp_f32 v97, v17, 1
	s_delay_alu instid0(VALU_DEP_2) | instskip(NEXT) | instid1(VALU_DEP_1)
	v_dual_sub_f32 v17, v17, v95 :: v_dual_mul_f32 v96, v98, v96
	v_dual_mul_f32 v98, 0x3f317218, v12 :: v_dual_sub_f32 v13, v13, v17
	s_delay_alu instid0(VALU_DEP_2) | instskip(NEXT) | instid1(VALU_DEP_2)
	v_add_f32_e32 v95, v97, v96
	v_ldexp_f32 v13, v13, 1
	s_delay_alu instid0(VALU_DEP_2) | instskip(NEXT) | instid1(VALU_DEP_4)
	v_sub_f32_e32 v17, v95, v97
	v_fma_f32 v97, 0x3f317218, v12, -v98
	s_delay_alu instid0(VALU_DEP_2) | instskip(NEXT) | instid1(VALU_DEP_1)
	v_sub_f32_e32 v17, v96, v17
	v_dual_fmac_f32 v97, 0xb102e308, v12 :: v_dual_add_f32 v12, v13, v17
	s_delay_alu instid0(VALU_DEP_1) | instskip(NEXT) | instid1(VALU_DEP_1)
	v_add_f32_e32 v13, v98, v97
	v_dual_add_f32 v17, v95, v12 :: v_dual_sub_f32 v98, v13, v98
	s_delay_alu instid0(VALU_DEP_1) | instskip(SKIP_1) | instid1(VALU_DEP_3)
	v_add_f32_e32 v96, v13, v17
	v_sub_f32_e32 v95, v17, v95
	v_sub_f32_e32 v97, v97, v98
	s_delay_alu instid0(VALU_DEP_3) | instskip(NEXT) | instid1(VALU_DEP_3)
	v_sub_f32_e32 v99, v96, v13
	v_sub_f32_e32 v12, v12, v95
	s_delay_alu instid0(VALU_DEP_2) | instskip(SKIP_1) | instid1(VALU_DEP_3)
	v_sub_f32_e32 v100, v96, v99
	v_sub_f32_e32 v17, v17, v99
	v_add_f32_e32 v95, v97, v12
	s_delay_alu instid0(VALU_DEP_3) | instskip(NEXT) | instid1(VALU_DEP_1)
	v_sub_f32_e32 v13, v13, v100
	v_add_f32_e32 v13, v17, v13
	s_delay_alu instid0(VALU_DEP_3) | instskip(NEXT) | instid1(VALU_DEP_2)
	v_sub_f32_e32 v17, v95, v97
	v_add_f32_e32 v13, v95, v13
	s_delay_alu instid0(VALU_DEP_2) | instskip(SKIP_1) | instid1(VALU_DEP_2)
	v_sub_f32_e32 v95, v95, v17
	v_sub_f32_e32 v12, v12, v17
	v_dual_add_f32 v98, v96, v13 :: v_dual_sub_f32 v95, v97, v95
	s_delay_alu instid0(VALU_DEP_1) | instskip(NEXT) | instid1(VALU_DEP_1)
	v_dual_sub_f32 v17, v98, v96 :: v_dual_add_f32 v12, v12, v95
	v_sub_f32_e32 v13, v13, v17
	s_delay_alu instid0(VALU_DEP_1) | instskip(NEXT) | instid1(VALU_DEP_1)
	v_add_f32_e32 v12, v12, v13
	v_add_f32_e32 v12, v98, v12
	s_delay_alu instid0(VALU_DEP_1)
	v_cndmask_b32_e32 v95, v12, v14, vcc_lo
.LBB119_86:                             ;   in Loop: Header=BB119_12 Depth=1
	s_or_b32 exec_lo, exec_lo, s29
	v_cvt_f32_f16_e32 v12, v15
	s_delay_alu instid0(VALU_DEP_1) | instskip(NEXT) | instid1(VALU_DEP_1)
	v_add_f32_e32 v96, s68, v12
	v_cmp_ge_f32_e32 vcc_lo, 0x41a00000, v96
	s_and_b32 s28, s79, vcc_lo
	s_delay_alu instid0(SALU_CYCLE_1)
	s_and_saveexec_b32 s29, s28
	s_cbranch_execz .LBB119_88
; %bb.87:                               ;   in Loop: Header=BB119_12 Depth=1
	v_mul_f32_e32 v12, 0x3fb8aa3b, v96
	v_cmp_ngt_f32_e32 vcc_lo, 0xc2ce8ed0, v96
	s_delay_alu instid0(VALU_DEP_2) | instskip(SKIP_1) | instid1(VALU_DEP_2)
	v_rndne_f32_e32 v13, v12
	v_fma_f32 v14, 0x3fb8aa3b, v96, -v12
	v_sub_f32_e32 v12, v12, v13
	s_delay_alu instid0(VALU_DEP_2) | instskip(SKIP_1) | instid1(VALU_DEP_2)
	v_fmac_f32_e32 v14, 0x32a5705f, v96
	v_cvt_i32_f32_e32 v13, v13
	v_add_f32_e32 v12, v12, v14
	s_delay_alu instid0(VALU_DEP_1) | instskip(SKIP_2) | instid1(VALU_DEP_1)
	v_exp_f32_e32 v12, v12
	s_waitcnt_depctr 0xfff
	v_ldexp_f32 v12, v12, v13
	v_cndmask_b32_e32 v12, 0, v12, vcc_lo
	v_cmp_nlt_f32_e32 vcc_lo, 0x42b17218, v96
	s_delay_alu instid0(VALU_DEP_2) | instskip(NEXT) | instid1(VALU_DEP_1)
	v_cndmask_b32_e32 v14, 0x7f800000, v12, vcc_lo
	v_add_f32_e32 v17, 1.0, v14
	s_delay_alu instid0(VALU_DEP_1) | instskip(NEXT) | instid1(VALU_DEP_1)
	v_cvt_f64_f32_e32 v[12:13], v17
	v_frexp_exp_i32_f64_e32 v12, v[12:13]
	v_frexp_mant_f32_e32 v13, v17
	s_delay_alu instid0(VALU_DEP_1) | instskip(SKIP_1) | instid1(VALU_DEP_1)
	v_cmp_gt_f32_e32 vcc_lo, 0x3f2aaaab, v13
	v_add_f32_e32 v13, -1.0, v17
	v_sub_f32_e32 v97, v13, v17
	s_delay_alu instid0(VALU_DEP_1) | instskip(SKIP_2) | instid1(VALU_DEP_2)
	v_add_f32_e32 v97, 1.0, v97
	v_sub_f32_e32 v13, v14, v13
	v_cmp_gt_f32_e64 s28, 0x33800000, v14
	v_add_f32_e32 v13, v13, v97
	v_subrev_co_ci_u32_e32 v12, vcc_lo, 0, v12, vcc_lo
	v_cmp_eq_f32_e32 vcc_lo, 0x7f800000, v14
	s_delay_alu instid0(VALU_DEP_2) | instskip(SKIP_2) | instid1(VALU_DEP_2)
	v_sub_nc_u32_e32 v96, 0, v12
	v_cvt_f32_i32_e32 v12, v12
	s_or_b32 vcc_lo, s28, vcc_lo
	v_ldexp_f32 v17, v17, v96
	v_ldexp_f32 v13, v13, v96
	s_delay_alu instid0(VALU_DEP_2) | instskip(NEXT) | instid1(VALU_DEP_1)
	v_add_f32_e32 v96, -1.0, v17
	v_dual_add_f32 v98, 1.0, v17 :: v_dual_add_f32 v99, 1.0, v96
	s_delay_alu instid0(VALU_DEP_1) | instskip(NEXT) | instid1(VALU_DEP_1)
	v_add_f32_e32 v97, -1.0, v98
	v_sub_f32_e32 v97, v17, v97
	s_delay_alu instid0(VALU_DEP_3) | instskip(NEXT) | instid1(VALU_DEP_2)
	v_sub_f32_e32 v17, v17, v99
	v_add_f32_e32 v97, v13, v97
	s_delay_alu instid0(VALU_DEP_2) | instskip(NEXT) | instid1(VALU_DEP_1)
	v_add_f32_e32 v13, v13, v17
	v_add_f32_e32 v100, v96, v13
	s_delay_alu instid0(VALU_DEP_1) | instskip(NEXT) | instid1(VALU_DEP_1)
	v_dual_sub_f32 v96, v96, v100 :: v_dual_add_f32 v99, v98, v97
	v_add_f32_e32 v13, v13, v96
	s_delay_alu instid0(VALU_DEP_2) | instskip(SKIP_1) | instid1(VALU_DEP_1)
	v_rcp_f32_e32 v17, v99
	v_sub_f32_e32 v98, v98, v99
	v_add_f32_e32 v97, v97, v98
	s_waitcnt_depctr 0xfff
	v_mul_f32_e32 v101, v100, v17
	s_delay_alu instid0(VALU_DEP_1) | instskip(NEXT) | instid1(VALU_DEP_1)
	v_mul_f32_e32 v102, v99, v101
	v_fma_f32 v98, v101, v99, -v102
	s_delay_alu instid0(VALU_DEP_1) | instskip(NEXT) | instid1(VALU_DEP_1)
	v_fmac_f32_e32 v98, v101, v97
	v_add_f32_e32 v103, v102, v98
	s_delay_alu instid0(VALU_DEP_1) | instskip(SKIP_1) | instid1(VALU_DEP_2)
	v_sub_f32_e32 v104, v100, v103
	v_sub_f32_e32 v96, v103, v102
	;; [unrolled: 1-line block ×3, first 2 shown]
	s_delay_alu instid0(VALU_DEP_1) | instskip(NEXT) | instid1(VALU_DEP_1)
	v_sub_f32_e32 v100, v100, v103
	v_dual_sub_f32 v96, v96, v98 :: v_dual_add_f32 v13, v13, v100
	s_delay_alu instid0(VALU_DEP_1) | instskip(NEXT) | instid1(VALU_DEP_1)
	v_add_f32_e32 v13, v96, v13
	v_add_f32_e32 v96, v104, v13
	s_delay_alu instid0(VALU_DEP_1) | instskip(NEXT) | instid1(VALU_DEP_1)
	v_mul_f32_e32 v98, v17, v96
	v_dual_sub_f32 v103, v104, v96 :: v_dual_mul_f32 v100, v99, v98
	s_delay_alu instid0(VALU_DEP_1) | instskip(NEXT) | instid1(VALU_DEP_2)
	v_add_f32_e32 v13, v13, v103
	v_fma_f32 v99, v98, v99, -v100
	s_delay_alu instid0(VALU_DEP_1) | instskip(NEXT) | instid1(VALU_DEP_1)
	v_fmac_f32_e32 v99, v98, v97
	v_add_f32_e32 v97, v100, v99
	s_delay_alu instid0(VALU_DEP_1) | instskip(NEXT) | instid1(VALU_DEP_1)
	v_sub_f32_e32 v102, v96, v97
	v_sub_f32_e32 v96, v96, v102
	s_delay_alu instid0(VALU_DEP_1) | instskip(NEXT) | instid1(VALU_DEP_1)
	v_sub_f32_e32 v96, v96, v97
	v_add_f32_e32 v13, v13, v96
	v_add_f32_e32 v96, v101, v98
	v_sub_f32_e32 v100, v97, v100
	s_delay_alu instid0(VALU_DEP_1) | instskip(NEXT) | instid1(VALU_DEP_1)
	v_sub_f32_e32 v97, v100, v99
	v_add_f32_e32 v13, v97, v13
	s_delay_alu instid0(VALU_DEP_4) | instskip(NEXT) | instid1(VALU_DEP_2)
	v_sub_f32_e32 v97, v96, v101
	v_add_f32_e32 v13, v102, v13
	s_delay_alu instid0(VALU_DEP_2) | instskip(NEXT) | instid1(VALU_DEP_2)
	v_sub_f32_e32 v97, v98, v97
	v_mul_f32_e32 v13, v17, v13
	s_delay_alu instid0(VALU_DEP_1) | instskip(NEXT) | instid1(VALU_DEP_1)
	v_add_f32_e32 v13, v97, v13
	v_add_f32_e32 v17, v96, v13
	s_delay_alu instid0(VALU_DEP_1) | instskip(NEXT) | instid1(VALU_DEP_1)
	v_mul_f32_e32 v97, v17, v17
	v_fmaak_f32 v98, s83, v97, 0x3ecc95a3
	v_mul_f32_e32 v99, v17, v97
	s_delay_alu instid0(VALU_DEP_2) | instskip(SKIP_1) | instid1(VALU_DEP_2)
	v_fmaak_f32 v97, v97, v98, 0x3f2aaada
	v_ldexp_f32 v98, v17, 1
	v_mul_f32_e32 v97, v99, v97
	s_delay_alu instid0(VALU_DEP_1) | instskip(NEXT) | instid1(VALU_DEP_1)
	v_dual_sub_f32 v17, v17, v96 :: v_dual_add_f32 v96, v98, v97
	v_sub_f32_e32 v13, v13, v17
	s_delay_alu instid0(VALU_DEP_2) | instskip(NEXT) | instid1(VALU_DEP_2)
	v_sub_f32_e32 v17, v96, v98
	v_ldexp_f32 v13, v13, 1
	s_delay_alu instid0(VALU_DEP_2) | instskip(SKIP_1) | instid1(VALU_DEP_1)
	v_sub_f32_e32 v17, v97, v17
	v_mul_f32_e32 v99, 0x3f317218, v12
	v_fma_f32 v98, 0x3f317218, v12, -v99
	s_delay_alu instid0(VALU_DEP_1) | instskip(NEXT) | instid1(VALU_DEP_1)
	v_fmac_f32_e32 v98, 0xb102e308, v12
	v_dual_add_f32 v12, v13, v17 :: v_dual_add_f32 v13, v99, v98
	s_delay_alu instid0(VALU_DEP_1) | instskip(NEXT) | instid1(VALU_DEP_1)
	v_add_f32_e32 v17, v96, v12
	v_add_f32_e32 v97, v13, v17
	v_sub_f32_e32 v96, v17, v96
	s_delay_alu instid0(VALU_DEP_2) | instskip(NEXT) | instid1(VALU_DEP_2)
	v_sub_f32_e32 v100, v97, v13
	v_dual_sub_f32 v12, v12, v96 :: v_dual_sub_f32 v99, v13, v99
	s_delay_alu instid0(VALU_DEP_2) | instskip(NEXT) | instid1(VALU_DEP_2)
	v_sub_f32_e32 v101, v97, v100
	v_dual_sub_f32 v17, v17, v100 :: v_dual_sub_f32 v98, v98, v99
	s_delay_alu instid0(VALU_DEP_1) | instskip(NEXT) | instid1(VALU_DEP_1)
	v_dual_sub_f32 v13, v13, v101 :: v_dual_add_f32 v96, v98, v12
	v_add_f32_e32 v13, v17, v13
	s_delay_alu instid0(VALU_DEP_2) | instskip(NEXT) | instid1(VALU_DEP_2)
	v_sub_f32_e32 v17, v96, v98
	v_add_f32_e32 v13, v96, v13
	s_delay_alu instid0(VALU_DEP_2) | instskip(SKIP_1) | instid1(VALU_DEP_2)
	v_sub_f32_e32 v96, v96, v17
	v_sub_f32_e32 v12, v12, v17
	v_dual_add_f32 v99, v97, v13 :: v_dual_sub_f32 v96, v98, v96
	s_delay_alu instid0(VALU_DEP_1) | instskip(NEXT) | instid1(VALU_DEP_1)
	v_dual_sub_f32 v17, v99, v97 :: v_dual_add_f32 v12, v12, v96
	v_sub_f32_e32 v13, v13, v17
	s_delay_alu instid0(VALU_DEP_1) | instskip(NEXT) | instid1(VALU_DEP_1)
	v_add_f32_e32 v12, v12, v13
	v_add_f32_e32 v12, v99, v12
	s_delay_alu instid0(VALU_DEP_1)
	v_cndmask_b32_e32 v96, v12, v14, vcc_lo
.LBB119_88:                             ;   in Loop: Header=BB119_12 Depth=1
	s_or_b32 exec_lo, exec_lo, s29
	v_lshrrev_b32_e32 v12, 16, v15
	s_delay_alu instid0(VALU_DEP_1) | instskip(NEXT) | instid1(VALU_DEP_1)
	v_cvt_f32_f16_e32 v12, v12
	v_add_f32_e32 v97, s68, v12
	s_delay_alu instid0(VALU_DEP_1) | instskip(SKIP_1) | instid1(SALU_CYCLE_1)
	v_cmp_ge_f32_e32 vcc_lo, 0x41a00000, v97
	s_and_b32 s28, s79, vcc_lo
	s_and_saveexec_b32 s29, s28
	s_cbranch_execz .LBB119_90
; %bb.89:                               ;   in Loop: Header=BB119_12 Depth=1
	v_mul_f32_e32 v12, 0x3fb8aa3b, v97
	v_cmp_ngt_f32_e32 vcc_lo, 0xc2ce8ed0, v97
	s_delay_alu instid0(VALU_DEP_2) | instskip(SKIP_1) | instid1(VALU_DEP_2)
	v_rndne_f32_e32 v13, v12
	v_fma_f32 v14, 0x3fb8aa3b, v97, -v12
	v_sub_f32_e32 v12, v12, v13
	s_delay_alu instid0(VALU_DEP_2) | instskip(SKIP_1) | instid1(VALU_DEP_2)
	v_fmac_f32_e32 v14, 0x32a5705f, v97
	v_cvt_i32_f32_e32 v13, v13
	v_add_f32_e32 v12, v12, v14
	s_delay_alu instid0(VALU_DEP_1) | instskip(SKIP_2) | instid1(VALU_DEP_1)
	v_exp_f32_e32 v12, v12
	s_waitcnt_depctr 0xfff
	v_ldexp_f32 v12, v12, v13
	v_cndmask_b32_e32 v12, 0, v12, vcc_lo
	v_cmp_nlt_f32_e32 vcc_lo, 0x42b17218, v97
	s_delay_alu instid0(VALU_DEP_2) | instskip(NEXT) | instid1(VALU_DEP_1)
	v_cndmask_b32_e32 v14, 0x7f800000, v12, vcc_lo
	v_add_f32_e32 v15, 1.0, v14
	s_delay_alu instid0(VALU_DEP_1) | instskip(NEXT) | instid1(VALU_DEP_1)
	v_cvt_f64_f32_e32 v[12:13], v15
	v_frexp_exp_i32_f64_e32 v12, v[12:13]
	v_frexp_mant_f32_e32 v13, v15
	s_delay_alu instid0(VALU_DEP_1) | instskip(SKIP_1) | instid1(VALU_DEP_1)
	v_cmp_gt_f32_e32 vcc_lo, 0x3f2aaaab, v13
	v_add_f32_e32 v13, -1.0, v15
	v_sub_f32_e32 v97, v13, v15
	v_sub_f32_e32 v13, v14, v13
	s_delay_alu instid0(VALU_DEP_2) | instskip(NEXT) | instid1(VALU_DEP_1)
	v_add_f32_e32 v97, 1.0, v97
	v_add_f32_e32 v13, v13, v97
	v_cmp_gt_f32_e64 s28, 0x33800000, v14
	v_subrev_co_ci_u32_e32 v12, vcc_lo, 0, v12, vcc_lo
	v_cmp_eq_f32_e32 vcc_lo, 0x7f800000, v14
	s_delay_alu instid0(VALU_DEP_2) | instskip(SKIP_2) | instid1(VALU_DEP_2)
	v_sub_nc_u32_e32 v17, 0, v12
	v_cvt_f32_i32_e32 v12, v12
	s_or_b32 vcc_lo, s28, vcc_lo
	v_ldexp_f32 v15, v15, v17
	v_ldexp_f32 v13, v13, v17
	s_delay_alu instid0(VALU_DEP_2) | instskip(SKIP_1) | instid1(VALU_DEP_2)
	v_add_f32_e32 v98, 1.0, v15
	v_add_f32_e32 v17, -1.0, v15
	v_add_f32_e32 v97, -1.0, v98
	s_delay_alu instid0(VALU_DEP_2) | instskip(NEXT) | instid1(VALU_DEP_2)
	v_add_f32_e32 v99, 1.0, v17
	v_sub_f32_e32 v97, v15, v97
	s_delay_alu instid0(VALU_DEP_2) | instskip(NEXT) | instid1(VALU_DEP_2)
	v_sub_f32_e32 v15, v15, v99
	v_add_f32_e32 v97, v13, v97
	s_delay_alu instid0(VALU_DEP_2) | instskip(NEXT) | instid1(VALU_DEP_1)
	v_add_f32_e32 v13, v13, v15
	v_add_f32_e32 v100, v17, v13
	s_delay_alu instid0(VALU_DEP_3) | instskip(NEXT) | instid1(VALU_DEP_1)
	v_add_f32_e32 v99, v98, v97
	v_rcp_f32_e32 v15, v99
	v_sub_f32_e32 v98, v98, v99
	s_delay_alu instid0(VALU_DEP_1) | instskip(SKIP_2) | instid1(VALU_DEP_1)
	v_add_f32_e32 v97, v97, v98
	s_waitcnt_depctr 0xfff
	v_mul_f32_e32 v101, v100, v15
	v_dual_mul_f32 v102, v99, v101 :: v_dual_sub_f32 v17, v17, v100
	s_delay_alu instid0(VALU_DEP_1) | instskip(NEXT) | instid1(VALU_DEP_2)
	v_fma_f32 v98, v101, v99, -v102
	v_add_f32_e32 v13, v13, v17
	s_delay_alu instid0(VALU_DEP_2) | instskip(NEXT) | instid1(VALU_DEP_1)
	v_fmac_f32_e32 v98, v101, v97
	v_add_f32_e32 v103, v102, v98
	s_delay_alu instid0(VALU_DEP_1) | instskip(NEXT) | instid1(VALU_DEP_1)
	v_dual_sub_f32 v104, v100, v103 :: v_dual_sub_f32 v17, v103, v102
	v_dual_sub_f32 v100, v100, v104 :: v_dual_sub_f32 v17, v17, v98
	s_delay_alu instid0(VALU_DEP_1) | instskip(NEXT) | instid1(VALU_DEP_1)
	v_sub_f32_e32 v100, v100, v103
	v_add_f32_e32 v13, v13, v100
	s_delay_alu instid0(VALU_DEP_1) | instskip(NEXT) | instid1(VALU_DEP_1)
	v_add_f32_e32 v13, v17, v13
	v_add_f32_e32 v17, v104, v13
	s_delay_alu instid0(VALU_DEP_1) | instskip(NEXT) | instid1(VALU_DEP_1)
	v_mul_f32_e32 v98, v15, v17
	v_dual_sub_f32 v103, v104, v17 :: v_dual_mul_f32 v100, v99, v98
	s_delay_alu instid0(VALU_DEP_1) | instskip(NEXT) | instid1(VALU_DEP_2)
	v_add_f32_e32 v13, v13, v103
	v_fma_f32 v99, v98, v99, -v100
	s_delay_alu instid0(VALU_DEP_1) | instskip(NEXT) | instid1(VALU_DEP_1)
	v_fmac_f32_e32 v99, v98, v97
	v_add_f32_e32 v97, v100, v99
	s_delay_alu instid0(VALU_DEP_1) | instskip(SKIP_1) | instid1(VALU_DEP_2)
	v_sub_f32_e32 v102, v17, v97
	v_sub_f32_e32 v100, v97, v100
	;; [unrolled: 1-line block ×3, first 2 shown]
	s_delay_alu instid0(VALU_DEP_1) | instskip(NEXT) | instid1(VALU_DEP_3)
	v_sub_f32_e32 v17, v17, v97
	v_sub_f32_e32 v97, v100, v99
	s_delay_alu instid0(VALU_DEP_2) | instskip(SKIP_1) | instid1(VALU_DEP_2)
	v_add_f32_e32 v13, v13, v17
	v_add_f32_e32 v17, v101, v98
	;; [unrolled: 1-line block ×3, first 2 shown]
	s_delay_alu instid0(VALU_DEP_2) | instskip(NEXT) | instid1(VALU_DEP_2)
	v_sub_f32_e32 v97, v17, v101
	v_add_f32_e32 v13, v102, v13
	s_delay_alu instid0(VALU_DEP_2) | instskip(NEXT) | instid1(VALU_DEP_2)
	v_sub_f32_e32 v97, v98, v97
	v_mul_f32_e32 v13, v15, v13
	s_delay_alu instid0(VALU_DEP_1) | instskip(NEXT) | instid1(VALU_DEP_1)
	v_add_f32_e32 v13, v97, v13
	v_add_f32_e32 v15, v17, v13
	s_delay_alu instid0(VALU_DEP_1) | instskip(NEXT) | instid1(VALU_DEP_1)
	v_mul_f32_e32 v97, v15, v15
	v_fmaak_f32 v98, s83, v97, 0x3ecc95a3
	v_mul_f32_e32 v99, v15, v97
	s_delay_alu instid0(VALU_DEP_2) | instskip(SKIP_2) | instid1(VALU_DEP_3)
	v_fmaak_f32 v97, v97, v98, 0x3f2aaada
	v_ldexp_f32 v98, v15, 1
	v_sub_f32_e32 v15, v15, v17
	v_mul_f32_e32 v97, v99, v97
	v_mul_f32_e32 v99, 0x3f317218, v12
	s_delay_alu instid0(VALU_DEP_3) | instskip(NEXT) | instid1(VALU_DEP_3)
	v_sub_f32_e32 v13, v13, v15
	v_add_f32_e32 v17, v98, v97
	s_delay_alu instid0(VALU_DEP_2) | instskip(NEXT) | instid1(VALU_DEP_2)
	v_ldexp_f32 v13, v13, 1
	v_sub_f32_e32 v15, v17, v98
	v_fma_f32 v98, 0x3f317218, v12, -v99
	s_delay_alu instid0(VALU_DEP_1) | instskip(NEXT) | instid1(VALU_DEP_1)
	v_dual_sub_f32 v15, v97, v15 :: v_dual_fmac_f32 v98, 0xb102e308, v12
	v_dual_add_f32 v12, v13, v15 :: v_dual_add_f32 v13, v99, v98
	s_delay_alu instid0(VALU_DEP_1) | instskip(NEXT) | instid1(VALU_DEP_1)
	v_add_f32_e32 v15, v17, v12
	v_add_f32_e32 v97, v13, v15
	v_sub_f32_e32 v17, v15, v17
	s_delay_alu instid0(VALU_DEP_2) | instskip(NEXT) | instid1(VALU_DEP_2)
	v_sub_f32_e32 v100, v97, v13
	v_dual_sub_f32 v99, v13, v99 :: v_dual_sub_f32 v12, v12, v17
	s_delay_alu instid0(VALU_DEP_1) | instskip(SKIP_1) | instid1(VALU_DEP_2)
	v_dual_sub_f32 v101, v97, v100 :: v_dual_sub_f32 v98, v98, v99
	v_sub_f32_e32 v15, v15, v100
	v_sub_f32_e32 v13, v13, v101
	s_delay_alu instid0(VALU_DEP_3) | instskip(NEXT) | instid1(VALU_DEP_2)
	v_add_f32_e32 v17, v98, v12
	v_add_f32_e32 v13, v15, v13
	s_delay_alu instid0(VALU_DEP_2) | instskip(NEXT) | instid1(VALU_DEP_2)
	v_sub_f32_e32 v15, v17, v98
	v_add_f32_e32 v13, v17, v13
	s_delay_alu instid0(VALU_DEP_2) | instskip(NEXT) | instid1(VALU_DEP_2)
	v_sub_f32_e32 v17, v17, v15
	v_dual_sub_f32 v12, v12, v15 :: v_dual_add_f32 v99, v97, v13
	s_delay_alu instid0(VALU_DEP_2) | instskip(NEXT) | instid1(VALU_DEP_2)
	v_sub_f32_e32 v17, v98, v17
	v_sub_f32_e32 v15, v99, v97
	s_delay_alu instid0(VALU_DEP_1) | instskip(NEXT) | instid1(VALU_DEP_1)
	v_dual_add_f32 v12, v12, v17 :: v_dual_sub_f32 v13, v13, v15
	v_add_f32_e32 v12, v12, v13
	s_delay_alu instid0(VALU_DEP_1) | instskip(NEXT) | instid1(VALU_DEP_1)
	v_add_f32_e32 v12, v99, v12
	v_cndmask_b32_e32 v97, v12, v14, vcc_lo
.LBB119_90:                             ;   in Loop: Header=BB119_12 Depth=1
	s_or_b32 exec_lo, exec_lo, s29
	s_waitcnt lgkmcnt(0)
	v_cvt_f32_f16_e32 v12, v8
	s_delay_alu instid0(VALU_DEP_1) | instskip(NEXT) | instid1(VALU_DEP_1)
	v_add_f32_e32 v98, s68, v12
	v_cmp_ge_f32_e32 vcc_lo, 0x41a00000, v98
	s_and_b32 s28, s79, vcc_lo
	s_delay_alu instid0(SALU_CYCLE_1)
	s_and_saveexec_b32 s29, s28
	s_cbranch_execz .LBB119_92
; %bb.91:                               ;   in Loop: Header=BB119_12 Depth=1
	v_mul_f32_e32 v12, 0x3fb8aa3b, v98
	v_cmp_ngt_f32_e32 vcc_lo, 0xc2ce8ed0, v98
	s_delay_alu instid0(VALU_DEP_2) | instskip(SKIP_1) | instid1(VALU_DEP_2)
	v_rndne_f32_e32 v13, v12
	v_fma_f32 v14, 0x3fb8aa3b, v98, -v12
	v_sub_f32_e32 v12, v12, v13
	s_delay_alu instid0(VALU_DEP_2) | instskip(SKIP_1) | instid1(VALU_DEP_2)
	v_fmac_f32_e32 v14, 0x32a5705f, v98
	v_cvt_i32_f32_e32 v13, v13
	v_add_f32_e32 v12, v12, v14
	s_delay_alu instid0(VALU_DEP_1) | instskip(SKIP_2) | instid1(VALU_DEP_1)
	v_exp_f32_e32 v12, v12
	s_waitcnt_depctr 0xfff
	v_ldexp_f32 v12, v12, v13
	v_cndmask_b32_e32 v12, 0, v12, vcc_lo
	v_cmp_nlt_f32_e32 vcc_lo, 0x42b17218, v98
	s_delay_alu instid0(VALU_DEP_2) | instskip(NEXT) | instid1(VALU_DEP_1)
	v_cndmask_b32_e32 v14, 0x7f800000, v12, vcc_lo
	v_add_f32_e32 v15, 1.0, v14
	s_delay_alu instid0(VALU_DEP_1) | instskip(NEXT) | instid1(VALU_DEP_1)
	v_cvt_f64_f32_e32 v[12:13], v15
	v_frexp_exp_i32_f64_e32 v12, v[12:13]
	v_frexp_mant_f32_e32 v13, v15
	s_delay_alu instid0(VALU_DEP_1) | instskip(SKIP_1) | instid1(VALU_DEP_1)
	v_cmp_gt_f32_e32 vcc_lo, 0x3f2aaaab, v13
	v_add_f32_e32 v13, -1.0, v15
	v_dual_sub_f32 v98, v13, v15 :: v_dual_sub_f32 v13, v14, v13
	s_delay_alu instid0(VALU_DEP_1) | instskip(NEXT) | instid1(VALU_DEP_1)
	v_add_f32_e32 v98, 1.0, v98
	v_add_f32_e32 v13, v13, v98
	v_subrev_co_ci_u32_e32 v12, vcc_lo, 0, v12, vcc_lo
	s_delay_alu instid0(VALU_DEP_1) | instskip(SKIP_1) | instid1(VALU_DEP_2)
	v_sub_nc_u32_e32 v17, 0, v12
	v_cvt_f32_i32_e32 v12, v12
	v_ldexp_f32 v15, v15, v17
	v_ldexp_f32 v13, v13, v17
	s_delay_alu instid0(VALU_DEP_2) | instskip(SKIP_3) | instid1(VALU_DEP_4)
	v_add_f32_e32 v99, 1.0, v15
	v_add_f32_e32 v17, -1.0, v15
	v_cmp_eq_f32_e32 vcc_lo, 0x7f800000, v14
	v_cmp_gt_f32_e64 s28, 0x33800000, v14
	v_add_f32_e32 v98, -1.0, v99
	s_delay_alu instid0(VALU_DEP_4) | instskip(NEXT) | instid1(VALU_DEP_3)
	v_add_f32_e32 v100, 1.0, v17
	s_or_b32 vcc_lo, s28, vcc_lo
	s_delay_alu instid0(VALU_DEP_2) | instskip(NEXT) | instid1(VALU_DEP_1)
	v_sub_f32_e32 v98, v15, v98
	v_dual_sub_f32 v15, v15, v100 :: v_dual_add_f32 v98, v13, v98
	s_delay_alu instid0(VALU_DEP_1) | instskip(NEXT) | instid1(VALU_DEP_1)
	v_add_f32_e32 v13, v13, v15
	v_dual_add_f32 v101, v17, v13 :: v_dual_add_f32 v100, v99, v98
	s_delay_alu instid0(VALU_DEP_1) | instskip(NEXT) | instid1(VALU_DEP_2)
	v_sub_f32_e32 v17, v17, v101
	v_rcp_f32_e32 v15, v100
	v_sub_f32_e32 v99, v99, v100
	s_delay_alu instid0(VALU_DEP_1) | instskip(SKIP_2) | instid1(VALU_DEP_1)
	v_dual_add_f32 v98, v98, v99 :: v_dual_add_f32 v13, v13, v17
	s_waitcnt_depctr 0xfff
	v_mul_f32_e32 v102, v101, v15
	v_mul_f32_e32 v103, v100, v102
	s_delay_alu instid0(VALU_DEP_1) | instskip(NEXT) | instid1(VALU_DEP_1)
	v_fma_f32 v99, v102, v100, -v103
	v_fmac_f32_e32 v99, v102, v98
	s_delay_alu instid0(VALU_DEP_1) | instskip(NEXT) | instid1(VALU_DEP_1)
	v_add_f32_e32 v104, v103, v99
	v_sub_f32_e32 v105, v101, v104
	s_delay_alu instid0(VALU_DEP_1) | instskip(SKIP_1) | instid1(VALU_DEP_2)
	v_sub_f32_e32 v101, v101, v105
	v_sub_f32_e32 v17, v104, v103
	;; [unrolled: 1-line block ×3, first 2 shown]
	s_delay_alu instid0(VALU_DEP_2) | instskip(NEXT) | instid1(VALU_DEP_2)
	v_sub_f32_e32 v17, v17, v99
	v_add_f32_e32 v13, v13, v101
	s_delay_alu instid0(VALU_DEP_1) | instskip(NEXT) | instid1(VALU_DEP_1)
	v_add_f32_e32 v13, v17, v13
	v_add_f32_e32 v17, v105, v13
	s_delay_alu instid0(VALU_DEP_1) | instskip(NEXT) | instid1(VALU_DEP_1)
	v_mul_f32_e32 v99, v15, v17
	v_dual_sub_f32 v104, v105, v17 :: v_dual_mul_f32 v101, v100, v99
	s_delay_alu instid0(VALU_DEP_1) | instskip(NEXT) | instid1(VALU_DEP_2)
	v_add_f32_e32 v13, v13, v104
	v_fma_f32 v100, v99, v100, -v101
	s_delay_alu instid0(VALU_DEP_1) | instskip(NEXT) | instid1(VALU_DEP_1)
	v_fmac_f32_e32 v100, v99, v98
	v_add_f32_e32 v98, v101, v100
	s_delay_alu instid0(VALU_DEP_1) | instskip(NEXT) | instid1(VALU_DEP_1)
	v_sub_f32_e32 v103, v17, v98
	v_sub_f32_e32 v17, v17, v103
	s_delay_alu instid0(VALU_DEP_1) | instskip(NEXT) | instid1(VALU_DEP_1)
	v_sub_f32_e32 v17, v17, v98
	v_add_f32_e32 v13, v13, v17
	v_add_f32_e32 v17, v102, v99
	v_sub_f32_e32 v101, v98, v101
	s_delay_alu instid0(VALU_DEP_1) | instskip(NEXT) | instid1(VALU_DEP_1)
	v_sub_f32_e32 v98, v101, v100
	v_dual_add_f32 v13, v98, v13 :: v_dual_sub_f32 v98, v17, v102
	s_delay_alu instid0(VALU_DEP_1) | instskip(NEXT) | instid1(VALU_DEP_2)
	v_add_f32_e32 v13, v103, v13
	v_sub_f32_e32 v98, v99, v98
	s_delay_alu instid0(VALU_DEP_2) | instskip(NEXT) | instid1(VALU_DEP_1)
	v_mul_f32_e32 v13, v15, v13
	v_add_f32_e32 v13, v98, v13
	s_delay_alu instid0(VALU_DEP_1) | instskip(NEXT) | instid1(VALU_DEP_1)
	v_add_f32_e32 v15, v17, v13
	v_mul_f32_e32 v98, v15, v15
	s_delay_alu instid0(VALU_DEP_1) | instskip(SKIP_1) | instid1(VALU_DEP_2)
	v_fmaak_f32 v99, s83, v98, 0x3ecc95a3
	v_mul_f32_e32 v100, v15, v98
	v_fmaak_f32 v98, v98, v99, 0x3f2aaada
	v_ldexp_f32 v99, v15, 1
	s_delay_alu instid0(VALU_DEP_2) | instskip(NEXT) | instid1(VALU_DEP_1)
	v_dual_sub_f32 v15, v15, v17 :: v_dual_mul_f32 v98, v100, v98
	v_dual_mul_f32 v100, 0x3f317218, v12 :: v_dual_sub_f32 v13, v13, v15
	s_delay_alu instid0(VALU_DEP_2) | instskip(NEXT) | instid1(VALU_DEP_2)
	v_add_f32_e32 v17, v99, v98
	v_ldexp_f32 v13, v13, 1
	s_delay_alu instid0(VALU_DEP_2) | instskip(NEXT) | instid1(VALU_DEP_4)
	v_sub_f32_e32 v15, v17, v99
	v_fma_f32 v99, 0x3f317218, v12, -v100
	s_delay_alu instid0(VALU_DEP_2) | instskip(NEXT) | instid1(VALU_DEP_1)
	v_sub_f32_e32 v15, v98, v15
	v_dual_fmac_f32 v99, 0xb102e308, v12 :: v_dual_add_f32 v12, v13, v15
	s_delay_alu instid0(VALU_DEP_1) | instskip(NEXT) | instid1(VALU_DEP_2)
	v_add_f32_e32 v13, v100, v99
	v_add_f32_e32 v15, v17, v12
	s_delay_alu instid0(VALU_DEP_2) | instskip(NEXT) | instid1(VALU_DEP_2)
	v_sub_f32_e32 v100, v13, v100
	v_dual_add_f32 v98, v13, v15 :: v_dual_sub_f32 v17, v15, v17
	s_delay_alu instid0(VALU_DEP_2) | instskip(NEXT) | instid1(VALU_DEP_2)
	v_sub_f32_e32 v99, v99, v100
	v_sub_f32_e32 v101, v98, v13
	s_delay_alu instid0(VALU_DEP_3) | instskip(NEXT) | instid1(VALU_DEP_2)
	v_sub_f32_e32 v12, v12, v17
	v_sub_f32_e32 v102, v98, v101
	;; [unrolled: 1-line block ×3, first 2 shown]
	s_delay_alu instid0(VALU_DEP_3) | instskip(NEXT) | instid1(VALU_DEP_3)
	v_add_f32_e32 v17, v99, v12
	v_sub_f32_e32 v13, v13, v102
	s_delay_alu instid0(VALU_DEP_1) | instskip(NEXT) | instid1(VALU_DEP_3)
	v_add_f32_e32 v13, v15, v13
	v_sub_f32_e32 v15, v17, v99
	s_delay_alu instid0(VALU_DEP_2) | instskip(NEXT) | instid1(VALU_DEP_2)
	v_add_f32_e32 v13, v17, v13
	v_sub_f32_e32 v17, v17, v15
	v_sub_f32_e32 v12, v12, v15
	s_delay_alu instid0(VALU_DEP_3) | instskip(NEXT) | instid1(VALU_DEP_3)
	v_add_f32_e32 v100, v98, v13
	v_sub_f32_e32 v17, v99, v17
	s_delay_alu instid0(VALU_DEP_2) | instskip(NEXT) | instid1(VALU_DEP_1)
	v_sub_f32_e32 v15, v100, v98
	v_dual_add_f32 v12, v12, v17 :: v_dual_sub_f32 v13, v13, v15
	s_delay_alu instid0(VALU_DEP_1) | instskip(NEXT) | instid1(VALU_DEP_1)
	v_add_f32_e32 v12, v12, v13
	v_add_f32_e32 v12, v100, v12
	s_delay_alu instid0(VALU_DEP_1)
	v_cndmask_b32_e32 v98, v12, v14, vcc_lo
.LBB119_92:                             ;   in Loop: Header=BB119_12 Depth=1
	s_or_b32 exec_lo, exec_lo, s29
	v_lshrrev_b32_e32 v8, 16, v8
	s_delay_alu instid0(VALU_DEP_1) | instskip(NEXT) | instid1(VALU_DEP_1)
	v_cvt_f32_f16_e32 v8, v8
	v_add_f32_e32 v99, s68, v8
	s_delay_alu instid0(VALU_DEP_1) | instskip(SKIP_1) | instid1(SALU_CYCLE_1)
	v_cmp_ge_f32_e32 vcc_lo, 0x41a00000, v99
	s_and_b32 s28, s79, vcc_lo
	s_and_saveexec_b32 s29, s28
	s_cbranch_execz .LBB119_94
; %bb.93:                               ;   in Loop: Header=BB119_12 Depth=1
	v_mul_f32_e32 v8, 0x3fb8aa3b, v99
	v_cmp_ngt_f32_e32 vcc_lo, 0xc2ce8ed0, v99
	s_delay_alu instid0(VALU_DEP_2) | instskip(SKIP_1) | instid1(VALU_DEP_1)
	v_rndne_f32_e32 v12, v8
	v_fma_f32 v13, 0x3fb8aa3b, v99, -v8
	v_dual_sub_f32 v8, v8, v12 :: v_dual_fmac_f32 v13, 0x32a5705f, v99
	v_cvt_i32_f32_e32 v12, v12
	s_delay_alu instid0(VALU_DEP_2) | instskip(NEXT) | instid1(VALU_DEP_1)
	v_add_f32_e32 v8, v8, v13
	v_exp_f32_e32 v8, v8
	s_waitcnt_depctr 0xfff
	v_ldexp_f32 v8, v8, v12
	s_delay_alu instid0(VALU_DEP_1) | instskip(SKIP_1) | instid1(VALU_DEP_2)
	v_cndmask_b32_e32 v8, 0, v8, vcc_lo
	v_cmp_nlt_f32_e32 vcc_lo, 0x42b17218, v99
	v_cndmask_b32_e32 v8, 0x7f800000, v8, vcc_lo
	s_delay_alu instid0(VALU_DEP_1) | instskip(NEXT) | instid1(VALU_DEP_1)
	v_add_f32_e32 v14, 1.0, v8
	v_cvt_f64_f32_e32 v[12:13], v14
	s_delay_alu instid0(VALU_DEP_1) | instskip(SKIP_1) | instid1(VALU_DEP_1)
	v_frexp_exp_i32_f64_e32 v12, v[12:13]
	v_frexp_mant_f32_e32 v13, v14
	v_cmp_gt_f32_e32 vcc_lo, 0x3f2aaaab, v13
	v_add_f32_e32 v13, -1.0, v14
	s_delay_alu instid0(VALU_DEP_1) | instskip(NEXT) | instid1(VALU_DEP_1)
	v_sub_f32_e32 v17, v13, v14
	v_add_f32_e32 v17, 1.0, v17
	v_subrev_co_ci_u32_e32 v12, vcc_lo, 0, v12, vcc_lo
	s_delay_alu instid0(VALU_DEP_1) | instskip(SKIP_1) | instid1(VALU_DEP_2)
	v_sub_nc_u32_e32 v15, 0, v12
	v_cvt_f32_i32_e32 v12, v12
	v_ldexp_f32 v14, v14, v15
	s_delay_alu instid0(VALU_DEP_1) | instskip(SKIP_3) | instid1(VALU_DEP_3)
	v_add_f32_e32 v99, 1.0, v14
	v_sub_f32_e32 v13, v8, v13
	v_cmp_eq_f32_e32 vcc_lo, 0x7f800000, v8
	v_cmp_gt_f32_e64 s28, 0x33800000, v8
	v_add_f32_e32 v13, v13, v17
	s_delay_alu instid0(VALU_DEP_2) | instskip(NEXT) | instid1(VALU_DEP_1)
	s_or_b32 vcc_lo, s28, vcc_lo
	v_ldexp_f32 v13, v13, v15
	v_add_f32_e32 v15, -1.0, v14
	s_delay_alu instid0(VALU_DEP_1) | instskip(SKIP_1) | instid1(VALU_DEP_1)
	v_add_f32_e32 v100, 1.0, v15
	v_add_f32_e32 v17, -1.0, v99
	v_sub_f32_e32 v17, v14, v17
	s_delay_alu instid0(VALU_DEP_1) | instskip(NEXT) | instid1(VALU_DEP_1)
	v_dual_sub_f32 v14, v14, v100 :: v_dual_add_f32 v17, v13, v17
	v_add_f32_e32 v100, v99, v17
	s_delay_alu instid0(VALU_DEP_1) | instskip(NEXT) | instid1(VALU_DEP_1)
	v_sub_f32_e32 v99, v99, v100
	v_add_f32_e32 v17, v17, v99
	s_delay_alu instid0(VALU_DEP_4) | instskip(SKIP_1) | instid1(VALU_DEP_1)
	v_add_f32_e32 v13, v13, v14
	v_rcp_f32_e32 v14, v100
	v_add_f32_e32 v101, v15, v13
	s_waitcnt_depctr 0xfff
	v_dual_sub_f32 v15, v15, v101 :: v_dual_mul_f32 v102, v101, v14
	s_delay_alu instid0(VALU_DEP_1) | instskip(NEXT) | instid1(VALU_DEP_2)
	v_add_f32_e32 v13, v13, v15
	v_mul_f32_e32 v103, v100, v102
	s_delay_alu instid0(VALU_DEP_1) | instskip(NEXT) | instid1(VALU_DEP_1)
	v_fma_f32 v99, v102, v100, -v103
	v_fmac_f32_e32 v99, v102, v17
	s_delay_alu instid0(VALU_DEP_1) | instskip(NEXT) | instid1(VALU_DEP_1)
	v_add_f32_e32 v104, v103, v99
	v_sub_f32_e32 v105, v101, v104
	v_sub_f32_e32 v15, v104, v103
	s_delay_alu instid0(VALU_DEP_2) | instskip(NEXT) | instid1(VALU_DEP_2)
	v_sub_f32_e32 v101, v101, v105
	v_sub_f32_e32 v15, v15, v99
	s_delay_alu instid0(VALU_DEP_2) | instskip(NEXT) | instid1(VALU_DEP_1)
	v_sub_f32_e32 v101, v101, v104
	v_add_f32_e32 v13, v13, v101
	s_delay_alu instid0(VALU_DEP_1) | instskip(NEXT) | instid1(VALU_DEP_1)
	v_add_f32_e32 v13, v15, v13
	v_add_f32_e32 v15, v105, v13
	s_delay_alu instid0(VALU_DEP_1) | instskip(SKIP_1) | instid1(VALU_DEP_2)
	v_mul_f32_e32 v99, v14, v15
	v_sub_f32_e32 v104, v105, v15
	v_mul_f32_e32 v101, v100, v99
	s_delay_alu instid0(VALU_DEP_2) | instskip(NEXT) | instid1(VALU_DEP_2)
	v_add_f32_e32 v13, v13, v104
	v_fma_f32 v100, v99, v100, -v101
	s_delay_alu instid0(VALU_DEP_1) | instskip(NEXT) | instid1(VALU_DEP_1)
	v_fmac_f32_e32 v100, v99, v17
	v_add_f32_e32 v17, v101, v100
	s_delay_alu instid0(VALU_DEP_1) | instskip(SKIP_1) | instid1(VALU_DEP_2)
	v_sub_f32_e32 v103, v15, v17
	v_sub_f32_e32 v101, v17, v101
	;; [unrolled: 1-line block ×3, first 2 shown]
	s_delay_alu instid0(VALU_DEP_1) | instskip(NEXT) | instid1(VALU_DEP_3)
	v_sub_f32_e32 v15, v15, v17
	v_sub_f32_e32 v17, v101, v100
	s_delay_alu instid0(VALU_DEP_2) | instskip(SKIP_1) | instid1(VALU_DEP_2)
	v_add_f32_e32 v13, v13, v15
	v_add_f32_e32 v15, v102, v99
	;; [unrolled: 1-line block ×3, first 2 shown]
	s_delay_alu instid0(VALU_DEP_2) | instskip(NEXT) | instid1(VALU_DEP_2)
	v_sub_f32_e32 v17, v15, v102
	v_add_f32_e32 v13, v103, v13
	s_delay_alu instid0(VALU_DEP_2) | instskip(NEXT) | instid1(VALU_DEP_2)
	v_sub_f32_e32 v17, v99, v17
	v_mul_f32_e32 v13, v14, v13
	s_delay_alu instid0(VALU_DEP_1) | instskip(NEXT) | instid1(VALU_DEP_1)
	v_add_f32_e32 v13, v17, v13
	v_add_f32_e32 v14, v15, v13
	s_delay_alu instid0(VALU_DEP_1) | instskip(NEXT) | instid1(VALU_DEP_1)
	v_mul_f32_e32 v17, v14, v14
	v_fmaak_f32 v99, s83, v17, 0x3ecc95a3
	s_delay_alu instid0(VALU_DEP_1) | instskip(SKIP_1) | instid1(VALU_DEP_2)
	v_dual_mul_f32 v100, v14, v17 :: v_dual_fmaak_f32 v17, v17, v99, 0x3f2aaada
	v_ldexp_f32 v99, v14, 1
	v_dual_sub_f32 v14, v14, v15 :: v_dual_mul_f32 v17, v100, v17
	s_delay_alu instid0(VALU_DEP_1) | instskip(NEXT) | instid1(VALU_DEP_2)
	v_dual_mul_f32 v100, 0x3f317218, v12 :: v_dual_sub_f32 v13, v13, v14
	v_add_f32_e32 v15, v99, v17
	s_delay_alu instid0(VALU_DEP_2) | instskip(NEXT) | instid1(VALU_DEP_2)
	v_ldexp_f32 v13, v13, 1
	v_sub_f32_e32 v14, v15, v99
	s_delay_alu instid0(VALU_DEP_4) | instskip(NEXT) | instid1(VALU_DEP_1)
	v_fma_f32 v99, 0x3f317218, v12, -v100
	v_dual_sub_f32 v14, v17, v14 :: v_dual_fmac_f32 v99, 0xb102e308, v12
	s_delay_alu instid0(VALU_DEP_1) | instskip(NEXT) | instid1(VALU_DEP_1)
	v_dual_add_f32 v12, v13, v14 :: v_dual_add_f32 v13, v100, v99
	v_add_f32_e32 v14, v15, v12
	s_delay_alu instid0(VALU_DEP_2) | instskip(NEXT) | instid1(VALU_DEP_2)
	v_sub_f32_e32 v100, v13, v100
	v_add_f32_e32 v17, v13, v14
	v_sub_f32_e32 v15, v14, v15
	s_delay_alu instid0(VALU_DEP_3) | instskip(NEXT) | instid1(VALU_DEP_2)
	v_sub_f32_e32 v99, v99, v100
	v_dual_sub_f32 v101, v17, v13 :: v_dual_sub_f32 v12, v12, v15
	s_delay_alu instid0(VALU_DEP_1) | instskip(NEXT) | instid1(VALU_DEP_2)
	v_sub_f32_e32 v102, v17, v101
	v_dual_sub_f32 v14, v14, v101 :: v_dual_add_f32 v15, v99, v12
	s_delay_alu instid0(VALU_DEP_2) | instskip(NEXT) | instid1(VALU_DEP_1)
	v_sub_f32_e32 v13, v13, v102
	v_dual_add_f32 v13, v14, v13 :: v_dual_sub_f32 v14, v15, v99
	s_delay_alu instid0(VALU_DEP_1) | instskip(NEXT) | instid1(VALU_DEP_2)
	v_add_f32_e32 v13, v15, v13
	v_sub_f32_e32 v15, v15, v14
	v_sub_f32_e32 v12, v12, v14
	s_delay_alu instid0(VALU_DEP_2) | instskip(NEXT) | instid1(VALU_DEP_1)
	v_dual_add_f32 v100, v17, v13 :: v_dual_sub_f32 v15, v99, v15
	v_sub_f32_e32 v14, v100, v17
	s_delay_alu instid0(VALU_DEP_1) | instskip(NEXT) | instid1(VALU_DEP_1)
	v_dual_add_f32 v12, v12, v15 :: v_dual_sub_f32 v13, v13, v14
	v_add_f32_e32 v12, v12, v13
	s_delay_alu instid0(VALU_DEP_1) | instskip(NEXT) | instid1(VALU_DEP_1)
	v_add_f32_e32 v12, v100, v12
	v_cndmask_b32_e32 v99, v12, v8, vcc_lo
.LBB119_94:                             ;   in Loop: Header=BB119_12 Depth=1
	s_or_b32 exec_lo, exec_lo, s29
	v_cvt_f32_f16_e32 v8, v9
	s_delay_alu instid0(VALU_DEP_1) | instskip(NEXT) | instid1(VALU_DEP_1)
	v_add_f32_e32 v100, s68, v8
	v_cmp_ge_f32_e32 vcc_lo, 0x41a00000, v100
	s_and_b32 s28, s79, vcc_lo
	s_delay_alu instid0(SALU_CYCLE_1)
	s_and_saveexec_b32 s29, s28
	s_cbranch_execz .LBB119_96
; %bb.95:                               ;   in Loop: Header=BB119_12 Depth=1
	v_mul_f32_e32 v8, 0x3fb8aa3b, v100
	v_cmp_ngt_f32_e32 vcc_lo, 0xc2ce8ed0, v100
	s_delay_alu instid0(VALU_DEP_2) | instskip(SKIP_1) | instid1(VALU_DEP_2)
	v_rndne_f32_e32 v12, v8
	v_fma_f32 v13, 0x3fb8aa3b, v100, -v8
	v_sub_f32_e32 v8, v8, v12
	s_delay_alu instid0(VALU_DEP_2) | instskip(SKIP_1) | instid1(VALU_DEP_2)
	v_fmac_f32_e32 v13, 0x32a5705f, v100
	v_cvt_i32_f32_e32 v12, v12
	v_add_f32_e32 v8, v8, v13
	s_delay_alu instid0(VALU_DEP_1) | instskip(SKIP_2) | instid1(VALU_DEP_1)
	v_exp_f32_e32 v8, v8
	s_waitcnt_depctr 0xfff
	v_ldexp_f32 v8, v8, v12
	v_cndmask_b32_e32 v8, 0, v8, vcc_lo
	v_cmp_nlt_f32_e32 vcc_lo, 0x42b17218, v100
	s_delay_alu instid0(VALU_DEP_2) | instskip(NEXT) | instid1(VALU_DEP_1)
	v_cndmask_b32_e32 v8, 0x7f800000, v8, vcc_lo
	v_add_f32_e32 v14, 1.0, v8
	s_delay_alu instid0(VALU_DEP_1) | instskip(NEXT) | instid1(VALU_DEP_1)
	v_cvt_f64_f32_e32 v[12:13], v14
	v_frexp_exp_i32_f64_e32 v12, v[12:13]
	v_frexp_mant_f32_e32 v13, v14
	s_delay_alu instid0(VALU_DEP_1) | instskip(SKIP_1) | instid1(VALU_DEP_1)
	v_cmp_gt_f32_e32 vcc_lo, 0x3f2aaaab, v13
	v_add_f32_e32 v13, -1.0, v14
	v_sub_f32_e32 v17, v13, v14
	v_sub_f32_e32 v13, v8, v13
	s_delay_alu instid0(VALU_DEP_2) | instskip(NEXT) | instid1(VALU_DEP_1)
	v_add_f32_e32 v17, 1.0, v17
	v_add_f32_e32 v13, v13, v17
	v_cmp_gt_f32_e64 s28, 0x33800000, v8
	v_subrev_co_ci_u32_e32 v12, vcc_lo, 0, v12, vcc_lo
	v_cmp_eq_f32_e32 vcc_lo, 0x7f800000, v8
	s_delay_alu instid0(VALU_DEP_2) | instskip(SKIP_2) | instid1(VALU_DEP_2)
	v_sub_nc_u32_e32 v15, 0, v12
	v_cvt_f32_i32_e32 v12, v12
	s_or_b32 vcc_lo, s28, vcc_lo
	v_ldexp_f32 v14, v14, v15
	v_ldexp_f32 v13, v13, v15
	s_delay_alu instid0(VALU_DEP_2) | instskip(SKIP_1) | instid1(VALU_DEP_2)
	v_add_f32_e32 v100, 1.0, v14
	v_add_f32_e32 v15, -1.0, v14
	v_add_f32_e32 v17, -1.0, v100
	s_delay_alu instid0(VALU_DEP_2) | instskip(NEXT) | instid1(VALU_DEP_2)
	v_add_f32_e32 v101, 1.0, v15
	v_sub_f32_e32 v17, v14, v17
	s_delay_alu instid0(VALU_DEP_2) | instskip(NEXT) | instid1(VALU_DEP_2)
	v_sub_f32_e32 v14, v14, v101
	v_add_f32_e32 v17, v13, v17
	s_delay_alu instid0(VALU_DEP_1) | instskip(NEXT) | instid1(VALU_DEP_1)
	v_add_f32_e32 v101, v100, v17
	v_dual_add_f32 v13, v13, v14 :: v_dual_sub_f32 v100, v100, v101
	v_rcp_f32_e32 v14, v101
	s_delay_alu instid0(VALU_DEP_1) | instskip(NEXT) | instid1(VALU_DEP_1)
	v_dual_add_f32 v102, v15, v13 :: v_dual_add_f32 v17, v17, v100
	v_sub_f32_e32 v15, v15, v102
	s_waitcnt_depctr 0xfff
	v_mul_f32_e32 v103, v102, v14
	v_add_f32_e32 v13, v13, v15
	s_delay_alu instid0(VALU_DEP_2) | instskip(NEXT) | instid1(VALU_DEP_1)
	v_mul_f32_e32 v104, v101, v103
	v_fma_f32 v100, v103, v101, -v104
	s_delay_alu instid0(VALU_DEP_1) | instskip(NEXT) | instid1(VALU_DEP_1)
	v_fmac_f32_e32 v100, v103, v17
	v_add_f32_e32 v105, v104, v100
	s_delay_alu instid0(VALU_DEP_1) | instskip(NEXT) | instid1(VALU_DEP_1)
	v_dual_sub_f32 v106, v102, v105 :: v_dual_sub_f32 v15, v105, v104
	v_dual_sub_f32 v102, v102, v106 :: v_dual_sub_f32 v15, v15, v100
	s_delay_alu instid0(VALU_DEP_1) | instskip(NEXT) | instid1(VALU_DEP_1)
	v_sub_f32_e32 v102, v102, v105
	v_add_f32_e32 v13, v13, v102
	s_delay_alu instid0(VALU_DEP_1) | instskip(NEXT) | instid1(VALU_DEP_1)
	v_add_f32_e32 v13, v15, v13
	v_add_f32_e32 v15, v106, v13
	s_delay_alu instid0(VALU_DEP_1) | instskip(NEXT) | instid1(VALU_DEP_1)
	v_mul_f32_e32 v100, v14, v15
	v_dual_sub_f32 v105, v106, v15 :: v_dual_mul_f32 v102, v101, v100
	s_delay_alu instid0(VALU_DEP_1) | instskip(NEXT) | instid1(VALU_DEP_2)
	v_add_f32_e32 v13, v13, v105
	v_fma_f32 v101, v100, v101, -v102
	s_delay_alu instid0(VALU_DEP_1) | instskip(NEXT) | instid1(VALU_DEP_1)
	v_fmac_f32_e32 v101, v100, v17
	v_add_f32_e32 v17, v102, v101
	s_delay_alu instid0(VALU_DEP_1) | instskip(NEXT) | instid1(VALU_DEP_1)
	v_sub_f32_e32 v104, v15, v17
	v_dual_sub_f32 v102, v17, v102 :: v_dual_sub_f32 v15, v15, v104
	s_delay_alu instid0(VALU_DEP_1) | instskip(NEXT) | instid1(VALU_DEP_2)
	v_sub_f32_e32 v15, v15, v17
	v_sub_f32_e32 v17, v102, v101
	s_delay_alu instid0(VALU_DEP_2) | instskip(SKIP_1) | instid1(VALU_DEP_2)
	v_add_f32_e32 v13, v13, v15
	v_add_f32_e32 v15, v103, v100
	v_add_f32_e32 v13, v17, v13
	s_delay_alu instid0(VALU_DEP_2) | instskip(NEXT) | instid1(VALU_DEP_2)
	v_sub_f32_e32 v17, v15, v103
	v_add_f32_e32 v13, v104, v13
	s_delay_alu instid0(VALU_DEP_2) | instskip(NEXT) | instid1(VALU_DEP_2)
	v_sub_f32_e32 v17, v100, v17
	v_mul_f32_e32 v13, v14, v13
	s_delay_alu instid0(VALU_DEP_1) | instskip(NEXT) | instid1(VALU_DEP_1)
	v_add_f32_e32 v13, v17, v13
	v_add_f32_e32 v14, v15, v13
	s_delay_alu instid0(VALU_DEP_1) | instskip(NEXT) | instid1(VALU_DEP_1)
	v_mul_f32_e32 v17, v14, v14
	v_fmaak_f32 v100, s83, v17, 0x3ecc95a3
	v_mul_f32_e32 v101, v14, v17
	s_delay_alu instid0(VALU_DEP_2) | instskip(SKIP_1) | instid1(VALU_DEP_2)
	v_fmaak_f32 v17, v17, v100, 0x3f2aaada
	v_ldexp_f32 v100, v14, 1
	v_dual_sub_f32 v14, v14, v15 :: v_dual_mul_f32 v17, v101, v17
	v_mul_f32_e32 v101, 0x3f317218, v12
	s_delay_alu instid0(VALU_DEP_2) | instskip(NEXT) | instid1(VALU_DEP_3)
	v_sub_f32_e32 v13, v13, v14
	v_add_f32_e32 v15, v100, v17
	s_delay_alu instid0(VALU_DEP_2) | instskip(NEXT) | instid1(VALU_DEP_2)
	v_ldexp_f32 v13, v13, 1
	v_sub_f32_e32 v14, v15, v100
	v_fma_f32 v100, 0x3f317218, v12, -v101
	s_delay_alu instid0(VALU_DEP_2) | instskip(NEXT) | instid1(VALU_DEP_2)
	v_sub_f32_e32 v14, v17, v14
	v_fmac_f32_e32 v100, 0xb102e308, v12
	s_delay_alu instid0(VALU_DEP_2) | instskip(NEXT) | instid1(VALU_DEP_2)
	v_add_f32_e32 v12, v13, v14
	v_add_f32_e32 v13, v101, v100
	s_delay_alu instid0(VALU_DEP_1) | instskip(NEXT) | instid1(VALU_DEP_1)
	v_dual_add_f32 v14, v15, v12 :: v_dual_sub_f32 v101, v13, v101
	v_add_f32_e32 v17, v13, v14
	s_delay_alu instid0(VALU_DEP_2) | instskip(NEXT) | instid1(VALU_DEP_2)
	v_dual_sub_f32 v15, v14, v15 :: v_dual_sub_f32 v100, v100, v101
	v_sub_f32_e32 v102, v17, v13
	s_delay_alu instid0(VALU_DEP_1) | instskip(NEXT) | instid1(VALU_DEP_1)
	v_dual_sub_f32 v12, v12, v15 :: v_dual_sub_f32 v103, v17, v102
	v_dual_sub_f32 v14, v14, v102 :: v_dual_add_f32 v15, v100, v12
	s_delay_alu instid0(VALU_DEP_2) | instskip(NEXT) | instid1(VALU_DEP_1)
	v_sub_f32_e32 v13, v13, v103
	v_dual_add_f32 v13, v14, v13 :: v_dual_sub_f32 v14, v15, v100
	s_delay_alu instid0(VALU_DEP_1) | instskip(NEXT) | instid1(VALU_DEP_2)
	v_add_f32_e32 v13, v15, v13
	v_sub_f32_e32 v15, v15, v14
	s_delay_alu instid0(VALU_DEP_2) | instskip(NEXT) | instid1(VALU_DEP_1)
	v_dual_sub_f32 v12, v12, v14 :: v_dual_add_f32 v101, v17, v13
	v_dual_sub_f32 v15, v100, v15 :: v_dual_sub_f32 v14, v101, v17
	s_delay_alu instid0(VALU_DEP_1) | instskip(NEXT) | instid1(VALU_DEP_1)
	v_dual_add_f32 v12, v12, v15 :: v_dual_sub_f32 v13, v13, v14
	v_add_f32_e32 v12, v12, v13
	s_delay_alu instid0(VALU_DEP_1) | instskip(NEXT) | instid1(VALU_DEP_1)
	v_add_f32_e32 v12, v101, v12
	v_cndmask_b32_e32 v100, v12, v8, vcc_lo
.LBB119_96:                             ;   in Loop: Header=BB119_12 Depth=1
	s_or_b32 exec_lo, exec_lo, s29
	v_lshrrev_b32_e32 v8, 16, v9
	s_delay_alu instid0(VALU_DEP_1) | instskip(NEXT) | instid1(VALU_DEP_1)
	v_cvt_f32_f16_e32 v8, v8
	v_add_f32_e32 v101, s68, v8
	s_delay_alu instid0(VALU_DEP_1) | instskip(SKIP_1) | instid1(SALU_CYCLE_1)
	v_cmp_ge_f32_e32 vcc_lo, 0x41a00000, v101
	s_and_b32 s28, s79, vcc_lo
	s_and_saveexec_b32 s29, s28
	s_cbranch_execz .LBB119_98
; %bb.97:                               ;   in Loop: Header=BB119_12 Depth=1
	v_mul_f32_e32 v8, 0x3fb8aa3b, v101
	v_cmp_ngt_f32_e32 vcc_lo, 0xc2ce8ed0, v101
	s_delay_alu instid0(VALU_DEP_2) | instskip(SKIP_1) | instid1(VALU_DEP_2)
	v_rndne_f32_e32 v9, v8
	v_fma_f32 v12, 0x3fb8aa3b, v101, -v8
	v_sub_f32_e32 v8, v8, v9
	s_delay_alu instid0(VALU_DEP_2) | instskip(SKIP_1) | instid1(VALU_DEP_2)
	v_fmac_f32_e32 v12, 0x32a5705f, v101
	v_cvt_i32_f32_e32 v9, v9
	v_add_f32_e32 v8, v8, v12
	s_delay_alu instid0(VALU_DEP_1) | instskip(SKIP_2) | instid1(VALU_DEP_1)
	v_exp_f32_e32 v8, v8
	s_waitcnt_depctr 0xfff
	v_ldexp_f32 v8, v8, v9
	v_cndmask_b32_e32 v8, 0, v8, vcc_lo
	v_cmp_nlt_f32_e32 vcc_lo, 0x42b17218, v101
	s_delay_alu instid0(VALU_DEP_2) | instskip(NEXT) | instid1(VALU_DEP_1)
	v_cndmask_b32_e32 v12, 0x7f800000, v8, vcc_lo
	v_add_f32_e32 v13, 1.0, v12
	s_delay_alu instid0(VALU_DEP_1) | instskip(NEXT) | instid1(VALU_DEP_1)
	v_cvt_f64_f32_e32 v[8:9], v13
	v_frexp_exp_i32_f64_e32 v8, v[8:9]
	v_frexp_mant_f32_e32 v9, v13
	s_delay_alu instid0(VALU_DEP_1) | instskip(SKIP_1) | instid1(VALU_DEP_1)
	v_cmp_gt_f32_e32 vcc_lo, 0x3f2aaaab, v9
	v_add_f32_e32 v9, -1.0, v13
	v_sub_f32_e32 v15, v9, v13
	s_delay_alu instid0(VALU_DEP_1) | instskip(SKIP_1) | instid1(VALU_DEP_1)
	v_add_f32_e32 v15, 1.0, v15
	v_subrev_co_ci_u32_e32 v8, vcc_lo, 0, v8, vcc_lo
	v_sub_nc_u32_e32 v14, 0, v8
	v_cvt_f32_i32_e32 v8, v8
	s_delay_alu instid0(VALU_DEP_2) | instskip(NEXT) | instid1(VALU_DEP_1)
	v_ldexp_f32 v13, v13, v14
	v_add_f32_e32 v17, 1.0, v13
	v_sub_f32_e32 v9, v12, v9
	v_cmp_eq_f32_e32 vcc_lo, 0x7f800000, v12
	v_cmp_gt_f32_e64 s28, 0x33800000, v12
	s_delay_alu instid0(VALU_DEP_3) | instskip(NEXT) | instid1(VALU_DEP_2)
	v_add_f32_e32 v9, v9, v15
	s_or_b32 vcc_lo, s28, vcc_lo
	s_delay_alu instid0(VALU_DEP_1) | instskip(SKIP_2) | instid1(VALU_DEP_1)
	v_ldexp_f32 v9, v9, v14
	v_add_f32_e32 v14, -1.0, v13
	v_add_f32_e32 v15, -1.0, v17
	v_sub_f32_e32 v15, v13, v15
	s_delay_alu instid0(VALU_DEP_3) | instskip(NEXT) | instid1(VALU_DEP_2)
	v_add_f32_e32 v101, 1.0, v14
	v_add_f32_e32 v15, v9, v15
	s_delay_alu instid0(VALU_DEP_2) | instskip(NEXT) | instid1(VALU_DEP_2)
	v_sub_f32_e32 v13, v13, v101
	v_add_f32_e32 v101, v17, v15
	s_delay_alu instid0(VALU_DEP_2) | instskip(NEXT) | instid1(VALU_DEP_2)
	v_add_f32_e32 v9, v9, v13
	v_rcp_f32_e32 v13, v101
	s_delay_alu instid0(VALU_DEP_1) | instskip(NEXT) | instid1(VALU_DEP_1)
	v_add_f32_e32 v102, v14, v9
	v_dual_sub_f32 v17, v17, v101 :: v_dual_sub_f32 v14, v14, v102
	s_delay_alu instid0(VALU_DEP_1) | instskip(SKIP_2) | instid1(VALU_DEP_1)
	v_add_f32_e32 v15, v15, v17
	s_waitcnt_depctr 0xfff
	v_mul_f32_e32 v103, v102, v13
	v_mul_f32_e32 v104, v101, v103
	s_delay_alu instid0(VALU_DEP_1) | instskip(NEXT) | instid1(VALU_DEP_1)
	v_fma_f32 v17, v103, v101, -v104
	v_fmac_f32_e32 v17, v103, v15
	v_add_f32_e32 v9, v9, v14
	s_delay_alu instid0(VALU_DEP_2) | instskip(NEXT) | instid1(VALU_DEP_1)
	v_add_f32_e32 v105, v104, v17
	v_sub_f32_e32 v106, v102, v105
	v_sub_f32_e32 v14, v105, v104
	s_delay_alu instid0(VALU_DEP_2) | instskip(NEXT) | instid1(VALU_DEP_2)
	v_sub_f32_e32 v102, v102, v106
	v_sub_f32_e32 v14, v14, v17
	s_delay_alu instid0(VALU_DEP_2) | instskip(NEXT) | instid1(VALU_DEP_1)
	v_sub_f32_e32 v102, v102, v105
	v_add_f32_e32 v9, v9, v102
	s_delay_alu instid0(VALU_DEP_1) | instskip(NEXT) | instid1(VALU_DEP_1)
	v_add_f32_e32 v9, v14, v9
	v_add_f32_e32 v14, v106, v9
	s_delay_alu instid0(VALU_DEP_1) | instskip(NEXT) | instid1(VALU_DEP_1)
	v_mul_f32_e32 v17, v13, v14
	v_dual_sub_f32 v105, v106, v14 :: v_dual_mul_f32 v102, v101, v17
	s_delay_alu instid0(VALU_DEP_1) | instskip(NEXT) | instid1(VALU_DEP_2)
	v_add_f32_e32 v9, v9, v105
	v_fma_f32 v101, v17, v101, -v102
	s_delay_alu instid0(VALU_DEP_1) | instskip(NEXT) | instid1(VALU_DEP_1)
	v_fmac_f32_e32 v101, v17, v15
	v_add_f32_e32 v15, v102, v101
	s_delay_alu instid0(VALU_DEP_1) | instskip(SKIP_1) | instid1(VALU_DEP_2)
	v_sub_f32_e32 v104, v14, v15
	v_sub_f32_e32 v102, v15, v102
	;; [unrolled: 1-line block ×3, first 2 shown]
	s_delay_alu instid0(VALU_DEP_1) | instskip(NEXT) | instid1(VALU_DEP_1)
	v_sub_f32_e32 v14, v14, v15
	v_dual_add_f32 v9, v9, v14 :: v_dual_add_f32 v14, v103, v17
	s_delay_alu instid0(VALU_DEP_4) | instskip(NEXT) | instid1(VALU_DEP_1)
	v_sub_f32_e32 v15, v102, v101
	v_add_f32_e32 v9, v15, v9
	s_delay_alu instid0(VALU_DEP_3) | instskip(NEXT) | instid1(VALU_DEP_2)
	v_sub_f32_e32 v15, v14, v103
	v_add_f32_e32 v9, v104, v9
	s_delay_alu instid0(VALU_DEP_2) | instskip(NEXT) | instid1(VALU_DEP_2)
	v_sub_f32_e32 v15, v17, v15
	v_mul_f32_e32 v9, v13, v9
	s_delay_alu instid0(VALU_DEP_1) | instskip(NEXT) | instid1(VALU_DEP_1)
	v_add_f32_e32 v9, v15, v9
	v_add_f32_e32 v13, v14, v9
	s_delay_alu instid0(VALU_DEP_1) | instskip(NEXT) | instid1(VALU_DEP_1)
	v_mul_f32_e32 v15, v13, v13
	v_fmaak_f32 v17, s83, v15, 0x3ecc95a3
	v_mul_f32_e32 v101, v13, v15
	s_delay_alu instid0(VALU_DEP_2) | instskip(SKIP_2) | instid1(VALU_DEP_3)
	v_fmaak_f32 v15, v15, v17, 0x3f2aaada
	v_ldexp_f32 v17, v13, 1
	v_sub_f32_e32 v13, v13, v14
	v_mul_f32_e32 v15, v101, v15
	v_mul_f32_e32 v101, 0x3f317218, v8
	s_delay_alu instid0(VALU_DEP_3) | instskip(NEXT) | instid1(VALU_DEP_3)
	v_sub_f32_e32 v9, v9, v13
	v_add_f32_e32 v14, v17, v15
	s_delay_alu instid0(VALU_DEP_2) | instskip(NEXT) | instid1(VALU_DEP_2)
	v_ldexp_f32 v9, v9, 1
	v_sub_f32_e32 v13, v14, v17
	v_fma_f32 v17, 0x3f317218, v8, -v101
	s_delay_alu instid0(VALU_DEP_2) | instskip(NEXT) | instid1(VALU_DEP_1)
	v_sub_f32_e32 v13, v15, v13
	v_dual_fmac_f32 v17, 0xb102e308, v8 :: v_dual_add_f32 v8, v9, v13
	s_delay_alu instid0(VALU_DEP_1) | instskip(NEXT) | instid1(VALU_DEP_2)
	v_add_f32_e32 v9, v101, v17
	v_add_f32_e32 v13, v14, v8
	s_delay_alu instid0(VALU_DEP_2) | instskip(NEXT) | instid1(VALU_DEP_2)
	v_sub_f32_e32 v101, v9, v101
	v_add_f32_e32 v15, v9, v13
	v_sub_f32_e32 v14, v13, v14
	s_delay_alu instid0(VALU_DEP_3) | instskip(NEXT) | instid1(VALU_DEP_3)
	v_sub_f32_e32 v17, v17, v101
	v_sub_f32_e32 v102, v15, v9
	s_delay_alu instid0(VALU_DEP_3) | instskip(NEXT) | instid1(VALU_DEP_2)
	v_sub_f32_e32 v8, v8, v14
	v_sub_f32_e32 v103, v15, v102
	;; [unrolled: 1-line block ×3, first 2 shown]
	s_delay_alu instid0(VALU_DEP_3) | instskip(NEXT) | instid1(VALU_DEP_3)
	v_add_f32_e32 v14, v17, v8
	v_sub_f32_e32 v9, v9, v103
	s_delay_alu instid0(VALU_DEP_1) | instskip(NEXT) | instid1(VALU_DEP_3)
	v_add_f32_e32 v9, v13, v9
	v_sub_f32_e32 v13, v14, v17
	s_delay_alu instid0(VALU_DEP_2) | instskip(NEXT) | instid1(VALU_DEP_2)
	v_add_f32_e32 v9, v14, v9
	v_sub_f32_e32 v14, v14, v13
	v_sub_f32_e32 v8, v8, v13
	s_delay_alu instid0(VALU_DEP_2) | instskip(NEXT) | instid1(VALU_DEP_1)
	v_dual_add_f32 v101, v15, v9 :: v_dual_sub_f32 v14, v17, v14
	v_dual_sub_f32 v13, v101, v15 :: v_dual_add_f32 v8, v8, v14
	s_delay_alu instid0(VALU_DEP_1) | instskip(NEXT) | instid1(VALU_DEP_1)
	v_sub_f32_e32 v9, v9, v13
	v_add_f32_e32 v8, v8, v9
	s_delay_alu instid0(VALU_DEP_1) | instskip(NEXT) | instid1(VALU_DEP_1)
	v_add_f32_e32 v8, v101, v8
	v_cndmask_b32_e32 v101, v8, v12, vcc_lo
.LBB119_98:                             ;   in Loop: Header=BB119_12 Depth=1
	s_or_b32 exec_lo, exec_lo, s29
	v_cvt_f32_f16_e32 v8, v10
	s_delay_alu instid0(VALU_DEP_1) | instskip(NEXT) | instid1(VALU_DEP_1)
	v_add_f32_e32 v102, s68, v8
	v_cmp_ge_f32_e32 vcc_lo, 0x41a00000, v102
	s_and_b32 s28, s79, vcc_lo
	s_delay_alu instid0(SALU_CYCLE_1)
	s_and_saveexec_b32 s29, s28
	s_cbranch_execz .LBB119_100
; %bb.99:                               ;   in Loop: Header=BB119_12 Depth=1
	v_mul_f32_e32 v8, 0x3fb8aa3b, v102
	v_cmp_ngt_f32_e32 vcc_lo, 0xc2ce8ed0, v102
	s_delay_alu instid0(VALU_DEP_2) | instskip(SKIP_1) | instid1(VALU_DEP_2)
	v_rndne_f32_e32 v9, v8
	v_fma_f32 v12, 0x3fb8aa3b, v102, -v8
	v_sub_f32_e32 v8, v8, v9
	s_delay_alu instid0(VALU_DEP_2) | instskip(SKIP_1) | instid1(VALU_DEP_2)
	v_fmac_f32_e32 v12, 0x32a5705f, v102
	v_cvt_i32_f32_e32 v9, v9
	v_add_f32_e32 v8, v8, v12
	s_delay_alu instid0(VALU_DEP_1) | instskip(SKIP_2) | instid1(VALU_DEP_1)
	v_exp_f32_e32 v8, v8
	s_waitcnt_depctr 0xfff
	v_ldexp_f32 v8, v8, v9
	v_cndmask_b32_e32 v8, 0, v8, vcc_lo
	v_cmp_nlt_f32_e32 vcc_lo, 0x42b17218, v102
	s_delay_alu instid0(VALU_DEP_2) | instskip(NEXT) | instid1(VALU_DEP_1)
	v_cndmask_b32_e32 v12, 0x7f800000, v8, vcc_lo
	v_add_f32_e32 v13, 1.0, v12
	s_delay_alu instid0(VALU_DEP_1) | instskip(NEXT) | instid1(VALU_DEP_1)
	v_cvt_f64_f32_e32 v[8:9], v13
	v_frexp_exp_i32_f64_e32 v8, v[8:9]
	v_frexp_mant_f32_e32 v9, v13
	s_delay_alu instid0(VALU_DEP_1) | instskip(SKIP_1) | instid1(VALU_DEP_1)
	v_cmp_gt_f32_e32 vcc_lo, 0x3f2aaaab, v9
	v_add_f32_e32 v9, -1.0, v13
	v_sub_f32_e32 v15, v9, v13
	s_delay_alu instid0(VALU_DEP_1) | instskip(SKIP_1) | instid1(VALU_DEP_1)
	v_add_f32_e32 v15, 1.0, v15
	v_subrev_co_ci_u32_e32 v8, vcc_lo, 0, v8, vcc_lo
	v_sub_nc_u32_e32 v14, 0, v8
	v_cvt_f32_i32_e32 v8, v8
	s_delay_alu instid0(VALU_DEP_2) | instskip(NEXT) | instid1(VALU_DEP_1)
	v_ldexp_f32 v13, v13, v14
	v_add_f32_e32 v17, 1.0, v13
	v_sub_f32_e32 v9, v12, v9
	v_cmp_eq_f32_e32 vcc_lo, 0x7f800000, v12
	v_cmp_gt_f32_e64 s28, 0x33800000, v12
	s_delay_alu instid0(VALU_DEP_3) | instskip(NEXT) | instid1(VALU_DEP_2)
	v_add_f32_e32 v9, v9, v15
	s_or_b32 vcc_lo, s28, vcc_lo
	s_delay_alu instid0(VALU_DEP_1) | instskip(SKIP_1) | instid1(VALU_DEP_1)
	v_ldexp_f32 v9, v9, v14
	v_add_f32_e32 v14, -1.0, v13
	v_dual_add_f32 v15, -1.0, v17 :: v_dual_add_f32 v102, 1.0, v14
	s_delay_alu instid0(VALU_DEP_1) | instskip(NEXT) | instid1(VALU_DEP_2)
	v_sub_f32_e32 v15, v13, v15
	v_sub_f32_e32 v13, v13, v102
	s_delay_alu instid0(VALU_DEP_2) | instskip(NEXT) | instid1(VALU_DEP_2)
	v_add_f32_e32 v15, v9, v15
	v_add_f32_e32 v9, v9, v13
	s_delay_alu instid0(VALU_DEP_1) | instskip(NEXT) | instid1(VALU_DEP_1)
	v_dual_add_f32 v102, v17, v15 :: v_dual_add_f32 v103, v14, v9
	v_rcp_f32_e32 v13, v102
	s_delay_alu instid0(VALU_DEP_1) | instskip(NEXT) | instid1(VALU_DEP_1)
	v_dual_sub_f32 v17, v17, v102 :: v_dual_sub_f32 v14, v14, v103
	v_add_f32_e32 v15, v15, v17
	s_waitcnt_depctr 0xfff
	v_dual_add_f32 v9, v9, v14 :: v_dual_mul_f32 v104, v103, v13
	s_delay_alu instid0(VALU_DEP_1) | instskip(NEXT) | instid1(VALU_DEP_1)
	v_mul_f32_e32 v105, v102, v104
	v_fma_f32 v17, v104, v102, -v105
	s_delay_alu instid0(VALU_DEP_1) | instskip(NEXT) | instid1(VALU_DEP_1)
	v_fmac_f32_e32 v17, v104, v15
	v_add_f32_e32 v106, v105, v17
	s_delay_alu instid0(VALU_DEP_1) | instskip(NEXT) | instid1(VALU_DEP_1)
	v_sub_f32_e32 v107, v103, v106
	v_dual_sub_f32 v103, v103, v107 :: v_dual_sub_f32 v14, v106, v105
	s_delay_alu instid0(VALU_DEP_1) | instskip(NEXT) | instid1(VALU_DEP_1)
	v_dual_sub_f32 v103, v103, v106 :: v_dual_sub_f32 v14, v14, v17
	v_add_f32_e32 v9, v9, v103
	s_delay_alu instid0(VALU_DEP_1) | instskip(NEXT) | instid1(VALU_DEP_1)
	v_add_f32_e32 v9, v14, v9
	v_add_f32_e32 v14, v107, v9
	s_delay_alu instid0(VALU_DEP_1) | instskip(NEXT) | instid1(VALU_DEP_1)
	v_mul_f32_e32 v17, v13, v14
	v_dual_sub_f32 v106, v107, v14 :: v_dual_mul_f32 v103, v102, v17
	s_delay_alu instid0(VALU_DEP_1) | instskip(NEXT) | instid1(VALU_DEP_2)
	v_add_f32_e32 v9, v9, v106
	v_fma_f32 v102, v17, v102, -v103
	s_delay_alu instid0(VALU_DEP_1) | instskip(NEXT) | instid1(VALU_DEP_1)
	v_fmac_f32_e32 v102, v17, v15
	v_add_f32_e32 v15, v103, v102
	s_delay_alu instid0(VALU_DEP_1) | instskip(NEXT) | instid1(VALU_DEP_1)
	v_sub_f32_e32 v105, v14, v15
	v_dual_sub_f32 v103, v15, v103 :: v_dual_sub_f32 v14, v14, v105
	s_delay_alu instid0(VALU_DEP_1) | instskip(NEXT) | instid1(VALU_DEP_1)
	v_dual_sub_f32 v14, v14, v15 :: v_dual_sub_f32 v15, v103, v102
	v_dual_add_f32 v9, v9, v14 :: v_dual_add_f32 v14, v104, v17
	s_delay_alu instid0(VALU_DEP_1) | instskip(NEXT) | instid1(VALU_DEP_2)
	v_add_f32_e32 v9, v15, v9
	v_sub_f32_e32 v15, v14, v104
	s_delay_alu instid0(VALU_DEP_2) | instskip(NEXT) | instid1(VALU_DEP_2)
	v_add_f32_e32 v9, v105, v9
	v_sub_f32_e32 v15, v17, v15
	s_delay_alu instid0(VALU_DEP_2) | instskip(NEXT) | instid1(VALU_DEP_1)
	v_mul_f32_e32 v9, v13, v9
	v_add_f32_e32 v9, v15, v9
	s_delay_alu instid0(VALU_DEP_1) | instskip(NEXT) | instid1(VALU_DEP_1)
	v_add_f32_e32 v13, v14, v9
	v_mul_f32_e32 v15, v13, v13
	s_delay_alu instid0(VALU_DEP_1) | instskip(NEXT) | instid1(VALU_DEP_1)
	v_fmaak_f32 v17, s83, v15, 0x3ecc95a3
	v_dual_mul_f32 v102, v13, v15 :: v_dual_fmaak_f32 v15, v15, v17, 0x3f2aaada
	v_ldexp_f32 v17, v13, 1
	v_sub_f32_e32 v13, v13, v14
	s_delay_alu instid0(VALU_DEP_3) | instskip(NEXT) | instid1(VALU_DEP_2)
	v_dual_mul_f32 v15, v102, v15 :: v_dual_mul_f32 v102, 0x3f317218, v8
	v_sub_f32_e32 v9, v9, v13
	s_delay_alu instid0(VALU_DEP_2) | instskip(NEXT) | instid1(VALU_DEP_2)
	v_add_f32_e32 v14, v17, v15
	v_ldexp_f32 v9, v9, 1
	s_delay_alu instid0(VALU_DEP_2) | instskip(SKIP_1) | instid1(VALU_DEP_2)
	v_sub_f32_e32 v13, v14, v17
	v_fma_f32 v17, 0x3f317218, v8, -v102
	v_sub_f32_e32 v13, v15, v13
	s_delay_alu instid0(VALU_DEP_1) | instskip(NEXT) | instid1(VALU_DEP_1)
	v_dual_fmac_f32 v17, 0xb102e308, v8 :: v_dual_add_f32 v8, v9, v13
	v_add_f32_e32 v9, v102, v17
	s_delay_alu instid0(VALU_DEP_1) | instskip(NEXT) | instid1(VALU_DEP_1)
	v_dual_add_f32 v13, v14, v8 :: v_dual_sub_f32 v102, v9, v102
	v_add_f32_e32 v15, v9, v13
	v_sub_f32_e32 v14, v13, v14
	s_delay_alu instid0(VALU_DEP_3) | instskip(NEXT) | instid1(VALU_DEP_2)
	v_sub_f32_e32 v17, v17, v102
	v_dual_sub_f32 v103, v15, v9 :: v_dual_sub_f32 v8, v8, v14
	s_delay_alu instid0(VALU_DEP_1) | instskip(SKIP_1) | instid1(VALU_DEP_3)
	v_sub_f32_e32 v104, v15, v103
	v_sub_f32_e32 v13, v13, v103
	v_add_f32_e32 v14, v17, v8
	s_delay_alu instid0(VALU_DEP_3) | instskip(NEXT) | instid1(VALU_DEP_1)
	v_sub_f32_e32 v9, v9, v104
	v_add_f32_e32 v9, v13, v9
	s_delay_alu instid0(VALU_DEP_3) | instskip(NEXT) | instid1(VALU_DEP_2)
	v_sub_f32_e32 v13, v14, v17
	v_add_f32_e32 v9, v14, v9
	s_delay_alu instid0(VALU_DEP_2) | instskip(SKIP_1) | instid1(VALU_DEP_3)
	v_sub_f32_e32 v14, v14, v13
	v_sub_f32_e32 v8, v8, v13
	v_add_f32_e32 v102, v15, v9
	s_delay_alu instid0(VALU_DEP_1) | instskip(NEXT) | instid1(VALU_DEP_1)
	v_dual_sub_f32 v14, v17, v14 :: v_dual_sub_f32 v13, v102, v15
	v_dual_add_f32 v8, v8, v14 :: v_dual_sub_f32 v9, v9, v13
	s_delay_alu instid0(VALU_DEP_1) | instskip(NEXT) | instid1(VALU_DEP_1)
	v_add_f32_e32 v8, v8, v9
	v_add_f32_e32 v8, v102, v8
	s_delay_alu instid0(VALU_DEP_1)
	v_cndmask_b32_e32 v102, v8, v12, vcc_lo
.LBB119_100:                            ;   in Loop: Header=BB119_12 Depth=1
	s_or_b32 exec_lo, exec_lo, s29
	v_lshrrev_b32_e32 v8, 16, v10
	s_delay_alu instid0(VALU_DEP_1) | instskip(NEXT) | instid1(VALU_DEP_1)
	v_cvt_f32_f16_e32 v8, v8
	v_add_f32_e32 v103, s68, v8
	s_delay_alu instid0(VALU_DEP_1) | instskip(SKIP_1) | instid1(SALU_CYCLE_1)
	v_cmp_ge_f32_e32 vcc_lo, 0x41a00000, v103
	s_and_b32 s28, s79, vcc_lo
	s_and_saveexec_b32 s29, s28
	s_cbranch_execz .LBB119_102
; %bb.101:                              ;   in Loop: Header=BB119_12 Depth=1
	v_mul_f32_e32 v8, 0x3fb8aa3b, v103
	v_cmp_ngt_f32_e32 vcc_lo, 0xc2ce8ed0, v103
	s_delay_alu instid0(VALU_DEP_2) | instskip(SKIP_1) | instid1(VALU_DEP_2)
	v_rndne_f32_e32 v9, v8
	v_fma_f32 v10, 0x3fb8aa3b, v103, -v8
	v_sub_f32_e32 v8, v8, v9
	s_delay_alu instid0(VALU_DEP_2) | instskip(SKIP_1) | instid1(VALU_DEP_2)
	v_fmac_f32_e32 v10, 0x32a5705f, v103
	v_cvt_i32_f32_e32 v9, v9
	v_add_f32_e32 v8, v8, v10
	s_delay_alu instid0(VALU_DEP_1) | instskip(SKIP_2) | instid1(VALU_DEP_1)
	v_exp_f32_e32 v8, v8
	s_waitcnt_depctr 0xfff
	v_ldexp_f32 v8, v8, v9
	v_cndmask_b32_e32 v8, 0, v8, vcc_lo
	v_cmp_nlt_f32_e32 vcc_lo, 0x42b17218, v103
	s_delay_alu instid0(VALU_DEP_2) | instskip(NEXT) | instid1(VALU_DEP_1)
	v_cndmask_b32_e32 v10, 0x7f800000, v8, vcc_lo
	v_add_f32_e32 v12, 1.0, v10
	s_delay_alu instid0(VALU_DEP_1) | instskip(NEXT) | instid1(VALU_DEP_1)
	v_cvt_f64_f32_e32 v[8:9], v12
	v_frexp_exp_i32_f64_e32 v8, v[8:9]
	v_frexp_mant_f32_e32 v9, v12
	s_delay_alu instid0(VALU_DEP_1) | instskip(SKIP_1) | instid1(VALU_DEP_1)
	v_cmp_gt_f32_e32 vcc_lo, 0x3f2aaaab, v9
	v_add_f32_e32 v9, -1.0, v12
	v_dual_sub_f32 v14, v9, v12 :: v_dual_sub_f32 v9, v10, v9
	v_subrev_co_ci_u32_e32 v8, vcc_lo, 0, v8, vcc_lo
	s_delay_alu instid0(VALU_DEP_1) | instskip(SKIP_1) | instid1(VALU_DEP_2)
	v_sub_nc_u32_e32 v13, 0, v8
	v_cvt_f32_i32_e32 v8, v8
	v_ldexp_f32 v12, v12, v13
	s_delay_alu instid0(VALU_DEP_1) | instskip(NEXT) | instid1(VALU_DEP_1)
	v_dual_add_f32 v14, 1.0, v14 :: v_dual_add_f32 v15, 1.0, v12
	v_add_f32_e32 v9, v9, v14
	s_delay_alu instid0(VALU_DEP_1) | instskip(NEXT) | instid1(VALU_DEP_3)
	v_ldexp_f32 v9, v9, v13
	v_dual_add_f32 v13, -1.0, v12 :: v_dual_add_f32 v14, -1.0, v15
	s_delay_alu instid0(VALU_DEP_1) | instskip(NEXT) | instid1(VALU_DEP_1)
	v_dual_add_f32 v17, 1.0, v13 :: v_dual_sub_f32 v14, v12, v14
	v_sub_f32_e32 v12, v12, v17
	s_delay_alu instid0(VALU_DEP_2) | instskip(NEXT) | instid1(VALU_DEP_2)
	v_add_f32_e32 v14, v9, v14
	v_add_f32_e32 v9, v9, v12
	s_delay_alu instid0(VALU_DEP_2) | instskip(SKIP_2) | instid1(VALU_DEP_4)
	v_add_f32_e32 v17, v15, v14
	v_cmp_eq_f32_e32 vcc_lo, 0x7f800000, v10
	v_cmp_gt_f32_e64 s28, 0x33800000, v10
	v_add_f32_e32 v103, v13, v9
	s_delay_alu instid0(VALU_DEP_4) | instskip(SKIP_1) | instid1(VALU_DEP_3)
	v_rcp_f32_e32 v12, v17
	v_sub_f32_e32 v15, v15, v17
	s_or_b32 vcc_lo, s28, vcc_lo
	s_delay_alu instid0(VALU_DEP_2) | instskip(NEXT) | instid1(VALU_DEP_1)
	v_sub_f32_e32 v13, v13, v103
	v_dual_add_f32 v14, v14, v15 :: v_dual_add_f32 v9, v9, v13
	s_waitcnt_depctr 0xfff
	v_mul_f32_e32 v104, v103, v12
	s_delay_alu instid0(VALU_DEP_1) | instskip(NEXT) | instid1(VALU_DEP_1)
	v_mul_f32_e32 v105, v17, v104
	v_fma_f32 v15, v104, v17, -v105
	s_delay_alu instid0(VALU_DEP_1) | instskip(NEXT) | instid1(VALU_DEP_1)
	v_fmac_f32_e32 v15, v104, v14
	v_add_f32_e32 v106, v105, v15
	s_delay_alu instid0(VALU_DEP_1) | instskip(SKIP_1) | instid1(VALU_DEP_2)
	v_sub_f32_e32 v107, v103, v106
	v_sub_f32_e32 v13, v106, v105
	v_sub_f32_e32 v103, v103, v107
	s_delay_alu instid0(VALU_DEP_2) | instskip(NEXT) | instid1(VALU_DEP_2)
	v_sub_f32_e32 v13, v13, v15
	v_sub_f32_e32 v103, v103, v106
	s_delay_alu instid0(VALU_DEP_1) | instskip(NEXT) | instid1(VALU_DEP_1)
	v_add_f32_e32 v9, v9, v103
	v_add_f32_e32 v9, v13, v9
	s_delay_alu instid0(VALU_DEP_1) | instskip(NEXT) | instid1(VALU_DEP_1)
	v_add_f32_e32 v13, v107, v9
	v_mul_f32_e32 v15, v12, v13
	s_delay_alu instid0(VALU_DEP_1) | instskip(NEXT) | instid1(VALU_DEP_1)
	v_dual_sub_f32 v106, v107, v13 :: v_dual_mul_f32 v103, v17, v15
	v_add_f32_e32 v9, v9, v106
	s_delay_alu instid0(VALU_DEP_2) | instskip(NEXT) | instid1(VALU_DEP_1)
	v_fma_f32 v17, v15, v17, -v103
	v_fmac_f32_e32 v17, v15, v14
	s_delay_alu instid0(VALU_DEP_1) | instskip(NEXT) | instid1(VALU_DEP_1)
	v_add_f32_e32 v14, v103, v17
	v_sub_f32_e32 v105, v13, v14
	v_sub_f32_e32 v103, v14, v103
	s_delay_alu instid0(VALU_DEP_2) | instskip(NEXT) | instid1(VALU_DEP_1)
	v_sub_f32_e32 v13, v13, v105
	v_dual_sub_f32 v13, v13, v14 :: v_dual_sub_f32 v14, v103, v17
	s_delay_alu instid0(VALU_DEP_1) | instskip(SKIP_1) | instid1(VALU_DEP_1)
	v_add_f32_e32 v9, v9, v13
	v_add_f32_e32 v13, v104, v15
	v_dual_add_f32 v9, v14, v9 :: v_dual_sub_f32 v14, v13, v104
	s_delay_alu instid0(VALU_DEP_1) | instskip(NEXT) | instid1(VALU_DEP_1)
	v_dual_add_f32 v9, v105, v9 :: v_dual_sub_f32 v14, v15, v14
	v_mul_f32_e32 v9, v12, v9
	s_delay_alu instid0(VALU_DEP_1) | instskip(NEXT) | instid1(VALU_DEP_1)
	v_add_f32_e32 v9, v14, v9
	v_add_f32_e32 v12, v13, v9
	s_delay_alu instid0(VALU_DEP_1) | instskip(NEXT) | instid1(VALU_DEP_1)
	v_mul_f32_e32 v14, v12, v12
	v_fmaak_f32 v15, s83, v14, 0x3ecc95a3
	s_delay_alu instid0(VALU_DEP_1) | instskip(SKIP_2) | instid1(VALU_DEP_3)
	v_dual_mul_f32 v17, v12, v14 :: v_dual_fmaak_f32 v14, v14, v15, 0x3f2aaada
	v_ldexp_f32 v15, v12, 1
	v_sub_f32_e32 v12, v12, v13
	v_dual_mul_f32 v14, v17, v14 :: v_dual_mul_f32 v17, 0x3f317218, v8
	s_delay_alu instid0(VALU_DEP_2) | instskip(NEXT) | instid1(VALU_DEP_2)
	v_sub_f32_e32 v9, v9, v12
	v_add_f32_e32 v13, v15, v14
	s_delay_alu instid0(VALU_DEP_2) | instskip(NEXT) | instid1(VALU_DEP_2)
	v_ldexp_f32 v9, v9, 1
	v_sub_f32_e32 v12, v13, v15
	v_fma_f32 v15, 0x3f317218, v8, -v17
	s_delay_alu instid0(VALU_DEP_2) | instskip(NEXT) | instid1(VALU_DEP_2)
	v_sub_f32_e32 v12, v14, v12
	v_fmac_f32_e32 v15, 0xb102e308, v8
	s_delay_alu instid0(VALU_DEP_2) | instskip(NEXT) | instid1(VALU_DEP_2)
	v_add_f32_e32 v8, v9, v12
	v_add_f32_e32 v9, v17, v15
	s_delay_alu instid0(VALU_DEP_2) | instskip(NEXT) | instid1(VALU_DEP_2)
	v_add_f32_e32 v12, v13, v8
	v_sub_f32_e32 v17, v9, v17
	s_delay_alu instid0(VALU_DEP_2) | instskip(NEXT) | instid1(VALU_DEP_2)
	v_dual_add_f32 v14, v9, v12 :: v_dual_sub_f32 v13, v12, v13
	v_sub_f32_e32 v15, v15, v17
	s_delay_alu instid0(VALU_DEP_2) | instskip(NEXT) | instid1(VALU_DEP_3)
	v_sub_f32_e32 v103, v14, v9
	v_sub_f32_e32 v8, v8, v13
	s_delay_alu instid0(VALU_DEP_2) | instskip(NEXT) | instid1(VALU_DEP_2)
	v_sub_f32_e32 v104, v14, v103
	v_dual_sub_f32 v12, v12, v103 :: v_dual_add_f32 v13, v15, v8
	s_delay_alu instid0(VALU_DEP_2) | instskip(NEXT) | instid1(VALU_DEP_1)
	v_sub_f32_e32 v9, v9, v104
	v_dual_add_f32 v9, v12, v9 :: v_dual_sub_f32 v12, v13, v15
	s_delay_alu instid0(VALU_DEP_1) | instskip(NEXT) | instid1(VALU_DEP_2)
	v_add_f32_e32 v9, v13, v9
	v_sub_f32_e32 v13, v13, v12
	s_delay_alu instid0(VALU_DEP_2) | instskip(NEXT) | instid1(VALU_DEP_1)
	v_dual_sub_f32 v8, v8, v12 :: v_dual_add_f32 v17, v14, v9
	v_dual_sub_f32 v13, v15, v13 :: v_dual_sub_f32 v12, v17, v14
	s_delay_alu instid0(VALU_DEP_1) | instskip(NEXT) | instid1(VALU_DEP_1)
	v_dual_add_f32 v8, v8, v13 :: v_dual_sub_f32 v9, v9, v12
	v_add_f32_e32 v8, v8, v9
	s_delay_alu instid0(VALU_DEP_1) | instskip(NEXT) | instid1(VALU_DEP_1)
	v_add_f32_e32 v8, v17, v8
	v_cndmask_b32_e32 v103, v8, v10, vcc_lo
.LBB119_102:                            ;   in Loop: Header=BB119_12 Depth=1
	s_or_b32 exec_lo, exec_lo, s29
	v_cvt_f32_f16_e32 v8, v11
	s_delay_alu instid0(VALU_DEP_1) | instskip(NEXT) | instid1(VALU_DEP_1)
	v_add_f32_e32 v104, s68, v8
	v_cmp_ge_f32_e32 vcc_lo, 0x41a00000, v104
	s_and_b32 s28, s79, vcc_lo
	s_delay_alu instid0(SALU_CYCLE_1)
	s_and_saveexec_b32 s29, s28
	s_cbranch_execz .LBB119_104
; %bb.103:                              ;   in Loop: Header=BB119_12 Depth=1
	v_mul_f32_e32 v8, 0x3fb8aa3b, v104
	v_cmp_ngt_f32_e32 vcc_lo, 0xc2ce8ed0, v104
	s_delay_alu instid0(VALU_DEP_2) | instskip(SKIP_1) | instid1(VALU_DEP_2)
	v_rndne_f32_e32 v9, v8
	v_fma_f32 v10, 0x3fb8aa3b, v104, -v8
	v_sub_f32_e32 v8, v8, v9
	s_delay_alu instid0(VALU_DEP_2) | instskip(SKIP_1) | instid1(VALU_DEP_2)
	v_fmac_f32_e32 v10, 0x32a5705f, v104
	v_cvt_i32_f32_e32 v9, v9
	v_add_f32_e32 v8, v8, v10
	s_delay_alu instid0(VALU_DEP_1) | instskip(SKIP_2) | instid1(VALU_DEP_1)
	v_exp_f32_e32 v8, v8
	s_waitcnt_depctr 0xfff
	v_ldexp_f32 v8, v8, v9
	v_cndmask_b32_e32 v8, 0, v8, vcc_lo
	v_cmp_nlt_f32_e32 vcc_lo, 0x42b17218, v104
	s_delay_alu instid0(VALU_DEP_2) | instskip(NEXT) | instid1(VALU_DEP_1)
	v_cndmask_b32_e32 v10, 0x7f800000, v8, vcc_lo
	v_add_f32_e32 v12, 1.0, v10
	s_delay_alu instid0(VALU_DEP_1) | instskip(NEXT) | instid1(VALU_DEP_1)
	v_cvt_f64_f32_e32 v[8:9], v12
	v_frexp_exp_i32_f64_e32 v8, v[8:9]
	v_frexp_mant_f32_e32 v9, v12
	s_delay_alu instid0(VALU_DEP_1) | instskip(SKIP_1) | instid1(VALU_DEP_1)
	v_cmp_gt_f32_e32 vcc_lo, 0x3f2aaaab, v9
	v_add_f32_e32 v9, -1.0, v12
	v_dual_sub_f32 v14, v9, v12 :: v_dual_sub_f32 v9, v10, v9
	v_subrev_co_ci_u32_e32 v8, vcc_lo, 0, v8, vcc_lo
	s_delay_alu instid0(VALU_DEP_1) | instskip(SKIP_1) | instid1(VALU_DEP_2)
	v_sub_nc_u32_e32 v13, 0, v8
	v_cvt_f32_i32_e32 v8, v8
	v_ldexp_f32 v12, v12, v13
	s_delay_alu instid0(VALU_DEP_1) | instskip(NEXT) | instid1(VALU_DEP_1)
	v_dual_add_f32 v14, 1.0, v14 :: v_dual_add_f32 v15, 1.0, v12
	v_add_f32_e32 v9, v9, v14
	s_delay_alu instid0(VALU_DEP_1) | instskip(NEXT) | instid1(VALU_DEP_3)
	v_ldexp_f32 v9, v9, v13
	v_dual_add_f32 v13, -1.0, v12 :: v_dual_add_f32 v14, -1.0, v15
	s_delay_alu instid0(VALU_DEP_1) | instskip(NEXT) | instid1(VALU_DEP_1)
	v_dual_add_f32 v17, 1.0, v13 :: v_dual_sub_f32 v14, v12, v14
	v_sub_f32_e32 v12, v12, v17
	s_delay_alu instid0(VALU_DEP_2) | instskip(NEXT) | instid1(VALU_DEP_2)
	v_add_f32_e32 v14, v9, v14
	v_add_f32_e32 v9, v9, v12
	s_delay_alu instid0(VALU_DEP_2) | instskip(SKIP_2) | instid1(VALU_DEP_4)
	v_add_f32_e32 v17, v15, v14
	v_cmp_eq_f32_e32 vcc_lo, 0x7f800000, v10
	v_cmp_gt_f32_e64 s28, 0x33800000, v10
	v_add_f32_e32 v104, v13, v9
	s_delay_alu instid0(VALU_DEP_4) | instskip(SKIP_1) | instid1(VALU_DEP_3)
	v_rcp_f32_e32 v12, v17
	v_sub_f32_e32 v15, v15, v17
	s_or_b32 vcc_lo, s28, vcc_lo
	s_delay_alu instid0(VALU_DEP_2) | instskip(NEXT) | instid1(VALU_DEP_1)
	v_sub_f32_e32 v13, v13, v104
	v_add_f32_e32 v9, v9, v13
	s_waitcnt_depctr 0xfff
	v_dual_mul_f32 v105, v104, v12 :: v_dual_add_f32 v14, v14, v15
	s_delay_alu instid0(VALU_DEP_1) | instskip(NEXT) | instid1(VALU_DEP_1)
	v_mul_f32_e32 v106, v17, v105
	v_fma_f32 v15, v105, v17, -v106
	s_delay_alu instid0(VALU_DEP_1) | instskip(NEXT) | instid1(VALU_DEP_1)
	v_fmac_f32_e32 v15, v105, v14
	v_add_f32_e32 v107, v106, v15
	s_delay_alu instid0(VALU_DEP_1) | instskip(NEXT) | instid1(VALU_DEP_1)
	v_dual_sub_f32 v13, v107, v106 :: v_dual_sub_f32 v108, v104, v107
	v_dual_sub_f32 v13, v13, v15 :: v_dual_sub_f32 v104, v104, v108
	s_delay_alu instid0(VALU_DEP_1) | instskip(NEXT) | instid1(VALU_DEP_1)
	v_sub_f32_e32 v104, v104, v107
	v_add_f32_e32 v9, v9, v104
	s_delay_alu instid0(VALU_DEP_1) | instskip(NEXT) | instid1(VALU_DEP_1)
	v_add_f32_e32 v9, v13, v9
	v_add_f32_e32 v13, v108, v9
	s_delay_alu instid0(VALU_DEP_1) | instskip(NEXT) | instid1(VALU_DEP_1)
	v_mul_f32_e32 v15, v12, v13
	v_mul_f32_e32 v104, v17, v15
	s_delay_alu instid0(VALU_DEP_1) | instskip(NEXT) | instid1(VALU_DEP_1)
	v_fma_f32 v17, v15, v17, -v104
	v_fmac_f32_e32 v17, v15, v14
	s_delay_alu instid0(VALU_DEP_1) | instskip(NEXT) | instid1(VALU_DEP_1)
	v_add_f32_e32 v14, v104, v17
	v_dual_sub_f32 v107, v108, v13 :: v_dual_sub_f32 v106, v13, v14
	s_delay_alu instid0(VALU_DEP_1) | instskip(NEXT) | instid1(VALU_DEP_2)
	v_dual_sub_f32 v13, v13, v106 :: v_dual_sub_f32 v104, v14, v104
	v_add_f32_e32 v9, v9, v107
	s_delay_alu instid0(VALU_DEP_2) | instskip(NEXT) | instid1(VALU_DEP_1)
	v_dual_sub_f32 v13, v13, v14 :: v_dual_sub_f32 v14, v104, v17
	v_add_f32_e32 v9, v9, v13
	v_add_f32_e32 v13, v105, v15
	s_delay_alu instid0(VALU_DEP_2) | instskip(NEXT) | instid1(VALU_DEP_2)
	v_add_f32_e32 v9, v14, v9
	v_sub_f32_e32 v14, v13, v105
	s_delay_alu instid0(VALU_DEP_1) | instskip(NEXT) | instid1(VALU_DEP_1)
	v_dual_add_f32 v9, v106, v9 :: v_dual_sub_f32 v14, v15, v14
	v_mul_f32_e32 v9, v12, v9
	s_delay_alu instid0(VALU_DEP_1) | instskip(NEXT) | instid1(VALU_DEP_1)
	v_add_f32_e32 v9, v14, v9
	v_add_f32_e32 v12, v13, v9
	s_delay_alu instid0(VALU_DEP_1) | instskip(NEXT) | instid1(VALU_DEP_1)
	v_mul_f32_e32 v14, v12, v12
	v_fmaak_f32 v15, s83, v14, 0x3ecc95a3
	s_delay_alu instid0(VALU_DEP_1) | instskip(SKIP_1) | instid1(VALU_DEP_2)
	v_dual_mul_f32 v17, v12, v14 :: v_dual_fmaak_f32 v14, v14, v15, 0x3f2aaada
	v_ldexp_f32 v15, v12, 1
	v_mul_f32_e32 v14, v17, v14
	v_dual_sub_f32 v12, v12, v13 :: v_dual_mul_f32 v17, 0x3f317218, v8
	s_delay_alu instid0(VALU_DEP_2) | instskip(NEXT) | instid1(VALU_DEP_2)
	v_add_f32_e32 v13, v15, v14
	v_sub_f32_e32 v9, v9, v12
	s_delay_alu instid0(VALU_DEP_2) | instskip(NEXT) | instid1(VALU_DEP_4)
	v_sub_f32_e32 v12, v13, v15
	v_fma_f32 v15, 0x3f317218, v8, -v17
	s_delay_alu instid0(VALU_DEP_3) | instskip(NEXT) | instid1(VALU_DEP_3)
	v_ldexp_f32 v9, v9, 1
	v_sub_f32_e32 v12, v14, v12
	s_delay_alu instid0(VALU_DEP_3) | instskip(NEXT) | instid1(VALU_DEP_2)
	v_fmac_f32_e32 v15, 0xb102e308, v8
	v_add_f32_e32 v8, v9, v12
	s_delay_alu instid0(VALU_DEP_1) | instskip(NEXT) | instid1(VALU_DEP_3)
	v_add_f32_e32 v12, v13, v8
	v_add_f32_e32 v9, v17, v15
	s_delay_alu instid0(VALU_DEP_1) | instskip(NEXT) | instid1(VALU_DEP_1)
	v_dual_sub_f32 v13, v12, v13 :: v_dual_add_f32 v14, v9, v12
	v_sub_f32_e32 v8, v8, v13
	s_delay_alu instid0(VALU_DEP_2) | instskip(NEXT) | instid1(VALU_DEP_1)
	v_sub_f32_e32 v104, v14, v9
	v_dual_sub_f32 v12, v12, v104 :: v_dual_sub_f32 v17, v9, v17
	s_delay_alu instid0(VALU_DEP_1) | instskip(NEXT) | instid1(VALU_DEP_1)
	v_sub_f32_e32 v15, v15, v17
	v_add_f32_e32 v13, v15, v8
	v_sub_f32_e32 v105, v14, v104
	s_delay_alu instid0(VALU_DEP_1) | instskip(NEXT) | instid1(VALU_DEP_1)
	v_sub_f32_e32 v9, v9, v105
	v_dual_add_f32 v9, v12, v9 :: v_dual_sub_f32 v12, v13, v15
	s_delay_alu instid0(VALU_DEP_1) | instskip(NEXT) | instid1(VALU_DEP_2)
	v_add_f32_e32 v9, v13, v9
	v_sub_f32_e32 v13, v13, v12
	s_delay_alu instid0(VALU_DEP_2) | instskip(NEXT) | instid1(VALU_DEP_1)
	v_dual_sub_f32 v8, v8, v12 :: v_dual_add_f32 v17, v14, v9
	v_dual_sub_f32 v12, v17, v14 :: v_dual_sub_f32 v13, v15, v13
	s_delay_alu instid0(VALU_DEP_1) | instskip(NEXT) | instid1(VALU_DEP_1)
	v_dual_sub_f32 v9, v9, v12 :: v_dual_add_f32 v8, v8, v13
	v_add_f32_e32 v8, v8, v9
	s_delay_alu instid0(VALU_DEP_1) | instskip(NEXT) | instid1(VALU_DEP_1)
	v_add_f32_e32 v8, v17, v8
	v_cndmask_b32_e32 v104, v8, v10, vcc_lo
.LBB119_104:                            ;   in Loop: Header=BB119_12 Depth=1
	s_or_b32 exec_lo, exec_lo, s29
	v_lshrrev_b32_e32 v8, 16, v11
	s_delay_alu instid0(VALU_DEP_1) | instskip(NEXT) | instid1(VALU_DEP_1)
	v_cvt_f32_f16_e32 v8, v8
	v_add_f32_e32 v111, s68, v8
	s_delay_alu instid0(VALU_DEP_1) | instskip(SKIP_1) | instid1(SALU_CYCLE_1)
	v_cmp_ge_f32_e32 vcc_lo, 0x41a00000, v111
	s_and_b32 s28, s79, vcc_lo
	s_and_saveexec_b32 s29, s28
	s_cbranch_execz .LBB119_106
; %bb.105:                              ;   in Loop: Header=BB119_12 Depth=1
	v_mul_f32_e32 v8, 0x3fb8aa3b, v111
	v_cmp_ngt_f32_e32 vcc_lo, 0xc2ce8ed0, v111
	s_delay_alu instid0(VALU_DEP_2) | instskip(SKIP_1) | instid1(VALU_DEP_2)
	v_rndne_f32_e32 v9, v8
	v_fma_f32 v10, 0x3fb8aa3b, v111, -v8
	v_sub_f32_e32 v8, v8, v9
	s_delay_alu instid0(VALU_DEP_2) | instskip(SKIP_1) | instid1(VALU_DEP_2)
	v_fmac_f32_e32 v10, 0x32a5705f, v111
	v_cvt_i32_f32_e32 v9, v9
	v_add_f32_e32 v8, v8, v10
	s_delay_alu instid0(VALU_DEP_1) | instskip(SKIP_2) | instid1(VALU_DEP_1)
	v_exp_f32_e32 v8, v8
	s_waitcnt_depctr 0xfff
	v_ldexp_f32 v8, v8, v9
	v_cndmask_b32_e32 v8, 0, v8, vcc_lo
	v_cmp_nlt_f32_e32 vcc_lo, 0x42b17218, v111
	s_delay_alu instid0(VALU_DEP_2) | instskip(NEXT) | instid1(VALU_DEP_1)
	v_cndmask_b32_e32 v10, 0x7f800000, v8, vcc_lo
	v_add_f32_e32 v11, 1.0, v10
	s_delay_alu instid0(VALU_DEP_1) | instskip(NEXT) | instid1(VALU_DEP_1)
	v_cvt_f64_f32_e32 v[8:9], v11
	v_frexp_exp_i32_f64_e32 v8, v[8:9]
	v_frexp_mant_f32_e32 v9, v11
	s_delay_alu instid0(VALU_DEP_1) | instskip(SKIP_1) | instid1(VALU_DEP_1)
	v_cmp_gt_f32_e32 vcc_lo, 0x3f2aaaab, v9
	v_add_f32_e32 v9, -1.0, v11
	v_sub_f32_e32 v13, v9, v11
	v_sub_f32_e32 v9, v10, v9
	s_delay_alu instid0(VALU_DEP_2) | instskip(NEXT) | instid1(VALU_DEP_1)
	v_add_f32_e32 v13, 1.0, v13
	v_add_f32_e32 v9, v9, v13
	v_cmp_gt_f32_e64 s28, 0x33800000, v10
	v_subrev_co_ci_u32_e32 v8, vcc_lo, 0, v8, vcc_lo
	v_cmp_eq_f32_e32 vcc_lo, 0x7f800000, v10
	s_delay_alu instid0(VALU_DEP_2) | instskip(SKIP_2) | instid1(VALU_DEP_2)
	v_sub_nc_u32_e32 v12, 0, v8
	v_cvt_f32_i32_e32 v8, v8
	s_or_b32 vcc_lo, s28, vcc_lo
	v_ldexp_f32 v11, v11, v12
	v_ldexp_f32 v9, v9, v12
	s_delay_alu instid0(VALU_DEP_2) | instskip(NEXT) | instid1(VALU_DEP_1)
	v_add_f32_e32 v14, 1.0, v11
	v_dual_add_f32 v12, -1.0, v11 :: v_dual_add_f32 v13, -1.0, v14
	s_delay_alu instid0(VALU_DEP_1) | instskip(NEXT) | instid1(VALU_DEP_2)
	v_add_f32_e32 v15, 1.0, v12
	v_sub_f32_e32 v13, v11, v13
	s_delay_alu instid0(VALU_DEP_2) | instskip(NEXT) | instid1(VALU_DEP_2)
	v_sub_f32_e32 v11, v11, v15
	v_add_f32_e32 v13, v9, v13
	s_delay_alu instid0(VALU_DEP_2) | instskip(NEXT) | instid1(VALU_DEP_1)
	v_add_f32_e32 v9, v9, v11
	v_add_f32_e32 v17, v12, v9
	s_delay_alu instid0(VALU_DEP_3) | instskip(NEXT) | instid1(VALU_DEP_2)
	v_add_f32_e32 v15, v14, v13
	v_sub_f32_e32 v12, v12, v17
	s_delay_alu instid0(VALU_DEP_2) | instskip(SKIP_1) | instid1(VALU_DEP_1)
	v_rcp_f32_e32 v11, v15
	v_sub_f32_e32 v14, v14, v15
	v_add_f32_e32 v13, v13, v14
	s_waitcnt_depctr 0xfff
	v_mul_f32_e32 v105, v17, v11
	s_delay_alu instid0(VALU_DEP_1) | instskip(NEXT) | instid1(VALU_DEP_1)
	v_dual_mul_f32 v106, v15, v105 :: v_dual_add_f32 v9, v9, v12
	v_fma_f32 v14, v105, v15, -v106
	s_delay_alu instid0(VALU_DEP_1) | instskip(NEXT) | instid1(VALU_DEP_1)
	v_fmac_f32_e32 v14, v105, v13
	v_add_f32_e32 v107, v106, v14
	s_delay_alu instid0(VALU_DEP_1) | instskip(SKIP_1) | instid1(VALU_DEP_1)
	v_sub_f32_e32 v12, v107, v106
	v_sub_f32_e32 v108, v17, v107
	v_dual_sub_f32 v12, v12, v14 :: v_dual_sub_f32 v17, v17, v108
	s_delay_alu instid0(VALU_DEP_1) | instskip(NEXT) | instid1(VALU_DEP_1)
	v_sub_f32_e32 v17, v17, v107
	v_add_f32_e32 v9, v9, v17
	s_delay_alu instid0(VALU_DEP_1) | instskip(NEXT) | instid1(VALU_DEP_1)
	v_add_f32_e32 v9, v12, v9
	v_add_f32_e32 v12, v108, v9
	s_delay_alu instid0(VALU_DEP_1) | instskip(SKIP_1) | instid1(VALU_DEP_2)
	v_mul_f32_e32 v14, v11, v12
	v_sub_f32_e32 v107, v108, v12
	v_mul_f32_e32 v17, v15, v14
	s_delay_alu instid0(VALU_DEP_2) | instskip(NEXT) | instid1(VALU_DEP_2)
	v_add_f32_e32 v9, v9, v107
	v_fma_f32 v15, v14, v15, -v17
	s_delay_alu instid0(VALU_DEP_1) | instskip(NEXT) | instid1(VALU_DEP_1)
	v_fmac_f32_e32 v15, v14, v13
	v_add_f32_e32 v13, v17, v15
	s_delay_alu instid0(VALU_DEP_1) | instskip(NEXT) | instid1(VALU_DEP_1)
	v_sub_f32_e32 v106, v12, v13
	v_dual_sub_f32 v17, v13, v17 :: v_dual_sub_f32 v12, v12, v106
	s_delay_alu instid0(VALU_DEP_1) | instskip(NEXT) | instid1(VALU_DEP_1)
	v_dual_sub_f32 v12, v12, v13 :: v_dual_sub_f32 v13, v17, v15
	v_add_f32_e32 v9, v9, v12
	v_add_f32_e32 v12, v105, v14
	s_delay_alu instid0(VALU_DEP_2) | instskip(NEXT) | instid1(VALU_DEP_2)
	v_add_f32_e32 v9, v13, v9
	v_sub_f32_e32 v13, v12, v105
	s_delay_alu instid0(VALU_DEP_2) | instskip(NEXT) | instid1(VALU_DEP_2)
	v_add_f32_e32 v9, v106, v9
	v_sub_f32_e32 v13, v14, v13
	s_delay_alu instid0(VALU_DEP_2) | instskip(NEXT) | instid1(VALU_DEP_1)
	v_mul_f32_e32 v9, v11, v9
	v_add_f32_e32 v9, v13, v9
	s_delay_alu instid0(VALU_DEP_1) | instskip(NEXT) | instid1(VALU_DEP_1)
	v_add_f32_e32 v11, v12, v9
	v_mul_f32_e32 v13, v11, v11
	s_delay_alu instid0(VALU_DEP_1) | instskip(SKIP_1) | instid1(VALU_DEP_2)
	v_fmaak_f32 v14, s83, v13, 0x3ecc95a3
	v_mul_f32_e32 v15, v11, v13
	v_fmaak_f32 v13, v13, v14, 0x3f2aaada
	v_ldexp_f32 v14, v11, 1
	v_sub_f32_e32 v11, v11, v12
	s_delay_alu instid0(VALU_DEP_3) | instskip(SKIP_1) | instid1(VALU_DEP_2)
	v_mul_f32_e32 v13, v15, v13
	v_mul_f32_e32 v15, 0x3f317218, v8
	v_dual_sub_f32 v9, v9, v11 :: v_dual_add_f32 v12, v14, v13
	s_delay_alu instid0(VALU_DEP_1) | instskip(NEXT) | instid1(VALU_DEP_2)
	v_ldexp_f32 v9, v9, 1
	v_sub_f32_e32 v11, v12, v14
	s_delay_alu instid0(VALU_DEP_4) | instskip(NEXT) | instid1(VALU_DEP_1)
	v_fma_f32 v14, 0x3f317218, v8, -v15
	v_dual_sub_f32 v11, v13, v11 :: v_dual_fmac_f32 v14, 0xb102e308, v8
	s_delay_alu instid0(VALU_DEP_1) | instskip(NEXT) | instid1(VALU_DEP_1)
	v_dual_add_f32 v8, v9, v11 :: v_dual_add_f32 v9, v15, v14
	v_add_f32_e32 v11, v12, v8
	s_delay_alu instid0(VALU_DEP_2) | instskip(NEXT) | instid1(VALU_DEP_2)
	v_sub_f32_e32 v15, v9, v15
	v_dual_add_f32 v13, v9, v11 :: v_dual_sub_f32 v12, v11, v12
	s_delay_alu instid0(VALU_DEP_1) | instskip(NEXT) | instid1(VALU_DEP_1)
	v_dual_sub_f32 v14, v14, v15 :: v_dual_sub_f32 v17, v13, v9
	v_dual_sub_f32 v8, v8, v12 :: v_dual_sub_f32 v105, v13, v17
	s_delay_alu instid0(VALU_DEP_1) | instskip(NEXT) | instid1(VALU_DEP_2)
	v_dual_sub_f32 v11, v11, v17 :: v_dual_add_f32 v12, v14, v8
	v_sub_f32_e32 v9, v9, v105
	s_delay_alu instid0(VALU_DEP_1) | instskip(NEXT) | instid1(VALU_DEP_3)
	v_add_f32_e32 v9, v11, v9
	v_sub_f32_e32 v11, v12, v14
	s_delay_alu instid0(VALU_DEP_2) | instskip(NEXT) | instid1(VALU_DEP_2)
	v_add_f32_e32 v9, v12, v9
	v_sub_f32_e32 v12, v12, v11
	s_delay_alu instid0(VALU_DEP_2) | instskip(NEXT) | instid1(VALU_DEP_1)
	v_dual_sub_f32 v8, v8, v11 :: v_dual_add_f32 v15, v13, v9
	v_dual_sub_f32 v12, v14, v12 :: v_dual_sub_f32 v11, v15, v13
	s_delay_alu instid0(VALU_DEP_1) | instskip(NEXT) | instid1(VALU_DEP_1)
	v_dual_add_f32 v8, v8, v12 :: v_dual_sub_f32 v9, v9, v11
	v_add_f32_e32 v8, v8, v9
	s_delay_alu instid0(VALU_DEP_1) | instskip(NEXT) | instid1(VALU_DEP_1)
	v_add_f32_e32 v8, v15, v8
	v_cndmask_b32_e32 v111, v8, v10, vcc_lo
.LBB119_106:                            ;   in Loop: Header=BB119_12 Depth=1
	s_or_b32 exec_lo, exec_lo, s29
	v_lshrrev_b32_e32 v9, 16, v6
	v_lshrrev_b32_e32 v10, 16, v7
	;; [unrolled: 1-line block ×6, first 2 shown]
	v_cvt_f32_f16_e32 v8, v7
	v_cvt_f32_f16_e32 v7, v9
	;; [unrolled: 1-line block ×7, first 2 shown]
	v_lshrrev_b32_e32 v14, 16, v1
	v_lshrrev_b32_e32 v15, 16, v0
	v_cvt_f32_f16_e32 v6, v6
	v_cvt_f32_f16_e32 v5, v5
	;; [unrolled: 1-line block ×9, first 2 shown]
	v_dual_mul_f32 v105, s69, v8 :: v_dual_mul_f32 v106, s69, v7
	v_dual_mul_f32 v107, s69, v6 :: v_dual_mul_f32 v108, s69, v9
	v_dual_mul_f32 v109, s69, v5 :: v_dual_mul_f32 v110, s69, v10
	v_dual_mul_f32 v112, s69, v4 :: v_dual_mul_f32 v115, s69, v13
	v_dual_mul_f32 v113, s69, v12 :: v_dual_mul_f32 v114, s69, v3
	v_dual_mul_f32 v117, s69, v2 :: v_dual_mul_f32 v120, s69, v15
	v_dual_mul_f32 v118, s69, v14 :: v_dual_mul_f32 v119, s69, v1
	v_dual_mul_f32 v121, s69, v0 :: v_dual_mul_f32 v116, s69, v11
	s_and_b32 vcc_lo, exec_lo, s80
	s_barrier
	buffer_gl0_inv
	s_cbranch_vccz .LBB119_202
; %bb.107:                              ;   in Loop: Header=BB119_12 Depth=1
	v_dual_mul_f32 v122, v111, v11 :: v_dual_mul_f32 v127, v104, v8
	v_add_co_u32 v11, s28, s53, v16
	s_delay_alu instid0(VALU_DEP_1) | instskip(SKIP_1) | instid1(VALU_DEP_1)
	v_add_co_ci_u32_e64 v17, null, s74, 0, s28
	v_add_co_u32 v16, s28, s57, v16
	v_add_co_ci_u32_e64 v126, null, s75, 0, s28
	s_delay_alu instid0(VALU_DEP_4) | instskip(NEXT) | instid1(VALU_DEP_4)
	v_add_co_u32 v123, vcc_lo, v11, v89
	v_add_co_ci_u32_e32 v124, vcc_lo, 0, v17, vcc_lo
	s_delay_alu instid0(VALU_DEP_4) | instskip(NEXT) | instid1(VALU_DEP_4)
	v_add_co_u32 v125, vcc_lo, v16, v89
	v_add_co_ci_u32_e32 v126, vcc_lo, 0, v126, vcc_lo
	v_cmp_gt_u32_e32 vcc_lo, s40, v18
	s_cmp_lg_u32 s85, 0
	v_cmp_gt_u32_e64 s30, s40, v75
	s_cselect_b32 s51, -1, 0
	s_cmp_eq_u32 s85, s82
	v_cmp_gt_u32_e64 s31, s40, v76
	s_cselect_b32 s86, -1, 0
	s_or_b32 s28, s81, vcc_lo
	v_cmp_gt_u32_e32 vcc_lo, s40, v74
	v_cmp_gt_u32_e64 s33, s40, v77
	v_cmp_gt_u32_e64 s34, s40, v78
	;; [unrolled: 1-line block ×4, first 2 shown]
	s_or_b32 s29, s81, vcc_lo
	v_cmp_gt_u32_e32 vcc_lo, s40, v79
	v_cmp_gt_u32_e64 s38, s40, v82
	v_cmp_gt_u32_e64 s39, s40, v83
	;; [unrolled: 1-line block ×4, first 2 shown]
	s_or_b32 s35, s81, vcc_lo
	v_cmp_gt_u32_e32 vcc_lo, s40, v84
	v_cmp_gt_u32_e64 s43, s40, v87
	v_cmp_gt_u32_e64 s44, s40, v88
	v_dual_mul_f32 v128, v103, v7 :: v_dual_mul_f32 v129, v102, v6
	v_dual_mul_f32 v130, v101, v9 :: v_dual_mul_f32 v133, v98, v4
	;; [unrolled: 1-line block ×7, first 2 shown]
	s_mov_b32 s66, 0
	s_or_b32 s30, s81, s30
	s_or_b32 s31, s81, s31
	;; [unrolled: 1-line block ×8, first 2 shown]
	s_or_b32 s40, s81, vcc_lo
	s_or_b32 s41, s81, s41
	s_or_b32 s42, s81, s42
	;; [unrolled: 1-line block ×4, first 2 shown]
	s_mov_b32 s54, s66
	s_mov_b32 s58, s66
	s_mov_b32 s60, s66
	s_mov_b32 s87, s65
	s_mov_b32 s88, s84
	s_branch .LBB119_109
.LBB119_108:                            ;   in Loop: Header=BB119_109 Depth=2
	s_or_b32 exec_lo, exec_lo, s45
	v_cndmask_b32_e64 v9, v171, v11, s11
	v_cndmask_b32_e64 v10, v170, v10, s11
	s_add_i32 s87, s87, -1
	s_add_i32 s88, s88, 8
	s_add_i32 s60, s60, s62
	v_fma_f32 v9, v9, v142, v15
	v_mul_f32_e32 v10, v10, v142
	s_add_i32 s58, s58, s56
	s_add_i32 s54, s54, s52
	;; [unrolled: 1-line block ×3, first 2 shown]
	v_cndmask_b32_e64 v9, v9, v15, s10
	v_cndmask_b32_e64 v10, v10, v142, s10
	s_cmp_eq_u32 s87, 0
	s_waitcnt lgkmcnt(0)
	s_delay_alu instid0(VALU_DEP_1) | instskip(NEXT) | instid1(VALU_DEP_1)
	v_fmac_f32_e32 v9, v8, v10
	v_fmac_f32_e32 v12, v9, v144
	s_delay_alu instid0(VALU_DEP_1) | instskip(NEXT) | instid1(VALU_DEP_1)
	v_fmac_f32_e32 v13, v12, v146
	v_fmac_f32_e32 v14, v13, v148
	v_fma_mix_f32 v121, v9, v4, v121 op_sel_hi:[0,1,0]
	s_delay_alu instid0(VALU_DEP_2) | instskip(SKIP_2) | instid1(VALU_DEP_3)
	v_fmac_f32_e32 v143, v14, v150
	v_fma_mix_f32 v120, v12, v4, v120 op_sel:[0,1,0] op_sel_hi:[0,1,0]
	v_fma_mix_f32 v118, v14, v5, v118 op_sel:[0,1,0] op_sel_hi:[0,1,0]
	v_fmac_f32_e32 v145, v143, v151
	v_fma_mix_f32 v117, v143, v6, v117 op_sel_hi:[0,1,0]
	s_delay_alu instid0(VALU_DEP_2) | instskip(SKIP_1) | instid1(VALU_DEP_2)
	v_fmac_f32_e32 v147, v145, v153
	v_fma_mix_f32 v115, v145, v6, v115 op_sel:[0,1,0] op_sel_hi:[0,1,0]
	v_fmac_f32_e32 v149, v147, v156
	s_delay_alu instid0(VALU_DEP_1) | instskip(SKIP_1) | instid1(VALU_DEP_2)
	v_fmac_f32_e32 v152, v149, v157
	v_fma_mix_f32 v119, v13, v5, v119 op_sel_hi:[0,1,0]
	v_fmac_f32_e32 v154, v152, v158
	v_fma_mix_f32 v114, v147, v7, v114 op_sel_hi:[0,1,0]
	v_fma_mix_f32 v112, v152, v0, v112 op_sel_hi:[0,1,0]
	s_delay_alu instid0(VALU_DEP_3) | instskip(SKIP_1) | instid1(VALU_DEP_2)
	v_fmac_f32_e32 v155, v154, v159
	v_fma_mix_f32 v110, v154, v0, v110 op_sel:[0,1,0] op_sel_hi:[0,1,0]
	v_fmac_f32_e32 v160, v155, v166
	v_fma_mix_f32 v109, v155, v1, v109 op_sel_hi:[0,1,0]
	s_delay_alu instid0(VALU_DEP_2) | instskip(NEXT) | instid1(VALU_DEP_1)
	v_fmac_f32_e32 v161, v160, v163
	v_fmac_f32_e32 v162, v161, v165
	v_fma_mix_f32 v113, v149, v7, v113 op_sel:[0,1,0] op_sel_hi:[0,1,0]
	s_delay_alu instid0(VALU_DEP_2) | instskip(SKIP_2) | instid1(VALU_DEP_3)
	v_fmac_f32_e32 v164, v162, v168
	v_fma_mix_f32 v107, v161, v2, v107 op_sel_hi:[0,1,0]
	v_fma_mix_f32 v106, v162, v2, v106 op_sel:[0,1,0] op_sel_hi:[0,1,0]
	v_fmac_f32_e32 v167, v164, v169
	v_fma_mix_f32 v108, v160, v1, v108 op_sel:[0,1,0] op_sel_hi:[0,1,0]
	v_fma_mix_f32 v105, v164, v3, v105 op_sel_hi:[0,1,0]
	s_delay_alu instid0(VALU_DEP_3)
	v_fma_mix_f32 v116, v167, v3, v116 op_sel:[0,1,0] op_sel_hi:[0,1,0]
	s_cbranch_scc1 .LBB119_202
.LBB119_109:                            ;   Parent Loop BB119_12 Depth=1
                                        ; =>  This Inner Loop Header: Depth=2
	s_lshl_b64 s[90:91], s[66:67], 2
	s_mov_b32 s55, s67
	s_add_u32 s90, s73, s90
	s_addc_u32 s91, s63, s91
	v_dual_mov_b32 v2, 0 :: v_dual_mov_b32 v3, 0
	global_load_b32 v142, v21, s[90:91]
	s_lshl_b64 s[90:91], s[54:55], 1
	s_delay_alu instid0(SALU_CYCLE_1)
	v_add_co_u32 v0, vcc_lo, v123, s90
	v_add_co_ci_u32_e32 v1, vcc_lo, s91, v124, vcc_lo
	s_and_saveexec_b32 s45, s12
	s_cbranch_execnz .LBB119_145
; %bb.110:                              ;   in Loop: Header=BB119_109 Depth=2
	s_or_b32 exec_lo, exec_lo, s45
	s_and_saveexec_b32 s45, s13
	s_cbranch_execnz .LBB119_146
.LBB119_111:                            ;   in Loop: Header=BB119_109 Depth=2
	s_or_b32 exec_lo, exec_lo, s45
	v_mov_b32_e32 v4, 0
	s_and_saveexec_b32 s45, s14
	s_cbranch_execnz .LBB119_147
.LBB119_112:                            ;   in Loop: Header=BB119_109 Depth=2
	s_or_b32 exec_lo, exec_lo, s45
	s_and_saveexec_b32 s45, s15
	s_cbranch_execnz .LBB119_148
.LBB119_113:                            ;   in Loop: Header=BB119_109 Depth=2
	s_or_b32 exec_lo, exec_lo, s45
	v_mov_b32_e32 v5, 0
	s_and_saveexec_b32 s45, s16
	s_cbranch_execnz .LBB119_149
.LBB119_114:                            ;   in Loop: Header=BB119_109 Depth=2
	s_or_b32 exec_lo, exec_lo, s45
	s_and_saveexec_b32 s45, s17
	s_cbranch_execnz .LBB119_150
.LBB119_115:                            ;   in Loop: Header=BB119_109 Depth=2
	s_or_b32 exec_lo, exec_lo, s45
	v_mov_b32_e32 v6, 0
	s_and_saveexec_b32 s45, s18
	s_cbranch_execnz .LBB119_151
.LBB119_116:                            ;   in Loop: Header=BB119_109 Depth=2
	s_or_b32 exec_lo, exec_lo, s45
	s_and_saveexec_b32 s45, s19
	s_cbranch_execnz .LBB119_152
.LBB119_117:                            ;   in Loop: Header=BB119_109 Depth=2
	s_or_b32 exec_lo, exec_lo, s45
	v_mov_b32_e32 v7, 0
	s_and_saveexec_b32 s45, s20
	s_cbranch_execnz .LBB119_153
.LBB119_118:                            ;   in Loop: Header=BB119_109 Depth=2
	s_or_b32 exec_lo, exec_lo, s45
	s_and_saveexec_b32 s45, s21
	s_cbranch_execnz .LBB119_154
.LBB119_119:                            ;   in Loop: Header=BB119_109 Depth=2
	s_or_b32 exec_lo, exec_lo, s45
	v_mov_b32_e32 v8, 0
	s_and_saveexec_b32 s45, s22
	s_cbranch_execnz .LBB119_155
.LBB119_120:                            ;   in Loop: Header=BB119_109 Depth=2
	s_or_b32 exec_lo, exec_lo, s45
	s_and_saveexec_b32 s45, s23
	s_cbranch_execnz .LBB119_156
.LBB119_121:                            ;   in Loop: Header=BB119_109 Depth=2
	s_or_b32 exec_lo, exec_lo, s45
	v_mov_b32_e32 v9, 0
	s_and_saveexec_b32 s45, s24
	s_cbranch_execnz .LBB119_157
.LBB119_122:                            ;   in Loop: Header=BB119_109 Depth=2
	s_or_b32 exec_lo, exec_lo, s45
	s_and_saveexec_b32 s45, s25
	s_cbranch_execnz .LBB119_158
.LBB119_123:                            ;   in Loop: Header=BB119_109 Depth=2
	s_or_b32 exec_lo, exec_lo, s45
	v_mov_b32_e32 v10, 0
	s_and_saveexec_b32 s45, s26
	s_cbranch_execnz .LBB119_159
.LBB119_124:                            ;   in Loop: Header=BB119_109 Depth=2
	s_or_b32 exec_lo, exec_lo, s45
	s_and_saveexec_b32 s45, s27
	s_cbranch_execz .LBB119_126
.LBB119_125:                            ;   in Loop: Header=BB119_109 Depth=2
	global_load_u16 v0, v[0:1], off offset:960
	s_waitcnt vmcnt(0)
	v_lshl_or_b32 v10, v0, 16, v10
.LBB119_126:                            ;   in Loop: Header=BB119_109 Depth=2
	s_or_b32 exec_lo, exec_lo, s45
	s_waitcnt vmcnt(0)
	ds_store_b16 v37, v3
	ds_store_b16 v37, v2 offset:64
	ds_store_b16 v38, v4 offset:128
	ds_store_b16_d16_hi v39, v4 offset:192
	ds_store_b16 v40, v5 offset:256
	ds_store_b16_d16_hi v41, v5 offset:320
	;; [unrolled: 2-line block ×7, first 2 shown]
	; wave barrier
	ds_load_b128 v[12:15], v52
	ds_load_b128 v[8:11], v52 offset:16
	s_mov_b32 s59, s67
	v_dual_mov_b32 v2, 0 :: v_dual_mov_b32 v3, 0
	s_lshl_b64 s[90:91], s[58:59], 1
	s_delay_alu instid0(SALU_CYCLE_1)
	v_add_co_u32 v0, vcc_lo, v125, s90
	v_add_co_ci_u32_e32 v1, vcc_lo, s91, v126, vcc_lo
	s_and_saveexec_b32 s45, s12
	s_cbranch_execnz .LBB119_160
; %bb.127:                              ;   in Loop: Header=BB119_109 Depth=2
	s_or_b32 exec_lo, exec_lo, s45
	s_and_saveexec_b32 s45, s13
	s_cbranch_execnz .LBB119_161
.LBB119_128:                            ;   in Loop: Header=BB119_109 Depth=2
	s_or_b32 exec_lo, exec_lo, s45
	v_mov_b32_e32 v4, 0
	s_and_saveexec_b32 s45, s14
	s_cbranch_execnz .LBB119_162
.LBB119_129:                            ;   in Loop: Header=BB119_109 Depth=2
	s_or_b32 exec_lo, exec_lo, s45
	s_and_saveexec_b32 s45, s15
	s_cbranch_execnz .LBB119_163
.LBB119_130:                            ;   in Loop: Header=BB119_109 Depth=2
	s_or_b32 exec_lo, exec_lo, s45
	v_mov_b32_e32 v5, 0
	s_and_saveexec_b32 s45, s16
	s_cbranch_execnz .LBB119_164
.LBB119_131:                            ;   in Loop: Header=BB119_109 Depth=2
	s_or_b32 exec_lo, exec_lo, s45
	s_and_saveexec_b32 s45, s17
	s_cbranch_execnz .LBB119_165
.LBB119_132:                            ;   in Loop: Header=BB119_109 Depth=2
	s_or_b32 exec_lo, exec_lo, s45
	v_mov_b32_e32 v6, 0
	s_and_saveexec_b32 s45, s18
	s_cbranch_execnz .LBB119_166
.LBB119_133:                            ;   in Loop: Header=BB119_109 Depth=2
	s_or_b32 exec_lo, exec_lo, s45
	s_and_saveexec_b32 s45, s19
	s_cbranch_execnz .LBB119_167
.LBB119_134:                            ;   in Loop: Header=BB119_109 Depth=2
	s_or_b32 exec_lo, exec_lo, s45
	v_mov_b32_e32 v7, 0
	s_and_saveexec_b32 s45, s20
	s_cbranch_execnz .LBB119_168
.LBB119_135:                            ;   in Loop: Header=BB119_109 Depth=2
	s_or_b32 exec_lo, exec_lo, s45
	s_and_saveexec_b32 s45, s21
	s_cbranch_execnz .LBB119_169
.LBB119_136:                            ;   in Loop: Header=BB119_109 Depth=2
	s_or_b32 exec_lo, exec_lo, s45
	v_mov_b32_e32 v16, 0
	s_and_saveexec_b32 s45, s22
	s_cbranch_execnz .LBB119_170
.LBB119_137:                            ;   in Loop: Header=BB119_109 Depth=2
	s_or_b32 exec_lo, exec_lo, s45
	s_and_saveexec_b32 s45, s23
	s_cbranch_execnz .LBB119_171
.LBB119_138:                            ;   in Loop: Header=BB119_109 Depth=2
	s_or_b32 exec_lo, exec_lo, s45
	v_mov_b32_e32 v17, 0
	s_and_saveexec_b32 s45, s24
	s_cbranch_execnz .LBB119_172
.LBB119_139:                            ;   in Loop: Header=BB119_109 Depth=2
	s_or_b32 exec_lo, exec_lo, s45
	s_and_saveexec_b32 s45, s25
	s_cbranch_execnz .LBB119_173
.LBB119_140:                            ;   in Loop: Header=BB119_109 Depth=2
	s_or_b32 exec_lo, exec_lo, s45
	v_mov_b32_e32 v143, 0
	s_and_saveexec_b32 s45, s26
	s_cbranch_execnz .LBB119_174
.LBB119_141:                            ;   in Loop: Header=BB119_109 Depth=2
	s_or_b32 exec_lo, exec_lo, s45
	s_and_saveexec_b32 s45, s27
	s_cbranch_execz .LBB119_143
.LBB119_142:                            ;   in Loop: Header=BB119_109 Depth=2
	global_load_u16 v0, v[0:1], off offset:960
	s_waitcnt vmcnt(0)
	v_lshl_or_b32 v143, v0, 16, v143
.LBB119_143:                            ;   in Loop: Header=BB119_109 Depth=2
	s_or_b32 exec_lo, exec_lo, s45
	s_waitcnt vmcnt(0)
	ds_store_b16 v37, v3 offset:2112
	ds_store_b16 v53, v2 offset:64
	;; [unrolled: 1-line block ×3, first 2 shown]
	ds_store_b16_d16_hi v55, v4 offset:192
	ds_store_b16 v56, v5 offset:256
	ds_store_b16_d16_hi v57, v5 offset:320
	ds_store_b16 v58, v6 offset:384
	;; [unrolled: 2-line block ×6, first 2 shown]
	ds_store_b16_d16_hi v67, v143 offset:960
	; wave barrier
	ds_load_b128 v[4:7], v52 offset:2112
	ds_load_b128 v[0:3], v68 offset:16
	s_and_not1_b32 vcc_lo, exec_lo, s51
	s_cbranch_vccnz .LBB119_175
; %bb.144:                              ;   in Loop: Header=BB119_109 Depth=2
	v_mov_b32_e32 v16, s88
	ds_load_b64 v[16:17], v16
	s_cbranch_execz .LBB119_176
	s_branch .LBB119_179
.LBB119_145:                            ;   in Loop: Header=BB119_109 Depth=2
	global_load_u16 v3, v[0:1], off
	s_or_b32 exec_lo, exec_lo, s45
	s_and_saveexec_b32 s45, s13
	s_cbranch_execz .LBB119_111
.LBB119_146:                            ;   in Loop: Header=BB119_109 Depth=2
	global_load_u16 v2, v[0:1], off offset:64
	s_or_b32 exec_lo, exec_lo, s45
	v_mov_b32_e32 v4, 0
	s_and_saveexec_b32 s45, s14
	s_cbranch_execz .LBB119_112
.LBB119_147:                            ;   in Loop: Header=BB119_109 Depth=2
	global_load_u16 v4, v[0:1], off offset:128
	s_or_b32 exec_lo, exec_lo, s45
	s_and_saveexec_b32 s45, s15
	s_cbranch_execz .LBB119_113
.LBB119_148:                            ;   in Loop: Header=BB119_109 Depth=2
	global_load_u16 v5, v[0:1], off offset:192
	s_waitcnt vmcnt(0)
	v_lshl_or_b32 v4, v5, 16, v4
	s_or_b32 exec_lo, exec_lo, s45
	v_mov_b32_e32 v5, 0
	s_and_saveexec_b32 s45, s16
	s_cbranch_execz .LBB119_114
.LBB119_149:                            ;   in Loop: Header=BB119_109 Depth=2
	global_load_u16 v5, v[0:1], off offset:256
	s_or_b32 exec_lo, exec_lo, s45
	s_and_saveexec_b32 s45, s17
	s_cbranch_execz .LBB119_115
.LBB119_150:                            ;   in Loop: Header=BB119_109 Depth=2
	global_load_u16 v6, v[0:1], off offset:320
	s_waitcnt vmcnt(0)
	v_lshl_or_b32 v5, v6, 16, v5
	s_or_b32 exec_lo, exec_lo, s45
	v_mov_b32_e32 v6, 0
	s_and_saveexec_b32 s45, s18
	s_cbranch_execz .LBB119_116
.LBB119_151:                            ;   in Loop: Header=BB119_109 Depth=2
	global_load_u16 v6, v[0:1], off offset:384
	s_or_b32 exec_lo, exec_lo, s45
	s_and_saveexec_b32 s45, s19
	s_cbranch_execz .LBB119_117
.LBB119_152:                            ;   in Loop: Header=BB119_109 Depth=2
	global_load_u16 v7, v[0:1], off offset:448
	s_waitcnt vmcnt(0)
	v_lshl_or_b32 v6, v7, 16, v6
	s_or_b32 exec_lo, exec_lo, s45
	v_mov_b32_e32 v7, 0
	s_and_saveexec_b32 s45, s20
	s_cbranch_execz .LBB119_118
.LBB119_153:                            ;   in Loop: Header=BB119_109 Depth=2
	global_load_u16 v7, v[0:1], off offset:512
	s_or_b32 exec_lo, exec_lo, s45
	s_and_saveexec_b32 s45, s21
	s_cbranch_execz .LBB119_119
.LBB119_154:                            ;   in Loop: Header=BB119_109 Depth=2
	global_load_u16 v8, v[0:1], off offset:576
	s_waitcnt vmcnt(0)
	v_lshl_or_b32 v7, v8, 16, v7
	s_or_b32 exec_lo, exec_lo, s45
	v_mov_b32_e32 v8, 0
	s_and_saveexec_b32 s45, s22
	s_cbranch_execz .LBB119_120
.LBB119_155:                            ;   in Loop: Header=BB119_109 Depth=2
	global_load_u16 v8, v[0:1], off offset:640
	s_or_b32 exec_lo, exec_lo, s45
	s_and_saveexec_b32 s45, s23
	s_cbranch_execz .LBB119_121
.LBB119_156:                            ;   in Loop: Header=BB119_109 Depth=2
	global_load_u16 v9, v[0:1], off offset:704
	s_waitcnt vmcnt(0)
	v_lshl_or_b32 v8, v9, 16, v8
	s_or_b32 exec_lo, exec_lo, s45
	v_mov_b32_e32 v9, 0
	s_and_saveexec_b32 s45, s24
	s_cbranch_execz .LBB119_122
.LBB119_157:                            ;   in Loop: Header=BB119_109 Depth=2
	global_load_u16 v9, v[0:1], off offset:768
	s_or_b32 exec_lo, exec_lo, s45
	s_and_saveexec_b32 s45, s25
	s_cbranch_execz .LBB119_123
.LBB119_158:                            ;   in Loop: Header=BB119_109 Depth=2
	global_load_u16 v10, v[0:1], off offset:832
	s_waitcnt vmcnt(0)
	v_lshl_or_b32 v9, v10, 16, v9
	s_or_b32 exec_lo, exec_lo, s45
	v_mov_b32_e32 v10, 0
	s_and_saveexec_b32 s45, s26
	s_cbranch_execz .LBB119_124
.LBB119_159:                            ;   in Loop: Header=BB119_109 Depth=2
	global_load_u16 v10, v[0:1], off offset:896
	s_or_b32 exec_lo, exec_lo, s45
	s_and_saveexec_b32 s45, s27
	s_cbranch_execnz .LBB119_125
	s_branch .LBB119_126
.LBB119_160:                            ;   in Loop: Header=BB119_109 Depth=2
	global_load_u16 v3, v[0:1], off
	s_or_b32 exec_lo, exec_lo, s45
	s_and_saveexec_b32 s45, s13
	s_cbranch_execz .LBB119_128
.LBB119_161:                            ;   in Loop: Header=BB119_109 Depth=2
	global_load_u16 v2, v[0:1], off offset:64
	s_or_b32 exec_lo, exec_lo, s45
	v_mov_b32_e32 v4, 0
	s_and_saveexec_b32 s45, s14
	s_cbranch_execz .LBB119_129
.LBB119_162:                            ;   in Loop: Header=BB119_109 Depth=2
	global_load_u16 v4, v[0:1], off offset:128
	s_or_b32 exec_lo, exec_lo, s45
	s_and_saveexec_b32 s45, s15
	s_cbranch_execz .LBB119_130
.LBB119_163:                            ;   in Loop: Header=BB119_109 Depth=2
	global_load_u16 v5, v[0:1], off offset:192
	s_waitcnt vmcnt(0)
	v_lshl_or_b32 v4, v5, 16, v4
	s_or_b32 exec_lo, exec_lo, s45
	v_mov_b32_e32 v5, 0
	s_and_saveexec_b32 s45, s16
	s_cbranch_execz .LBB119_131
.LBB119_164:                            ;   in Loop: Header=BB119_109 Depth=2
	global_load_u16 v5, v[0:1], off offset:256
	s_or_b32 exec_lo, exec_lo, s45
	s_and_saveexec_b32 s45, s17
	s_cbranch_execz .LBB119_132
.LBB119_165:                            ;   in Loop: Header=BB119_109 Depth=2
	global_load_u16 v6, v[0:1], off offset:320
	s_waitcnt vmcnt(0)
	v_lshl_or_b32 v5, v6, 16, v5
	s_or_b32 exec_lo, exec_lo, s45
	v_mov_b32_e32 v6, 0
	s_and_saveexec_b32 s45, s18
	s_cbranch_execz .LBB119_133
.LBB119_166:                            ;   in Loop: Header=BB119_109 Depth=2
	global_load_u16 v6, v[0:1], off offset:384
	s_or_b32 exec_lo, exec_lo, s45
	s_and_saveexec_b32 s45, s19
	s_cbranch_execz .LBB119_134
.LBB119_167:                            ;   in Loop: Header=BB119_109 Depth=2
	global_load_u16 v7, v[0:1], off offset:448
	s_waitcnt vmcnt(0)
	v_lshl_or_b32 v6, v7, 16, v6
	s_or_b32 exec_lo, exec_lo, s45
	v_mov_b32_e32 v7, 0
	s_and_saveexec_b32 s45, s20
	s_cbranch_execz .LBB119_135
.LBB119_168:                            ;   in Loop: Header=BB119_109 Depth=2
	global_load_u16 v7, v[0:1], off offset:512
	s_or_b32 exec_lo, exec_lo, s45
	s_and_saveexec_b32 s45, s21
	s_cbranch_execz .LBB119_136
.LBB119_169:                            ;   in Loop: Header=BB119_109 Depth=2
	global_load_u16 v16, v[0:1], off offset:576
	s_waitcnt vmcnt(0)
	v_lshl_or_b32 v7, v16, 16, v7
	s_or_b32 exec_lo, exec_lo, s45
	v_mov_b32_e32 v16, 0
	s_and_saveexec_b32 s45, s22
	s_cbranch_execz .LBB119_137
.LBB119_170:                            ;   in Loop: Header=BB119_109 Depth=2
	global_load_u16 v16, v[0:1], off offset:640
	s_or_b32 exec_lo, exec_lo, s45
	s_and_saveexec_b32 s45, s23
	s_cbranch_execz .LBB119_138
.LBB119_171:                            ;   in Loop: Header=BB119_109 Depth=2
	global_load_u16 v17, v[0:1], off offset:704
	s_waitcnt vmcnt(0)
	v_lshl_or_b32 v16, v17, 16, v16
	s_or_b32 exec_lo, exec_lo, s45
	v_mov_b32_e32 v17, 0
	s_and_saveexec_b32 s45, s24
	s_cbranch_execz .LBB119_139
.LBB119_172:                            ;   in Loop: Header=BB119_109 Depth=2
	global_load_u16 v17, v[0:1], off offset:768
	s_or_b32 exec_lo, exec_lo, s45
	s_and_saveexec_b32 s45, s25
	s_cbranch_execz .LBB119_140
.LBB119_173:                            ;   in Loop: Header=BB119_109 Depth=2
	global_load_u16 v143, v[0:1], off offset:832
	s_waitcnt vmcnt(0)
	v_lshl_or_b32 v17, v143, 16, v17
	s_or_b32 exec_lo, exec_lo, s45
	v_mov_b32_e32 v143, 0
	s_and_saveexec_b32 s45, s26
	s_cbranch_execz .LBB119_141
.LBB119_174:                            ;   in Loop: Header=BB119_109 Depth=2
	global_load_u16 v143, v[0:1], off offset:896
	s_or_b32 exec_lo, exec_lo, s45
	s_and_saveexec_b32 s45, s27
	s_cbranch_execnz .LBB119_142
	s_branch .LBB119_143
.LBB119_175:                            ;   in Loop: Header=BB119_109 Depth=2
                                        ; implicit-def: $vgpr16
.LBB119_176:                            ;   in Loop: Header=BB119_109 Depth=2
	s_waitcnt lgkmcnt(0)
	v_mov_b32_e32 v17, 0
	s_and_not1_b32 vcc_lo, exec_lo, s47
	s_cbranch_vccnz .LBB119_178
; %bb.177:                              ;   in Loop: Header=BB119_109 Depth=2
	s_mov_b32 s61, s67
	s_delay_alu instid0(SALU_CYCLE_1) | instskip(NEXT) | instid1(SALU_CYCLE_1)
	s_lshl_b64 s[90:91], s[60:61], 2
	s_add_u32 s90, s76, s90
	s_addc_u32 s91, s77, s91
	global_load_b32 v17, v21, s[90:91]
.LBB119_178:                            ;   in Loop: Header=BB119_109 Depth=2
	v_mov_b32_e32 v16, 1.0
.LBB119_179:                            ;   in Loop: Header=BB119_109 Depth=2
	v_mul_f32_e32 v164, 0x3fb8aa3b, v142
	s_waitcnt lgkmcnt(19)
	v_lshrrev_b32_e32 v144, 16, v13
	v_lshrrev_b32_e32 v145, 16, v14
	v_cvt_f32_f16_e32 v13, v13
	v_cvt_f32_f16_e64 v152, v14
	v_mul_f32_e32 v14, v164, v90
	v_lshrrev_b32_e32 v143, 16, v12
	v_lshrrev_b32_e32 v146, 16, v15
	v_mul_f32_e32 v13, v139, v13
	v_cvt_f32_f16_e32 v12, v12
	v_cmp_gt_f32_e32 vcc_lo, 0xc2fc0000, v14
	v_cvt_f32_f16_e64 v153, v15
	v_mul_f32_e32 v15, v164, v91
	v_cvt_f32_f16_e64 v151, v144
	v_mul_f32_e32 v12, v141, v12
	v_cndmask_b32_e64 v14, 0, 0x42800000, vcc_lo
	v_mul_f32_e32 v142, v164, v92
	v_cmp_gt_f32_e64 s45, 0xc2fc0000, v15
	v_cndmask_b32_e64 v144, 1.0, 0x1f800000, vcc_lo
	s_waitcnt lgkmcnt(18)
	v_lshrrev_b32_e32 v147, 16, v8
	v_fmac_f32_e32 v14, v164, v90
	v_cvt_f32_f16_e64 v143, v143
	v_cndmask_b32_e64 v15, 0, 0x42800000, s45
	v_cvt_f32_f16_e64 v154, v146
	v_cmp_gt_f32_e32 vcc_lo, 0xc2fc0000, v142
	v_exp_f32_e32 v14, v14
	v_mul_f32_e32 v142, v164, v93
	v_fmac_f32_e32 v15, v164, v91
	v_cvt_f32_f16_e64 v155, v147
	v_cndmask_b32_e64 v147, 0, 0x42800000, vcc_lo
	v_lshrrev_b32_e32 v148, 16, v9
	v_lshrrev_b32_e32 v149, 16, v10
	;; [unrolled: 1-line block ×3, first 2 shown]
	v_cvt_f32_f16_e32 v9, v9
	v_cvt_f32_f16_e32 v8, v8
	v_mul_f32_e32 v14, v14, v144
	v_exp_f32_e32 v146, v15
	v_cndmask_b32_e64 v15, 0, v12, s28
	v_cndmask_b32_e64 v12, 1.0, 0x1f800000, s45
	v_cmp_gt_f32_e64 s45, 0xc2fc0000, v142
	v_cndmask_b32_e64 v142, 1.0, v14, s28
	v_mul_f32_e32 v14, v140, v143
	v_cvt_f32_f16_e64 v160, v148
	v_cvt_f32_f16_e64 v162, v149
	v_cndmask_b32_e64 v144, 0, 0x42800000, s45
	v_cvt_f32_f16_e64 v167, v150
	v_mul_f32_e32 v143, v146, v12
	v_cndmask_b32_e64 v12, 0, v14, s29
	v_cndmask_b32_e64 v14, 1.0, 0x1f800000, vcc_lo
	v_fmac_f32_e32 v147, v164, v92
	v_fmac_f32_e32 v144, v164, v93
	v_dual_mul_f32 v149, v164, v95 :: v_dual_mul_f32 v154, v134, v154
	v_dual_mul_f32 v150, v164, v96 :: v_dual_mul_f32 v9, v131, v9
	s_delay_alu instid0(VALU_DEP_4)
	v_exp_f32_e32 v146, v147
	v_mul_f32_e32 v147, v164, v94
	v_exp_f32_e32 v148, v144
	v_cndmask_b32_e64 v144, 1.0, v143, s29
	v_cndmask_b32_e64 v143, 1.0, 0x1f800000, s45
	v_cmp_gt_f32_e64 s45, 0xc2fc0000, v149
	v_cvt_f32_f16_e32 v10, v10
	v_cvt_f32_f16_e32 v11, v11
	v_mul_f32_e32 v165, v164, v102
	s_delay_alu instid0(TRANS32_DEP_2) | instskip(SKIP_1) | instid1(TRANS32_DEP_1)
	v_dual_mul_f32 v155, v132, v155 :: v_dual_mul_f32 v14, v146, v14
	v_cndmask_b32_e64 v149, 0, 0x42800000, s45
	v_dual_mul_f32 v143, v148, v143 :: v_dual_mul_f32 v10, v129, v10
	v_cndmask_b32_e64 v13, 0, v13, s30
	s_delay_alu instid0(VALU_DEP_4)
	v_cndmask_b32_e64 v146, 1.0, v14, s30
	v_mul_f32_e32 v14, v138, v151
	v_cmp_gt_f32_e32 vcc_lo, 0xc2fc0000, v147
	v_cndmask_b32_e64 v148, 1.0, v143, s31
	v_dual_fmac_f32 v149, v164, v95 :: v_dual_mul_f32 v8, v133, v8
	v_mul_f32_e32 v151, v164, v97
	v_cndmask_b32_e64 v147, 0, 0x42800000, vcc_lo
	v_cndmask_b32_e64 v143, 1.0, 0x1f800000, vcc_lo
	v_cmp_gt_f32_e32 vcc_lo, 0xc2fc0000, v150
	v_exp_f32_e32 v149, v149
	v_cmp_gt_f32_e64 s46, 0xc2fc0000, v151
	v_fmac_f32_e32 v147, v164, v94
	v_mul_f32_e32 v158, v164, v99
	v_cndmask_b32_e64 v150, 0, 0x42800000, vcc_lo
	v_cvt_f32_f16_e64 v145, v145
	v_cndmask_b32_e64 v151, 0, 0x42800000, s46
	v_exp_f32_e32 v147, v147
	v_cndmask_b32_e64 v14, 0, v14, s31
	v_dual_fmac_f32 v150, v164, v96 :: v_dual_mul_f32 v11, v127, v11
	s_delay_alu instid0(VALU_DEP_3) | instskip(SKIP_2) | instid1(VALU_DEP_4)
	v_fmac_f32_e32 v151, v164, v97
	v_mul_f32_e32 v166, v164, v103
	v_mul_f32_e32 v162, v128, v162
	v_exp_f32_e32 v156, v150
	s_delay_alu instid0(TRANS32_DEP_2)
	v_mul_f32_e32 v147, v147, v143
	v_mul_f32_e32 v143, v137, v152
	v_cndmask_b32_e64 v152, 1.0, 0x1f800000, s45
	v_cmp_gt_f32_e64 s45, 0xc2fc0000, v158
	v_mul_f32_e32 v158, v164, v101
	v_cndmask_b32_e64 v150, 1.0, v147, s33
	v_cndmask_b32_e64 v143, 0, v143, s33
	v_mul_f32_e32 v147, v149, v152
	v_cndmask_b32_e64 v149, 1.0, 0x1f800000, vcc_lo
	v_exp_f32_e32 v152, v151
	v_cndmask_b32_e64 v162, 0, v162, s42
	s_delay_alu instid0(VALU_DEP_3) | instskip(NEXT) | instid1(VALU_DEP_3)
	v_cndmask_b32_e64 v151, 1.0, v147, s34
	v_mul_f32_e32 v149, v156, v149
	v_mul_f32_e32 v147, v135, v153
	v_cndmask_b32_e64 v156, 1.0, 0x1f800000, s46
	s_delay_alu instid0(VALU_DEP_3)
	v_cndmask_b32_e64 v153, 1.0, v149, s35
	v_mul_f32_e32 v157, v164, v98
	v_cndmask_b32_e64 v149, 0, v154, s36
	v_mul_f32_e32 v154, v164, v100
	v_mul_f32_e32 v152, v152, v156
	v_cndmask_b32_e64 v147, 0, v147, s35
	v_cmp_gt_f32_e32 vcc_lo, 0xc2fc0000, v157
	s_delay_alu instid0(VALU_DEP_4) | instskip(NEXT) | instid1(VALU_DEP_4)
	v_cmp_gt_f32_e64 s46, 0xc2fc0000, v154
	v_cndmask_b32_e64 v156, 1.0, v152, s36
	v_cndmask_b32_e64 v157, 0, 0x42800000, vcc_lo
	v_cndmask_b32_e64 v159, 1.0, 0x1f800000, vcc_lo
	s_delay_alu instid0(VALU_DEP_4) | instskip(SKIP_1) | instid1(VALU_DEP_4)
	v_cndmask_b32_e64 v154, 0, 0x42800000, s46
	v_cmp_gt_f32_e32 vcc_lo, 0xc2fc0000, v158
	v_fmac_f32_e32 v157, v164, v98
	s_delay_alu instid0(VALU_DEP_3) | instskip(SKIP_1) | instid1(VALU_DEP_3)
	v_fmac_f32_e32 v154, v164, v100
	v_cndmask_b32_e64 v158, 0, 0x42800000, vcc_lo
	v_exp_f32_e32 v152, v157
	v_cndmask_b32_e64 v157, 0, 0x42800000, s45
	s_delay_alu instid0(VALU_DEP_2) | instskip(NEXT) | instid1(VALU_DEP_2)
	v_fmac_f32_e32 v158, v164, v101
	v_fmac_f32_e32 v157, v164, v99
	s_delay_alu instid0(VALU_DEP_2) | instskip(NEXT) | instid1(VALU_DEP_1)
	v_exp_f32_e32 v163, v158
	v_exp_f32_e32 v161, v157
	s_delay_alu instid0(TRANS32_DEP_3)
	v_mul_f32_e32 v157, v152, v159
	v_cndmask_b32_e64 v152, 0, v8, s37
	v_exp_f32_e32 v8, v154
	v_cndmask_b32_e64 v154, 1.0, 0x1f800000, s45
	v_cndmask_b32_e64 v159, 1.0, 0x1f800000, s46
	v_cmp_gt_f32_e64 s45, 0xc2fc0000, v166
	v_cndmask_b32_e64 v157, 1.0, v157, s37
	s_delay_alu instid0(TRANS32_DEP_2) | instid1(VALU_DEP_4)
	v_mul_f32_e32 v158, v161, v154
	v_cndmask_b32_e64 v161, 1.0, 0x1f800000, vcc_lo
	v_cmp_gt_f32_e32 vcc_lo, 0xc2fc0000, v165
	s_delay_alu instid0(TRANS32_DEP_1)
	v_mul_f32_e32 v8, v8, v159
	v_cndmask_b32_e64 v154, 0, v155, s38
	v_cndmask_b32_e64 v155, 0, v9, s39
	v_mul_f32_e32 v9, v130, v160
	v_fma_f32 v165, v144, v15, v12
	v_cndmask_b32_e64 v159, 1.0, v8, s39
	v_mul_f32_e32 v8, v163, v161
	v_cndmask_b32_e64 v161, 0, 0x42800000, vcc_lo
	v_mul_f32_e32 v163, v144, v142
	v_cndmask_b32_e64 v160, 0, v9, s40
	v_cndmask_b32_e64 v158, 1.0, v158, s38
	v_cndmask_b32_e64 v166, 1.0, v8, s40
	v_fmac_f32_e32 v161, v164, v102
	v_mul_f32_e32 v9, v163, v146
	v_fma_f32 v163, v165, v146, v13
	v_cndmask_b32_e64 v8, 1.0, 0x1f800000, vcc_lo
	v_cndmask_b32_e64 v165, 0, 0x42800000, s45
	v_exp_f32_e32 v161, v161
	v_mul_f32_e32 v145, v136, v145
	v_mul_f32_e32 v9, v9, v148
	v_fma_f32 v163, v163, v148, v14
	v_fmac_f32_e32 v165, v164, v103
	s_delay_alu instid0(VALU_DEP_3) | instskip(NEXT) | instid1(VALU_DEP_3)
	v_mul_f32_e32 v9, v9, v150
	v_fma_f32 v163, v163, v150, v143
	s_delay_alu instid0(VALU_DEP_3) | instskip(NEXT) | instid1(TRANS32_DEP_2)
	v_exp_f32_e32 v165, v165
	v_mul_f32_e32 v8, v161, v8
	v_cndmask_b32_e64 v145, 0, v145, s34
	v_mul_f32_e32 v9, v9, v151
	v_cndmask_b32_e64 v161, 0, v10, s41
	v_cndmask_b32_e64 v10, 1.0, 0x1f800000, s45
	s_delay_alu instid0(VALU_DEP_4)
	v_fma_f32 v168, v163, v151, v145
	v_cndmask_b32_e64 v163, 1.0, v8, s41
	v_mul_f32_e32 v8, v9, v153
	s_delay_alu instid0(TRANS32_DEP_1) | instid1(VALU_DEP_4)
	v_mul_f32_e32 v10, v165, v10
	s_delay_alu instid0(VALU_DEP_4) | instskip(SKIP_1) | instid1(VALU_DEP_4)
	v_fma_f32 v9, v168, v153, v147
	v_mul_f32_e32 v168, v164, v104
	v_mul_f32_e32 v8, v8, v156
	s_delay_alu instid0(VALU_DEP_3) | instskip(NEXT) | instid1(VALU_DEP_3)
	v_fma_f32 v9, v9, v156, v149
	v_cmp_gt_f32_e32 vcc_lo, 0xc2fc0000, v168
	v_mul_f32_e32 v168, v164, v111
	s_delay_alu instid0(VALU_DEP_4) | instskip(NEXT) | instid1(VALU_DEP_4)
	v_mul_f32_e32 v8, v8, v157
	v_fma_f32 v9, v9, v157, v152
	v_cndmask_b32_e64 v165, 0, 0x42800000, vcc_lo
	s_delay_alu instid0(VALU_DEP_4) | instskip(NEXT) | instid1(VALU_DEP_4)
	v_cmp_gt_f32_e64 s45, 0xc2fc0000, v168
	v_mul_f32_e32 v8, v8, v158
	s_delay_alu instid0(VALU_DEP_4) | instskip(NEXT) | instid1(VALU_DEP_4)
	v_fma_f32 v9, v9, v158, v154
	v_fmac_f32_e32 v165, v164, v104
	s_delay_alu instid0(VALU_DEP_4) | instskip(NEXT) | instid1(VALU_DEP_4)
	v_cndmask_b32_e64 v168, 0, 0x42800000, s45
	v_mul_f32_e32 v8, v8, v159
	s_delay_alu instid0(VALU_DEP_4) | instskip(NEXT) | instid1(VALU_DEP_4)
	v_fma_f32 v9, v9, v159, v155
	v_exp_f32_e32 v169, v165
	s_delay_alu instid0(VALU_DEP_3)
	v_fmac_f32_e32 v168, v164, v111
	v_cndmask_b32_e64 v165, 1.0, v10, s42
	v_cndmask_b32_e64 v10, 1.0, 0x1f800000, vcc_lo
	v_mul_f32_e32 v8, v8, v166
	v_fma_f32 v9, v9, v166, v160
	v_exp_f32_e32 v170, v168
	v_cndmask_b32_e64 v164, 0, v11, s43
	v_cndmask_b32_e64 v11, 1.0, 0x1f800000, s45
	v_mul_f32_e32 v8, v8, v163
	v_mul_f32_e32 v10, v169, v10
	v_fma_f32 v9, v9, v163, v161
	s_delay_alu instid0(VALU_DEP_3) | instskip(NEXT) | instid1(VALU_DEP_3)
	v_mul_f32_e32 v8, v8, v165
	v_cndmask_b32_e64 v168, 1.0, v10, s43
	v_mul_f32_e32 v10, v122, v167
	s_delay_alu instid0(TRANS32_DEP_1) | instskip(SKIP_1) | instid1(VALU_DEP_4)
	v_mul_f32_e32 v11, v170, v11
	v_fma_f32 v9, v9, v165, v162
	v_mul_f32_e32 v8, v8, v168
	s_delay_alu instid0(VALU_DEP_4) | instskip(NEXT) | instid1(VALU_DEP_4)
	v_cndmask_b32_e64 v167, 0, v10, s44
	v_cndmask_b32_e64 v169, 1.0, v11, s44
	s_delay_alu instid0(VALU_DEP_4) | instskip(NEXT) | instid1(VALU_DEP_2)
	v_fma_f32 v9, v9, v168, v164
	v_mul_f32_e32 v8, v8, v169
	s_delay_alu instid0(VALU_DEP_2) | instskip(NEXT) | instid1(VALU_DEP_2)
	v_fma_f32 v9, v9, v169, v167
	v_mov_b32_dpp v11, v8 row_shr:1 row_mask:0xf bank_mask:0xf
	s_delay_alu instid0(VALU_DEP_2)
	v_mov_b32_dpp v10, v9 row_shr:1 row_mask:0xf bank_mask:0xf
	s_and_saveexec_b32 s45, s0
; %bb.180:                              ;   in Loop: Header=BB119_109 Depth=2
	s_delay_alu instid0(VALU_DEP_2) | instskip(NEXT) | instid1(VALU_DEP_1)
	v_mul_f32_e32 v11, v8, v11
	v_dual_fmac_f32 v9, v8, v10 :: v_dual_mov_b32 v8, v11
; %bb.181:                              ;   in Loop: Header=BB119_109 Depth=2
	s_or_b32 exec_lo, exec_lo, s45
	s_delay_alu instid0(VALU_DEP_1) | instskip(NEXT) | instid1(VALU_DEP_2)
	v_mov_b32_dpp v10, v8 row_shr:2 row_mask:0xf bank_mask:0xf
	v_mov_b32_dpp v11, v9 row_shr:2 row_mask:0xf bank_mask:0xf
	s_and_saveexec_b32 s45, s1
; %bb.182:                              ;   in Loop: Header=BB119_109 Depth=2
	s_delay_alu instid0(VALU_DEP_1) | instskip(NEXT) | instid1(VALU_DEP_3)
	v_fmac_f32_e32 v9, v8, v11
	v_mul_f32_e32 v8, v8, v10
; %bb.183:                              ;   in Loop: Header=BB119_109 Depth=2
	s_or_b32 exec_lo, exec_lo, s45
	s_delay_alu instid0(VALU_DEP_1) | instskip(NEXT) | instid1(VALU_DEP_3)
	v_mov_b32_dpp v10, v8 row_shr:4 row_mask:0xf bank_mask:0xf
	v_mov_b32_dpp v11, v9 row_shr:4 row_mask:0xf bank_mask:0xf
	s_and_saveexec_b32 s45, s2
; %bb.184:                              ;   in Loop: Header=BB119_109 Depth=2
	s_delay_alu instid0(VALU_DEP_1) | instskip(NEXT) | instid1(VALU_DEP_3)
	v_fmac_f32_e32 v9, v8, v11
	v_mul_f32_e32 v8, v8, v10
; %bb.185:                              ;   in Loop: Header=BB119_109 Depth=2
	s_or_b32 exec_lo, exec_lo, s45
	s_delay_alu instid0(VALU_DEP_1) | instskip(NEXT) | instid1(VALU_DEP_3)
	v_mov_b32_dpp v10, v8 row_shr:8 row_mask:0xf bank_mask:0xf
	v_mov_b32_dpp v11, v9 row_shr:8 row_mask:0xf bank_mask:0xf
	s_and_saveexec_b32 s45, s3
; %bb.186:                              ;   in Loop: Header=BB119_109 Depth=2
	s_delay_alu instid0(VALU_DEP_1) | instskip(NEXT) | instid1(VALU_DEP_3)
	v_fmac_f32_e32 v9, v8, v11
	v_mul_f32_e32 v8, v8, v10
; %bb.187:                              ;   in Loop: Header=BB119_109 Depth=2
	s_or_b32 exec_lo, exec_lo, s45
	ds_swizzle_b32 v11, v8 offset:swizzle(BROADCAST,32,15)
	ds_swizzle_b32 v10, v9 offset:swizzle(BROADCAST,32,15)
	s_and_saveexec_b32 s45, s4
	s_cbranch_execz .LBB119_189
; %bb.188:                              ;   in Loop: Header=BB119_109 Depth=2
	s_waitcnt lgkmcnt(1)
	v_mul_f32_e32 v11, v8, v11
	s_waitcnt lgkmcnt(0)
	s_delay_alu instid0(VALU_DEP_1)
	v_dual_fmac_f32 v9, v8, v10 :: v_dual_mov_b32 v8, v11
.LBB119_189:                            ;   in Loop: Header=BB119_109 Depth=2
	s_or_b32 exec_lo, exec_lo, s45
	s_and_saveexec_b32 s45, s5
	s_cbranch_execz .LBB119_191
; %bb.190:                              ;   in Loop: Header=BB119_109 Depth=2
	ds_store_b64 v69, v[8:9] offset:4224
.LBB119_191:                            ;   in Loop: Header=BB119_109 Depth=2
	s_or_b32 exec_lo, exec_lo, s45
	s_waitcnt vmcnt(0) lgkmcnt(0)
	s_waitcnt_vscnt null, 0x0
	s_barrier
	buffer_gl0_inv
	s_and_saveexec_b32 s45, s6
	s_cbranch_execz .LBB119_193
; %bb.192:                              ;   in Loop: Header=BB119_109 Depth=2
	ds_load_b64 v[10:11], v70 offset:4224
	s_waitcnt lgkmcnt(0)
	v_mov_b32_dpp v170, v10 row_shr:1 row_mask:0xf bank_mask:0xf
	v_mov_b32_dpp v171, v11 row_shr:1 row_mask:0xf bank_mask:0xf
	s_delay_alu instid0(VALU_DEP_2) | instskip(NEXT) | instid1(VALU_DEP_2)
	v_mul_f32_e32 v170, v10, v170
	v_fma_f32 v171, v10, v171, v11
	s_delay_alu instid0(VALU_DEP_2) | instskip(NEXT) | instid1(VALU_DEP_2)
	v_cndmask_b32_e64 v10, v170, v10, s7
	v_cndmask_b32_e64 v11, v171, v11, s7
	ds_store_b64 v70, v[10:11] offset:4224
.LBB119_193:                            ;   in Loop: Header=BB119_109 Depth=2
	s_or_b32 exec_lo, exec_lo, s45
	s_waitcnt lgkmcnt(0)
	s_barrier
	buffer_gl0_inv
                                        ; implicit-def: $vgpr11
	s_and_saveexec_b32 s45, s9
	s_cbranch_execz .LBB119_195
; %bb.194:                              ;   in Loop: Header=BB119_109 Depth=2
	ds_load_b64 v[10:11], v69 offset:4216
	s_waitcnt lgkmcnt(0)
	v_mul_f32_e32 v170, v8, v10
	s_delay_alu instid0(VALU_DEP_1)
	v_dual_fmac_f32 v9, v8, v11 :: v_dual_mov_b32 v8, v170
.LBB119_195:                            ;   in Loop: Header=BB119_109 Depth=2
	s_or_b32 exec_lo, exec_lo, s45
	ds_bpermute_b32 v170, v71, v8
	ds_bpermute_b32 v171, v71, v9
	s_and_saveexec_b32 s45, s8
	s_cbranch_execz .LBB119_199
; %bb.196:                              ;   in Loop: Header=BB119_109 Depth=2
	ds_load_b64 v[8:9], v21 offset:4232
	s_and_saveexec_b32 s46, s10
	s_cbranch_execz .LBB119_198
; %bb.197:                              ;   in Loop: Header=BB119_109 Depth=2
	ds_store_b64 v21, v[16:17] offset:4232
.LBB119_198:                            ;   in Loop: Header=BB119_109 Depth=2
	s_or_b32 exec_lo, exec_lo, s46
	s_waitcnt lgkmcnt(0)
	v_fmac_f32_e32 v9, v17, v8
	s_delay_alu instid0(VALU_DEP_1)
	v_dual_mul_f32 v16, v16, v8 :: v_dual_mov_b32 v17, v9
.LBB119_199:                            ;   in Loop: Header=BB119_109 Depth=2
	s_or_b32 exec_lo, exec_lo, s45
	s_waitcnt lgkmcnt(0)
	s_barrier
	buffer_gl0_inv
	ds_load_b32 v8, v21 offset:4236
	s_and_saveexec_b32 s45, s10
	s_cbranch_execz .LBB119_108
; %bb.200:                              ;   in Loop: Header=BB119_109 Depth=2
	v_mov_b32_e32 v9, s88
	s_and_not1_b32 vcc_lo, exec_lo, s86
	ds_store_b64 v9, v[16:17]
	s_cbranch_vccnz .LBB119_108
; %bb.201:                              ;   in Loop: Header=BB119_109 Depth=2
	s_mov_b32 s61, s67
	s_delay_alu instid0(SALU_CYCLE_1) | instskip(NEXT) | instid1(SALU_CYCLE_1)
	s_lshl_b64 s[90:91], s[60:61], 2
	s_add_u32 s90, s76, s90
	s_addc_u32 s91, s77, s91
	global_store_b32 v21, v17, s[90:91]
	s_branch .LBB119_108
.LBB119_202:                            ;   in Loop: Header=BB119_12 Depth=1
	v_cvt_f16_f32_e32 v0, v121
	v_cvt_f16_f32_e32 v4, v120
	;; [unrolled: 1-line block ×16, first 2 shown]
	v_pack_b32_f16 v3, v3, v7
	v_pack_b32_f16 v2, v2, v6
	;; [unrolled: 1-line block ×8, first 2 shown]
	s_waitcnt_vscnt null, 0x0
	s_barrier
	buffer_gl0_inv
	ds_store_b128 v52, v[0:3]
	ds_store_b128 v52, v[4:7] offset:16
	; wave barrier
	ds_load_u16 v16, v37 offset:64
	ds_load_u16 v15, v38 offset:128
	ds_load_u16 v14, v39 offset:192
	ds_load_u16 v13, v40 offset:256
	ds_load_u16 v12, v41 offset:320
	ds_load_u16 v11, v42 offset:384
	ds_load_u16 v10, v43 offset:448
	ds_load_u16 v9, v44 offset:512
	ds_load_u16 v8, v45 offset:576
	ds_load_u16 v7, v46 offset:640
	ds_load_u16 v6, v47 offset:704
	ds_load_u16 v5, v48 offset:768
	ds_load_u16 v4, v49 offset:832
	ds_load_u16 v3, v50 offset:896
	ds_load_u16 v2, v51 offset:960
	s_mov_b32 s51, s67
	s_delay_alu instid0(SALU_CYCLE_1) | instskip(NEXT) | instid1(SALU_CYCLE_1)
	s_lshl_b64 s[28:29], s[50:51], 1
	v_add_co_u32 v0, vcc_lo, v72, s28
	v_add_co_ci_u32_e32 v1, vcc_lo, s29, v73, vcc_lo
	s_and_saveexec_b32 s28, s12
	s_cbranch_execnz .LBB119_220
; %bb.203:                              ;   in Loop: Header=BB119_12 Depth=1
	s_or_b32 exec_lo, exec_lo, s28
	s_and_saveexec_b32 s12, s13
	s_cbranch_execnz .LBB119_221
.LBB119_204:                            ;   in Loop: Header=BB119_12 Depth=1
	s_or_b32 exec_lo, exec_lo, s12
	s_and_saveexec_b32 s12, s14
	s_cbranch_execnz .LBB119_222
.LBB119_205:                            ;   in Loop: Header=BB119_12 Depth=1
	s_or_b32 exec_lo, exec_lo, s12
	s_and_saveexec_b32 s12, s15
	s_cbranch_execnz .LBB119_223
.LBB119_206:                            ;   in Loop: Header=BB119_12 Depth=1
	s_or_b32 exec_lo, exec_lo, s12
	s_and_saveexec_b32 s12, s16
	s_cbranch_execnz .LBB119_224
.LBB119_207:                            ;   in Loop: Header=BB119_12 Depth=1
	s_or_b32 exec_lo, exec_lo, s12
	s_and_saveexec_b32 s12, s17
	s_cbranch_execnz .LBB119_225
.LBB119_208:                            ;   in Loop: Header=BB119_12 Depth=1
	s_or_b32 exec_lo, exec_lo, s12
	s_and_saveexec_b32 s12, s18
	s_cbranch_execnz .LBB119_226
.LBB119_209:                            ;   in Loop: Header=BB119_12 Depth=1
	s_or_b32 exec_lo, exec_lo, s12
	s_and_saveexec_b32 s12, s19
	s_cbranch_execnz .LBB119_227
.LBB119_210:                            ;   in Loop: Header=BB119_12 Depth=1
	s_or_b32 exec_lo, exec_lo, s12
	s_and_saveexec_b32 s12, s20
	s_cbranch_execnz .LBB119_228
.LBB119_211:                            ;   in Loop: Header=BB119_12 Depth=1
	s_or_b32 exec_lo, exec_lo, s12
	s_and_saveexec_b32 s12, s21
	s_cbranch_execnz .LBB119_229
.LBB119_212:                            ;   in Loop: Header=BB119_12 Depth=1
	s_or_b32 exec_lo, exec_lo, s12
	s_and_saveexec_b32 s12, s22
	s_cbranch_execnz .LBB119_230
.LBB119_213:                            ;   in Loop: Header=BB119_12 Depth=1
	s_or_b32 exec_lo, exec_lo, s12
	s_and_saveexec_b32 s12, s23
	s_cbranch_execnz .LBB119_231
.LBB119_214:                            ;   in Loop: Header=BB119_12 Depth=1
	s_or_b32 exec_lo, exec_lo, s12
	s_and_saveexec_b32 s12, s24
	s_cbranch_execnz .LBB119_232
.LBB119_215:                            ;   in Loop: Header=BB119_12 Depth=1
	s_or_b32 exec_lo, exec_lo, s12
	s_and_saveexec_b32 s12, s25
	s_cbranch_execnz .LBB119_233
.LBB119_216:                            ;   in Loop: Header=BB119_12 Depth=1
	s_or_b32 exec_lo, exec_lo, s12
	s_and_saveexec_b32 s12, s26
	s_cbranch_execnz .LBB119_234
.LBB119_217:                            ;   in Loop: Header=BB119_12 Depth=1
	s_or_b32 exec_lo, exec_lo, s12
	s_and_saveexec_b32 s12, s27
	s_cbranch_execz .LBB119_11
	s_branch .LBB119_235
.LBB119_218:                            ;   in Loop: Header=BB119_12 Depth=1
	global_load_u16 v97, v[8:9], off offset:832
	s_or_b32 exec_lo, exec_lo, s28
	s_and_saveexec_b32 s28, s26
	s_cbranch_execz .LBB119_72
.LBB119_219:                            ;   in Loop: Header=BB119_12 Depth=1
	global_load_u16 v96, v[8:9], off offset:896
	s_or_b32 exec_lo, exec_lo, s28
	v_mov_b32_e32 v98, 0
	s_and_saveexec_b32 s28, s27
	s_cbranch_execnz .LBB119_73
	s_branch .LBB119_74
.LBB119_220:                            ;   in Loop: Header=BB119_12 Depth=1
	ds_load_u16 v17, v37
	s_waitcnt lgkmcnt(0)
	global_store_b16 v[0:1], v17, off
	s_or_b32 exec_lo, exec_lo, s28
	s_and_saveexec_b32 s12, s13
	s_cbranch_execz .LBB119_204
.LBB119_221:                            ;   in Loop: Header=BB119_12 Depth=1
	s_waitcnt lgkmcnt(14)
	global_store_b16 v[0:1], v16, off offset:64
	s_or_b32 exec_lo, exec_lo, s12
	s_and_saveexec_b32 s12, s14
	s_cbranch_execz .LBB119_205
.LBB119_222:                            ;   in Loop: Header=BB119_12 Depth=1
	s_waitcnt lgkmcnt(13)
	global_store_b16 v[0:1], v15, off offset:128
	s_or_b32 exec_lo, exec_lo, s12
	s_and_saveexec_b32 s12, s15
	s_cbranch_execz .LBB119_206
.LBB119_223:                            ;   in Loop: Header=BB119_12 Depth=1
	s_waitcnt lgkmcnt(12)
	global_store_b16 v[0:1], v14, off offset:192
	s_or_b32 exec_lo, exec_lo, s12
	s_and_saveexec_b32 s12, s16
	s_cbranch_execz .LBB119_207
.LBB119_224:                            ;   in Loop: Header=BB119_12 Depth=1
	s_waitcnt lgkmcnt(11)
	global_store_b16 v[0:1], v13, off offset:256
	s_or_b32 exec_lo, exec_lo, s12
	s_and_saveexec_b32 s12, s17
	s_cbranch_execz .LBB119_208
.LBB119_225:                            ;   in Loop: Header=BB119_12 Depth=1
	s_waitcnt lgkmcnt(10)
	global_store_b16 v[0:1], v12, off offset:320
	s_or_b32 exec_lo, exec_lo, s12
	s_and_saveexec_b32 s12, s18
	s_cbranch_execz .LBB119_209
.LBB119_226:                            ;   in Loop: Header=BB119_12 Depth=1
	s_waitcnt lgkmcnt(9)
	global_store_b16 v[0:1], v11, off offset:384
	s_or_b32 exec_lo, exec_lo, s12
	s_and_saveexec_b32 s12, s19
	s_cbranch_execz .LBB119_210
.LBB119_227:                            ;   in Loop: Header=BB119_12 Depth=1
	s_waitcnt lgkmcnt(8)
	global_store_b16 v[0:1], v10, off offset:448
	s_or_b32 exec_lo, exec_lo, s12
	s_and_saveexec_b32 s12, s20
	s_cbranch_execz .LBB119_211
.LBB119_228:                            ;   in Loop: Header=BB119_12 Depth=1
	s_waitcnt lgkmcnt(7)
	global_store_b16 v[0:1], v9, off offset:512
	s_or_b32 exec_lo, exec_lo, s12
	s_and_saveexec_b32 s12, s21
	s_cbranch_execz .LBB119_212
.LBB119_229:                            ;   in Loop: Header=BB119_12 Depth=1
	s_waitcnt lgkmcnt(6)
	global_store_b16 v[0:1], v8, off offset:576
	s_or_b32 exec_lo, exec_lo, s12
	s_and_saveexec_b32 s12, s22
	s_cbranch_execz .LBB119_213
.LBB119_230:                            ;   in Loop: Header=BB119_12 Depth=1
	s_waitcnt lgkmcnt(5)
	global_store_b16 v[0:1], v7, off offset:640
	s_or_b32 exec_lo, exec_lo, s12
	s_and_saveexec_b32 s12, s23
	s_cbranch_execz .LBB119_214
.LBB119_231:                            ;   in Loop: Header=BB119_12 Depth=1
	s_waitcnt lgkmcnt(4)
	global_store_b16 v[0:1], v6, off offset:704
	s_or_b32 exec_lo, exec_lo, s12
	s_and_saveexec_b32 s12, s24
	s_cbranch_execz .LBB119_215
.LBB119_232:                            ;   in Loop: Header=BB119_12 Depth=1
	s_waitcnt lgkmcnt(3)
	global_store_b16 v[0:1], v5, off offset:768
	s_or_b32 exec_lo, exec_lo, s12
	s_and_saveexec_b32 s12, s25
	s_cbranch_execz .LBB119_216
.LBB119_233:                            ;   in Loop: Header=BB119_12 Depth=1
	s_waitcnt lgkmcnt(2)
	global_store_b16 v[0:1], v4, off offset:832
	s_or_b32 exec_lo, exec_lo, s12
	s_and_saveexec_b32 s12, s26
	s_cbranch_execz .LBB119_217
.LBB119_234:                            ;   in Loop: Header=BB119_12 Depth=1
	s_waitcnt lgkmcnt(1)
	global_store_b16 v[0:1], v3, off offset:896
	s_or_b32 exec_lo, exec_lo, s12
	s_and_saveexec_b32 s12, s27
	s_cbranch_execz .LBB119_11
.LBB119_235:                            ;   in Loop: Header=BB119_12 Depth=1
	s_waitcnt lgkmcnt(0)
	global_store_b16 v[0:1], v2, off offset:960
	s_branch .LBB119_11
.LBB119_236:
	s_nop 0
	s_sendmsg sendmsg(MSG_DEALLOC_VGPRS)
	s_endpgm
	.section	.rodata,"a",@progbits
	.p2align	6, 0x0
	.amdhsa_kernel _Z25selective_scan_fwd_kernelI32Selective_Scan_fwd_kernel_traitsILi64ELi16ELi1ELb0ELb1ELb1ELb0ELb0EN3c104HalfEffEEv13SSMParamsBase
		.amdhsa_group_segment_fixed_size 0
		.amdhsa_private_segment_fixed_size 0
		.amdhsa_kernarg_size 248
		.amdhsa_user_sgpr_count 14
		.amdhsa_user_sgpr_dispatch_ptr 0
		.amdhsa_user_sgpr_queue_ptr 0
		.amdhsa_user_sgpr_kernarg_segment_ptr 1
		.amdhsa_user_sgpr_dispatch_id 0
		.amdhsa_user_sgpr_private_segment_size 0
		.amdhsa_wavefront_size32 1
		.amdhsa_uses_dynamic_stack 0
		.amdhsa_enable_private_segment 0
		.amdhsa_system_sgpr_workgroup_id_x 1
		.amdhsa_system_sgpr_workgroup_id_y 1
		.amdhsa_system_sgpr_workgroup_id_z 0
		.amdhsa_system_sgpr_workgroup_info 0
		.amdhsa_system_vgpr_workitem_id 0
		.amdhsa_next_free_vgpr 172
		.amdhsa_next_free_sgpr 92
		.amdhsa_reserve_vcc 1
		.amdhsa_float_round_mode_32 0
		.amdhsa_float_round_mode_16_64 0
		.amdhsa_float_denorm_mode_32 3
		.amdhsa_float_denorm_mode_16_64 3
		.amdhsa_dx10_clamp 1
		.amdhsa_ieee_mode 1
		.amdhsa_fp16_overflow 0
		.amdhsa_workgroup_processor_mode 1
		.amdhsa_memory_ordered 1
		.amdhsa_forward_progress 0
		.amdhsa_shared_vgpr_count 0
		.amdhsa_exception_fp_ieee_invalid_op 0
		.amdhsa_exception_fp_denorm_src 0
		.amdhsa_exception_fp_ieee_div_zero 0
		.amdhsa_exception_fp_ieee_overflow 0
		.amdhsa_exception_fp_ieee_underflow 0
		.amdhsa_exception_fp_ieee_inexact 0
		.amdhsa_exception_int_div_zero 0
	.end_amdhsa_kernel
	.section	.text._Z25selective_scan_fwd_kernelI32Selective_Scan_fwd_kernel_traitsILi64ELi16ELi1ELb0ELb1ELb1ELb0ELb0EN3c104HalfEffEEv13SSMParamsBase,"axG",@progbits,_Z25selective_scan_fwd_kernelI32Selective_Scan_fwd_kernel_traitsILi64ELi16ELi1ELb0ELb1ELb1ELb0ELb0EN3c104HalfEffEEv13SSMParamsBase,comdat
.Lfunc_end119:
	.size	_Z25selective_scan_fwd_kernelI32Selective_Scan_fwd_kernel_traitsILi64ELi16ELi1ELb0ELb1ELb1ELb0ELb0EN3c104HalfEffEEv13SSMParamsBase, .Lfunc_end119-_Z25selective_scan_fwd_kernelI32Selective_Scan_fwd_kernel_traitsILi64ELi16ELi1ELb0ELb1ELb1ELb0ELb0EN3c104HalfEffEEv13SSMParamsBase
                                        ; -- End function
	.section	.AMDGPU.csdata,"",@progbits
; Kernel info:
; codeLenInByte = 21420
; NumSgprs: 94
; NumVgprs: 172
; ScratchSize: 0
; MemoryBound: 0
; FloatMode: 240
; IeeeMode: 1
; LDSByteSize: 0 bytes/workgroup (compile time only)
; SGPRBlocks: 11
; VGPRBlocks: 21
; NumSGPRsForWavesPerEU: 94
; NumVGPRsForWavesPerEU: 172
; Occupancy: 8
; WaveLimiterHint : 0
; COMPUTE_PGM_RSRC2:SCRATCH_EN: 0
; COMPUTE_PGM_RSRC2:USER_SGPR: 14
; COMPUTE_PGM_RSRC2:TRAP_HANDLER: 0
; COMPUTE_PGM_RSRC2:TGID_X_EN: 1
; COMPUTE_PGM_RSRC2:TGID_Y_EN: 1
; COMPUTE_PGM_RSRC2:TGID_Z_EN: 0
; COMPUTE_PGM_RSRC2:TIDIG_COMP_CNT: 0
	.section	.text._Z25selective_scan_fwd_kernelI32Selective_Scan_fwd_kernel_traitsILi128ELi16ELi1ELb1ELb1ELb1ELb1ELb1EN3c104HalfEffEEv13SSMParamsBase,"axG",@progbits,_Z25selective_scan_fwd_kernelI32Selective_Scan_fwd_kernel_traitsILi128ELi16ELi1ELb1ELb1ELb1ELb1ELb1EN3c104HalfEffEEv13SSMParamsBase,comdat
	.protected	_Z25selective_scan_fwd_kernelI32Selective_Scan_fwd_kernel_traitsILi128ELi16ELi1ELb1ELb1ELb1ELb1ELb1EN3c104HalfEffEEv13SSMParamsBase ; -- Begin function _Z25selective_scan_fwd_kernelI32Selective_Scan_fwd_kernel_traitsILi128ELi16ELi1ELb1ELb1ELb1ELb1ELb1EN3c104HalfEffEEv13SSMParamsBase
	.globl	_Z25selective_scan_fwd_kernelI32Selective_Scan_fwd_kernel_traitsILi128ELi16ELi1ELb1ELb1ELb1ELb1ELb1EN3c104HalfEffEEv13SSMParamsBase
	.p2align	8
	.type	_Z25selective_scan_fwd_kernelI32Selective_Scan_fwd_kernel_traitsILi128ELi16ELi1ELb1ELb1ELb1ELb1ELb1EN3c104HalfEffEEv13SSMParamsBase,@function
_Z25selective_scan_fwd_kernelI32Selective_Scan_fwd_kernel_traitsILi128ELi16ELi1ELb1ELb1ELb1ELb1ELb1EN3c104HalfEffEEv13SSMParamsBase: ; @_Z25selective_scan_fwd_kernelI32Selective_Scan_fwd_kernel_traitsILi128ELi16ELi1ELb1ELb1ELb1ELb1ELb1EN3c104HalfEffEEv13SSMParamsBase
; %bb.0:
	s_clause 0x2
	s_load_b32 s11, s[0:1], 0x18
	s_load_b256 s[36:43], s[0:1], 0xc8
	s_load_b128 s[4:7], s[0:1], 0xe8
	s_mov_b32 s34, s15
	s_ashr_i32 s15, s14, 31
	s_mov_b32 s66, 0
	s_lshl_b64 s[8:9], s[14:15], 2
	s_waitcnt lgkmcnt(0)
	s_abs_i32 s10, s11
	s_add_u32 s2, s42, s8
	v_cvt_f32_u32_e32 v1, s10
	s_addc_u32 s3, s43, s9
	s_cmp_eq_u64 s[6:7], 0
	s_delay_alu instid0(VALU_DEP_1) | instskip(SKIP_2) | instid1(VALU_DEP_1)
	v_rcp_iflag_f32_e32 v1, v1
	s_waitcnt_depctr 0xfff
	v_mul_f32_e32 v1, 0x4f7ffffe, v1
	v_cvt_u32_f32_e32 v1, v1
	s_delay_alu instid0(VALU_DEP_1)
	v_readfirstlane_b32 s12, v1
	s_cbranch_scc1 .LBB120_2
; %bb.1:
	v_mov_b32_e32 v1, 0
	s_add_u32 s6, s6, s14
	s_addc_u32 s7, s7, s15
	global_load_u8 v1, v1, s[6:7]
	s_waitcnt vmcnt(0)
	v_and_b32_e32 v1, 1, v1
	s_delay_alu instid0(VALU_DEP_1)
	v_cmp_eq_u32_e64 s66, 1, v1
.LBB120_2:
	s_load_b64 s[6:7], s[0:1], 0x20
	s_cmp_eq_u64 s[4:5], 0
	s_cbranch_scc1 .LBB120_4
; %bb.3:
	s_add_u32 s4, s4, s8
	s_addc_u32 s5, s5, s9
	s_load_b32 s14, s[4:5], 0x0
	s_waitcnt lgkmcnt(0)
	s_ashr_i32 s15, s14, 31
.LBB120_4:
	s_waitcnt lgkmcnt(0)
	s_cmp_eq_u64 s[6:7], s[14:15]
	s_cbranch_scc1 .LBB120_302
; %bb.5:
	s_load_b512 s[16:31], s[0:1], 0x88
	s_load_b64 s[42:43], s[2:3], 0x0
	s_mov_b32 s67, 0
	s_mov_b32 s68, 0
	s_waitcnt lgkmcnt(0)
	s_cmp_eq_u64 s[22:23], 0
	s_cbranch_scc1 .LBB120_7
; %bb.6:
	s_ashr_i32 s35, s34, 31
	s_delay_alu instid0(SALU_CYCLE_1) | instskip(NEXT) | instid1(SALU_CYCLE_1)
	s_lshl_b64 s[2:3], s[34:35], 2
	s_add_u32 s2, s22, s2
	s_addc_u32 s3, s23, s3
	s_load_b32 s68, s[2:3], 0x0
.LBB120_7:
	s_cmp_eq_u64 s[28:29], 0
	s_cbranch_scc1 .LBB120_9
; %bb.8:
	s_ashr_i32 s35, s34, 31
	s_delay_alu instid0(SALU_CYCLE_1) | instskip(NEXT) | instid1(SALU_CYCLE_1)
	s_lshl_b64 s[2:3], s[34:35], 2
	s_add_u32 s2, s28, s2
	s_addc_u32 s3, s29, s3
	s_load_b32 s67, s[2:3], 0x0
.LBB120_9:
	s_sub_i32 s69, s43, s42
	s_delay_alu instid0(SALU_CYCLE_1)
	s_cmp_lt_i32 s69, 1
	s_cbranch_scc1 .LBB120_302
; %bb.10:
	s_sub_i32 s2, 0, s10
	s_load_b256 s[48:55], s[0:1], 0x4c
	s_mul_i32 s2, s2, s12
	s_abs_i32 s3, s34
	s_mul_hi_u32 s2, s12, s2
	s_ashr_i32 s5, s11, 31
	s_add_i32 s12, s12, s2
	s_ashr_i32 s2, s34, 31
	s_mul_hi_u32 s4, s3, s12
	s_xor_b32 s5, s2, s5
	s_mul_i32 s6, s4, s10
	s_load_b256 s[56:63], s[0:1], 0x2c
	s_sub_i32 s2, s3, s6
	s_add_i32 s3, s4, 1
	s_sub_i32 s6, s2, s10
	s_cmp_ge_u32 s2, s10
	s_mov_b32 s65, 0
	s_cselect_b32 s3, s3, s4
	s_cselect_b32 s2, s6, s2
	s_add_i32 s4, s3, 1
	s_cmp_ge_u32 s2, s10
	s_waitcnt lgkmcnt(0)
	s_mul_i32 s64, s42, s50
	s_cselect_b32 s4, s4, s3
	s_lshl_b64 s[2:3], s[64:65], 1
	s_xor_b32 s4, s4, s5
	s_mul_i32 s64, s51, s34
	s_sub_i32 s6, s4, s5
	s_add_u32 s4, s24, s2
	s_addc_u32 s5, s25, s3
	s_lshl_b64 s[2:3], s[64:65], 1
	s_mul_i32 s64, s42, s52
	s_add_u32 s63, s4, s2
	s_addc_u32 s70, s5, s3
	s_lshl_b64 s[2:3], s[64:65], 1
	s_mul_i32 s64, s53, s34
	;; [unrolled: 4-line block ×3, first 2 shown]
	s_add_u32 s71, s4, s2
	s_addc_u32 s56, s5, s3
	s_load_b64 s[4:5], s[0:1], 0x7c
	v_dual_mov_b32 v21, 0 :: v_dual_lshlrev_b32 v18, 4, v0
	s_lshl_b64 s[2:3], s[64:65], 2
	s_mul_i32 s64, s42, s58
	s_add_u32 s72, s16, s2
	v_mbcnt_lo_u32_b32 v19, -1, 0
	v_and_b32_e32 v1, 0x600, v18
	s_addc_u32 s73, s17, s3
	s_lshl_b64 s[2:3], s[64:65], 1
	s_mul_i32 s64, s6, s61
	s_add_u32 s7, s18, s2
	s_addc_u32 s8, s19, s3
	s_clause 0x3
	s_load_b128 s[16:19], s[0:1], 0x6c
	s_load_b32 s75, s[0:1], 0x84
	s_load_b32 s78, s[0:1], 0xc
	;; [unrolled: 1-line block ×3, first 2 shown]
	v_or_b32_e32 v20, v19, v1
	s_lshl_b64 s[2:3], s[64:65], 1
	s_mul_i32 s64, s42, s62
	s_add_u32 s61, s7, s2
	s_addc_u32 s62, s8, s3
	s_lshl_b64 s[2:3], s[64:65], 1
	s_mul_i32 s64, s6, s49
	v_or_b32_e32 v24, 0x60, v20
	v_and_b32_e32 v14, 0x60, v0
	s_add_u32 s7, s20, s2
	s_addc_u32 s6, s21, s3
	s_lshl_b64 s[2:3], s[64:65], 1
	s_waitcnt lgkmcnt(0)
	s_mul_i32 s64, s14, s4
	s_add_u32 s49, s7, s2
	s_addc_u32 s74, s6, s3
	s_lshl_b64 s[2:3], s[64:65], 2
	v_or_b32_e32 v26, 0xa0, v20
	v_or_b32_e32 v28, 0xe0, v20
	v_or_b32_e32 v30, 0x120, v20
	v_or_b32_e32 v32, 0x160, v20
	v_or_b32_e32 v34, 0x1a0, v20
	v_lshrrev_b32_e32 v2, 5, v24
	v_or_b32_e32 v36, 0x1e0, v20
	v_or_b32_e32 v16, v19, v14
	s_mul_i32 s64, s5, s34
	s_add_u32 s4, s36, s2
	s_addc_u32 s5, s37, s3
	s_lshl_b64 s[2:3], s[64:65], 2
	v_or_b32_e32 v23, 64, v20
	s_add_u32 s76, s4, s2
	v_or_b32_e32 v25, 0x80, v20
	v_or_b32_e32 v27, 0xc0, v20
	v_or_b32_e32 v29, 0x100, v20
	v_or_b32_e32 v31, 0x140, v20
	v_or_b32_e32 v33, 0x180, v20
	v_or_b32_e32 v35, 0x1c0, v20
	v_and_b32_e32 v2, 50, v2
	v_lshrrev_b32_e32 v5, 5, v26
	v_lshrrev_b32_e32 v8, 5, v28
	;; [unrolled: 1-line block ×6, first 2 shown]
	v_lshrrev_b16 v50, 1, v16
	s_addc_u32 s77, s5, s3
	s_add_i32 s2, s69, 0x7ff
	v_lshrrev_b32_e32 v3, 5, v1
	s_lshr_b32 s79, s2, 11
	s_bitcmp1_b32 s0, 0
	v_lshrrev_b32_e32 v4, 5, v23
	v_lshrrev_b32_e32 v6, 5, v25
	v_add_lshl_u32 v2, v2, v20, 1
	v_and_b32_e32 v5, 52, v5
	v_lshrrev_b32_e32 v7, 5, v27
	v_and_b32_e32 v8, 54, v8
	v_lshrrev_b32_e32 v10, 5, v29
	;; [unrolled: 2-line block ×5, first 2 shown]
	v_and_b32_e32 v51, 62, v49
	v_lshlrev_b32_e32 v16, 4, v16
	v_and_b32_e32 v52, 62, v50
	s_cselect_b32 s80, -1, 0
	s_cmp_gt_i32 s78, 0
	v_add_lshl_u32 v3, v3, v20, 1
	s_cselect_b32 s81, -1, 0
	s_add_i32 s0, 0, 0x1080
	v_add_lshl_u32 v4, v4, v20, 1
	v_add_lshl_u32 v6, v6, v20, 1
	v_add_nc_u32_e32 v39, 0, v2
	v_add_lshl_u32 v5, v5, v20, 1
	v_add_lshl_u32 v7, v7, v20, 1
	v_add_lshl_u32 v8, v8, v20, 1
	v_add_lshl_u32 v10, v10, v20, 1
	v_add_lshl_u32 v9, v9, v20, 1
	v_add_lshl_u32 v12, v12, v20, 1
	v_add_lshl_u32 v11, v11, v20, 1
	v_add_lshl_u32 v13, v13, v20, 1
	v_add_lshl_u32 v15, v15, v20, 1
	v_add_lshl_u32 v17, v17, v20, 1
	v_add_lshl_u32 v67, v51, v20, 1
	v_add_lshl_u32 v16, v52, v16, 1
	v_add_nc_u32_e32 v55, s0, v2
	v_and_b32_e32 v2, 15, v19
	s_and_b32 s1, s69, 0x7ff
	v_add_nc_u32_e32 v51, 0, v67
	v_add_nc_u32_e32 v53, s0, v3
	;; [unrolled: 1-line block ×15, first 2 shown]
	s_cmp_eq_u32 s1, 0
	v_add_nc_u32_e32 v68, s0, v16
	v_cmp_ne_u32_e64 s0, 0, v2
	v_cmp_lt_u32_e64 s1, 1, v2
	v_cmp_lt_u32_e64 s2, 3, v2
	;; [unrolled: 1-line block ×3, first 2 shown]
	v_add_nc_u32_e32 v2, -1, v19
	v_add_nc_u32_e32 v37, 0, v3
	v_lshrrev_b32_e32 v3, 2, v0
	s_mul_i32 s64, s42, s16
	v_add_nc_u32_e32 v41, 0, v5
	v_or_b32_e32 v5, 31, v14
	v_cmp_gt_i32_e32 vcc_lo, 0, v2
	s_cselect_b32 s82, -1, 0
	s_lshl_b64 s[12:13], s[64:65], 1
	v_and_b32_e32 v3, 24, v3
	s_add_i32 s83, s79, -1
	v_cndmask_b32_e32 v2, v2, v19, vcc_lo
	s_mul_i32 s64, s17, s34
	s_add_u32 s16, s30, s12
	s_addc_u32 s13, s31, s13
	s_lshl_b64 s[14:15], s[64:65], 1
	v_cmp_eq_u32_e64 s5, v5, v0
	v_cmp_gt_u32_e64 s6, 4, v0
	v_lshl_add_u32 v70, v0, 3, 0
	v_cmp_gt_u32_e64 s9, 32, v0
	v_cmp_lt_u32_e64 s10, 31, v0
	v_cmp_eq_u32_e64 s11, 0, v0
	s_mul_i32 s64, s42, s54
	v_lshlrev_b32_e32 v0, 1, v19
	s_add_u32 s16, s16, s14
	v_add_nc_u32_e32 v38, 0, v4
	v_and_b32_e32 v4, 16, v19
	v_add_nc_u32_e32 v69, 0, v3
	v_and_b32_e32 v3, 3, v19
	s_addc_u32 s13, s13, s15
	s_lshl_b64 s[14:15], s[64:65], 1
	s_mul_i32 s64, s55, s34
	s_add_u32 s17, s38, s14
	v_lshlrev_b32_e32 v71, 2, v2
	s_addc_u32 s20, s39, s15
	s_lshl_b64 s[14:15], s[64:65], 1
	v_add_co_u32 v2, s16, s16, v0
	s_mul_i32 s64, s42, s18
	v_cmp_ne_u32_e64 s4, 0, v4
	v_cmp_ne_u32_e64 s7, 0, v3
	v_cmp_lt_u32_e64 s8, 1, v3
	v_add_co_ci_u32_e64 v3, null, s13, 0, s16
	s_add_u32 s13, s17, s14
	v_lshlrev_b32_e32 v4, 1, v1
	s_addc_u32 s16, s20, s15
	s_lshl_b64 s[14:15], s[64:65], 1
	s_mul_i32 s64, s19, s34
	s_add_u32 s17, s40, s14
	s_addc_u32 s18, s41, s15
	s_lshl_b64 s[14:15], s[64:65], 1
	v_add_co_u32 v72, vcc_lo, v2, v4
	v_add_co_u32 v2, s13, s13, v0
	s_add_u32 s14, s17, s14
	v_add_co_ci_u32_e32 v73, vcc_lo, 0, v3, vcc_lo
	v_add_co_ci_u32_e64 v3, null, s16, 0, s13
	s_addc_u32 s15, s18, s15
	v_add_co_u32 v0, s13, s14, v0
	s_delay_alu instid0(VALU_DEP_1) | instskip(SKIP_2) | instid1(VALU_DEP_4)
	v_add_co_ci_u32_e64 v5, null, s15, 0, s13
	v_add_co_u32 v74, vcc_lo, v2, v4
	v_add_co_ci_u32_e32 v75, vcc_lo, 0, v3, vcc_lo
	v_add_co_u32 v76, vcc_lo, v0, v4
	v_or_b32_e32 v22, 32, v20
	v_add_nc_u32_e32 v40, 0, v6
	v_add_nc_u32_e32 v42, 0, v7
	;; [unrolled: 1-line block ×11, first 2 shown]
	v_cmp_eq_u32_e64 s12, 0, v19
	v_add_co_ci_u32_e32 v77, vcc_lo, 0, v5, vcc_lo
	v_or_b32_e32 v78, 1, v18
	v_or_b32_e32 v79, 2, v18
	;; [unrolled: 1-line block ×15, first 2 shown]
	v_lshlrev_b32_e32 v93, 1, v1
	s_mov_b32 s84, 0x3e9b6dac
	s_add_i32 s85, 0, 0x2120
	s_mov_b32 s86, 0xbfb8aa3b
	s_mov_b32 s87, 0xb2a5705f
	;; [unrolled: 1-line block ×3, first 2 shown]
	s_branch .LBB120_12
.LBB120_11:                             ;   in Loop: Header=BB120_12 Depth=1
	s_or_b32 exec_lo, exec_lo, s13
	s_add_u32 s71, s71, 0x1000
	s_addc_u32 s56, s56, 0
	s_add_u32 s63, s63, 0x1000
	s_addc_u32 s70, s70, 0
	;; [unrolled: 2-line block ×4, first 2 shown]
	s_add_i32 s88, s88, 1
	s_delay_alu instid0(SALU_CYCLE_1)
	s_cmp_lg_u32 s88, s79
	s_cbranch_scc0 .LBB120_302
.LBB120_12:                             ; =>This Loop Header: Depth=1
                                        ;     Child Loop BB120_109 Depth 2
	s_waitcnt lgkmcnt(14)
	v_lshlrev_b32_e32 v16, 1, v19
	s_lshl_b32 s50, s88, 11
	s_waitcnt lgkmcnt(0)
	v_mov_b32_e32 v2, 0
	s_sub_i32 s41, s69, s50
	v_add_co_u32 v0, s13, s63, v16
	s_delay_alu instid0(VALU_DEP_1) | instskip(SKIP_1) | instid1(VALU_DEP_3)
	v_add_co_ci_u32_e64 v1, null, s70, 0, s13
	v_cmp_gt_u32_e64 s13, s41, v20
	v_add_co_u32 v0, vcc_lo, v0, v93
	s_delay_alu instid0(VALU_DEP_3)
	v_add_co_ci_u32_e32 v1, vcc_lo, 0, v1, vcc_lo
	s_waitcnt_vscnt null, 0x0
	s_barrier
	buffer_gl0_inv
	s_and_saveexec_b32 s14, s13
	s_cbranch_execz .LBB120_14
; %bb.13:                               ;   in Loop: Header=BB120_12 Depth=1
	global_load_u16 v2, v[0:1], off
.LBB120_14:                             ;   in Loop: Header=BB120_12 Depth=1
	s_or_b32 exec_lo, exec_lo, s14
	v_cmp_gt_u32_e64 s14, s41, v22
	v_dual_mov_b32 v3, 0 :: v_dual_mov_b32 v4, 0
	s_delay_alu instid0(VALU_DEP_2)
	s_and_saveexec_b32 s15, s14
	s_cbranch_execz .LBB120_16
; %bb.15:                               ;   in Loop: Header=BB120_12 Depth=1
	global_load_u16 v4, v[0:1], off offset:64
.LBB120_16:                             ;   in Loop: Header=BB120_12 Depth=1
	s_or_b32 exec_lo, exec_lo, s15
	v_cmp_gt_u32_e64 s15, s41, v23
	s_delay_alu instid0(VALU_DEP_1)
	s_and_saveexec_b32 s16, s15
	s_cbranch_execz .LBB120_18
; %bb.17:                               ;   in Loop: Header=BB120_12 Depth=1
	global_load_u16 v3, v[0:1], off offset:128
.LBB120_18:                             ;   in Loop: Header=BB120_12 Depth=1
	s_or_b32 exec_lo, exec_lo, s16
	v_cmp_gt_u32_e64 s16, s41, v24
	v_dual_mov_b32 v5, 0 :: v_dual_mov_b32 v6, 0
	s_delay_alu instid0(VALU_DEP_2)
	s_and_saveexec_b32 s17, s16
	s_cbranch_execz .LBB120_20
; %bb.19:                               ;   in Loop: Header=BB120_12 Depth=1
	global_load_u16 v6, v[0:1], off offset:192
.LBB120_20:                             ;   in Loop: Header=BB120_12 Depth=1
	s_or_b32 exec_lo, exec_lo, s17
	v_cmp_gt_u32_e64 s17, s41, v25
	s_delay_alu instid0(VALU_DEP_1)
	s_and_saveexec_b32 s18, s17
	s_cbranch_execz .LBB120_22
; %bb.21:                               ;   in Loop: Header=BB120_12 Depth=1
	global_load_u16 v5, v[0:1], off offset:256
.LBB120_22:                             ;   in Loop: Header=BB120_12 Depth=1
	;; [unrolled: 17-line block ×3, first 2 shown]
	s_or_b32 exec_lo, exec_lo, s20
	v_cmp_gt_u32_e64 s20, s41, v28
	v_mov_b32_e32 v9, 0
	v_mov_b32_e32 v11, 0
	s_delay_alu instid0(VALU_DEP_3)
	s_and_saveexec_b32 s21, s20
	s_cbranch_execz .LBB120_28
; %bb.27:                               ;   in Loop: Header=BB120_12 Depth=1
	global_load_u16 v11, v[0:1], off offset:448
.LBB120_28:                             ;   in Loop: Header=BB120_12 Depth=1
	s_or_b32 exec_lo, exec_lo, s21
	v_cmp_gt_u32_e64 s21, s41, v29
	s_delay_alu instid0(VALU_DEP_1)
	s_and_saveexec_b32 s22, s21
	s_cbranch_execz .LBB120_30
; %bb.29:                               ;   in Loop: Header=BB120_12 Depth=1
	global_load_u16 v9, v[0:1], off offset:512
.LBB120_30:                             ;   in Loop: Header=BB120_12 Depth=1
	s_or_b32 exec_lo, exec_lo, s22
	v_cmp_gt_u32_e64 s22, s41, v30
	v_dual_mov_b32 v12, 0 :: v_dual_mov_b32 v13, 0
	s_delay_alu instid0(VALU_DEP_2)
	s_and_saveexec_b32 s23, s22
	s_cbranch_execz .LBB120_32
; %bb.31:                               ;   in Loop: Header=BB120_12 Depth=1
	global_load_u16 v13, v[0:1], off offset:576
.LBB120_32:                             ;   in Loop: Header=BB120_12 Depth=1
	s_or_b32 exec_lo, exec_lo, s23
	v_cmp_gt_u32_e64 s23, s41, v31
	s_delay_alu instid0(VALU_DEP_1)
	s_and_saveexec_b32 s24, s23
	s_cbranch_execz .LBB120_34
; %bb.33:                               ;   in Loop: Header=BB120_12 Depth=1
	global_load_u16 v12, v[0:1], off offset:640
.LBB120_34:                             ;   in Loop: Header=BB120_12 Depth=1
	s_or_b32 exec_lo, exec_lo, s24
	v_cmp_gt_u32_e64 s24, s41, v32
	v_dual_mov_b32 v14, 0 :: v_dual_mov_b32 v15, 0
	s_delay_alu instid0(VALU_DEP_2)
	;; [unrolled: 17-line block ×4, first 2 shown]
	s_and_saveexec_b32 s29, s28
	s_cbranch_execz .LBB120_44
; %bb.43:                               ;   in Loop: Header=BB120_12 Depth=1
	global_load_u16 v95, v[0:1], off offset:960
.LBB120_44:                             ;   in Loop: Header=BB120_12 Depth=1
	s_or_b32 exec_lo, exec_lo, s29
	s_waitcnt vmcnt(0)
	ds_store_b16 v37, v2
	ds_store_b16 v37, v4 offset:64
	ds_store_b16 v38, v3 offset:128
	;; [unrolled: 1-line block ×15, first 2 shown]
	; wave barrier
	ds_load_b128 v[0:3], v52
	ds_load_b128 v[4:7], v52 offset:16
	v_add_co_u32 v8, s29, s71, v16
	s_delay_alu instid0(VALU_DEP_1) | instskip(SKIP_1) | instid1(VALU_DEP_2)
	v_add_co_ci_u32_e64 v9, null, s56, 0, s29
	s_waitcnt lgkmcnt(0)
	v_add_co_u32 v8, vcc_lo, v8, v93
	s_delay_alu instid0(VALU_DEP_2)
	v_add_co_ci_u32_e32 v9, vcc_lo, 0, v9, vcc_lo
	s_barrier
	buffer_gl0_inv
	s_and_saveexec_b32 s29, s13
	s_cbranch_execz .LBB120_46
; %bb.45:                               ;   in Loop: Header=BB120_12 Depth=1
	global_load_u16 v10, v[8:9], off
.LBB120_46:                             ;   in Loop: Header=BB120_12 Depth=1
	s_or_b32 exec_lo, exec_lo, s29
	v_dual_mov_b32 v11, 0 :: v_dual_mov_b32 v12, 0
	s_and_saveexec_b32 s29, s14
	s_cbranch_execz .LBB120_48
; %bb.47:                               ;   in Loop: Header=BB120_12 Depth=1
	global_load_u16 v12, v[8:9], off offset:64
.LBB120_48:                             ;   in Loop: Header=BB120_12 Depth=1
	s_or_b32 exec_lo, exec_lo, s29
	s_and_saveexec_b32 s29, s15
	s_cbranch_execz .LBB120_50
; %bb.49:                               ;   in Loop: Header=BB120_12 Depth=1
	global_load_u16 v11, v[8:9], off offset:128
.LBB120_50:                             ;   in Loop: Header=BB120_12 Depth=1
	s_or_b32 exec_lo, exec_lo, s29
	v_dual_mov_b32 v13, 0 :: v_dual_mov_b32 v14, 0
	s_and_saveexec_b32 s29, s16
	s_cbranch_execz .LBB120_52
; %bb.51:                               ;   in Loop: Header=BB120_12 Depth=1
	global_load_u16 v14, v[8:9], off offset:192
.LBB120_52:                             ;   in Loop: Header=BB120_12 Depth=1
	s_or_b32 exec_lo, exec_lo, s29
	s_and_saveexec_b32 s29, s17
	s_cbranch_execz .LBB120_54
; %bb.53:                               ;   in Loop: Header=BB120_12 Depth=1
	global_load_u16 v13, v[8:9], off offset:256
.LBB120_54:                             ;   in Loop: Header=BB120_12 Depth=1
	s_or_b32 exec_lo, exec_lo, s29
	v_mov_b32_e32 v15, 0
	v_mov_b32_e32 v17, 0
	s_and_saveexec_b32 s29, s18
	s_cbranch_execz .LBB120_56
; %bb.55:                               ;   in Loop: Header=BB120_12 Depth=1
	global_load_u16 v17, v[8:9], off offset:320
.LBB120_56:                             ;   in Loop: Header=BB120_12 Depth=1
	s_or_b32 exec_lo, exec_lo, s29
	s_and_saveexec_b32 s29, s19
	s_cbranch_execz .LBB120_58
; %bb.57:                               ;   in Loop: Header=BB120_12 Depth=1
	global_load_u16 v15, v[8:9], off offset:384
.LBB120_58:                             ;   in Loop: Header=BB120_12 Depth=1
	s_or_b32 exec_lo, exec_lo, s29
	v_dual_mov_b32 v94, 0 :: v_dual_mov_b32 v95, 0
	s_and_saveexec_b32 s29, s20
	s_cbranch_execz .LBB120_60
; %bb.59:                               ;   in Loop: Header=BB120_12 Depth=1
	global_load_u16 v95, v[8:9], off offset:448
.LBB120_60:                             ;   in Loop: Header=BB120_12 Depth=1
	s_or_b32 exec_lo, exec_lo, s29
	s_and_saveexec_b32 s29, s21
	s_cbranch_execz .LBB120_62
; %bb.61:                               ;   in Loop: Header=BB120_12 Depth=1
	global_load_u16 v94, v[8:9], off offset:512
.LBB120_62:                             ;   in Loop: Header=BB120_12 Depth=1
	s_or_b32 exec_lo, exec_lo, s29
	v_dual_mov_b32 v96, 0 :: v_dual_mov_b32 v97, 0
	;; [unrolled: 13-line block ×4, first 2 shown]
	s_and_saveexec_b32 s29, s26
	s_cbranch_execnz .LBB120_269
; %bb.71:                               ;   in Loop: Header=BB120_12 Depth=1
	s_or_b32 exec_lo, exec_lo, s29
	s_and_saveexec_b32 s29, s27
	s_cbranch_execnz .LBB120_270
.LBB120_72:                             ;   in Loop: Header=BB120_12 Depth=1
	s_or_b32 exec_lo, exec_lo, s29
	v_mov_b32_e32 v102, 0
	s_and_saveexec_b32 s29, s28
	s_cbranch_execz .LBB120_74
.LBB120_73:                             ;   in Loop: Header=BB120_12 Depth=1
	global_load_u16 v102, v[8:9], off offset:960
.LBB120_74:                             ;   in Loop: Header=BB120_12 Depth=1
	s_or_b32 exec_lo, exec_lo, s29
	s_waitcnt vmcnt(0)
	ds_store_b16 v37, v10
	ds_store_b16 v37, v12 offset:64
	ds_store_b16 v38, v11 offset:128
	;; [unrolled: 1-line block ×15, first 2 shown]
	; wave barrier
	ds_load_b128 v[12:15], v52
	ds_load_b128 v[8:11], v52 offset:16
	s_waitcnt lgkmcnt(1)
	v_cvt_f32_f16_e32 v17, v12
	s_delay_alu instid0(VALU_DEP_1) | instskip(NEXT) | instid1(VALU_DEP_1)
	v_add_f32_e32 v94, s67, v17
	v_cmp_ge_f32_e32 vcc_lo, 0x41a00000, v94
	s_and_b32 s29, s80, vcc_lo
	s_delay_alu instid0(SALU_CYCLE_1)
	s_and_saveexec_b32 s30, s29
	s_cbranch_execz .LBB120_76
; %bb.75:                               ;   in Loop: Header=BB120_12 Depth=1
	v_mul_f32_e32 v17, 0x3fb8aa3b, v94
	v_cmp_ngt_f32_e32 vcc_lo, 0xc2ce8ed0, v94
	s_delay_alu instid0(VALU_DEP_2) | instskip(SKIP_1) | instid1(VALU_DEP_1)
	v_rndne_f32_e32 v95, v17
	v_fma_f32 v96, 0x3fb8aa3b, v94, -v17
	v_dual_sub_f32 v17, v17, v95 :: v_dual_fmac_f32 v96, 0x32a5705f, v94
	v_cvt_i32_f32_e32 v95, v95
	s_delay_alu instid0(VALU_DEP_2) | instskip(NEXT) | instid1(VALU_DEP_1)
	v_add_f32_e32 v17, v17, v96
	v_exp_f32_e32 v17, v17
	s_waitcnt_depctr 0xfff
	v_ldexp_f32 v17, v17, v95
	s_delay_alu instid0(VALU_DEP_1) | instskip(SKIP_1) | instid1(VALU_DEP_2)
	v_cndmask_b32_e32 v17, 0, v17, vcc_lo
	v_cmp_nlt_f32_e32 vcc_lo, 0x42b17218, v94
	v_cndmask_b32_e32 v17, 0x7f800000, v17, vcc_lo
	s_delay_alu instid0(VALU_DEP_1) | instskip(NEXT) | instid1(VALU_DEP_1)
	v_add_f32_e32 v96, 1.0, v17
	v_cvt_f64_f32_e32 v[94:95], v96
	s_delay_alu instid0(VALU_DEP_1) | instskip(SKIP_1) | instid1(VALU_DEP_1)
	v_frexp_exp_i32_f64_e32 v94, v[94:95]
	v_frexp_mant_f32_e32 v95, v96
	v_cmp_gt_f32_e32 vcc_lo, 0x3f2aaaab, v95
	v_add_f32_e32 v95, -1.0, v96
	s_delay_alu instid0(VALU_DEP_1) | instskip(NEXT) | instid1(VALU_DEP_1)
	v_dual_sub_f32 v98, v95, v96 :: v_dual_sub_f32 v95, v17, v95
	v_add_f32_e32 v98, 1.0, v98
	v_subrev_co_ci_u32_e32 v94, vcc_lo, 0, v94, vcc_lo
	s_delay_alu instid0(VALU_DEP_1) | instskip(SKIP_1) | instid1(VALU_DEP_2)
	v_sub_nc_u32_e32 v97, 0, v94
	v_cvt_f32_i32_e32 v94, v94
	v_ldexp_f32 v96, v96, v97
	v_add_f32_e32 v95, v95, v98
	s_delay_alu instid0(VALU_DEP_1) | instskip(NEXT) | instid1(VALU_DEP_3)
	v_ldexp_f32 v95, v95, v97
	v_add_f32_e32 v99, 1.0, v96
	s_delay_alu instid0(VALU_DEP_1) | instskip(NEXT) | instid1(VALU_DEP_1)
	v_add_f32_e32 v98, -1.0, v99
	v_sub_f32_e32 v98, v96, v98
	v_cmp_eq_f32_e32 vcc_lo, 0x7f800000, v17
	v_cmp_gt_f32_e64 s29, 0x33800000, v17
	s_delay_alu instid0(VALU_DEP_3) | instskip(NEXT) | instid1(VALU_DEP_2)
	v_dual_add_f32 v98, v95, v98 :: v_dual_add_f32 v97, -1.0, v96
	s_or_b32 vcc_lo, s29, vcc_lo
	s_delay_alu instid0(VALU_DEP_1) | instskip(NEXT) | instid1(VALU_DEP_1)
	v_add_f32_e32 v100, 1.0, v97
	v_sub_f32_e32 v96, v96, v100
	s_delay_alu instid0(VALU_DEP_3) | instskip(NEXT) | instid1(VALU_DEP_1)
	v_add_f32_e32 v100, v99, v98
	v_sub_f32_e32 v99, v99, v100
	s_delay_alu instid0(VALU_DEP_3) | instskip(SKIP_1) | instid1(VALU_DEP_2)
	v_add_f32_e32 v95, v95, v96
	v_rcp_f32_e32 v96, v100
	v_add_f32_e32 v98, v98, v99
	s_delay_alu instid0(VALU_DEP_2) | instskip(NEXT) | instid1(VALU_DEP_1)
	v_add_f32_e32 v101, v97, v95
	v_sub_f32_e32 v97, v97, v101
	s_waitcnt_depctr 0xfff
	v_dual_mul_f32 v102, v101, v96 :: v_dual_add_f32 v95, v95, v97
	s_delay_alu instid0(VALU_DEP_1) | instskip(NEXT) | instid1(VALU_DEP_1)
	v_mul_f32_e32 v103, v100, v102
	v_fma_f32 v99, v102, v100, -v103
	s_delay_alu instid0(VALU_DEP_1) | instskip(NEXT) | instid1(VALU_DEP_1)
	v_fmac_f32_e32 v99, v102, v98
	v_add_f32_e32 v104, v103, v99
	s_delay_alu instid0(VALU_DEP_1) | instskip(NEXT) | instid1(VALU_DEP_1)
	v_sub_f32_e32 v105, v101, v104
	v_sub_f32_e32 v101, v101, v105
	;; [unrolled: 1-line block ×3, first 2 shown]
	s_delay_alu instid0(VALU_DEP_2) | instskip(NEXT) | instid1(VALU_DEP_2)
	v_sub_f32_e32 v101, v101, v104
	v_sub_f32_e32 v97, v97, v99
	s_delay_alu instid0(VALU_DEP_2) | instskip(NEXT) | instid1(VALU_DEP_1)
	v_add_f32_e32 v95, v95, v101
	v_add_f32_e32 v95, v97, v95
	s_delay_alu instid0(VALU_DEP_1) | instskip(NEXT) | instid1(VALU_DEP_1)
	v_add_f32_e32 v97, v105, v95
	v_mul_f32_e32 v99, v96, v97
	s_delay_alu instid0(VALU_DEP_1) | instskip(NEXT) | instid1(VALU_DEP_1)
	v_dual_sub_f32 v104, v105, v97 :: v_dual_mul_f32 v101, v100, v99
	v_add_f32_e32 v95, v95, v104
	s_delay_alu instid0(VALU_DEP_2) | instskip(NEXT) | instid1(VALU_DEP_1)
	v_fma_f32 v100, v99, v100, -v101
	v_fmac_f32_e32 v100, v99, v98
	s_delay_alu instid0(VALU_DEP_1) | instskip(NEXT) | instid1(VALU_DEP_1)
	v_add_f32_e32 v98, v101, v100
	v_sub_f32_e32 v103, v97, v98
	v_sub_f32_e32 v101, v98, v101
	s_delay_alu instid0(VALU_DEP_2) | instskip(NEXT) | instid1(VALU_DEP_1)
	v_sub_f32_e32 v97, v97, v103
	v_sub_f32_e32 v97, v97, v98
	s_delay_alu instid0(VALU_DEP_1) | instskip(SKIP_1) | instid1(VALU_DEP_1)
	v_dual_sub_f32 v98, v101, v100 :: v_dual_add_f32 v95, v95, v97
	v_add_f32_e32 v97, v102, v99
	v_dual_add_f32 v95, v98, v95 :: v_dual_sub_f32 v98, v97, v102
	s_delay_alu instid0(VALU_DEP_1) | instskip(NEXT) | instid1(VALU_DEP_1)
	v_add_f32_e32 v95, v103, v95
	v_dual_sub_f32 v98, v99, v98 :: v_dual_mul_f32 v95, v96, v95
	s_delay_alu instid0(VALU_DEP_1) | instskip(NEXT) | instid1(VALU_DEP_1)
	v_add_f32_e32 v95, v98, v95
	v_add_f32_e32 v96, v97, v95
	s_delay_alu instid0(VALU_DEP_1) | instskip(NEXT) | instid1(VALU_DEP_1)
	v_mul_f32_e32 v98, v96, v96
	v_fmaak_f32 v99, s84, v98, 0x3ecc95a3
	v_mul_f32_e32 v100, v96, v98
	s_delay_alu instid0(VALU_DEP_2) | instskip(SKIP_2) | instid1(VALU_DEP_3)
	v_fmaak_f32 v98, v98, v99, 0x3f2aaada
	v_ldexp_f32 v99, v96, 1
	v_sub_f32_e32 v96, v96, v97
	v_mul_f32_e32 v98, v100, v98
	s_delay_alu instid0(VALU_DEP_2) | instskip(NEXT) | instid1(VALU_DEP_2)
	v_dual_mul_f32 v100, 0x3f317218, v94 :: v_dual_sub_f32 v95, v95, v96
	v_add_f32_e32 v97, v99, v98
	s_delay_alu instid0(VALU_DEP_2) | instskip(NEXT) | instid1(VALU_DEP_2)
	v_ldexp_f32 v95, v95, 1
	v_sub_f32_e32 v96, v97, v99
	s_delay_alu instid0(VALU_DEP_4) | instskip(NEXT) | instid1(VALU_DEP_1)
	v_fma_f32 v99, 0x3f317218, v94, -v100
	v_dual_sub_f32 v96, v98, v96 :: v_dual_fmac_f32 v99, 0xb102e308, v94
	s_delay_alu instid0(VALU_DEP_1) | instskip(NEXT) | instid1(VALU_DEP_1)
	v_dual_add_f32 v94, v95, v96 :: v_dual_add_f32 v95, v100, v99
	v_add_f32_e32 v96, v97, v94
	s_delay_alu instid0(VALU_DEP_2) | instskip(NEXT) | instid1(VALU_DEP_2)
	v_sub_f32_e32 v100, v95, v100
	v_dual_add_f32 v98, v95, v96 :: v_dual_sub_f32 v97, v96, v97
	s_delay_alu instid0(VALU_DEP_2) | instskip(NEXT) | instid1(VALU_DEP_2)
	v_sub_f32_e32 v99, v99, v100
	v_sub_f32_e32 v101, v98, v95
	s_delay_alu instid0(VALU_DEP_3) | instskip(NEXT) | instid1(VALU_DEP_2)
	v_sub_f32_e32 v94, v94, v97
	v_sub_f32_e32 v102, v98, v101
	s_delay_alu instid0(VALU_DEP_2) | instskip(NEXT) | instid1(VALU_DEP_2)
	v_dual_sub_f32 v96, v96, v101 :: v_dual_add_f32 v97, v99, v94
	v_sub_f32_e32 v95, v95, v102
	s_delay_alu instid0(VALU_DEP_1) | instskip(NEXT) | instid1(VALU_DEP_3)
	v_add_f32_e32 v95, v96, v95
	v_sub_f32_e32 v96, v97, v99
	s_delay_alu instid0(VALU_DEP_2) | instskip(NEXT) | instid1(VALU_DEP_2)
	v_add_f32_e32 v95, v97, v95
	v_sub_f32_e32 v97, v97, v96
	v_sub_f32_e32 v94, v94, v96
	s_delay_alu instid0(VALU_DEP_2) | instskip(NEXT) | instid1(VALU_DEP_1)
	v_dual_add_f32 v100, v98, v95 :: v_dual_sub_f32 v97, v99, v97
	v_sub_f32_e32 v96, v100, v98
	s_delay_alu instid0(VALU_DEP_1) | instskip(NEXT) | instid1(VALU_DEP_1)
	v_dual_add_f32 v94, v94, v97 :: v_dual_sub_f32 v95, v95, v96
	v_add_f32_e32 v94, v94, v95
	s_delay_alu instid0(VALU_DEP_1) | instskip(NEXT) | instid1(VALU_DEP_1)
	v_add_f32_e32 v94, v100, v94
	v_cndmask_b32_e32 v94, v94, v17, vcc_lo
.LBB120_76:                             ;   in Loop: Header=BB120_12 Depth=1
	s_or_b32 exec_lo, exec_lo, s30
	v_lshrrev_b32_e32 v12, 16, v12
	s_delay_alu instid0(VALU_DEP_1) | instskip(NEXT) | instid1(VALU_DEP_1)
	v_cvt_f32_f16_e32 v12, v12
	v_add_f32_e32 v95, s67, v12
	s_delay_alu instid0(VALU_DEP_1) | instskip(SKIP_1) | instid1(SALU_CYCLE_1)
	v_cmp_ge_f32_e32 vcc_lo, 0x41a00000, v95
	s_and_b32 s29, s80, vcc_lo
	s_and_saveexec_b32 s30, s29
	s_cbranch_execz .LBB120_78
; %bb.77:                               ;   in Loop: Header=BB120_12 Depth=1
	v_mul_f32_e32 v12, 0x3fb8aa3b, v95
	v_cmp_ngt_f32_e32 vcc_lo, 0xc2ce8ed0, v95
	s_delay_alu instid0(VALU_DEP_2) | instskip(SKIP_1) | instid1(VALU_DEP_2)
	v_rndne_f32_e32 v17, v12
	v_fma_f32 v96, 0x3fb8aa3b, v95, -v12
	v_sub_f32_e32 v12, v12, v17
	s_delay_alu instid0(VALU_DEP_2) | instskip(SKIP_1) | instid1(VALU_DEP_2)
	v_fmac_f32_e32 v96, 0x32a5705f, v95
	v_cvt_i32_f32_e32 v17, v17
	v_add_f32_e32 v12, v12, v96
	s_delay_alu instid0(VALU_DEP_1) | instskip(SKIP_2) | instid1(VALU_DEP_1)
	v_exp_f32_e32 v12, v12
	s_waitcnt_depctr 0xfff
	v_ldexp_f32 v12, v12, v17
	v_cndmask_b32_e32 v12, 0, v12, vcc_lo
	v_cmp_nlt_f32_e32 vcc_lo, 0x42b17218, v95
	s_delay_alu instid0(VALU_DEP_2) | instskip(NEXT) | instid1(VALU_DEP_1)
	v_cndmask_b32_e32 v12, 0x7f800000, v12, vcc_lo
	v_add_f32_e32 v17, 1.0, v12
	s_delay_alu instid0(VALU_DEP_1) | instskip(NEXT) | instid1(VALU_DEP_1)
	v_cvt_f64_f32_e32 v[95:96], v17
	v_frexp_exp_i32_f64_e32 v95, v[95:96]
	v_frexp_mant_f32_e32 v96, v17
	s_delay_alu instid0(VALU_DEP_1) | instskip(SKIP_1) | instid1(VALU_DEP_1)
	v_cmp_gt_f32_e32 vcc_lo, 0x3f2aaaab, v96
	v_add_f32_e32 v96, -1.0, v17
	v_sub_f32_e32 v98, v96, v17
	v_sub_f32_e32 v96, v12, v96
	s_delay_alu instid0(VALU_DEP_2) | instskip(NEXT) | instid1(VALU_DEP_1)
	v_add_f32_e32 v98, 1.0, v98
	v_add_f32_e32 v96, v96, v98
	v_subrev_co_ci_u32_e32 v95, vcc_lo, 0, v95, vcc_lo
	s_delay_alu instid0(VALU_DEP_1) | instskip(SKIP_1) | instid1(VALU_DEP_2)
	v_sub_nc_u32_e32 v97, 0, v95
	v_cvt_f32_i32_e32 v95, v95
	v_ldexp_f32 v17, v17, v97
	v_ldexp_f32 v96, v96, v97
	s_delay_alu instid0(VALU_DEP_2) | instskip(NEXT) | instid1(VALU_DEP_1)
	v_add_f32_e32 v99, 1.0, v17
	v_dual_add_f32 v97, -1.0, v17 :: v_dual_add_f32 v98, -1.0, v99
	s_delay_alu instid0(VALU_DEP_1) | instskip(NEXT) | instid1(VALU_DEP_2)
	v_add_f32_e32 v100, 1.0, v97
	v_sub_f32_e32 v98, v17, v98
	s_delay_alu instid0(VALU_DEP_2) | instskip(NEXT) | instid1(VALU_DEP_1)
	v_sub_f32_e32 v17, v17, v100
	v_add_f32_e32 v17, v96, v17
	s_delay_alu instid0(VALU_DEP_1) | instskip(SKIP_2) | instid1(VALU_DEP_3)
	v_add_f32_e32 v101, v97, v17
	v_cmp_eq_f32_e32 vcc_lo, 0x7f800000, v12
	v_cmp_gt_f32_e64 s29, 0x33800000, v12
	v_dual_sub_f32 v97, v97, v101 :: v_dual_add_f32 v98, v96, v98
	s_delay_alu instid0(VALU_DEP_2) | instskip(NEXT) | instid1(VALU_DEP_1)
	s_or_b32 vcc_lo, s29, vcc_lo
	v_dual_add_f32 v17, v17, v97 :: v_dual_add_f32 v100, v99, v98
	s_delay_alu instid0(VALU_DEP_1) | instskip(SKIP_1) | instid1(VALU_DEP_1)
	v_rcp_f32_e32 v96, v100
	v_sub_f32_e32 v99, v99, v100
	v_add_f32_e32 v98, v98, v99
	s_waitcnt_depctr 0xfff
	v_mul_f32_e32 v102, v101, v96
	s_delay_alu instid0(VALU_DEP_1) | instskip(NEXT) | instid1(VALU_DEP_1)
	v_mul_f32_e32 v103, v100, v102
	v_fma_f32 v99, v102, v100, -v103
	s_delay_alu instid0(VALU_DEP_1) | instskip(NEXT) | instid1(VALU_DEP_1)
	v_fmac_f32_e32 v99, v102, v98
	v_add_f32_e32 v104, v103, v99
	s_delay_alu instid0(VALU_DEP_1) | instskip(SKIP_1) | instid1(VALU_DEP_2)
	v_sub_f32_e32 v105, v101, v104
	v_sub_f32_e32 v97, v104, v103
	;; [unrolled: 1-line block ×3, first 2 shown]
	s_delay_alu instid0(VALU_DEP_2) | instskip(NEXT) | instid1(VALU_DEP_2)
	v_sub_f32_e32 v97, v97, v99
	v_sub_f32_e32 v101, v101, v104
	s_delay_alu instid0(VALU_DEP_1) | instskip(NEXT) | instid1(VALU_DEP_1)
	v_add_f32_e32 v17, v17, v101
	v_add_f32_e32 v17, v97, v17
	s_delay_alu instid0(VALU_DEP_1) | instskip(NEXT) | instid1(VALU_DEP_1)
	v_add_f32_e32 v97, v105, v17
	v_mul_f32_e32 v99, v96, v97
	s_delay_alu instid0(VALU_DEP_1) | instskip(NEXT) | instid1(VALU_DEP_1)
	v_mul_f32_e32 v101, v100, v99
	v_fma_f32 v100, v99, v100, -v101
	s_delay_alu instid0(VALU_DEP_1) | instskip(SKIP_1) | instid1(VALU_DEP_2)
	v_fmac_f32_e32 v100, v99, v98
	v_sub_f32_e32 v104, v105, v97
	v_add_f32_e32 v98, v101, v100
	s_delay_alu instid0(VALU_DEP_2) | instskip(NEXT) | instid1(VALU_DEP_2)
	v_add_f32_e32 v17, v17, v104
	v_sub_f32_e32 v103, v97, v98
	s_delay_alu instid0(VALU_DEP_1) | instskip(NEXT) | instid1(VALU_DEP_1)
	v_sub_f32_e32 v97, v97, v103
	v_sub_f32_e32 v97, v97, v98
	s_delay_alu instid0(VALU_DEP_1) | instskip(SKIP_2) | instid1(VALU_DEP_1)
	v_add_f32_e32 v17, v17, v97
	v_add_f32_e32 v97, v102, v99
	v_sub_f32_e32 v101, v98, v101
	v_sub_f32_e32 v98, v101, v100
	s_delay_alu instid0(VALU_DEP_1) | instskip(NEXT) | instid1(VALU_DEP_1)
	v_dual_add_f32 v17, v98, v17 :: v_dual_sub_f32 v98, v97, v102
	v_add_f32_e32 v17, v103, v17
	s_delay_alu instid0(VALU_DEP_1) | instskip(NEXT) | instid1(VALU_DEP_1)
	v_dual_sub_f32 v98, v99, v98 :: v_dual_mul_f32 v17, v96, v17
	v_add_f32_e32 v17, v98, v17
	s_delay_alu instid0(VALU_DEP_1) | instskip(NEXT) | instid1(VALU_DEP_1)
	v_add_f32_e32 v96, v97, v17
	v_mul_f32_e32 v98, v96, v96
	s_delay_alu instid0(VALU_DEP_1) | instskip(SKIP_1) | instid1(VALU_DEP_2)
	v_fmaak_f32 v99, s84, v98, 0x3ecc95a3
	v_mul_f32_e32 v100, v96, v98
	v_fmaak_f32 v98, v98, v99, 0x3f2aaada
	v_ldexp_f32 v99, v96, 1
	s_delay_alu instid0(VALU_DEP_2) | instskip(SKIP_1) | instid1(VALU_DEP_2)
	v_mul_f32_e32 v98, v100, v98
	v_sub_f32_e32 v96, v96, v97
	v_dual_mul_f32 v100, 0x3f317218, v95 :: v_dual_add_f32 v97, v99, v98
	s_delay_alu instid0(VALU_DEP_2) | instskip(NEXT) | instid1(VALU_DEP_2)
	v_sub_f32_e32 v17, v17, v96
	v_sub_f32_e32 v96, v97, v99
	s_delay_alu instid0(VALU_DEP_3) | instskip(NEXT) | instid1(VALU_DEP_3)
	v_fma_f32 v99, 0x3f317218, v95, -v100
	v_ldexp_f32 v17, v17, 1
	s_delay_alu instid0(VALU_DEP_2) | instskip(NEXT) | instid1(VALU_DEP_1)
	v_dual_sub_f32 v96, v98, v96 :: v_dual_fmac_f32 v99, 0xb102e308, v95
	v_add_f32_e32 v17, v17, v96
	s_delay_alu instid0(VALU_DEP_1) | instskip(NEXT) | instid1(VALU_DEP_1)
	v_dual_add_f32 v95, v100, v99 :: v_dual_add_f32 v96, v97, v17
	v_sub_f32_e32 v100, v95, v100
	s_delay_alu instid0(VALU_DEP_2) | instskip(NEXT) | instid1(VALU_DEP_2)
	v_dual_add_f32 v98, v95, v96 :: v_dual_sub_f32 v97, v96, v97
	v_sub_f32_e32 v99, v99, v100
	s_delay_alu instid0(VALU_DEP_2) | instskip(NEXT) | instid1(VALU_DEP_1)
	v_sub_f32_e32 v101, v98, v95
	v_sub_f32_e32 v102, v98, v101
	;; [unrolled: 1-line block ×4, first 2 shown]
	s_delay_alu instid0(VALU_DEP_1) | instskip(NEXT) | instid1(VALU_DEP_4)
	v_add_f32_e32 v97, v99, v17
	v_sub_f32_e32 v95, v95, v102
	s_delay_alu instid0(VALU_DEP_1) | instskip(NEXT) | instid1(VALU_DEP_3)
	v_add_f32_e32 v95, v96, v95
	v_sub_f32_e32 v96, v97, v99
	s_delay_alu instid0(VALU_DEP_2) | instskip(NEXT) | instid1(VALU_DEP_2)
	v_add_f32_e32 v95, v97, v95
	v_sub_f32_e32 v97, v97, v96
	s_delay_alu instid0(VALU_DEP_2) | instskip(NEXT) | instid1(VALU_DEP_1)
	v_dual_sub_f32 v17, v17, v96 :: v_dual_add_f32 v100, v98, v95
	v_dual_sub_f32 v96, v100, v98 :: v_dual_sub_f32 v97, v99, v97
	s_delay_alu instid0(VALU_DEP_1) | instskip(NEXT) | instid1(VALU_DEP_2)
	v_sub_f32_e32 v95, v95, v96
	v_add_f32_e32 v17, v17, v97
	s_delay_alu instid0(VALU_DEP_1) | instskip(NEXT) | instid1(VALU_DEP_1)
	v_add_f32_e32 v17, v17, v95
	v_add_f32_e32 v17, v100, v17
	s_delay_alu instid0(VALU_DEP_1)
	v_cndmask_b32_e32 v95, v17, v12, vcc_lo
.LBB120_78:                             ;   in Loop: Header=BB120_12 Depth=1
	s_or_b32 exec_lo, exec_lo, s30
	v_cvt_f32_f16_e32 v12, v13
	s_delay_alu instid0(VALU_DEP_1) | instskip(NEXT) | instid1(VALU_DEP_1)
	v_add_f32_e32 v96, s67, v12
	v_cmp_ge_f32_e32 vcc_lo, 0x41a00000, v96
	s_and_b32 s29, s80, vcc_lo
	s_delay_alu instid0(SALU_CYCLE_1)
	s_and_saveexec_b32 s30, s29
	s_cbranch_execz .LBB120_80
; %bb.79:                               ;   in Loop: Header=BB120_12 Depth=1
	v_mul_f32_e32 v12, 0x3fb8aa3b, v96
	v_cmp_ngt_f32_e32 vcc_lo, 0xc2ce8ed0, v96
	s_delay_alu instid0(VALU_DEP_2) | instskip(SKIP_1) | instid1(VALU_DEP_1)
	v_rndne_f32_e32 v17, v12
	v_fma_f32 v97, 0x3fb8aa3b, v96, -v12
	v_dual_sub_f32 v12, v12, v17 :: v_dual_fmac_f32 v97, 0x32a5705f, v96
	v_cvt_i32_f32_e32 v17, v17
	s_delay_alu instid0(VALU_DEP_2) | instskip(NEXT) | instid1(VALU_DEP_1)
	v_add_f32_e32 v12, v12, v97
	v_exp_f32_e32 v12, v12
	s_waitcnt_depctr 0xfff
	v_ldexp_f32 v12, v12, v17
	s_delay_alu instid0(VALU_DEP_1) | instskip(SKIP_1) | instid1(VALU_DEP_2)
	v_cndmask_b32_e32 v12, 0, v12, vcc_lo
	v_cmp_nlt_f32_e32 vcc_lo, 0x42b17218, v96
	v_cndmask_b32_e32 v12, 0x7f800000, v12, vcc_lo
	s_delay_alu instid0(VALU_DEP_1) | instskip(NEXT) | instid1(VALU_DEP_1)
	v_add_f32_e32 v17, 1.0, v12
	v_cvt_f64_f32_e32 v[96:97], v17
	s_delay_alu instid0(VALU_DEP_1) | instskip(SKIP_1) | instid1(VALU_DEP_1)
	v_frexp_exp_i32_f64_e32 v96, v[96:97]
	v_frexp_mant_f32_e32 v97, v17
	v_cmp_gt_f32_e32 vcc_lo, 0x3f2aaaab, v97
	v_add_f32_e32 v97, -1.0, v17
	s_delay_alu instid0(VALU_DEP_1) | instskip(SKIP_1) | instid1(VALU_DEP_2)
	v_sub_f32_e32 v99, v97, v17
	v_sub_f32_e32 v97, v12, v97
	v_add_f32_e32 v99, 1.0, v99
	s_delay_alu instid0(VALU_DEP_1) | instskip(SKIP_3) | instid1(VALU_DEP_2)
	v_add_f32_e32 v97, v97, v99
	v_cmp_gt_f32_e64 s29, 0x33800000, v12
	v_subrev_co_ci_u32_e32 v96, vcc_lo, 0, v96, vcc_lo
	v_cmp_eq_f32_e32 vcc_lo, 0x7f800000, v12
	v_sub_nc_u32_e32 v98, 0, v96
	v_cvt_f32_i32_e32 v96, v96
	s_or_b32 vcc_lo, s29, vcc_lo
	s_delay_alu instid0(VALU_DEP_2) | instskip(SKIP_1) | instid1(VALU_DEP_2)
	v_ldexp_f32 v17, v17, v98
	v_ldexp_f32 v97, v97, v98
	v_add_f32_e32 v100, 1.0, v17
	s_delay_alu instid0(VALU_DEP_1) | instskip(NEXT) | instid1(VALU_DEP_1)
	v_dual_add_f32 v98, -1.0, v17 :: v_dual_add_f32 v99, -1.0, v100
	v_add_f32_e32 v101, 1.0, v98
	s_delay_alu instid0(VALU_DEP_2) | instskip(NEXT) | instid1(VALU_DEP_2)
	v_sub_f32_e32 v99, v17, v99
	v_sub_f32_e32 v17, v17, v101
	s_delay_alu instid0(VALU_DEP_1) | instskip(NEXT) | instid1(VALU_DEP_1)
	v_add_f32_e32 v17, v97, v17
	v_dual_add_f32 v102, v98, v17 :: v_dual_add_f32 v99, v97, v99
	s_delay_alu instid0(VALU_DEP_1) | instskip(NEXT) | instid1(VALU_DEP_1)
	v_dual_sub_f32 v98, v98, v102 :: v_dual_add_f32 v101, v100, v99
	v_rcp_f32_e32 v97, v101
	v_sub_f32_e32 v100, v100, v101
	s_delay_alu instid0(VALU_DEP_1) | instskip(SKIP_2) | instid1(VALU_DEP_1)
	v_add_f32_e32 v99, v99, v100
	s_waitcnt_depctr 0xfff
	v_mul_f32_e32 v103, v102, v97
	v_mul_f32_e32 v104, v101, v103
	s_delay_alu instid0(VALU_DEP_1) | instskip(NEXT) | instid1(VALU_DEP_1)
	v_fma_f32 v100, v103, v101, -v104
	v_fmac_f32_e32 v100, v103, v99
	s_delay_alu instid0(VALU_DEP_1) | instskip(NEXT) | instid1(VALU_DEP_1)
	v_add_f32_e32 v105, v104, v100
	v_sub_f32_e32 v106, v102, v105
	s_delay_alu instid0(VALU_DEP_1) | instskip(SKIP_2) | instid1(VALU_DEP_3)
	v_sub_f32_e32 v102, v102, v106
	v_add_f32_e32 v17, v17, v98
	v_sub_f32_e32 v98, v105, v104
	v_sub_f32_e32 v102, v102, v105
	s_delay_alu instid0(VALU_DEP_1) | instskip(NEXT) | instid1(VALU_DEP_1)
	v_dual_sub_f32 v98, v98, v100 :: v_dual_add_f32 v17, v17, v102
	v_add_f32_e32 v17, v98, v17
	s_delay_alu instid0(VALU_DEP_1) | instskip(NEXT) | instid1(VALU_DEP_1)
	v_add_f32_e32 v98, v106, v17
	v_mul_f32_e32 v100, v97, v98
	s_delay_alu instid0(VALU_DEP_1) | instskip(NEXT) | instid1(VALU_DEP_1)
	v_dual_sub_f32 v105, v106, v98 :: v_dual_mul_f32 v102, v101, v100
	v_add_f32_e32 v17, v17, v105
	s_delay_alu instid0(VALU_DEP_2) | instskip(NEXT) | instid1(VALU_DEP_1)
	v_fma_f32 v101, v100, v101, -v102
	v_fmac_f32_e32 v101, v100, v99
	s_delay_alu instid0(VALU_DEP_1) | instskip(NEXT) | instid1(VALU_DEP_1)
	v_add_f32_e32 v99, v102, v101
	v_sub_f32_e32 v104, v98, v99
	s_delay_alu instid0(VALU_DEP_1) | instskip(NEXT) | instid1(VALU_DEP_1)
	v_sub_f32_e32 v98, v98, v104
	v_sub_f32_e32 v98, v98, v99
	s_delay_alu instid0(VALU_DEP_1) | instskip(SKIP_1) | instid1(VALU_DEP_1)
	v_dual_add_f32 v17, v17, v98 :: v_dual_add_f32 v98, v103, v100
	v_sub_f32_e32 v102, v99, v102
	v_sub_f32_e32 v99, v102, v101
	s_delay_alu instid0(VALU_DEP_1) | instskip(NEXT) | instid1(VALU_DEP_4)
	v_add_f32_e32 v17, v99, v17
	v_sub_f32_e32 v99, v98, v103
	s_delay_alu instid0(VALU_DEP_2) | instskip(NEXT) | instid1(VALU_DEP_2)
	v_add_f32_e32 v17, v104, v17
	v_sub_f32_e32 v99, v100, v99
	s_delay_alu instid0(VALU_DEP_2) | instskip(NEXT) | instid1(VALU_DEP_1)
	v_mul_f32_e32 v17, v97, v17
	v_add_f32_e32 v17, v99, v17
	s_delay_alu instid0(VALU_DEP_1) | instskip(NEXT) | instid1(VALU_DEP_1)
	v_add_f32_e32 v97, v98, v17
	v_mul_f32_e32 v99, v97, v97
	s_delay_alu instid0(VALU_DEP_1) | instskip(SKIP_1) | instid1(VALU_DEP_2)
	v_fmaak_f32 v100, s84, v99, 0x3ecc95a3
	v_mul_f32_e32 v101, v97, v99
	v_fmaak_f32 v99, v99, v100, 0x3f2aaada
	v_ldexp_f32 v100, v97, 1
	v_sub_f32_e32 v97, v97, v98
	s_delay_alu instid0(VALU_DEP_3) | instskip(SKIP_1) | instid1(VALU_DEP_2)
	v_mul_f32_e32 v99, v101, v99
	v_mul_f32_e32 v101, 0x3f317218, v96
	v_dual_sub_f32 v17, v17, v97 :: v_dual_add_f32 v98, v100, v99
	s_delay_alu instid0(VALU_DEP_1) | instskip(NEXT) | instid1(VALU_DEP_2)
	v_ldexp_f32 v17, v17, 1
	v_sub_f32_e32 v97, v98, v100
	s_delay_alu instid0(VALU_DEP_4) | instskip(NEXT) | instid1(VALU_DEP_1)
	v_fma_f32 v100, 0x3f317218, v96, -v101
	v_dual_sub_f32 v97, v99, v97 :: v_dual_fmac_f32 v100, 0xb102e308, v96
	s_delay_alu instid0(VALU_DEP_1) | instskip(NEXT) | instid1(VALU_DEP_1)
	v_add_f32_e32 v17, v17, v97
	v_dual_add_f32 v96, v101, v100 :: v_dual_add_f32 v97, v98, v17
	s_delay_alu instid0(VALU_DEP_1) | instskip(NEXT) | instid1(VALU_DEP_2)
	v_sub_f32_e32 v101, v96, v101
	v_dual_add_f32 v99, v96, v97 :: v_dual_sub_f32 v98, v97, v98
	s_delay_alu instid0(VALU_DEP_2) | instskip(NEXT) | instid1(VALU_DEP_2)
	v_sub_f32_e32 v100, v100, v101
	v_dual_sub_f32 v102, v99, v96 :: v_dual_sub_f32 v17, v17, v98
	s_delay_alu instid0(VALU_DEP_1) | instskip(NEXT) | instid1(VALU_DEP_2)
	v_sub_f32_e32 v103, v99, v102
	v_dual_sub_f32 v97, v97, v102 :: v_dual_add_f32 v98, v100, v17
	s_delay_alu instid0(VALU_DEP_2) | instskip(NEXT) | instid1(VALU_DEP_1)
	v_sub_f32_e32 v96, v96, v103
	v_add_f32_e32 v96, v97, v96
	s_delay_alu instid0(VALU_DEP_3) | instskip(NEXT) | instid1(VALU_DEP_2)
	v_sub_f32_e32 v97, v98, v100
	v_add_f32_e32 v96, v98, v96
	s_delay_alu instid0(VALU_DEP_2) | instskip(SKIP_1) | instid1(VALU_DEP_2)
	v_sub_f32_e32 v98, v98, v97
	v_sub_f32_e32 v17, v17, v97
	v_dual_add_f32 v101, v99, v96 :: v_dual_sub_f32 v98, v100, v98
	s_delay_alu instid0(VALU_DEP_1) | instskip(NEXT) | instid1(VALU_DEP_1)
	v_sub_f32_e32 v97, v101, v99
	v_dual_add_f32 v17, v17, v98 :: v_dual_sub_f32 v96, v96, v97
	s_delay_alu instid0(VALU_DEP_1) | instskip(NEXT) | instid1(VALU_DEP_1)
	v_add_f32_e32 v17, v17, v96
	v_add_f32_e32 v17, v101, v17
	s_delay_alu instid0(VALU_DEP_1)
	v_cndmask_b32_e32 v96, v17, v12, vcc_lo
.LBB120_80:                             ;   in Loop: Header=BB120_12 Depth=1
	s_or_b32 exec_lo, exec_lo, s30
	v_lshrrev_b32_e32 v12, 16, v13
	s_delay_alu instid0(VALU_DEP_1) | instskip(NEXT) | instid1(VALU_DEP_1)
	v_cvt_f32_f16_e32 v12, v12
	v_add_f32_e32 v97, s67, v12
	s_delay_alu instid0(VALU_DEP_1) | instskip(SKIP_1) | instid1(SALU_CYCLE_1)
	v_cmp_ge_f32_e32 vcc_lo, 0x41a00000, v97
	s_and_b32 s29, s80, vcc_lo
	s_and_saveexec_b32 s30, s29
	s_cbranch_execz .LBB120_82
; %bb.81:                               ;   in Loop: Header=BB120_12 Depth=1
	v_mul_f32_e32 v12, 0x3fb8aa3b, v97
	v_cmp_ngt_f32_e32 vcc_lo, 0xc2ce8ed0, v97
	s_delay_alu instid0(VALU_DEP_2) | instskip(SKIP_1) | instid1(VALU_DEP_2)
	v_rndne_f32_e32 v13, v12
	v_fma_f32 v17, 0x3fb8aa3b, v97, -v12
	v_sub_f32_e32 v12, v12, v13
	s_delay_alu instid0(VALU_DEP_2) | instskip(SKIP_1) | instid1(VALU_DEP_2)
	v_fmac_f32_e32 v17, 0x32a5705f, v97
	v_cvt_i32_f32_e32 v13, v13
	v_add_f32_e32 v12, v12, v17
	s_delay_alu instid0(VALU_DEP_1) | instskip(SKIP_2) | instid1(VALU_DEP_1)
	v_exp_f32_e32 v12, v12
	s_waitcnt_depctr 0xfff
	v_ldexp_f32 v12, v12, v13
	v_cndmask_b32_e32 v12, 0, v12, vcc_lo
	v_cmp_nlt_f32_e32 vcc_lo, 0x42b17218, v97
	s_delay_alu instid0(VALU_DEP_2) | instskip(NEXT) | instid1(VALU_DEP_1)
	v_cndmask_b32_e32 v17, 0x7f800000, v12, vcc_lo
	v_add_f32_e32 v97, 1.0, v17
	s_delay_alu instid0(VALU_DEP_1) | instskip(NEXT) | instid1(VALU_DEP_1)
	v_cvt_f64_f32_e32 v[12:13], v97
	v_frexp_exp_i32_f64_e32 v12, v[12:13]
	v_frexp_mant_f32_e32 v13, v97
	s_delay_alu instid0(VALU_DEP_1) | instskip(SKIP_1) | instid1(VALU_DEP_1)
	v_cmp_gt_f32_e32 vcc_lo, 0x3f2aaaab, v13
	v_add_f32_e32 v13, -1.0, v97
	v_sub_f32_e32 v99, v13, v97
	s_delay_alu instid0(VALU_DEP_1) | instskip(SKIP_1) | instid1(VALU_DEP_1)
	v_add_f32_e32 v99, 1.0, v99
	v_subrev_co_ci_u32_e32 v12, vcc_lo, 0, v12, vcc_lo
	v_sub_nc_u32_e32 v98, 0, v12
	v_cvt_f32_i32_e32 v12, v12
	s_delay_alu instid0(VALU_DEP_2) | instskip(NEXT) | instid1(VALU_DEP_1)
	v_ldexp_f32 v97, v97, v98
	v_add_f32_e32 v100, 1.0, v97
	v_sub_f32_e32 v13, v17, v13
	v_cmp_eq_f32_e32 vcc_lo, 0x7f800000, v17
	v_cmp_gt_f32_e64 s29, 0x33800000, v17
	s_delay_alu instid0(VALU_DEP_3) | instskip(SKIP_1) | instid1(VALU_DEP_3)
	v_add_f32_e32 v13, v13, v99
	v_add_f32_e32 v99, -1.0, v100
	s_or_b32 vcc_lo, s29, vcc_lo
	s_delay_alu instid0(VALU_DEP_2) | instskip(NEXT) | instid1(VALU_DEP_2)
	v_ldexp_f32 v13, v13, v98
	v_dual_add_f32 v98, -1.0, v97 :: v_dual_sub_f32 v99, v97, v99
	s_delay_alu instid0(VALU_DEP_1) | instskip(NEXT) | instid1(VALU_DEP_2)
	v_add_f32_e32 v101, 1.0, v98
	v_add_f32_e32 v99, v13, v99
	s_delay_alu instid0(VALU_DEP_2) | instskip(NEXT) | instid1(VALU_DEP_1)
	v_sub_f32_e32 v97, v97, v101
	v_add_f32_e32 v13, v13, v97
	s_delay_alu instid0(VALU_DEP_1) | instskip(NEXT) | instid1(VALU_DEP_1)
	v_dual_add_f32 v102, v98, v13 :: v_dual_add_f32 v101, v100, v99
	v_sub_f32_e32 v98, v98, v102
	s_delay_alu instid0(VALU_DEP_2) | instskip(NEXT) | instid1(VALU_DEP_1)
	v_rcp_f32_e32 v97, v101
	v_dual_sub_f32 v100, v100, v101 :: v_dual_add_f32 v13, v13, v98
	s_delay_alu instid0(VALU_DEP_1) | instskip(SKIP_2) | instid1(VALU_DEP_1)
	v_add_f32_e32 v99, v99, v100
	s_waitcnt_depctr 0xfff
	v_mul_f32_e32 v103, v102, v97
	v_mul_f32_e32 v104, v101, v103
	s_delay_alu instid0(VALU_DEP_1) | instskip(NEXT) | instid1(VALU_DEP_1)
	v_fma_f32 v100, v103, v101, -v104
	v_fmac_f32_e32 v100, v103, v99
	s_delay_alu instid0(VALU_DEP_1) | instskip(NEXT) | instid1(VALU_DEP_1)
	v_add_f32_e32 v105, v104, v100
	v_sub_f32_e32 v106, v102, v105
	v_sub_f32_e32 v98, v105, v104
	s_delay_alu instid0(VALU_DEP_2) | instskip(NEXT) | instid1(VALU_DEP_2)
	v_sub_f32_e32 v102, v102, v106
	v_sub_f32_e32 v98, v98, v100
	s_delay_alu instid0(VALU_DEP_2) | instskip(NEXT) | instid1(VALU_DEP_1)
	v_sub_f32_e32 v102, v102, v105
	v_add_f32_e32 v13, v13, v102
	s_delay_alu instid0(VALU_DEP_1) | instskip(NEXT) | instid1(VALU_DEP_1)
	v_add_f32_e32 v13, v98, v13
	v_add_f32_e32 v98, v106, v13
	s_delay_alu instid0(VALU_DEP_1) | instskip(NEXT) | instid1(VALU_DEP_1)
	v_mul_f32_e32 v100, v97, v98
	v_dual_sub_f32 v105, v106, v98 :: v_dual_mul_f32 v102, v101, v100
	s_delay_alu instid0(VALU_DEP_1) | instskip(NEXT) | instid1(VALU_DEP_1)
	v_fma_f32 v101, v100, v101, -v102
	v_fmac_f32_e32 v101, v100, v99
	s_delay_alu instid0(VALU_DEP_1) | instskip(NEXT) | instid1(VALU_DEP_1)
	v_add_f32_e32 v99, v102, v101
	v_dual_add_f32 v13, v13, v105 :: v_dual_sub_f32 v104, v98, v99
	s_delay_alu instid0(VALU_DEP_1) | instskip(NEXT) | instid1(VALU_DEP_1)
	v_sub_f32_e32 v98, v98, v104
	v_sub_f32_e32 v98, v98, v99
	s_delay_alu instid0(VALU_DEP_1) | instskip(SKIP_1) | instid1(VALU_DEP_1)
	v_dual_add_f32 v13, v13, v98 :: v_dual_add_f32 v98, v103, v100
	v_sub_f32_e32 v102, v99, v102
	v_sub_f32_e32 v99, v102, v101
	s_delay_alu instid0(VALU_DEP_1) | instskip(NEXT) | instid1(VALU_DEP_4)
	v_add_f32_e32 v13, v99, v13
	v_sub_f32_e32 v99, v98, v103
	s_delay_alu instid0(VALU_DEP_2) | instskip(NEXT) | instid1(VALU_DEP_2)
	v_add_f32_e32 v13, v104, v13
	v_sub_f32_e32 v99, v100, v99
	s_delay_alu instid0(VALU_DEP_2) | instskip(NEXT) | instid1(VALU_DEP_1)
	v_mul_f32_e32 v13, v97, v13
	v_add_f32_e32 v13, v99, v13
	s_delay_alu instid0(VALU_DEP_1) | instskip(NEXT) | instid1(VALU_DEP_1)
	v_add_f32_e32 v97, v98, v13
	v_mul_f32_e32 v99, v97, v97
	s_delay_alu instid0(VALU_DEP_1) | instskip(SKIP_1) | instid1(VALU_DEP_2)
	v_fmaak_f32 v100, s84, v99, 0x3ecc95a3
	v_mul_f32_e32 v101, v97, v99
	v_fmaak_f32 v99, v99, v100, 0x3f2aaada
	v_ldexp_f32 v100, v97, 1
	v_sub_f32_e32 v97, v97, v98
	s_delay_alu instid0(VALU_DEP_3) | instskip(SKIP_1) | instid1(VALU_DEP_2)
	v_mul_f32_e32 v99, v101, v99
	v_mul_f32_e32 v101, 0x3f317218, v12
	v_dual_sub_f32 v13, v13, v97 :: v_dual_add_f32 v98, v100, v99
	s_delay_alu instid0(VALU_DEP_1) | instskip(NEXT) | instid1(VALU_DEP_2)
	v_ldexp_f32 v13, v13, 1
	v_sub_f32_e32 v97, v98, v100
	s_delay_alu instid0(VALU_DEP_4) | instskip(NEXT) | instid1(VALU_DEP_1)
	v_fma_f32 v100, 0x3f317218, v12, -v101
	v_dual_sub_f32 v97, v99, v97 :: v_dual_fmac_f32 v100, 0xb102e308, v12
	s_delay_alu instid0(VALU_DEP_1) | instskip(NEXT) | instid1(VALU_DEP_2)
	v_add_f32_e32 v12, v13, v97
	v_add_f32_e32 v13, v101, v100
	s_delay_alu instid0(VALU_DEP_2) | instskip(NEXT) | instid1(VALU_DEP_2)
	v_add_f32_e32 v97, v98, v12
	v_sub_f32_e32 v101, v13, v101
	s_delay_alu instid0(VALU_DEP_2) | instskip(SKIP_1) | instid1(VALU_DEP_3)
	v_add_f32_e32 v99, v13, v97
	v_sub_f32_e32 v98, v97, v98
	v_sub_f32_e32 v100, v100, v101
	s_delay_alu instid0(VALU_DEP_3) | instskip(NEXT) | instid1(VALU_DEP_3)
	v_sub_f32_e32 v102, v99, v13
	v_sub_f32_e32 v12, v12, v98
	s_delay_alu instid0(VALU_DEP_2) | instskip(NEXT) | instid1(VALU_DEP_2)
	v_sub_f32_e32 v103, v99, v102
	v_dual_sub_f32 v97, v97, v102 :: v_dual_add_f32 v98, v100, v12
	s_delay_alu instid0(VALU_DEP_2) | instskip(NEXT) | instid1(VALU_DEP_1)
	v_sub_f32_e32 v13, v13, v103
	v_add_f32_e32 v13, v97, v13
	s_delay_alu instid0(VALU_DEP_3) | instskip(NEXT) | instid1(VALU_DEP_2)
	v_sub_f32_e32 v97, v98, v100
	v_add_f32_e32 v13, v98, v13
	s_delay_alu instid0(VALU_DEP_2) | instskip(SKIP_1) | instid1(VALU_DEP_1)
	v_sub_f32_e32 v12, v12, v97
	v_sub_f32_e32 v98, v98, v97
	v_dual_add_f32 v101, v99, v13 :: v_dual_sub_f32 v98, v100, v98
	s_delay_alu instid0(VALU_DEP_1) | instskip(NEXT) | instid1(VALU_DEP_1)
	v_dual_sub_f32 v97, v101, v99 :: v_dual_add_f32 v12, v12, v98
	v_sub_f32_e32 v13, v13, v97
	s_delay_alu instid0(VALU_DEP_1) | instskip(NEXT) | instid1(VALU_DEP_1)
	v_add_f32_e32 v12, v12, v13
	v_add_f32_e32 v12, v101, v12
	s_delay_alu instid0(VALU_DEP_1)
	v_cndmask_b32_e32 v97, v12, v17, vcc_lo
.LBB120_82:                             ;   in Loop: Header=BB120_12 Depth=1
	s_or_b32 exec_lo, exec_lo, s30
	v_cvt_f32_f16_e32 v12, v14
	s_delay_alu instid0(VALU_DEP_1) | instskip(NEXT) | instid1(VALU_DEP_1)
	v_add_f32_e32 v98, s67, v12
	v_cmp_ge_f32_e32 vcc_lo, 0x41a00000, v98
	s_and_b32 s29, s80, vcc_lo
	s_delay_alu instid0(SALU_CYCLE_1)
	s_and_saveexec_b32 s30, s29
	s_cbranch_execz .LBB120_84
; %bb.83:                               ;   in Loop: Header=BB120_12 Depth=1
	v_mul_f32_e32 v12, 0x3fb8aa3b, v98
	v_cmp_ngt_f32_e32 vcc_lo, 0xc2ce8ed0, v98
	s_delay_alu instid0(VALU_DEP_2) | instskip(SKIP_1) | instid1(VALU_DEP_1)
	v_rndne_f32_e32 v13, v12
	v_fma_f32 v17, 0x3fb8aa3b, v98, -v12
	v_dual_sub_f32 v12, v12, v13 :: v_dual_fmac_f32 v17, 0x32a5705f, v98
	v_cvt_i32_f32_e32 v13, v13
	s_delay_alu instid0(VALU_DEP_2) | instskip(NEXT) | instid1(VALU_DEP_1)
	v_add_f32_e32 v12, v12, v17
	v_exp_f32_e32 v12, v12
	s_waitcnt_depctr 0xfff
	v_ldexp_f32 v12, v12, v13
	s_delay_alu instid0(VALU_DEP_1) | instskip(SKIP_1) | instid1(VALU_DEP_2)
	v_cndmask_b32_e32 v12, 0, v12, vcc_lo
	v_cmp_nlt_f32_e32 vcc_lo, 0x42b17218, v98
	v_cndmask_b32_e32 v17, 0x7f800000, v12, vcc_lo
	s_delay_alu instid0(VALU_DEP_1) | instskip(NEXT) | instid1(VALU_DEP_1)
	v_add_f32_e32 v98, 1.0, v17
	v_cvt_f64_f32_e32 v[12:13], v98
	s_delay_alu instid0(VALU_DEP_1) | instskip(SKIP_1) | instid1(VALU_DEP_1)
	v_frexp_exp_i32_f64_e32 v12, v[12:13]
	v_frexp_mant_f32_e32 v13, v98
	v_cmp_gt_f32_e32 vcc_lo, 0x3f2aaaab, v13
	v_add_f32_e32 v13, -1.0, v98
	s_delay_alu instid0(VALU_DEP_1) | instskip(SKIP_2) | instid1(VALU_DEP_3)
	v_sub_f32_e32 v100, v13, v98
	v_sub_f32_e32 v13, v17, v13
	v_cmp_gt_f32_e64 s29, 0x33800000, v17
	v_add_f32_e32 v100, 1.0, v100
	s_delay_alu instid0(VALU_DEP_1) | instskip(SKIP_2) | instid1(VALU_DEP_2)
	v_add_f32_e32 v13, v13, v100
	v_subrev_co_ci_u32_e32 v12, vcc_lo, 0, v12, vcc_lo
	v_cmp_eq_f32_e32 vcc_lo, 0x7f800000, v17
	v_sub_nc_u32_e32 v99, 0, v12
	v_cvt_f32_i32_e32 v12, v12
	s_or_b32 vcc_lo, s29, vcc_lo
	s_delay_alu instid0(VALU_DEP_2) | instskip(SKIP_1) | instid1(VALU_DEP_2)
	v_ldexp_f32 v98, v98, v99
	v_ldexp_f32 v13, v13, v99
	v_add_f32_e32 v99, -1.0, v98
	s_delay_alu instid0(VALU_DEP_1) | instskip(NEXT) | instid1(VALU_DEP_1)
	v_dual_add_f32 v101, 1.0, v98 :: v_dual_add_f32 v102, 1.0, v99
	v_add_f32_e32 v100, -1.0, v101
	s_delay_alu instid0(VALU_DEP_1) | instskip(NEXT) | instid1(VALU_DEP_3)
	v_sub_f32_e32 v100, v98, v100
	v_sub_f32_e32 v98, v98, v102
	s_delay_alu instid0(VALU_DEP_2) | instskip(NEXT) | instid1(VALU_DEP_2)
	v_add_f32_e32 v100, v13, v100
	v_add_f32_e32 v13, v13, v98
	s_delay_alu instid0(VALU_DEP_1) | instskip(NEXT) | instid1(VALU_DEP_1)
	v_dual_add_f32 v103, v99, v13 :: v_dual_add_f32 v102, v101, v100
	v_sub_f32_e32 v99, v99, v103
	s_delay_alu instid0(VALU_DEP_2) | instskip(SKIP_1) | instid1(VALU_DEP_1)
	v_rcp_f32_e32 v98, v102
	v_sub_f32_e32 v101, v101, v102
	v_dual_add_f32 v13, v13, v99 :: v_dual_add_f32 v100, v100, v101
	s_waitcnt_depctr 0xfff
	v_mul_f32_e32 v104, v103, v98
	s_delay_alu instid0(VALU_DEP_1) | instskip(NEXT) | instid1(VALU_DEP_1)
	v_mul_f32_e32 v105, v102, v104
	v_fma_f32 v101, v104, v102, -v105
	s_delay_alu instid0(VALU_DEP_1) | instskip(NEXT) | instid1(VALU_DEP_1)
	v_fmac_f32_e32 v101, v104, v100
	v_add_f32_e32 v106, v105, v101
	s_delay_alu instid0(VALU_DEP_1) | instskip(SKIP_1) | instid1(VALU_DEP_2)
	v_sub_f32_e32 v107, v103, v106
	v_sub_f32_e32 v99, v106, v105
	;; [unrolled: 1-line block ×3, first 2 shown]
	s_delay_alu instid0(VALU_DEP_2) | instskip(NEXT) | instid1(VALU_DEP_2)
	v_sub_f32_e32 v99, v99, v101
	v_sub_f32_e32 v103, v103, v106
	s_delay_alu instid0(VALU_DEP_1) | instskip(NEXT) | instid1(VALU_DEP_1)
	v_add_f32_e32 v13, v13, v103
	v_add_f32_e32 v13, v99, v13
	s_delay_alu instid0(VALU_DEP_1) | instskip(NEXT) | instid1(VALU_DEP_1)
	v_add_f32_e32 v99, v107, v13
	v_mul_f32_e32 v101, v98, v99
	s_delay_alu instid0(VALU_DEP_1) | instskip(NEXT) | instid1(VALU_DEP_1)
	v_dual_sub_f32 v106, v107, v99 :: v_dual_mul_f32 v103, v102, v101
	v_add_f32_e32 v13, v13, v106
	s_delay_alu instid0(VALU_DEP_2) | instskip(NEXT) | instid1(VALU_DEP_1)
	v_fma_f32 v102, v101, v102, -v103
	v_fmac_f32_e32 v102, v101, v100
	s_delay_alu instid0(VALU_DEP_1) | instskip(NEXT) | instid1(VALU_DEP_1)
	v_add_f32_e32 v100, v103, v102
	v_sub_f32_e32 v105, v99, v100
	s_delay_alu instid0(VALU_DEP_1) | instskip(NEXT) | instid1(VALU_DEP_1)
	v_sub_f32_e32 v99, v99, v105
	v_sub_f32_e32 v99, v99, v100
	s_delay_alu instid0(VALU_DEP_1) | instskip(SKIP_2) | instid1(VALU_DEP_1)
	v_add_f32_e32 v13, v13, v99
	v_add_f32_e32 v99, v104, v101
	v_sub_f32_e32 v103, v100, v103
	v_sub_f32_e32 v100, v103, v102
	s_delay_alu instid0(VALU_DEP_1) | instskip(NEXT) | instid1(VALU_DEP_1)
	v_dual_add_f32 v13, v100, v13 :: v_dual_sub_f32 v100, v99, v104
	v_add_f32_e32 v13, v105, v13
	s_delay_alu instid0(VALU_DEP_1) | instskip(NEXT) | instid1(VALU_DEP_1)
	v_dual_sub_f32 v100, v101, v100 :: v_dual_mul_f32 v13, v98, v13
	v_add_f32_e32 v13, v100, v13
	s_delay_alu instid0(VALU_DEP_1) | instskip(NEXT) | instid1(VALU_DEP_1)
	v_add_f32_e32 v98, v99, v13
	v_mul_f32_e32 v100, v98, v98
	s_delay_alu instid0(VALU_DEP_1) | instskip(SKIP_1) | instid1(VALU_DEP_2)
	v_fmaak_f32 v101, s84, v100, 0x3ecc95a3
	v_mul_f32_e32 v102, v98, v100
	v_fmaak_f32 v100, v100, v101, 0x3f2aaada
	v_ldexp_f32 v101, v98, 1
	v_sub_f32_e32 v98, v98, v99
	s_delay_alu instid0(VALU_DEP_3) | instskip(NEXT) | instid1(VALU_DEP_2)
	v_mul_f32_e32 v100, v102, v100
	v_dual_mul_f32 v102, 0x3f317218, v12 :: v_dual_sub_f32 v13, v13, v98
	s_delay_alu instid0(VALU_DEP_2) | instskip(NEXT) | instid1(VALU_DEP_2)
	v_add_f32_e32 v99, v101, v100
	v_ldexp_f32 v13, v13, 1
	s_delay_alu instid0(VALU_DEP_2) | instskip(NEXT) | instid1(VALU_DEP_4)
	v_sub_f32_e32 v98, v99, v101
	v_fma_f32 v101, 0x3f317218, v12, -v102
	s_delay_alu instid0(VALU_DEP_1) | instskip(NEXT) | instid1(VALU_DEP_1)
	v_dual_sub_f32 v98, v100, v98 :: v_dual_fmac_f32 v101, 0xb102e308, v12
	v_add_f32_e32 v12, v13, v98
	s_delay_alu instid0(VALU_DEP_1) | instskip(NEXT) | instid1(VALU_DEP_1)
	v_add_f32_e32 v98, v99, v12
	v_sub_f32_e32 v99, v98, v99
	s_delay_alu instid0(VALU_DEP_1) | instskip(NEXT) | instid1(VALU_DEP_1)
	v_dual_sub_f32 v12, v12, v99 :: v_dual_add_f32 v13, v102, v101
	v_add_f32_e32 v100, v13, v98
	s_delay_alu instid0(VALU_DEP_1) | instskip(NEXT) | instid1(VALU_DEP_1)
	v_dual_sub_f32 v102, v13, v102 :: v_dual_sub_f32 v103, v100, v13
	v_dual_sub_f32 v101, v101, v102 :: v_dual_sub_f32 v104, v100, v103
	s_delay_alu instid0(VALU_DEP_1) | instskip(NEXT) | instid1(VALU_DEP_2)
	v_dual_sub_f32 v98, v98, v103 :: v_dual_add_f32 v99, v101, v12
	v_sub_f32_e32 v13, v13, v104
	s_delay_alu instid0(VALU_DEP_1) | instskip(NEXT) | instid1(VALU_DEP_3)
	v_add_f32_e32 v13, v98, v13
	v_sub_f32_e32 v98, v99, v101
	s_delay_alu instid0(VALU_DEP_2) | instskip(NEXT) | instid1(VALU_DEP_2)
	v_add_f32_e32 v13, v99, v13
	v_sub_f32_e32 v99, v99, v98
	v_sub_f32_e32 v12, v12, v98
	s_delay_alu instid0(VALU_DEP_2) | instskip(NEXT) | instid1(VALU_DEP_1)
	v_dual_add_f32 v102, v100, v13 :: v_dual_sub_f32 v99, v101, v99
	v_sub_f32_e32 v98, v102, v100
	s_delay_alu instid0(VALU_DEP_1) | instskip(NEXT) | instid1(VALU_DEP_1)
	v_dual_add_f32 v12, v12, v99 :: v_dual_sub_f32 v13, v13, v98
	v_add_f32_e32 v12, v12, v13
	s_delay_alu instid0(VALU_DEP_1) | instskip(NEXT) | instid1(VALU_DEP_1)
	v_add_f32_e32 v12, v102, v12
	v_cndmask_b32_e32 v98, v12, v17, vcc_lo
.LBB120_84:                             ;   in Loop: Header=BB120_12 Depth=1
	s_or_b32 exec_lo, exec_lo, s30
	v_lshrrev_b32_e32 v12, 16, v14
	s_delay_alu instid0(VALU_DEP_1) | instskip(NEXT) | instid1(VALU_DEP_1)
	v_cvt_f32_f16_e32 v12, v12
	v_add_f32_e32 v99, s67, v12
	s_delay_alu instid0(VALU_DEP_1) | instskip(SKIP_1) | instid1(SALU_CYCLE_1)
	v_cmp_ge_f32_e32 vcc_lo, 0x41a00000, v99
	s_and_b32 s29, s80, vcc_lo
	s_and_saveexec_b32 s30, s29
	s_cbranch_execz .LBB120_86
; %bb.85:                               ;   in Loop: Header=BB120_12 Depth=1
	v_mul_f32_e32 v12, 0x3fb8aa3b, v99
	v_cmp_ngt_f32_e32 vcc_lo, 0xc2ce8ed0, v99
	s_delay_alu instid0(VALU_DEP_2) | instskip(SKIP_1) | instid1(VALU_DEP_2)
	v_rndne_f32_e32 v13, v12
	v_fma_f32 v14, 0x3fb8aa3b, v99, -v12
	v_sub_f32_e32 v12, v12, v13
	s_delay_alu instid0(VALU_DEP_2) | instskip(SKIP_1) | instid1(VALU_DEP_2)
	v_fmac_f32_e32 v14, 0x32a5705f, v99
	v_cvt_i32_f32_e32 v13, v13
	v_add_f32_e32 v12, v12, v14
	s_delay_alu instid0(VALU_DEP_1) | instskip(SKIP_2) | instid1(VALU_DEP_1)
	v_exp_f32_e32 v12, v12
	s_waitcnt_depctr 0xfff
	v_ldexp_f32 v12, v12, v13
	v_cndmask_b32_e32 v12, 0, v12, vcc_lo
	v_cmp_nlt_f32_e32 vcc_lo, 0x42b17218, v99
	s_delay_alu instid0(VALU_DEP_2) | instskip(NEXT) | instid1(VALU_DEP_1)
	v_cndmask_b32_e32 v14, 0x7f800000, v12, vcc_lo
	v_add_f32_e32 v17, 1.0, v14
	s_delay_alu instid0(VALU_DEP_1) | instskip(NEXT) | instid1(VALU_DEP_1)
	v_cvt_f64_f32_e32 v[12:13], v17
	v_frexp_exp_i32_f64_e32 v12, v[12:13]
	v_frexp_mant_f32_e32 v13, v17
	s_delay_alu instid0(VALU_DEP_1) | instskip(SKIP_1) | instid1(VALU_DEP_1)
	v_cmp_gt_f32_e32 vcc_lo, 0x3f2aaaab, v13
	v_add_f32_e32 v13, -1.0, v17
	v_sub_f32_e32 v100, v13, v17
	v_sub_f32_e32 v13, v14, v13
	v_subrev_co_ci_u32_e32 v12, vcc_lo, 0, v12, vcc_lo
	s_delay_alu instid0(VALU_DEP_1) | instskip(SKIP_1) | instid1(VALU_DEP_2)
	v_sub_nc_u32_e32 v99, 0, v12
	v_cvt_f32_i32_e32 v12, v12
	v_ldexp_f32 v17, v17, v99
	s_delay_alu instid0(VALU_DEP_1) | instskip(NEXT) | instid1(VALU_DEP_1)
	v_dual_add_f32 v100, 1.0, v100 :: v_dual_add_f32 v101, 1.0, v17
	v_dual_add_f32 v13, v13, v100 :: v_dual_add_f32 v100, -1.0, v101
	s_delay_alu instid0(VALU_DEP_1) | instskip(SKIP_4) | instid1(VALU_DEP_4)
	v_ldexp_f32 v13, v13, v99
	v_add_f32_e32 v99, -1.0, v17
	v_cmp_eq_f32_e32 vcc_lo, 0x7f800000, v14
	v_cmp_gt_f32_e64 s29, 0x33800000, v14
	v_sub_f32_e32 v100, v17, v100
	v_add_f32_e32 v102, 1.0, v99
	s_delay_alu instid0(VALU_DEP_3) | instskip(NEXT) | instid1(VALU_DEP_2)
	s_or_b32 vcc_lo, s29, vcc_lo
	v_add_f32_e32 v100, v13, v100
	s_delay_alu instid0(VALU_DEP_2) | instskip(NEXT) | instid1(VALU_DEP_1)
	v_sub_f32_e32 v17, v17, v102
	v_add_f32_e32 v13, v13, v17
	s_delay_alu instid0(VALU_DEP_1) | instskip(NEXT) | instid1(VALU_DEP_1)
	v_dual_add_f32 v103, v99, v13 :: v_dual_add_f32 v102, v101, v100
	v_sub_f32_e32 v99, v99, v103
	s_delay_alu instid0(VALU_DEP_2) | instskip(SKIP_1) | instid1(VALU_DEP_1)
	v_rcp_f32_e32 v17, v102
	v_sub_f32_e32 v101, v101, v102
	v_dual_add_f32 v13, v13, v99 :: v_dual_add_f32 v100, v100, v101
	s_waitcnt_depctr 0xfff
	v_mul_f32_e32 v104, v103, v17
	s_delay_alu instid0(VALU_DEP_1) | instskip(NEXT) | instid1(VALU_DEP_1)
	v_mul_f32_e32 v105, v102, v104
	v_fma_f32 v101, v104, v102, -v105
	s_delay_alu instid0(VALU_DEP_1) | instskip(NEXT) | instid1(VALU_DEP_1)
	v_fmac_f32_e32 v101, v104, v100
	v_add_f32_e32 v106, v105, v101
	s_delay_alu instid0(VALU_DEP_1) | instskip(NEXT) | instid1(VALU_DEP_1)
	v_sub_f32_e32 v107, v103, v106
	v_sub_f32_e32 v103, v103, v107
	;; [unrolled: 1-line block ×3, first 2 shown]
	s_delay_alu instid0(VALU_DEP_2) | instskip(NEXT) | instid1(VALU_DEP_2)
	v_sub_f32_e32 v103, v103, v106
	v_sub_f32_e32 v99, v99, v101
	s_delay_alu instid0(VALU_DEP_2) | instskip(NEXT) | instid1(VALU_DEP_1)
	v_add_f32_e32 v13, v13, v103
	v_add_f32_e32 v13, v99, v13
	s_delay_alu instid0(VALU_DEP_1) | instskip(NEXT) | instid1(VALU_DEP_1)
	v_add_f32_e32 v99, v107, v13
	v_mul_f32_e32 v101, v17, v99
	s_delay_alu instid0(VALU_DEP_1) | instskip(NEXT) | instid1(VALU_DEP_1)
	v_dual_sub_f32 v106, v107, v99 :: v_dual_mul_f32 v103, v102, v101
	v_add_f32_e32 v13, v13, v106
	s_delay_alu instid0(VALU_DEP_2) | instskip(NEXT) | instid1(VALU_DEP_1)
	v_fma_f32 v102, v101, v102, -v103
	v_fmac_f32_e32 v102, v101, v100
	s_delay_alu instid0(VALU_DEP_1) | instskip(NEXT) | instid1(VALU_DEP_1)
	v_add_f32_e32 v100, v103, v102
	v_sub_f32_e32 v105, v99, v100
	v_sub_f32_e32 v103, v100, v103
	s_delay_alu instid0(VALU_DEP_2) | instskip(NEXT) | instid1(VALU_DEP_1)
	v_sub_f32_e32 v99, v99, v105
	v_sub_f32_e32 v99, v99, v100
	s_delay_alu instid0(VALU_DEP_1) | instskip(SKIP_1) | instid1(VALU_DEP_1)
	v_dual_sub_f32 v100, v103, v102 :: v_dual_add_f32 v13, v13, v99
	v_add_f32_e32 v99, v104, v101
	v_dual_add_f32 v13, v100, v13 :: v_dual_sub_f32 v100, v99, v104
	s_delay_alu instid0(VALU_DEP_1) | instskip(NEXT) | instid1(VALU_DEP_2)
	v_add_f32_e32 v13, v105, v13
	v_sub_f32_e32 v100, v101, v100
	s_delay_alu instid0(VALU_DEP_2) | instskip(NEXT) | instid1(VALU_DEP_1)
	v_mul_f32_e32 v13, v17, v13
	v_add_f32_e32 v13, v100, v13
	s_delay_alu instid0(VALU_DEP_1) | instskip(NEXT) | instid1(VALU_DEP_1)
	v_add_f32_e32 v17, v99, v13
	v_mul_f32_e32 v100, v17, v17
	s_delay_alu instid0(VALU_DEP_1) | instskip(SKIP_1) | instid1(VALU_DEP_2)
	v_fmaak_f32 v101, s84, v100, 0x3ecc95a3
	v_mul_f32_e32 v102, v17, v100
	v_fmaak_f32 v100, v100, v101, 0x3f2aaada
	v_ldexp_f32 v101, v17, 1
	s_delay_alu instid0(VALU_DEP_2) | instskip(NEXT) | instid1(VALU_DEP_1)
	v_dual_sub_f32 v17, v17, v99 :: v_dual_mul_f32 v100, v102, v100
	v_dual_mul_f32 v102, 0x3f317218, v12 :: v_dual_sub_f32 v13, v13, v17
	s_delay_alu instid0(VALU_DEP_2) | instskip(NEXT) | instid1(VALU_DEP_2)
	v_add_f32_e32 v99, v101, v100
	v_ldexp_f32 v13, v13, 1
	s_delay_alu instid0(VALU_DEP_2) | instskip(NEXT) | instid1(VALU_DEP_4)
	v_sub_f32_e32 v17, v99, v101
	v_fma_f32 v101, 0x3f317218, v12, -v102
	s_delay_alu instid0(VALU_DEP_2) | instskip(NEXT) | instid1(VALU_DEP_1)
	v_sub_f32_e32 v17, v100, v17
	v_dual_fmac_f32 v101, 0xb102e308, v12 :: v_dual_add_f32 v12, v13, v17
	s_delay_alu instid0(VALU_DEP_1) | instskip(NEXT) | instid1(VALU_DEP_1)
	v_add_f32_e32 v13, v102, v101
	v_dual_add_f32 v17, v99, v12 :: v_dual_sub_f32 v102, v13, v102
	s_delay_alu instid0(VALU_DEP_1) | instskip(SKIP_1) | instid1(VALU_DEP_3)
	v_add_f32_e32 v100, v13, v17
	v_sub_f32_e32 v99, v17, v99
	v_sub_f32_e32 v101, v101, v102
	s_delay_alu instid0(VALU_DEP_3) | instskip(NEXT) | instid1(VALU_DEP_3)
	v_sub_f32_e32 v103, v100, v13
	v_sub_f32_e32 v12, v12, v99
	s_delay_alu instid0(VALU_DEP_2) | instskip(SKIP_1) | instid1(VALU_DEP_3)
	v_sub_f32_e32 v104, v100, v103
	v_sub_f32_e32 v17, v17, v103
	v_add_f32_e32 v99, v101, v12
	s_delay_alu instid0(VALU_DEP_3) | instskip(NEXT) | instid1(VALU_DEP_1)
	v_sub_f32_e32 v13, v13, v104
	v_add_f32_e32 v13, v17, v13
	s_delay_alu instid0(VALU_DEP_3) | instskip(NEXT) | instid1(VALU_DEP_2)
	v_sub_f32_e32 v17, v99, v101
	v_add_f32_e32 v13, v99, v13
	s_delay_alu instid0(VALU_DEP_2) | instskip(SKIP_1) | instid1(VALU_DEP_2)
	v_sub_f32_e32 v99, v99, v17
	v_sub_f32_e32 v12, v12, v17
	v_dual_add_f32 v102, v100, v13 :: v_dual_sub_f32 v99, v101, v99
	s_delay_alu instid0(VALU_DEP_1) | instskip(NEXT) | instid1(VALU_DEP_1)
	v_dual_sub_f32 v17, v102, v100 :: v_dual_add_f32 v12, v12, v99
	v_sub_f32_e32 v13, v13, v17
	s_delay_alu instid0(VALU_DEP_1) | instskip(NEXT) | instid1(VALU_DEP_1)
	v_add_f32_e32 v12, v12, v13
	v_add_f32_e32 v12, v102, v12
	s_delay_alu instid0(VALU_DEP_1)
	v_cndmask_b32_e32 v99, v12, v14, vcc_lo
.LBB120_86:                             ;   in Loop: Header=BB120_12 Depth=1
	s_or_b32 exec_lo, exec_lo, s30
	v_cvt_f32_f16_e32 v12, v15
	s_delay_alu instid0(VALU_DEP_1) | instskip(NEXT) | instid1(VALU_DEP_1)
	v_add_f32_e32 v100, s67, v12
	v_cmp_ge_f32_e32 vcc_lo, 0x41a00000, v100
	s_and_b32 s29, s80, vcc_lo
	s_delay_alu instid0(SALU_CYCLE_1)
	s_and_saveexec_b32 s30, s29
	s_cbranch_execz .LBB120_88
; %bb.87:                               ;   in Loop: Header=BB120_12 Depth=1
	v_mul_f32_e32 v12, 0x3fb8aa3b, v100
	v_cmp_ngt_f32_e32 vcc_lo, 0xc2ce8ed0, v100
	s_delay_alu instid0(VALU_DEP_2) | instskip(SKIP_1) | instid1(VALU_DEP_2)
	v_rndne_f32_e32 v13, v12
	v_fma_f32 v14, 0x3fb8aa3b, v100, -v12
	v_sub_f32_e32 v12, v12, v13
	s_delay_alu instid0(VALU_DEP_2) | instskip(SKIP_1) | instid1(VALU_DEP_2)
	v_fmac_f32_e32 v14, 0x32a5705f, v100
	v_cvt_i32_f32_e32 v13, v13
	v_add_f32_e32 v12, v12, v14
	s_delay_alu instid0(VALU_DEP_1) | instskip(SKIP_2) | instid1(VALU_DEP_1)
	v_exp_f32_e32 v12, v12
	s_waitcnt_depctr 0xfff
	v_ldexp_f32 v12, v12, v13
	v_cndmask_b32_e32 v12, 0, v12, vcc_lo
	v_cmp_nlt_f32_e32 vcc_lo, 0x42b17218, v100
	s_delay_alu instid0(VALU_DEP_2) | instskip(NEXT) | instid1(VALU_DEP_1)
	v_cndmask_b32_e32 v14, 0x7f800000, v12, vcc_lo
	v_add_f32_e32 v17, 1.0, v14
	s_delay_alu instid0(VALU_DEP_1) | instskip(NEXT) | instid1(VALU_DEP_1)
	v_cvt_f64_f32_e32 v[12:13], v17
	v_frexp_exp_i32_f64_e32 v12, v[12:13]
	v_frexp_mant_f32_e32 v13, v17
	s_delay_alu instid0(VALU_DEP_1) | instskip(SKIP_1) | instid1(VALU_DEP_1)
	v_cmp_gt_f32_e32 vcc_lo, 0x3f2aaaab, v13
	v_add_f32_e32 v13, -1.0, v17
	v_sub_f32_e32 v101, v13, v17
	s_delay_alu instid0(VALU_DEP_1) | instskip(SKIP_2) | instid1(VALU_DEP_2)
	v_add_f32_e32 v101, 1.0, v101
	v_sub_f32_e32 v13, v14, v13
	v_cmp_gt_f32_e64 s29, 0x33800000, v14
	v_add_f32_e32 v13, v13, v101
	v_subrev_co_ci_u32_e32 v12, vcc_lo, 0, v12, vcc_lo
	v_cmp_eq_f32_e32 vcc_lo, 0x7f800000, v14
	s_delay_alu instid0(VALU_DEP_2) | instskip(SKIP_2) | instid1(VALU_DEP_2)
	v_sub_nc_u32_e32 v100, 0, v12
	v_cvt_f32_i32_e32 v12, v12
	s_or_b32 vcc_lo, s29, vcc_lo
	v_ldexp_f32 v17, v17, v100
	v_ldexp_f32 v13, v13, v100
	s_delay_alu instid0(VALU_DEP_2) | instskip(NEXT) | instid1(VALU_DEP_1)
	v_add_f32_e32 v100, -1.0, v17
	v_dual_add_f32 v102, 1.0, v17 :: v_dual_add_f32 v103, 1.0, v100
	s_delay_alu instid0(VALU_DEP_1) | instskip(NEXT) | instid1(VALU_DEP_1)
	v_add_f32_e32 v101, -1.0, v102
	v_sub_f32_e32 v101, v17, v101
	s_delay_alu instid0(VALU_DEP_3) | instskip(NEXT) | instid1(VALU_DEP_2)
	v_sub_f32_e32 v17, v17, v103
	v_add_f32_e32 v101, v13, v101
	s_delay_alu instid0(VALU_DEP_2) | instskip(NEXT) | instid1(VALU_DEP_1)
	v_add_f32_e32 v13, v13, v17
	v_add_f32_e32 v104, v100, v13
	s_delay_alu instid0(VALU_DEP_1) | instskip(NEXT) | instid1(VALU_DEP_1)
	v_dual_sub_f32 v100, v100, v104 :: v_dual_add_f32 v103, v102, v101
	v_add_f32_e32 v13, v13, v100
	s_delay_alu instid0(VALU_DEP_2) | instskip(SKIP_1) | instid1(VALU_DEP_1)
	v_rcp_f32_e32 v17, v103
	v_sub_f32_e32 v102, v102, v103
	v_add_f32_e32 v101, v101, v102
	s_waitcnt_depctr 0xfff
	v_mul_f32_e32 v105, v104, v17
	s_delay_alu instid0(VALU_DEP_1) | instskip(NEXT) | instid1(VALU_DEP_1)
	v_mul_f32_e32 v106, v103, v105
	v_fma_f32 v102, v105, v103, -v106
	s_delay_alu instid0(VALU_DEP_1) | instskip(NEXT) | instid1(VALU_DEP_1)
	v_fmac_f32_e32 v102, v105, v101
	v_add_f32_e32 v107, v106, v102
	s_delay_alu instid0(VALU_DEP_1) | instskip(SKIP_1) | instid1(VALU_DEP_2)
	v_sub_f32_e32 v108, v104, v107
	v_sub_f32_e32 v100, v107, v106
	v_sub_f32_e32 v104, v104, v108
	s_delay_alu instid0(VALU_DEP_1) | instskip(NEXT) | instid1(VALU_DEP_1)
	v_sub_f32_e32 v104, v104, v107
	v_dual_sub_f32 v100, v100, v102 :: v_dual_add_f32 v13, v13, v104
	s_delay_alu instid0(VALU_DEP_1) | instskip(NEXT) | instid1(VALU_DEP_1)
	v_add_f32_e32 v13, v100, v13
	v_add_f32_e32 v100, v108, v13
	s_delay_alu instid0(VALU_DEP_1) | instskip(NEXT) | instid1(VALU_DEP_1)
	v_mul_f32_e32 v102, v17, v100
	v_dual_sub_f32 v107, v108, v100 :: v_dual_mul_f32 v104, v103, v102
	s_delay_alu instid0(VALU_DEP_1) | instskip(NEXT) | instid1(VALU_DEP_2)
	v_add_f32_e32 v13, v13, v107
	v_fma_f32 v103, v102, v103, -v104
	s_delay_alu instid0(VALU_DEP_1) | instskip(NEXT) | instid1(VALU_DEP_1)
	v_fmac_f32_e32 v103, v102, v101
	v_add_f32_e32 v101, v104, v103
	s_delay_alu instid0(VALU_DEP_1) | instskip(NEXT) | instid1(VALU_DEP_1)
	v_sub_f32_e32 v106, v100, v101
	v_sub_f32_e32 v100, v100, v106
	s_delay_alu instid0(VALU_DEP_1) | instskip(NEXT) | instid1(VALU_DEP_1)
	v_sub_f32_e32 v100, v100, v101
	v_add_f32_e32 v13, v13, v100
	v_add_f32_e32 v100, v105, v102
	v_sub_f32_e32 v104, v101, v104
	s_delay_alu instid0(VALU_DEP_1) | instskip(NEXT) | instid1(VALU_DEP_1)
	v_sub_f32_e32 v101, v104, v103
	v_add_f32_e32 v13, v101, v13
	s_delay_alu instid0(VALU_DEP_4) | instskip(NEXT) | instid1(VALU_DEP_2)
	v_sub_f32_e32 v101, v100, v105
	v_add_f32_e32 v13, v106, v13
	s_delay_alu instid0(VALU_DEP_2) | instskip(NEXT) | instid1(VALU_DEP_2)
	v_sub_f32_e32 v101, v102, v101
	v_mul_f32_e32 v13, v17, v13
	s_delay_alu instid0(VALU_DEP_1) | instskip(NEXT) | instid1(VALU_DEP_1)
	v_add_f32_e32 v13, v101, v13
	v_add_f32_e32 v17, v100, v13
	s_delay_alu instid0(VALU_DEP_1) | instskip(NEXT) | instid1(VALU_DEP_1)
	v_mul_f32_e32 v101, v17, v17
	v_fmaak_f32 v102, s84, v101, 0x3ecc95a3
	v_mul_f32_e32 v103, v17, v101
	s_delay_alu instid0(VALU_DEP_2) | instskip(SKIP_1) | instid1(VALU_DEP_2)
	v_fmaak_f32 v101, v101, v102, 0x3f2aaada
	v_ldexp_f32 v102, v17, 1
	v_mul_f32_e32 v101, v103, v101
	s_delay_alu instid0(VALU_DEP_1) | instskip(NEXT) | instid1(VALU_DEP_1)
	v_dual_sub_f32 v17, v17, v100 :: v_dual_add_f32 v100, v102, v101
	v_sub_f32_e32 v13, v13, v17
	s_delay_alu instid0(VALU_DEP_2) | instskip(NEXT) | instid1(VALU_DEP_2)
	v_sub_f32_e32 v17, v100, v102
	v_ldexp_f32 v13, v13, 1
	s_delay_alu instid0(VALU_DEP_2) | instskip(SKIP_1) | instid1(VALU_DEP_1)
	v_sub_f32_e32 v17, v101, v17
	v_mul_f32_e32 v103, 0x3f317218, v12
	v_fma_f32 v102, 0x3f317218, v12, -v103
	s_delay_alu instid0(VALU_DEP_1) | instskip(NEXT) | instid1(VALU_DEP_1)
	v_fmac_f32_e32 v102, 0xb102e308, v12
	v_dual_add_f32 v12, v13, v17 :: v_dual_add_f32 v13, v103, v102
	s_delay_alu instid0(VALU_DEP_1) | instskip(NEXT) | instid1(VALU_DEP_1)
	v_add_f32_e32 v17, v100, v12
	v_add_f32_e32 v101, v13, v17
	v_sub_f32_e32 v100, v17, v100
	s_delay_alu instid0(VALU_DEP_2) | instskip(NEXT) | instid1(VALU_DEP_2)
	v_sub_f32_e32 v104, v101, v13
	v_dual_sub_f32 v12, v12, v100 :: v_dual_sub_f32 v103, v13, v103
	s_delay_alu instid0(VALU_DEP_2) | instskip(NEXT) | instid1(VALU_DEP_2)
	v_sub_f32_e32 v105, v101, v104
	v_dual_sub_f32 v17, v17, v104 :: v_dual_sub_f32 v102, v102, v103
	s_delay_alu instid0(VALU_DEP_1) | instskip(NEXT) | instid1(VALU_DEP_1)
	v_dual_sub_f32 v13, v13, v105 :: v_dual_add_f32 v100, v102, v12
	v_add_f32_e32 v13, v17, v13
	s_delay_alu instid0(VALU_DEP_2) | instskip(NEXT) | instid1(VALU_DEP_2)
	v_sub_f32_e32 v17, v100, v102
	v_add_f32_e32 v13, v100, v13
	s_delay_alu instid0(VALU_DEP_2) | instskip(SKIP_1) | instid1(VALU_DEP_2)
	v_sub_f32_e32 v100, v100, v17
	v_sub_f32_e32 v12, v12, v17
	v_dual_add_f32 v103, v101, v13 :: v_dual_sub_f32 v100, v102, v100
	s_delay_alu instid0(VALU_DEP_1) | instskip(NEXT) | instid1(VALU_DEP_1)
	v_dual_sub_f32 v17, v103, v101 :: v_dual_add_f32 v12, v12, v100
	v_sub_f32_e32 v13, v13, v17
	s_delay_alu instid0(VALU_DEP_1) | instskip(NEXT) | instid1(VALU_DEP_1)
	v_add_f32_e32 v12, v12, v13
	v_add_f32_e32 v12, v103, v12
	s_delay_alu instid0(VALU_DEP_1)
	v_cndmask_b32_e32 v100, v12, v14, vcc_lo
.LBB120_88:                             ;   in Loop: Header=BB120_12 Depth=1
	s_or_b32 exec_lo, exec_lo, s30
	v_lshrrev_b32_e32 v12, 16, v15
	s_delay_alu instid0(VALU_DEP_1) | instskip(NEXT) | instid1(VALU_DEP_1)
	v_cvt_f32_f16_e32 v12, v12
	v_add_f32_e32 v101, s67, v12
	s_delay_alu instid0(VALU_DEP_1) | instskip(SKIP_1) | instid1(SALU_CYCLE_1)
	v_cmp_ge_f32_e32 vcc_lo, 0x41a00000, v101
	s_and_b32 s29, s80, vcc_lo
	s_and_saveexec_b32 s30, s29
	s_cbranch_execz .LBB120_90
; %bb.89:                               ;   in Loop: Header=BB120_12 Depth=1
	v_mul_f32_e32 v12, 0x3fb8aa3b, v101
	v_cmp_ngt_f32_e32 vcc_lo, 0xc2ce8ed0, v101
	s_delay_alu instid0(VALU_DEP_2) | instskip(SKIP_1) | instid1(VALU_DEP_2)
	v_rndne_f32_e32 v13, v12
	v_fma_f32 v14, 0x3fb8aa3b, v101, -v12
	v_sub_f32_e32 v12, v12, v13
	s_delay_alu instid0(VALU_DEP_2) | instskip(SKIP_1) | instid1(VALU_DEP_2)
	v_fmac_f32_e32 v14, 0x32a5705f, v101
	v_cvt_i32_f32_e32 v13, v13
	v_add_f32_e32 v12, v12, v14
	s_delay_alu instid0(VALU_DEP_1) | instskip(SKIP_2) | instid1(VALU_DEP_1)
	v_exp_f32_e32 v12, v12
	s_waitcnt_depctr 0xfff
	v_ldexp_f32 v12, v12, v13
	v_cndmask_b32_e32 v12, 0, v12, vcc_lo
	v_cmp_nlt_f32_e32 vcc_lo, 0x42b17218, v101
	s_delay_alu instid0(VALU_DEP_2) | instskip(NEXT) | instid1(VALU_DEP_1)
	v_cndmask_b32_e32 v14, 0x7f800000, v12, vcc_lo
	v_add_f32_e32 v15, 1.0, v14
	s_delay_alu instid0(VALU_DEP_1) | instskip(NEXT) | instid1(VALU_DEP_1)
	v_cvt_f64_f32_e32 v[12:13], v15
	v_frexp_exp_i32_f64_e32 v12, v[12:13]
	v_frexp_mant_f32_e32 v13, v15
	s_delay_alu instid0(VALU_DEP_1) | instskip(SKIP_1) | instid1(VALU_DEP_1)
	v_cmp_gt_f32_e32 vcc_lo, 0x3f2aaaab, v13
	v_add_f32_e32 v13, -1.0, v15
	v_sub_f32_e32 v101, v13, v15
	v_sub_f32_e32 v13, v14, v13
	s_delay_alu instid0(VALU_DEP_2) | instskip(NEXT) | instid1(VALU_DEP_1)
	v_add_f32_e32 v101, 1.0, v101
	v_add_f32_e32 v13, v13, v101
	v_cmp_gt_f32_e64 s29, 0x33800000, v14
	v_subrev_co_ci_u32_e32 v12, vcc_lo, 0, v12, vcc_lo
	v_cmp_eq_f32_e32 vcc_lo, 0x7f800000, v14
	s_delay_alu instid0(VALU_DEP_2) | instskip(SKIP_2) | instid1(VALU_DEP_2)
	v_sub_nc_u32_e32 v17, 0, v12
	v_cvt_f32_i32_e32 v12, v12
	s_or_b32 vcc_lo, s29, vcc_lo
	v_ldexp_f32 v15, v15, v17
	v_ldexp_f32 v13, v13, v17
	s_delay_alu instid0(VALU_DEP_2) | instskip(SKIP_1) | instid1(VALU_DEP_2)
	v_add_f32_e32 v102, 1.0, v15
	v_add_f32_e32 v17, -1.0, v15
	v_add_f32_e32 v101, -1.0, v102
	s_delay_alu instid0(VALU_DEP_2) | instskip(NEXT) | instid1(VALU_DEP_2)
	v_add_f32_e32 v103, 1.0, v17
	v_sub_f32_e32 v101, v15, v101
	s_delay_alu instid0(VALU_DEP_2) | instskip(NEXT) | instid1(VALU_DEP_2)
	v_sub_f32_e32 v15, v15, v103
	v_add_f32_e32 v101, v13, v101
	s_delay_alu instid0(VALU_DEP_2) | instskip(NEXT) | instid1(VALU_DEP_1)
	v_add_f32_e32 v13, v13, v15
	v_add_f32_e32 v104, v17, v13
	s_delay_alu instid0(VALU_DEP_3) | instskip(NEXT) | instid1(VALU_DEP_1)
	v_add_f32_e32 v103, v102, v101
	v_rcp_f32_e32 v15, v103
	v_sub_f32_e32 v102, v102, v103
	s_delay_alu instid0(VALU_DEP_1) | instskip(SKIP_2) | instid1(VALU_DEP_1)
	v_add_f32_e32 v101, v101, v102
	s_waitcnt_depctr 0xfff
	v_mul_f32_e32 v105, v104, v15
	v_dual_mul_f32 v106, v103, v105 :: v_dual_sub_f32 v17, v17, v104
	s_delay_alu instid0(VALU_DEP_1) | instskip(NEXT) | instid1(VALU_DEP_2)
	v_fma_f32 v102, v105, v103, -v106
	v_add_f32_e32 v13, v13, v17
	s_delay_alu instid0(VALU_DEP_2) | instskip(NEXT) | instid1(VALU_DEP_1)
	v_fmac_f32_e32 v102, v105, v101
	v_add_f32_e32 v107, v106, v102
	s_delay_alu instid0(VALU_DEP_1) | instskip(NEXT) | instid1(VALU_DEP_1)
	v_dual_sub_f32 v108, v104, v107 :: v_dual_sub_f32 v17, v107, v106
	v_dual_sub_f32 v104, v104, v108 :: v_dual_sub_f32 v17, v17, v102
	s_delay_alu instid0(VALU_DEP_1) | instskip(NEXT) | instid1(VALU_DEP_1)
	v_sub_f32_e32 v104, v104, v107
	v_add_f32_e32 v13, v13, v104
	s_delay_alu instid0(VALU_DEP_1) | instskip(NEXT) | instid1(VALU_DEP_1)
	v_add_f32_e32 v13, v17, v13
	v_add_f32_e32 v17, v108, v13
	s_delay_alu instid0(VALU_DEP_1) | instskip(NEXT) | instid1(VALU_DEP_1)
	v_mul_f32_e32 v102, v15, v17
	v_dual_sub_f32 v107, v108, v17 :: v_dual_mul_f32 v104, v103, v102
	s_delay_alu instid0(VALU_DEP_1) | instskip(NEXT) | instid1(VALU_DEP_2)
	v_add_f32_e32 v13, v13, v107
	v_fma_f32 v103, v102, v103, -v104
	s_delay_alu instid0(VALU_DEP_1) | instskip(NEXT) | instid1(VALU_DEP_1)
	v_fmac_f32_e32 v103, v102, v101
	v_add_f32_e32 v101, v104, v103
	s_delay_alu instid0(VALU_DEP_1) | instskip(SKIP_1) | instid1(VALU_DEP_2)
	v_sub_f32_e32 v106, v17, v101
	v_sub_f32_e32 v104, v101, v104
	;; [unrolled: 1-line block ×3, first 2 shown]
	s_delay_alu instid0(VALU_DEP_1) | instskip(NEXT) | instid1(VALU_DEP_3)
	v_sub_f32_e32 v17, v17, v101
	v_sub_f32_e32 v101, v104, v103
	s_delay_alu instid0(VALU_DEP_2) | instskip(SKIP_1) | instid1(VALU_DEP_2)
	v_add_f32_e32 v13, v13, v17
	v_add_f32_e32 v17, v105, v102
	;; [unrolled: 1-line block ×3, first 2 shown]
	s_delay_alu instid0(VALU_DEP_2) | instskip(NEXT) | instid1(VALU_DEP_2)
	v_sub_f32_e32 v101, v17, v105
	v_add_f32_e32 v13, v106, v13
	s_delay_alu instid0(VALU_DEP_2) | instskip(NEXT) | instid1(VALU_DEP_2)
	v_sub_f32_e32 v101, v102, v101
	v_mul_f32_e32 v13, v15, v13
	s_delay_alu instid0(VALU_DEP_1) | instskip(NEXT) | instid1(VALU_DEP_1)
	v_add_f32_e32 v13, v101, v13
	v_add_f32_e32 v15, v17, v13
	s_delay_alu instid0(VALU_DEP_1) | instskip(NEXT) | instid1(VALU_DEP_1)
	v_mul_f32_e32 v101, v15, v15
	v_fmaak_f32 v102, s84, v101, 0x3ecc95a3
	v_mul_f32_e32 v103, v15, v101
	s_delay_alu instid0(VALU_DEP_2) | instskip(SKIP_2) | instid1(VALU_DEP_3)
	v_fmaak_f32 v101, v101, v102, 0x3f2aaada
	v_ldexp_f32 v102, v15, 1
	v_sub_f32_e32 v15, v15, v17
	v_mul_f32_e32 v101, v103, v101
	v_mul_f32_e32 v103, 0x3f317218, v12
	s_delay_alu instid0(VALU_DEP_3) | instskip(NEXT) | instid1(VALU_DEP_3)
	v_sub_f32_e32 v13, v13, v15
	v_add_f32_e32 v17, v102, v101
	s_delay_alu instid0(VALU_DEP_2) | instskip(NEXT) | instid1(VALU_DEP_2)
	v_ldexp_f32 v13, v13, 1
	v_sub_f32_e32 v15, v17, v102
	v_fma_f32 v102, 0x3f317218, v12, -v103
	s_delay_alu instid0(VALU_DEP_1) | instskip(NEXT) | instid1(VALU_DEP_1)
	v_dual_sub_f32 v15, v101, v15 :: v_dual_fmac_f32 v102, 0xb102e308, v12
	v_dual_add_f32 v12, v13, v15 :: v_dual_add_f32 v13, v103, v102
	s_delay_alu instid0(VALU_DEP_1) | instskip(NEXT) | instid1(VALU_DEP_1)
	v_add_f32_e32 v15, v17, v12
	v_add_f32_e32 v101, v13, v15
	v_sub_f32_e32 v17, v15, v17
	s_delay_alu instid0(VALU_DEP_2) | instskip(NEXT) | instid1(VALU_DEP_2)
	v_sub_f32_e32 v104, v101, v13
	v_dual_sub_f32 v103, v13, v103 :: v_dual_sub_f32 v12, v12, v17
	s_delay_alu instid0(VALU_DEP_1) | instskip(SKIP_1) | instid1(VALU_DEP_2)
	v_dual_sub_f32 v105, v101, v104 :: v_dual_sub_f32 v102, v102, v103
	v_sub_f32_e32 v15, v15, v104
	v_sub_f32_e32 v13, v13, v105
	s_delay_alu instid0(VALU_DEP_3) | instskip(NEXT) | instid1(VALU_DEP_2)
	v_add_f32_e32 v17, v102, v12
	v_add_f32_e32 v13, v15, v13
	s_delay_alu instid0(VALU_DEP_2) | instskip(NEXT) | instid1(VALU_DEP_2)
	v_sub_f32_e32 v15, v17, v102
	v_add_f32_e32 v13, v17, v13
	s_delay_alu instid0(VALU_DEP_2) | instskip(NEXT) | instid1(VALU_DEP_2)
	v_sub_f32_e32 v17, v17, v15
	v_dual_sub_f32 v12, v12, v15 :: v_dual_add_f32 v103, v101, v13
	s_delay_alu instid0(VALU_DEP_2) | instskip(NEXT) | instid1(VALU_DEP_2)
	v_sub_f32_e32 v17, v102, v17
	v_sub_f32_e32 v15, v103, v101
	s_delay_alu instid0(VALU_DEP_1) | instskip(NEXT) | instid1(VALU_DEP_1)
	v_dual_add_f32 v12, v12, v17 :: v_dual_sub_f32 v13, v13, v15
	v_add_f32_e32 v12, v12, v13
	s_delay_alu instid0(VALU_DEP_1) | instskip(NEXT) | instid1(VALU_DEP_1)
	v_add_f32_e32 v12, v103, v12
	v_cndmask_b32_e32 v101, v12, v14, vcc_lo
.LBB120_90:                             ;   in Loop: Header=BB120_12 Depth=1
	s_or_b32 exec_lo, exec_lo, s30
	s_waitcnt lgkmcnt(0)
	v_cvt_f32_f16_e32 v12, v8
	s_delay_alu instid0(VALU_DEP_1) | instskip(NEXT) | instid1(VALU_DEP_1)
	v_add_f32_e32 v104, s67, v12
	v_cmp_ge_f32_e32 vcc_lo, 0x41a00000, v104
	s_and_b32 s29, s80, vcc_lo
	s_delay_alu instid0(SALU_CYCLE_1)
	s_and_saveexec_b32 s30, s29
	s_cbranch_execz .LBB120_92
; %bb.91:                               ;   in Loop: Header=BB120_12 Depth=1
	v_mul_f32_e32 v12, 0x3fb8aa3b, v104
	v_cmp_ngt_f32_e32 vcc_lo, 0xc2ce8ed0, v104
	s_delay_alu instid0(VALU_DEP_2) | instskip(SKIP_1) | instid1(VALU_DEP_2)
	v_rndne_f32_e32 v13, v12
	v_fma_f32 v14, 0x3fb8aa3b, v104, -v12
	v_sub_f32_e32 v12, v12, v13
	s_delay_alu instid0(VALU_DEP_2) | instskip(SKIP_1) | instid1(VALU_DEP_2)
	v_fmac_f32_e32 v14, 0x32a5705f, v104
	v_cvt_i32_f32_e32 v13, v13
	v_add_f32_e32 v12, v12, v14
	s_delay_alu instid0(VALU_DEP_1) | instskip(SKIP_2) | instid1(VALU_DEP_1)
	v_exp_f32_e32 v12, v12
	s_waitcnt_depctr 0xfff
	v_ldexp_f32 v12, v12, v13
	v_cndmask_b32_e32 v12, 0, v12, vcc_lo
	v_cmp_nlt_f32_e32 vcc_lo, 0x42b17218, v104
	s_delay_alu instid0(VALU_DEP_2) | instskip(NEXT) | instid1(VALU_DEP_1)
	v_cndmask_b32_e32 v14, 0x7f800000, v12, vcc_lo
	v_add_f32_e32 v15, 1.0, v14
	s_delay_alu instid0(VALU_DEP_1) | instskip(NEXT) | instid1(VALU_DEP_1)
	v_cvt_f64_f32_e32 v[12:13], v15
	v_frexp_exp_i32_f64_e32 v12, v[12:13]
	v_frexp_mant_f32_e32 v13, v15
	s_delay_alu instid0(VALU_DEP_1) | instskip(SKIP_1) | instid1(VALU_DEP_1)
	v_cmp_gt_f32_e32 vcc_lo, 0x3f2aaaab, v13
	v_add_f32_e32 v13, -1.0, v15
	v_dual_sub_f32 v102, v13, v15 :: v_dual_sub_f32 v13, v14, v13
	s_delay_alu instid0(VALU_DEP_1) | instskip(NEXT) | instid1(VALU_DEP_1)
	v_add_f32_e32 v102, 1.0, v102
	v_add_f32_e32 v13, v13, v102
	v_subrev_co_ci_u32_e32 v12, vcc_lo, 0, v12, vcc_lo
	s_delay_alu instid0(VALU_DEP_1) | instskip(SKIP_1) | instid1(VALU_DEP_2)
	v_sub_nc_u32_e32 v17, 0, v12
	v_cvt_f32_i32_e32 v12, v12
	v_ldexp_f32 v15, v15, v17
	v_ldexp_f32 v13, v13, v17
	s_delay_alu instid0(VALU_DEP_2) | instskip(SKIP_3) | instid1(VALU_DEP_4)
	v_add_f32_e32 v103, 1.0, v15
	v_add_f32_e32 v17, -1.0, v15
	v_cmp_eq_f32_e32 vcc_lo, 0x7f800000, v14
	v_cmp_gt_f32_e64 s29, 0x33800000, v14
	v_add_f32_e32 v102, -1.0, v103
	s_delay_alu instid0(VALU_DEP_4) | instskip(NEXT) | instid1(VALU_DEP_3)
	v_add_f32_e32 v104, 1.0, v17
	s_or_b32 vcc_lo, s29, vcc_lo
	s_delay_alu instid0(VALU_DEP_2) | instskip(NEXT) | instid1(VALU_DEP_1)
	v_sub_f32_e32 v102, v15, v102
	v_dual_sub_f32 v15, v15, v104 :: v_dual_add_f32 v102, v13, v102
	s_delay_alu instid0(VALU_DEP_1) | instskip(NEXT) | instid1(VALU_DEP_1)
	v_add_f32_e32 v13, v13, v15
	v_dual_add_f32 v105, v17, v13 :: v_dual_add_f32 v104, v103, v102
	s_delay_alu instid0(VALU_DEP_1) | instskip(NEXT) | instid1(VALU_DEP_2)
	v_sub_f32_e32 v17, v17, v105
	v_rcp_f32_e32 v15, v104
	v_sub_f32_e32 v103, v103, v104
	s_delay_alu instid0(VALU_DEP_1) | instskip(SKIP_2) | instid1(VALU_DEP_1)
	v_dual_add_f32 v102, v102, v103 :: v_dual_add_f32 v13, v13, v17
	s_waitcnt_depctr 0xfff
	v_mul_f32_e32 v106, v105, v15
	v_mul_f32_e32 v107, v104, v106
	s_delay_alu instid0(VALU_DEP_1) | instskip(NEXT) | instid1(VALU_DEP_1)
	v_fma_f32 v103, v106, v104, -v107
	v_fmac_f32_e32 v103, v106, v102
	s_delay_alu instid0(VALU_DEP_1) | instskip(NEXT) | instid1(VALU_DEP_1)
	v_add_f32_e32 v108, v107, v103
	v_sub_f32_e32 v109, v105, v108
	s_delay_alu instid0(VALU_DEP_1) | instskip(SKIP_1) | instid1(VALU_DEP_2)
	v_sub_f32_e32 v105, v105, v109
	v_sub_f32_e32 v17, v108, v107
	;; [unrolled: 1-line block ×3, first 2 shown]
	s_delay_alu instid0(VALU_DEP_2) | instskip(NEXT) | instid1(VALU_DEP_2)
	v_sub_f32_e32 v17, v17, v103
	v_add_f32_e32 v13, v13, v105
	s_delay_alu instid0(VALU_DEP_1) | instskip(NEXT) | instid1(VALU_DEP_1)
	v_add_f32_e32 v13, v17, v13
	v_add_f32_e32 v17, v109, v13
	s_delay_alu instid0(VALU_DEP_1) | instskip(NEXT) | instid1(VALU_DEP_1)
	v_mul_f32_e32 v103, v15, v17
	v_dual_sub_f32 v108, v109, v17 :: v_dual_mul_f32 v105, v104, v103
	s_delay_alu instid0(VALU_DEP_1) | instskip(NEXT) | instid1(VALU_DEP_2)
	v_add_f32_e32 v13, v13, v108
	v_fma_f32 v104, v103, v104, -v105
	s_delay_alu instid0(VALU_DEP_1) | instskip(NEXT) | instid1(VALU_DEP_1)
	v_fmac_f32_e32 v104, v103, v102
	v_add_f32_e32 v102, v105, v104
	s_delay_alu instid0(VALU_DEP_1) | instskip(NEXT) | instid1(VALU_DEP_1)
	v_sub_f32_e32 v107, v17, v102
	v_sub_f32_e32 v17, v17, v107
	s_delay_alu instid0(VALU_DEP_1) | instskip(NEXT) | instid1(VALU_DEP_1)
	v_sub_f32_e32 v17, v17, v102
	v_add_f32_e32 v13, v13, v17
	v_add_f32_e32 v17, v106, v103
	v_sub_f32_e32 v105, v102, v105
	s_delay_alu instid0(VALU_DEP_1) | instskip(NEXT) | instid1(VALU_DEP_1)
	v_sub_f32_e32 v102, v105, v104
	v_dual_add_f32 v13, v102, v13 :: v_dual_sub_f32 v102, v17, v106
	s_delay_alu instid0(VALU_DEP_1) | instskip(NEXT) | instid1(VALU_DEP_2)
	v_add_f32_e32 v13, v107, v13
	v_sub_f32_e32 v102, v103, v102
	s_delay_alu instid0(VALU_DEP_2) | instskip(NEXT) | instid1(VALU_DEP_1)
	v_mul_f32_e32 v13, v15, v13
	v_add_f32_e32 v13, v102, v13
	s_delay_alu instid0(VALU_DEP_1) | instskip(NEXT) | instid1(VALU_DEP_1)
	v_add_f32_e32 v15, v17, v13
	v_mul_f32_e32 v102, v15, v15
	s_delay_alu instid0(VALU_DEP_1) | instskip(SKIP_1) | instid1(VALU_DEP_2)
	v_fmaak_f32 v103, s84, v102, 0x3ecc95a3
	v_mul_f32_e32 v104, v15, v102
	v_fmaak_f32 v102, v102, v103, 0x3f2aaada
	v_ldexp_f32 v103, v15, 1
	s_delay_alu instid0(VALU_DEP_2) | instskip(NEXT) | instid1(VALU_DEP_1)
	v_dual_sub_f32 v15, v15, v17 :: v_dual_mul_f32 v102, v104, v102
	v_dual_mul_f32 v104, 0x3f317218, v12 :: v_dual_sub_f32 v13, v13, v15
	s_delay_alu instid0(VALU_DEP_2) | instskip(NEXT) | instid1(VALU_DEP_2)
	v_add_f32_e32 v17, v103, v102
	v_ldexp_f32 v13, v13, 1
	s_delay_alu instid0(VALU_DEP_2) | instskip(NEXT) | instid1(VALU_DEP_4)
	v_sub_f32_e32 v15, v17, v103
	v_fma_f32 v103, 0x3f317218, v12, -v104
	s_delay_alu instid0(VALU_DEP_2) | instskip(NEXT) | instid1(VALU_DEP_1)
	v_sub_f32_e32 v15, v102, v15
	v_dual_fmac_f32 v103, 0xb102e308, v12 :: v_dual_add_f32 v12, v13, v15
	s_delay_alu instid0(VALU_DEP_1) | instskip(NEXT) | instid1(VALU_DEP_2)
	v_add_f32_e32 v13, v104, v103
	v_add_f32_e32 v15, v17, v12
	s_delay_alu instid0(VALU_DEP_2) | instskip(NEXT) | instid1(VALU_DEP_2)
	v_sub_f32_e32 v104, v13, v104
	v_dual_add_f32 v102, v13, v15 :: v_dual_sub_f32 v17, v15, v17
	s_delay_alu instid0(VALU_DEP_2) | instskip(NEXT) | instid1(VALU_DEP_2)
	v_sub_f32_e32 v103, v103, v104
	v_sub_f32_e32 v105, v102, v13
	s_delay_alu instid0(VALU_DEP_3) | instskip(NEXT) | instid1(VALU_DEP_2)
	v_sub_f32_e32 v12, v12, v17
	v_sub_f32_e32 v106, v102, v105
	;; [unrolled: 1-line block ×3, first 2 shown]
	s_delay_alu instid0(VALU_DEP_3) | instskip(NEXT) | instid1(VALU_DEP_3)
	v_add_f32_e32 v17, v103, v12
	v_sub_f32_e32 v13, v13, v106
	s_delay_alu instid0(VALU_DEP_1) | instskip(NEXT) | instid1(VALU_DEP_3)
	v_add_f32_e32 v13, v15, v13
	v_sub_f32_e32 v15, v17, v103
	s_delay_alu instid0(VALU_DEP_2) | instskip(NEXT) | instid1(VALU_DEP_2)
	v_add_f32_e32 v13, v17, v13
	v_sub_f32_e32 v17, v17, v15
	v_sub_f32_e32 v12, v12, v15
	s_delay_alu instid0(VALU_DEP_3) | instskip(NEXT) | instid1(VALU_DEP_3)
	v_add_f32_e32 v104, v102, v13
	v_sub_f32_e32 v17, v103, v17
	s_delay_alu instid0(VALU_DEP_2) | instskip(NEXT) | instid1(VALU_DEP_1)
	v_sub_f32_e32 v15, v104, v102
	v_dual_add_f32 v12, v12, v17 :: v_dual_sub_f32 v13, v13, v15
	s_delay_alu instid0(VALU_DEP_1) | instskip(NEXT) | instid1(VALU_DEP_1)
	v_add_f32_e32 v12, v12, v13
	v_add_f32_e32 v12, v104, v12
	s_delay_alu instid0(VALU_DEP_1)
	v_cndmask_b32_e32 v104, v12, v14, vcc_lo
.LBB120_92:                             ;   in Loop: Header=BB120_12 Depth=1
	s_or_b32 exec_lo, exec_lo, s30
	v_lshrrev_b32_e32 v8, 16, v8
	s_delay_alu instid0(VALU_DEP_1) | instskip(NEXT) | instid1(VALU_DEP_1)
	v_cvt_f32_f16_e32 v8, v8
	v_add_f32_e32 v115, s67, v8
	s_delay_alu instid0(VALU_DEP_1) | instskip(SKIP_1) | instid1(SALU_CYCLE_1)
	v_cmp_ge_f32_e32 vcc_lo, 0x41a00000, v115
	s_and_b32 s29, s80, vcc_lo
	s_and_saveexec_b32 s30, s29
	s_cbranch_execz .LBB120_94
; %bb.93:                               ;   in Loop: Header=BB120_12 Depth=1
	v_mul_f32_e32 v8, 0x3fb8aa3b, v115
	v_cmp_ngt_f32_e32 vcc_lo, 0xc2ce8ed0, v115
	s_delay_alu instid0(VALU_DEP_2) | instskip(SKIP_1) | instid1(VALU_DEP_1)
	v_rndne_f32_e32 v12, v8
	v_fma_f32 v13, 0x3fb8aa3b, v115, -v8
	v_dual_sub_f32 v8, v8, v12 :: v_dual_fmac_f32 v13, 0x32a5705f, v115
	v_cvt_i32_f32_e32 v12, v12
	s_delay_alu instid0(VALU_DEP_2) | instskip(NEXT) | instid1(VALU_DEP_1)
	v_add_f32_e32 v8, v8, v13
	v_exp_f32_e32 v8, v8
	s_waitcnt_depctr 0xfff
	v_ldexp_f32 v8, v8, v12
	s_delay_alu instid0(VALU_DEP_1) | instskip(SKIP_1) | instid1(VALU_DEP_2)
	v_cndmask_b32_e32 v8, 0, v8, vcc_lo
	v_cmp_nlt_f32_e32 vcc_lo, 0x42b17218, v115
	v_cndmask_b32_e32 v8, 0x7f800000, v8, vcc_lo
	s_delay_alu instid0(VALU_DEP_1) | instskip(NEXT) | instid1(VALU_DEP_1)
	v_add_f32_e32 v14, 1.0, v8
	v_cvt_f64_f32_e32 v[12:13], v14
	s_delay_alu instid0(VALU_DEP_1) | instskip(SKIP_1) | instid1(VALU_DEP_1)
	v_frexp_exp_i32_f64_e32 v12, v[12:13]
	v_frexp_mant_f32_e32 v13, v14
	v_cmp_gt_f32_e32 vcc_lo, 0x3f2aaaab, v13
	v_add_f32_e32 v13, -1.0, v14
	s_delay_alu instid0(VALU_DEP_1) | instskip(SKIP_1) | instid1(VALU_DEP_2)
	v_sub_f32_e32 v17, v13, v14
	v_sub_f32_e32 v13, v8, v13
	v_add_f32_e32 v17, 1.0, v17
	s_delay_alu instid0(VALU_DEP_1) | instskip(SKIP_3) | instid1(VALU_DEP_2)
	v_add_f32_e32 v13, v13, v17
	v_cmp_gt_f32_e64 s29, 0x33800000, v8
	v_subrev_co_ci_u32_e32 v12, vcc_lo, 0, v12, vcc_lo
	v_cmp_eq_f32_e32 vcc_lo, 0x7f800000, v8
	v_sub_nc_u32_e32 v15, 0, v12
	v_cvt_f32_i32_e32 v12, v12
	s_or_b32 vcc_lo, s29, vcc_lo
	s_delay_alu instid0(VALU_DEP_2) | instskip(SKIP_1) | instid1(VALU_DEP_2)
	v_ldexp_f32 v14, v14, v15
	v_ldexp_f32 v13, v13, v15
	v_add_f32_e32 v102, 1.0, v14
	v_add_f32_e32 v15, -1.0, v14
	s_delay_alu instid0(VALU_DEP_1) | instskip(NEXT) | instid1(VALU_DEP_3)
	v_add_f32_e32 v103, 1.0, v15
	v_add_f32_e32 v17, -1.0, v102
	s_delay_alu instid0(VALU_DEP_1) | instskip(NEXT) | instid1(VALU_DEP_1)
	v_sub_f32_e32 v17, v14, v17
	v_dual_sub_f32 v14, v14, v103 :: v_dual_add_f32 v17, v13, v17
	s_delay_alu instid0(VALU_DEP_1) | instskip(NEXT) | instid1(VALU_DEP_1)
	v_add_f32_e32 v103, v102, v17
	v_sub_f32_e32 v102, v102, v103
	s_delay_alu instid0(VALU_DEP_1) | instskip(NEXT) | instid1(VALU_DEP_4)
	v_add_f32_e32 v17, v17, v102
	v_add_f32_e32 v13, v13, v14
	v_rcp_f32_e32 v14, v103
	s_delay_alu instid0(VALU_DEP_1) | instskip(SKIP_2) | instid1(VALU_DEP_1)
	v_add_f32_e32 v105, v15, v13
	s_waitcnt_depctr 0xfff
	v_dual_sub_f32 v15, v15, v105 :: v_dual_mul_f32 v106, v105, v14
	v_mul_f32_e32 v107, v103, v106
	s_delay_alu instid0(VALU_DEP_1) | instskip(NEXT) | instid1(VALU_DEP_1)
	v_fma_f32 v102, v106, v103, -v107
	v_dual_fmac_f32 v102, v106, v17 :: v_dual_add_f32 v13, v13, v15
	s_delay_alu instid0(VALU_DEP_1) | instskip(NEXT) | instid1(VALU_DEP_1)
	v_add_f32_e32 v108, v107, v102
	v_sub_f32_e32 v109, v105, v108
	v_sub_f32_e32 v15, v108, v107
	s_delay_alu instid0(VALU_DEP_2) | instskip(NEXT) | instid1(VALU_DEP_2)
	v_sub_f32_e32 v105, v105, v109
	v_sub_f32_e32 v15, v15, v102
	s_delay_alu instid0(VALU_DEP_2) | instskip(NEXT) | instid1(VALU_DEP_1)
	v_sub_f32_e32 v105, v105, v108
	v_add_f32_e32 v13, v13, v105
	s_delay_alu instid0(VALU_DEP_1) | instskip(NEXT) | instid1(VALU_DEP_1)
	v_add_f32_e32 v13, v15, v13
	v_add_f32_e32 v15, v109, v13
	s_delay_alu instid0(VALU_DEP_1) | instskip(NEXT) | instid1(VALU_DEP_1)
	v_mul_f32_e32 v102, v14, v15
	v_dual_sub_f32 v108, v109, v15 :: v_dual_mul_f32 v105, v103, v102
	s_delay_alu instid0(VALU_DEP_1) | instskip(NEXT) | instid1(VALU_DEP_2)
	v_add_f32_e32 v13, v13, v108
	v_fma_f32 v103, v102, v103, -v105
	s_delay_alu instid0(VALU_DEP_1) | instskip(NEXT) | instid1(VALU_DEP_1)
	v_fmac_f32_e32 v103, v102, v17
	v_add_f32_e32 v17, v105, v103
	s_delay_alu instid0(VALU_DEP_1) | instskip(SKIP_1) | instid1(VALU_DEP_2)
	v_sub_f32_e32 v107, v15, v17
	v_sub_f32_e32 v105, v17, v105
	;; [unrolled: 1-line block ×3, first 2 shown]
	s_delay_alu instid0(VALU_DEP_1) | instskip(NEXT) | instid1(VALU_DEP_3)
	v_sub_f32_e32 v15, v15, v17
	v_sub_f32_e32 v17, v105, v103
	s_delay_alu instid0(VALU_DEP_2) | instskip(SKIP_1) | instid1(VALU_DEP_2)
	v_add_f32_e32 v13, v13, v15
	v_add_f32_e32 v15, v106, v102
	;; [unrolled: 1-line block ×3, first 2 shown]
	s_delay_alu instid0(VALU_DEP_2) | instskip(NEXT) | instid1(VALU_DEP_2)
	v_sub_f32_e32 v17, v15, v106
	v_add_f32_e32 v13, v107, v13
	s_delay_alu instid0(VALU_DEP_2) | instskip(NEXT) | instid1(VALU_DEP_2)
	v_sub_f32_e32 v17, v102, v17
	v_mul_f32_e32 v13, v14, v13
	s_delay_alu instid0(VALU_DEP_1) | instskip(NEXT) | instid1(VALU_DEP_1)
	v_add_f32_e32 v13, v17, v13
	v_add_f32_e32 v14, v15, v13
	s_delay_alu instid0(VALU_DEP_1) | instskip(NEXT) | instid1(VALU_DEP_1)
	v_mul_f32_e32 v17, v14, v14
	v_fmaak_f32 v102, s84, v17, 0x3ecc95a3
	v_mul_f32_e32 v103, v14, v17
	s_delay_alu instid0(VALU_DEP_2) | instskip(SKIP_1) | instid1(VALU_DEP_2)
	v_fmaak_f32 v17, v17, v102, 0x3f2aaada
	v_ldexp_f32 v102, v14, 1
	v_dual_sub_f32 v14, v14, v15 :: v_dual_mul_f32 v17, v103, v17
	v_mul_f32_e32 v103, 0x3f317218, v12
	s_delay_alu instid0(VALU_DEP_2) | instskip(NEXT) | instid1(VALU_DEP_3)
	v_sub_f32_e32 v13, v13, v14
	v_add_f32_e32 v15, v102, v17
	s_delay_alu instid0(VALU_DEP_2) | instskip(NEXT) | instid1(VALU_DEP_2)
	v_ldexp_f32 v13, v13, 1
	v_sub_f32_e32 v14, v15, v102
	v_fma_f32 v102, 0x3f317218, v12, -v103
	s_delay_alu instid0(VALU_DEP_2) | instskip(NEXT) | instid1(VALU_DEP_2)
	v_sub_f32_e32 v14, v17, v14
	v_fmac_f32_e32 v102, 0xb102e308, v12
	s_delay_alu instid0(VALU_DEP_2) | instskip(NEXT) | instid1(VALU_DEP_2)
	v_add_f32_e32 v12, v13, v14
	v_add_f32_e32 v13, v103, v102
	s_delay_alu instid0(VALU_DEP_1) | instskip(NEXT) | instid1(VALU_DEP_1)
	v_dual_add_f32 v14, v15, v12 :: v_dual_sub_f32 v103, v13, v103
	v_add_f32_e32 v17, v13, v14
	v_sub_f32_e32 v15, v14, v15
	s_delay_alu instid0(VALU_DEP_2) | instskip(NEXT) | instid1(VALU_DEP_2)
	v_dual_sub_f32 v102, v102, v103 :: v_dual_sub_f32 v105, v17, v13
	v_sub_f32_e32 v12, v12, v15
	s_delay_alu instid0(VALU_DEP_2) | instskip(SKIP_1) | instid1(VALU_DEP_3)
	v_sub_f32_e32 v106, v17, v105
	v_sub_f32_e32 v14, v14, v105
	v_add_f32_e32 v15, v102, v12
	s_delay_alu instid0(VALU_DEP_3) | instskip(NEXT) | instid1(VALU_DEP_1)
	v_sub_f32_e32 v13, v13, v106
	v_dual_add_f32 v13, v14, v13 :: v_dual_sub_f32 v14, v15, v102
	s_delay_alu instid0(VALU_DEP_1) | instskip(NEXT) | instid1(VALU_DEP_2)
	v_add_f32_e32 v13, v15, v13
	v_sub_f32_e32 v15, v15, v14
	s_delay_alu instid0(VALU_DEP_2) | instskip(NEXT) | instid1(VALU_DEP_1)
	v_dual_sub_f32 v12, v12, v14 :: v_dual_add_f32 v103, v17, v13
	v_dual_sub_f32 v15, v102, v15 :: v_dual_sub_f32 v14, v103, v17
	s_delay_alu instid0(VALU_DEP_1) | instskip(NEXT) | instid1(VALU_DEP_1)
	v_dual_add_f32 v12, v12, v15 :: v_dual_sub_f32 v13, v13, v14
	v_add_f32_e32 v12, v12, v13
	s_delay_alu instid0(VALU_DEP_1) | instskip(NEXT) | instid1(VALU_DEP_1)
	v_add_f32_e32 v12, v103, v12
	v_cndmask_b32_e32 v115, v12, v8, vcc_lo
.LBB120_94:                             ;   in Loop: Header=BB120_12 Depth=1
	s_or_b32 exec_lo, exec_lo, s30
	v_cvt_f32_f16_e32 v8, v9
	s_delay_alu instid0(VALU_DEP_1) | instskip(NEXT) | instid1(VALU_DEP_1)
	v_add_f32_e32 v118, s67, v8
	v_cmp_ge_f32_e32 vcc_lo, 0x41a00000, v118
	s_and_b32 s29, s80, vcc_lo
	s_delay_alu instid0(SALU_CYCLE_1)
	s_and_saveexec_b32 s30, s29
	s_cbranch_execz .LBB120_96
; %bb.95:                               ;   in Loop: Header=BB120_12 Depth=1
	v_mul_f32_e32 v8, 0x3fb8aa3b, v118
	v_cmp_ngt_f32_e32 vcc_lo, 0xc2ce8ed0, v118
	s_delay_alu instid0(VALU_DEP_2) | instskip(SKIP_1) | instid1(VALU_DEP_1)
	v_rndne_f32_e32 v12, v8
	v_fma_f32 v13, 0x3fb8aa3b, v118, -v8
	v_dual_sub_f32 v8, v8, v12 :: v_dual_fmac_f32 v13, 0x32a5705f, v118
	v_cvt_i32_f32_e32 v12, v12
	s_delay_alu instid0(VALU_DEP_2) | instskip(NEXT) | instid1(VALU_DEP_1)
	v_add_f32_e32 v8, v8, v13
	v_exp_f32_e32 v8, v8
	s_waitcnt_depctr 0xfff
	v_ldexp_f32 v8, v8, v12
	s_delay_alu instid0(VALU_DEP_1) | instskip(SKIP_1) | instid1(VALU_DEP_2)
	v_cndmask_b32_e32 v8, 0, v8, vcc_lo
	v_cmp_nlt_f32_e32 vcc_lo, 0x42b17218, v118
	v_cndmask_b32_e32 v8, 0x7f800000, v8, vcc_lo
	s_delay_alu instid0(VALU_DEP_1) | instskip(NEXT) | instid1(VALU_DEP_1)
	v_add_f32_e32 v14, 1.0, v8
	v_cvt_f64_f32_e32 v[12:13], v14
	s_delay_alu instid0(VALU_DEP_1) | instskip(SKIP_1) | instid1(VALU_DEP_1)
	v_frexp_exp_i32_f64_e32 v12, v[12:13]
	v_frexp_mant_f32_e32 v13, v14
	v_cmp_gt_f32_e32 vcc_lo, 0x3f2aaaab, v13
	v_add_f32_e32 v13, -1.0, v14
	s_delay_alu instid0(VALU_DEP_1) | instskip(SKIP_1) | instid1(VALU_DEP_2)
	v_sub_f32_e32 v17, v13, v14
	v_sub_f32_e32 v13, v8, v13
	v_add_f32_e32 v17, 1.0, v17
	s_delay_alu instid0(VALU_DEP_1) | instskip(SKIP_3) | instid1(VALU_DEP_2)
	v_add_f32_e32 v13, v13, v17
	v_cmp_gt_f32_e64 s29, 0x33800000, v8
	v_subrev_co_ci_u32_e32 v12, vcc_lo, 0, v12, vcc_lo
	v_cmp_eq_f32_e32 vcc_lo, 0x7f800000, v8
	v_sub_nc_u32_e32 v15, 0, v12
	v_cvt_f32_i32_e32 v12, v12
	s_or_b32 vcc_lo, s29, vcc_lo
	s_delay_alu instid0(VALU_DEP_2) | instskip(SKIP_1) | instid1(VALU_DEP_2)
	v_ldexp_f32 v14, v14, v15
	v_ldexp_f32 v13, v13, v15
	v_add_f32_e32 v102, 1.0, v14
	v_add_f32_e32 v15, -1.0, v14
	s_delay_alu instid0(VALU_DEP_1) | instskip(NEXT) | instid1(VALU_DEP_3)
	v_add_f32_e32 v103, 1.0, v15
	v_add_f32_e32 v17, -1.0, v102
	s_delay_alu instid0(VALU_DEP_1) | instskip(NEXT) | instid1(VALU_DEP_1)
	v_sub_f32_e32 v17, v14, v17
	v_dual_sub_f32 v14, v14, v103 :: v_dual_add_f32 v17, v13, v17
	s_delay_alu instid0(VALU_DEP_1) | instskip(NEXT) | instid1(VALU_DEP_1)
	v_add_f32_e32 v103, v102, v17
	v_sub_f32_e32 v102, v102, v103
	s_delay_alu instid0(VALU_DEP_1) | instskip(NEXT) | instid1(VALU_DEP_4)
	v_add_f32_e32 v17, v17, v102
	v_add_f32_e32 v13, v13, v14
	v_rcp_f32_e32 v14, v103
	s_delay_alu instid0(VALU_DEP_1) | instskip(SKIP_2) | instid1(VALU_DEP_1)
	v_add_f32_e32 v105, v15, v13
	s_waitcnt_depctr 0xfff
	v_dual_sub_f32 v15, v15, v105 :: v_dual_mul_f32 v106, v105, v14
	v_mul_f32_e32 v107, v103, v106
	s_delay_alu instid0(VALU_DEP_1) | instskip(NEXT) | instid1(VALU_DEP_1)
	v_fma_f32 v102, v106, v103, -v107
	v_dual_fmac_f32 v102, v106, v17 :: v_dual_add_f32 v13, v13, v15
	s_delay_alu instid0(VALU_DEP_1) | instskip(NEXT) | instid1(VALU_DEP_1)
	v_add_f32_e32 v108, v107, v102
	v_sub_f32_e32 v109, v105, v108
	v_sub_f32_e32 v15, v108, v107
	s_delay_alu instid0(VALU_DEP_2) | instskip(NEXT) | instid1(VALU_DEP_2)
	v_sub_f32_e32 v105, v105, v109
	v_sub_f32_e32 v15, v15, v102
	s_delay_alu instid0(VALU_DEP_2) | instskip(NEXT) | instid1(VALU_DEP_1)
	v_sub_f32_e32 v105, v105, v108
	v_add_f32_e32 v13, v13, v105
	s_delay_alu instid0(VALU_DEP_1) | instskip(NEXT) | instid1(VALU_DEP_1)
	v_add_f32_e32 v13, v15, v13
	v_add_f32_e32 v15, v109, v13
	s_delay_alu instid0(VALU_DEP_1) | instskip(NEXT) | instid1(VALU_DEP_1)
	v_mul_f32_e32 v102, v14, v15
	v_dual_sub_f32 v108, v109, v15 :: v_dual_mul_f32 v105, v103, v102
	s_delay_alu instid0(VALU_DEP_1) | instskip(NEXT) | instid1(VALU_DEP_2)
	v_add_f32_e32 v13, v13, v108
	v_fma_f32 v103, v102, v103, -v105
	s_delay_alu instid0(VALU_DEP_1) | instskip(NEXT) | instid1(VALU_DEP_1)
	v_fmac_f32_e32 v103, v102, v17
	v_add_f32_e32 v17, v105, v103
	s_delay_alu instid0(VALU_DEP_1) | instskip(SKIP_1) | instid1(VALU_DEP_2)
	v_sub_f32_e32 v107, v15, v17
	v_sub_f32_e32 v105, v17, v105
	;; [unrolled: 1-line block ×3, first 2 shown]
	s_delay_alu instid0(VALU_DEP_1) | instskip(NEXT) | instid1(VALU_DEP_3)
	v_sub_f32_e32 v15, v15, v17
	v_sub_f32_e32 v17, v105, v103
	s_delay_alu instid0(VALU_DEP_2) | instskip(SKIP_1) | instid1(VALU_DEP_2)
	v_add_f32_e32 v13, v13, v15
	v_add_f32_e32 v15, v106, v102
	;; [unrolled: 1-line block ×3, first 2 shown]
	s_delay_alu instid0(VALU_DEP_2) | instskip(NEXT) | instid1(VALU_DEP_2)
	v_sub_f32_e32 v17, v15, v106
	v_add_f32_e32 v13, v107, v13
	s_delay_alu instid0(VALU_DEP_2) | instskip(NEXT) | instid1(VALU_DEP_2)
	v_sub_f32_e32 v17, v102, v17
	v_mul_f32_e32 v13, v14, v13
	s_delay_alu instid0(VALU_DEP_1) | instskip(NEXT) | instid1(VALU_DEP_1)
	v_add_f32_e32 v13, v17, v13
	v_add_f32_e32 v14, v15, v13
	s_delay_alu instid0(VALU_DEP_1) | instskip(NEXT) | instid1(VALU_DEP_1)
	v_mul_f32_e32 v17, v14, v14
	v_fmaak_f32 v102, s84, v17, 0x3ecc95a3
	v_mul_f32_e32 v103, v14, v17
	s_delay_alu instid0(VALU_DEP_2) | instskip(SKIP_1) | instid1(VALU_DEP_2)
	v_fmaak_f32 v17, v17, v102, 0x3f2aaada
	v_ldexp_f32 v102, v14, 1
	v_dual_sub_f32 v14, v14, v15 :: v_dual_mul_f32 v17, v103, v17
	v_mul_f32_e32 v103, 0x3f317218, v12
	s_delay_alu instid0(VALU_DEP_2) | instskip(NEXT) | instid1(VALU_DEP_3)
	v_sub_f32_e32 v13, v13, v14
	v_add_f32_e32 v15, v102, v17
	s_delay_alu instid0(VALU_DEP_2) | instskip(NEXT) | instid1(VALU_DEP_2)
	v_ldexp_f32 v13, v13, 1
	v_sub_f32_e32 v14, v15, v102
	v_fma_f32 v102, 0x3f317218, v12, -v103
	s_delay_alu instid0(VALU_DEP_2) | instskip(NEXT) | instid1(VALU_DEP_2)
	v_sub_f32_e32 v14, v17, v14
	v_fmac_f32_e32 v102, 0xb102e308, v12
	s_delay_alu instid0(VALU_DEP_2) | instskip(NEXT) | instid1(VALU_DEP_2)
	v_add_f32_e32 v12, v13, v14
	v_add_f32_e32 v13, v103, v102
	s_delay_alu instid0(VALU_DEP_1) | instskip(NEXT) | instid1(VALU_DEP_1)
	v_dual_add_f32 v14, v15, v12 :: v_dual_sub_f32 v103, v13, v103
	v_add_f32_e32 v17, v13, v14
	v_sub_f32_e32 v15, v14, v15
	s_delay_alu instid0(VALU_DEP_2) | instskip(NEXT) | instid1(VALU_DEP_2)
	v_dual_sub_f32 v102, v102, v103 :: v_dual_sub_f32 v105, v17, v13
	v_sub_f32_e32 v12, v12, v15
	s_delay_alu instid0(VALU_DEP_2) | instskip(SKIP_1) | instid1(VALU_DEP_3)
	v_sub_f32_e32 v106, v17, v105
	v_sub_f32_e32 v14, v14, v105
	v_add_f32_e32 v15, v102, v12
	s_delay_alu instid0(VALU_DEP_3) | instskip(NEXT) | instid1(VALU_DEP_1)
	v_sub_f32_e32 v13, v13, v106
	v_dual_add_f32 v13, v14, v13 :: v_dual_sub_f32 v14, v15, v102
	s_delay_alu instid0(VALU_DEP_1) | instskip(NEXT) | instid1(VALU_DEP_2)
	v_add_f32_e32 v13, v15, v13
	v_sub_f32_e32 v15, v15, v14
	s_delay_alu instid0(VALU_DEP_2) | instskip(NEXT) | instid1(VALU_DEP_1)
	v_dual_sub_f32 v12, v12, v14 :: v_dual_add_f32 v103, v17, v13
	v_dual_sub_f32 v15, v102, v15 :: v_dual_sub_f32 v14, v103, v17
	s_delay_alu instid0(VALU_DEP_1) | instskip(NEXT) | instid1(VALU_DEP_1)
	v_dual_add_f32 v12, v12, v15 :: v_dual_sub_f32 v13, v13, v14
	v_add_f32_e32 v12, v12, v13
	s_delay_alu instid0(VALU_DEP_1) | instskip(NEXT) | instid1(VALU_DEP_1)
	v_add_f32_e32 v12, v103, v12
	v_cndmask_b32_e32 v118, v12, v8, vcc_lo
.LBB120_96:                             ;   in Loop: Header=BB120_12 Depth=1
	s_or_b32 exec_lo, exec_lo, s30
	v_lshrrev_b32_e32 v8, 16, v9
	s_delay_alu instid0(VALU_DEP_1) | instskip(NEXT) | instid1(VALU_DEP_1)
	v_cvt_f32_f16_e32 v8, v8
	v_add_f32_e32 v121, s67, v8
	s_delay_alu instid0(VALU_DEP_1) | instskip(SKIP_1) | instid1(SALU_CYCLE_1)
	v_cmp_ge_f32_e32 vcc_lo, 0x41a00000, v121
	s_and_b32 s29, s80, vcc_lo
	s_and_saveexec_b32 s30, s29
	s_cbranch_execz .LBB120_98
; %bb.97:                               ;   in Loop: Header=BB120_12 Depth=1
	v_mul_f32_e32 v8, 0x3fb8aa3b, v121
	v_cmp_ngt_f32_e32 vcc_lo, 0xc2ce8ed0, v121
	s_delay_alu instid0(VALU_DEP_2) | instskip(SKIP_1) | instid1(VALU_DEP_2)
	v_rndne_f32_e32 v9, v8
	v_fma_f32 v12, 0x3fb8aa3b, v121, -v8
	v_sub_f32_e32 v8, v8, v9
	s_delay_alu instid0(VALU_DEP_2) | instskip(SKIP_1) | instid1(VALU_DEP_2)
	v_fmac_f32_e32 v12, 0x32a5705f, v121
	v_cvt_i32_f32_e32 v9, v9
	v_add_f32_e32 v8, v8, v12
	s_delay_alu instid0(VALU_DEP_1) | instskip(SKIP_2) | instid1(VALU_DEP_1)
	v_exp_f32_e32 v8, v8
	s_waitcnt_depctr 0xfff
	v_ldexp_f32 v8, v8, v9
	v_cndmask_b32_e32 v8, 0, v8, vcc_lo
	v_cmp_nlt_f32_e32 vcc_lo, 0x42b17218, v121
	s_delay_alu instid0(VALU_DEP_2) | instskip(NEXT) | instid1(VALU_DEP_1)
	v_cndmask_b32_e32 v12, 0x7f800000, v8, vcc_lo
	v_add_f32_e32 v13, 1.0, v12
	s_delay_alu instid0(VALU_DEP_1) | instskip(NEXT) | instid1(VALU_DEP_1)
	v_cvt_f64_f32_e32 v[8:9], v13
	v_frexp_exp_i32_f64_e32 v8, v[8:9]
	v_frexp_mant_f32_e32 v9, v13
	s_delay_alu instid0(VALU_DEP_1) | instskip(SKIP_1) | instid1(VALU_DEP_1)
	v_cmp_gt_f32_e32 vcc_lo, 0x3f2aaaab, v9
	v_add_f32_e32 v9, -1.0, v13
	v_sub_f32_e32 v15, v9, v13
	s_delay_alu instid0(VALU_DEP_1) | instskip(SKIP_1) | instid1(VALU_DEP_1)
	v_add_f32_e32 v15, 1.0, v15
	v_subrev_co_ci_u32_e32 v8, vcc_lo, 0, v8, vcc_lo
	v_sub_nc_u32_e32 v14, 0, v8
	v_cvt_f32_i32_e32 v8, v8
	s_delay_alu instid0(VALU_DEP_2) | instskip(NEXT) | instid1(VALU_DEP_1)
	v_ldexp_f32 v13, v13, v14
	v_add_f32_e32 v17, 1.0, v13
	v_sub_f32_e32 v9, v12, v9
	v_cmp_eq_f32_e32 vcc_lo, 0x7f800000, v12
	v_cmp_gt_f32_e64 s29, 0x33800000, v12
	s_delay_alu instid0(VALU_DEP_3) | instskip(SKIP_1) | instid1(VALU_DEP_3)
	v_add_f32_e32 v9, v9, v15
	v_add_f32_e32 v15, -1.0, v17
	s_or_b32 vcc_lo, s29, vcc_lo
	s_delay_alu instid0(VALU_DEP_2) | instskip(NEXT) | instid1(VALU_DEP_2)
	v_ldexp_f32 v9, v9, v14
	v_dual_add_f32 v14, -1.0, v13 :: v_dual_sub_f32 v15, v13, v15
	s_delay_alu instid0(VALU_DEP_1) | instskip(NEXT) | instid1(VALU_DEP_1)
	v_dual_add_f32 v102, 1.0, v14 :: v_dual_add_f32 v15, v9, v15
	v_sub_f32_e32 v13, v13, v102
	s_delay_alu instid0(VALU_DEP_1) | instskip(NEXT) | instid1(VALU_DEP_1)
	v_add_f32_e32 v9, v9, v13
	v_dual_add_f32 v102, v17, v15 :: v_dual_add_f32 v103, v14, v9
	s_delay_alu instid0(VALU_DEP_1) | instskip(NEXT) | instid1(VALU_DEP_1)
	v_rcp_f32_e32 v13, v102
	v_dual_sub_f32 v17, v17, v102 :: v_dual_sub_f32 v14, v14, v103
	s_delay_alu instid0(VALU_DEP_1) | instskip(SKIP_2) | instid1(VALU_DEP_1)
	v_add_f32_e32 v9, v9, v14
	s_waitcnt_depctr 0xfff
	v_mul_f32_e32 v105, v103, v13
	v_mul_f32_e32 v106, v102, v105
	v_add_f32_e32 v15, v15, v17
	s_delay_alu instid0(VALU_DEP_2) | instskip(NEXT) | instid1(VALU_DEP_1)
	v_fma_f32 v17, v105, v102, -v106
	v_fmac_f32_e32 v17, v105, v15
	s_delay_alu instid0(VALU_DEP_1) | instskip(NEXT) | instid1(VALU_DEP_1)
	v_add_f32_e32 v107, v106, v17
	v_sub_f32_e32 v108, v103, v107
	v_sub_f32_e32 v14, v107, v106
	s_delay_alu instid0(VALU_DEP_1) | instskip(NEXT) | instid1(VALU_DEP_1)
	v_dual_sub_f32 v103, v103, v108 :: v_dual_sub_f32 v14, v14, v17
	v_sub_f32_e32 v103, v103, v107
	s_delay_alu instid0(VALU_DEP_1) | instskip(NEXT) | instid1(VALU_DEP_1)
	v_add_f32_e32 v9, v9, v103
	v_add_f32_e32 v9, v14, v9
	s_delay_alu instid0(VALU_DEP_1) | instskip(NEXT) | instid1(VALU_DEP_1)
	v_add_f32_e32 v14, v108, v9
	v_mul_f32_e32 v17, v13, v14
	v_sub_f32_e32 v107, v108, v14
	s_delay_alu instid0(VALU_DEP_2) | instskip(NEXT) | instid1(VALU_DEP_2)
	v_mul_f32_e32 v103, v102, v17
	v_add_f32_e32 v9, v9, v107
	s_delay_alu instid0(VALU_DEP_2) | instskip(NEXT) | instid1(VALU_DEP_1)
	v_fma_f32 v102, v17, v102, -v103
	v_fmac_f32_e32 v102, v17, v15
	s_delay_alu instid0(VALU_DEP_1) | instskip(NEXT) | instid1(VALU_DEP_1)
	v_add_f32_e32 v15, v103, v102
	v_sub_f32_e32 v106, v14, v15
	s_delay_alu instid0(VALU_DEP_1) | instskip(NEXT) | instid1(VALU_DEP_1)
	v_dual_sub_f32 v103, v15, v103 :: v_dual_sub_f32 v14, v14, v106
	v_dual_sub_f32 v14, v14, v15 :: v_dual_sub_f32 v15, v103, v102
	s_delay_alu instid0(VALU_DEP_1) | instskip(SKIP_1) | instid1(VALU_DEP_2)
	v_add_f32_e32 v9, v9, v14
	v_add_f32_e32 v14, v105, v17
	;; [unrolled: 1-line block ×3, first 2 shown]
	s_delay_alu instid0(VALU_DEP_2) | instskip(NEXT) | instid1(VALU_DEP_2)
	v_sub_f32_e32 v15, v14, v105
	v_add_f32_e32 v9, v106, v9
	s_delay_alu instid0(VALU_DEP_2) | instskip(NEXT) | instid1(VALU_DEP_2)
	v_sub_f32_e32 v15, v17, v15
	v_mul_f32_e32 v9, v13, v9
	s_delay_alu instid0(VALU_DEP_1) | instskip(NEXT) | instid1(VALU_DEP_1)
	v_add_f32_e32 v9, v15, v9
	v_add_f32_e32 v13, v14, v9
	s_delay_alu instid0(VALU_DEP_1) | instskip(NEXT) | instid1(VALU_DEP_1)
	v_mul_f32_e32 v15, v13, v13
	v_fmaak_f32 v17, s84, v15, 0x3ecc95a3
	s_delay_alu instid0(VALU_DEP_1) | instskip(SKIP_2) | instid1(VALU_DEP_3)
	v_dual_mul_f32 v102, v13, v15 :: v_dual_fmaak_f32 v15, v15, v17, 0x3f2aaada
	v_ldexp_f32 v17, v13, 1
	v_sub_f32_e32 v13, v13, v14
	v_dual_mul_f32 v15, v102, v15 :: v_dual_mul_f32 v102, 0x3f317218, v8
	s_delay_alu instid0(VALU_DEP_2) | instskip(NEXT) | instid1(VALU_DEP_2)
	v_sub_f32_e32 v9, v9, v13
	v_add_f32_e32 v14, v17, v15
	s_delay_alu instid0(VALU_DEP_2) | instskip(NEXT) | instid1(VALU_DEP_2)
	v_ldexp_f32 v9, v9, 1
	v_sub_f32_e32 v13, v14, v17
	v_fma_f32 v17, 0x3f317218, v8, -v102
	s_delay_alu instid0(VALU_DEP_2) | instskip(NEXT) | instid1(VALU_DEP_1)
	v_sub_f32_e32 v13, v15, v13
	v_dual_fmac_f32 v17, 0xb102e308, v8 :: v_dual_add_f32 v8, v9, v13
	s_delay_alu instid0(VALU_DEP_1) | instskip(NEXT) | instid1(VALU_DEP_1)
	v_add_f32_e32 v9, v102, v17
	v_dual_add_f32 v13, v14, v8 :: v_dual_sub_f32 v102, v9, v102
	s_delay_alu instid0(VALU_DEP_1) | instskip(SKIP_1) | instid1(VALU_DEP_3)
	v_add_f32_e32 v15, v9, v13
	v_sub_f32_e32 v14, v13, v14
	v_sub_f32_e32 v17, v17, v102
	s_delay_alu instid0(VALU_DEP_2) | instskip(NEXT) | instid1(VALU_DEP_1)
	v_dual_sub_f32 v103, v15, v9 :: v_dual_sub_f32 v8, v8, v14
	v_sub_f32_e32 v105, v15, v103
	v_sub_f32_e32 v13, v13, v103
	s_delay_alu instid0(VALU_DEP_3) | instskip(NEXT) | instid1(VALU_DEP_3)
	v_add_f32_e32 v14, v17, v8
	v_sub_f32_e32 v9, v9, v105
	s_delay_alu instid0(VALU_DEP_1) | instskip(NEXT) | instid1(VALU_DEP_3)
	v_add_f32_e32 v9, v13, v9
	v_sub_f32_e32 v13, v14, v17
	s_delay_alu instid0(VALU_DEP_2) | instskip(NEXT) | instid1(VALU_DEP_2)
	v_add_f32_e32 v9, v14, v9
	v_sub_f32_e32 v14, v14, v13
	v_sub_f32_e32 v8, v8, v13
	s_delay_alu instid0(VALU_DEP_3) | instskip(NEXT) | instid1(VALU_DEP_1)
	v_add_f32_e32 v102, v15, v9
	v_dual_sub_f32 v14, v17, v14 :: v_dual_sub_f32 v13, v102, v15
	s_delay_alu instid0(VALU_DEP_1) | instskip(NEXT) | instid1(VALU_DEP_1)
	v_dual_add_f32 v8, v8, v14 :: v_dual_sub_f32 v9, v9, v13
	v_add_f32_e32 v8, v8, v9
	s_delay_alu instid0(VALU_DEP_1) | instskip(NEXT) | instid1(VALU_DEP_1)
	v_add_f32_e32 v8, v102, v8
	v_cndmask_b32_e32 v121, v8, v12, vcc_lo
.LBB120_98:                             ;   in Loop: Header=BB120_12 Depth=1
	s_or_b32 exec_lo, exec_lo, s30
	v_cvt_f32_f16_e32 v8, v10
	s_delay_alu instid0(VALU_DEP_1) | instskip(NEXT) | instid1(VALU_DEP_1)
	v_add_f32_e32 v122, s67, v8
	v_cmp_ge_f32_e32 vcc_lo, 0x41a00000, v122
	s_and_b32 s29, s80, vcc_lo
	s_delay_alu instid0(SALU_CYCLE_1)
	s_and_saveexec_b32 s30, s29
	s_cbranch_execz .LBB120_100
; %bb.99:                               ;   in Loop: Header=BB120_12 Depth=1
	v_mul_f32_e32 v8, 0x3fb8aa3b, v122
	v_cmp_ngt_f32_e32 vcc_lo, 0xc2ce8ed0, v122
	s_delay_alu instid0(VALU_DEP_2) | instskip(SKIP_1) | instid1(VALU_DEP_2)
	v_rndne_f32_e32 v9, v8
	v_fma_f32 v12, 0x3fb8aa3b, v122, -v8
	v_sub_f32_e32 v8, v8, v9
	s_delay_alu instid0(VALU_DEP_2) | instskip(SKIP_1) | instid1(VALU_DEP_2)
	v_fmac_f32_e32 v12, 0x32a5705f, v122
	v_cvt_i32_f32_e32 v9, v9
	v_add_f32_e32 v8, v8, v12
	s_delay_alu instid0(VALU_DEP_1) | instskip(SKIP_2) | instid1(VALU_DEP_1)
	v_exp_f32_e32 v8, v8
	s_waitcnt_depctr 0xfff
	v_ldexp_f32 v8, v8, v9
	v_cndmask_b32_e32 v8, 0, v8, vcc_lo
	v_cmp_nlt_f32_e32 vcc_lo, 0x42b17218, v122
	s_delay_alu instid0(VALU_DEP_2) | instskip(NEXT) | instid1(VALU_DEP_1)
	v_cndmask_b32_e32 v12, 0x7f800000, v8, vcc_lo
	v_add_f32_e32 v13, 1.0, v12
	s_delay_alu instid0(VALU_DEP_1) | instskip(NEXT) | instid1(VALU_DEP_1)
	v_cvt_f64_f32_e32 v[8:9], v13
	v_frexp_exp_i32_f64_e32 v8, v[8:9]
	v_frexp_mant_f32_e32 v9, v13
	s_delay_alu instid0(VALU_DEP_1) | instskip(SKIP_1) | instid1(VALU_DEP_1)
	v_cmp_gt_f32_e32 vcc_lo, 0x3f2aaaab, v9
	v_add_f32_e32 v9, -1.0, v13
	v_sub_f32_e32 v15, v9, v13
	s_delay_alu instid0(VALU_DEP_1) | instskip(SKIP_1) | instid1(VALU_DEP_1)
	v_add_f32_e32 v15, 1.0, v15
	v_subrev_co_ci_u32_e32 v8, vcc_lo, 0, v8, vcc_lo
	v_sub_nc_u32_e32 v14, 0, v8
	v_cvt_f32_i32_e32 v8, v8
	s_delay_alu instid0(VALU_DEP_2) | instskip(NEXT) | instid1(VALU_DEP_1)
	v_ldexp_f32 v13, v13, v14
	v_add_f32_e32 v17, 1.0, v13
	v_sub_f32_e32 v9, v12, v9
	v_cmp_eq_f32_e32 vcc_lo, 0x7f800000, v12
	v_cmp_gt_f32_e64 s29, 0x33800000, v12
	s_delay_alu instid0(VALU_DEP_3) | instskip(NEXT) | instid1(VALU_DEP_2)
	v_add_f32_e32 v9, v9, v15
	s_or_b32 vcc_lo, s29, vcc_lo
	s_delay_alu instid0(VALU_DEP_1) | instskip(SKIP_1) | instid1(VALU_DEP_1)
	v_ldexp_f32 v9, v9, v14
	v_add_f32_e32 v14, -1.0, v13
	v_dual_add_f32 v15, -1.0, v17 :: v_dual_add_f32 v102, 1.0, v14
	s_delay_alu instid0(VALU_DEP_1) | instskip(NEXT) | instid1(VALU_DEP_2)
	v_sub_f32_e32 v15, v13, v15
	v_sub_f32_e32 v13, v13, v102
	s_delay_alu instid0(VALU_DEP_2) | instskip(NEXT) | instid1(VALU_DEP_2)
	v_add_f32_e32 v15, v9, v15
	v_add_f32_e32 v9, v9, v13
	s_delay_alu instid0(VALU_DEP_1) | instskip(NEXT) | instid1(VALU_DEP_1)
	v_dual_add_f32 v102, v17, v15 :: v_dual_add_f32 v103, v14, v9
	v_rcp_f32_e32 v13, v102
	s_delay_alu instid0(VALU_DEP_1) | instskip(NEXT) | instid1(VALU_DEP_1)
	v_dual_sub_f32 v17, v17, v102 :: v_dual_sub_f32 v14, v14, v103
	v_add_f32_e32 v15, v15, v17
	s_delay_alu instid0(VALU_DEP_2) | instskip(SKIP_2) | instid1(VALU_DEP_1)
	v_add_f32_e32 v9, v9, v14
	s_waitcnt_depctr 0xfff
	v_mul_f32_e32 v105, v103, v13
	v_mul_f32_e32 v106, v102, v105
	s_delay_alu instid0(VALU_DEP_1) | instskip(NEXT) | instid1(VALU_DEP_1)
	v_fma_f32 v17, v105, v102, -v106
	v_fmac_f32_e32 v17, v105, v15
	s_delay_alu instid0(VALU_DEP_1) | instskip(NEXT) | instid1(VALU_DEP_1)
	v_add_f32_e32 v107, v106, v17
	v_sub_f32_e32 v108, v103, v107
	v_sub_f32_e32 v14, v107, v106
	s_delay_alu instid0(VALU_DEP_1) | instskip(NEXT) | instid1(VALU_DEP_1)
	v_dual_sub_f32 v103, v103, v108 :: v_dual_sub_f32 v14, v14, v17
	v_sub_f32_e32 v103, v103, v107
	s_delay_alu instid0(VALU_DEP_1) | instskip(NEXT) | instid1(VALU_DEP_1)
	v_add_f32_e32 v9, v9, v103
	v_add_f32_e32 v9, v14, v9
	s_delay_alu instid0(VALU_DEP_1) | instskip(NEXT) | instid1(VALU_DEP_1)
	v_add_f32_e32 v14, v108, v9
	v_mul_f32_e32 v17, v13, v14
	v_sub_f32_e32 v107, v108, v14
	s_delay_alu instid0(VALU_DEP_2) | instskip(NEXT) | instid1(VALU_DEP_2)
	v_mul_f32_e32 v103, v102, v17
	v_add_f32_e32 v9, v9, v107
	s_delay_alu instid0(VALU_DEP_2) | instskip(NEXT) | instid1(VALU_DEP_1)
	v_fma_f32 v102, v17, v102, -v103
	v_fmac_f32_e32 v102, v17, v15
	s_delay_alu instid0(VALU_DEP_1) | instskip(NEXT) | instid1(VALU_DEP_1)
	v_add_f32_e32 v15, v103, v102
	v_sub_f32_e32 v106, v14, v15
	s_delay_alu instid0(VALU_DEP_1) | instskip(NEXT) | instid1(VALU_DEP_1)
	v_dual_sub_f32 v103, v15, v103 :: v_dual_sub_f32 v14, v14, v106
	v_dual_sub_f32 v14, v14, v15 :: v_dual_sub_f32 v15, v103, v102
	s_delay_alu instid0(VALU_DEP_1) | instskip(SKIP_1) | instid1(VALU_DEP_2)
	v_add_f32_e32 v9, v9, v14
	v_add_f32_e32 v14, v105, v17
	;; [unrolled: 1-line block ×3, first 2 shown]
	s_delay_alu instid0(VALU_DEP_2) | instskip(NEXT) | instid1(VALU_DEP_2)
	v_sub_f32_e32 v15, v14, v105
	v_add_f32_e32 v9, v106, v9
	s_delay_alu instid0(VALU_DEP_2) | instskip(NEXT) | instid1(VALU_DEP_2)
	v_sub_f32_e32 v15, v17, v15
	v_mul_f32_e32 v9, v13, v9
	s_delay_alu instid0(VALU_DEP_1) | instskip(NEXT) | instid1(VALU_DEP_1)
	v_add_f32_e32 v9, v15, v9
	v_add_f32_e32 v13, v14, v9
	s_delay_alu instid0(VALU_DEP_1) | instskip(NEXT) | instid1(VALU_DEP_1)
	v_mul_f32_e32 v15, v13, v13
	v_fmaak_f32 v17, s84, v15, 0x3ecc95a3
	s_delay_alu instid0(VALU_DEP_1) | instskip(SKIP_2) | instid1(VALU_DEP_3)
	v_dual_mul_f32 v102, v13, v15 :: v_dual_fmaak_f32 v15, v15, v17, 0x3f2aaada
	v_ldexp_f32 v17, v13, 1
	v_sub_f32_e32 v13, v13, v14
	v_dual_mul_f32 v15, v102, v15 :: v_dual_mul_f32 v102, 0x3f317218, v8
	s_delay_alu instid0(VALU_DEP_2) | instskip(NEXT) | instid1(VALU_DEP_2)
	v_sub_f32_e32 v9, v9, v13
	v_add_f32_e32 v14, v17, v15
	s_delay_alu instid0(VALU_DEP_2) | instskip(NEXT) | instid1(VALU_DEP_2)
	v_ldexp_f32 v9, v9, 1
	v_sub_f32_e32 v13, v14, v17
	v_fma_f32 v17, 0x3f317218, v8, -v102
	s_delay_alu instid0(VALU_DEP_2) | instskip(NEXT) | instid1(VALU_DEP_1)
	v_sub_f32_e32 v13, v15, v13
	v_dual_fmac_f32 v17, 0xb102e308, v8 :: v_dual_add_f32 v8, v9, v13
	s_delay_alu instid0(VALU_DEP_1) | instskip(NEXT) | instid1(VALU_DEP_1)
	v_add_f32_e32 v9, v102, v17
	v_dual_add_f32 v13, v14, v8 :: v_dual_sub_f32 v102, v9, v102
	s_delay_alu instid0(VALU_DEP_1) | instskip(SKIP_1) | instid1(VALU_DEP_3)
	v_add_f32_e32 v15, v9, v13
	v_sub_f32_e32 v14, v13, v14
	v_sub_f32_e32 v17, v17, v102
	s_delay_alu instid0(VALU_DEP_2) | instskip(NEXT) | instid1(VALU_DEP_1)
	v_dual_sub_f32 v103, v15, v9 :: v_dual_sub_f32 v8, v8, v14
	v_sub_f32_e32 v105, v15, v103
	v_sub_f32_e32 v13, v13, v103
	s_delay_alu instid0(VALU_DEP_3) | instskip(NEXT) | instid1(VALU_DEP_3)
	v_add_f32_e32 v14, v17, v8
	v_sub_f32_e32 v9, v9, v105
	s_delay_alu instid0(VALU_DEP_1) | instskip(NEXT) | instid1(VALU_DEP_3)
	v_add_f32_e32 v9, v13, v9
	v_sub_f32_e32 v13, v14, v17
	s_delay_alu instid0(VALU_DEP_2) | instskip(NEXT) | instid1(VALU_DEP_2)
	v_add_f32_e32 v9, v14, v9
	v_sub_f32_e32 v14, v14, v13
	v_sub_f32_e32 v8, v8, v13
	s_delay_alu instid0(VALU_DEP_3) | instskip(NEXT) | instid1(VALU_DEP_1)
	v_add_f32_e32 v102, v15, v9
	v_dual_sub_f32 v14, v17, v14 :: v_dual_sub_f32 v13, v102, v15
	s_delay_alu instid0(VALU_DEP_1) | instskip(NEXT) | instid1(VALU_DEP_1)
	v_dual_add_f32 v8, v8, v14 :: v_dual_sub_f32 v9, v9, v13
	v_add_f32_e32 v8, v8, v9
	s_delay_alu instid0(VALU_DEP_1) | instskip(NEXT) | instid1(VALU_DEP_1)
	v_add_f32_e32 v8, v102, v8
	v_cndmask_b32_e32 v122, v8, v12, vcc_lo
.LBB120_100:                            ;   in Loop: Header=BB120_12 Depth=1
	s_or_b32 exec_lo, exec_lo, s30
	v_lshrrev_b32_e32 v8, 16, v10
	s_delay_alu instid0(VALU_DEP_1) | instskip(NEXT) | instid1(VALU_DEP_1)
	v_cvt_f32_f16_e32 v8, v8
	v_add_f32_e32 v123, s67, v8
	s_delay_alu instid0(VALU_DEP_1) | instskip(SKIP_1) | instid1(SALU_CYCLE_1)
	v_cmp_ge_f32_e32 vcc_lo, 0x41a00000, v123
	s_and_b32 s29, s80, vcc_lo
	s_and_saveexec_b32 s30, s29
	s_cbranch_execz .LBB120_102
; %bb.101:                              ;   in Loop: Header=BB120_12 Depth=1
	v_mul_f32_e32 v8, 0x3fb8aa3b, v123
	v_cmp_ngt_f32_e32 vcc_lo, 0xc2ce8ed0, v123
	s_delay_alu instid0(VALU_DEP_2) | instskip(SKIP_1) | instid1(VALU_DEP_2)
	v_rndne_f32_e32 v9, v8
	v_fma_f32 v10, 0x3fb8aa3b, v123, -v8
	v_sub_f32_e32 v8, v8, v9
	s_delay_alu instid0(VALU_DEP_2) | instskip(SKIP_1) | instid1(VALU_DEP_2)
	v_fmac_f32_e32 v10, 0x32a5705f, v123
	v_cvt_i32_f32_e32 v9, v9
	v_add_f32_e32 v8, v8, v10
	s_delay_alu instid0(VALU_DEP_1) | instskip(SKIP_2) | instid1(VALU_DEP_1)
	v_exp_f32_e32 v8, v8
	s_waitcnt_depctr 0xfff
	v_ldexp_f32 v8, v8, v9
	v_cndmask_b32_e32 v8, 0, v8, vcc_lo
	v_cmp_nlt_f32_e32 vcc_lo, 0x42b17218, v123
	s_delay_alu instid0(VALU_DEP_2) | instskip(NEXT) | instid1(VALU_DEP_1)
	v_cndmask_b32_e32 v10, 0x7f800000, v8, vcc_lo
	v_add_f32_e32 v12, 1.0, v10
	s_delay_alu instid0(VALU_DEP_1) | instskip(NEXT) | instid1(VALU_DEP_1)
	v_cvt_f64_f32_e32 v[8:9], v12
	v_frexp_exp_i32_f64_e32 v8, v[8:9]
	v_frexp_mant_f32_e32 v9, v12
	s_delay_alu instid0(VALU_DEP_1) | instskip(SKIP_1) | instid1(VALU_DEP_1)
	v_cmp_gt_f32_e32 vcc_lo, 0x3f2aaaab, v9
	v_add_f32_e32 v9, -1.0, v12
	v_dual_sub_f32 v14, v9, v12 :: v_dual_sub_f32 v9, v10, v9
	v_subrev_co_ci_u32_e32 v8, vcc_lo, 0, v8, vcc_lo
	s_delay_alu instid0(VALU_DEP_1) | instskip(SKIP_1) | instid1(VALU_DEP_2)
	v_sub_nc_u32_e32 v13, 0, v8
	v_cvt_f32_i32_e32 v8, v8
	v_ldexp_f32 v12, v12, v13
	s_delay_alu instid0(VALU_DEP_1) | instskip(NEXT) | instid1(VALU_DEP_1)
	v_dual_add_f32 v14, 1.0, v14 :: v_dual_add_f32 v15, 1.0, v12
	v_add_f32_e32 v9, v9, v14
	s_delay_alu instid0(VALU_DEP_1) | instskip(NEXT) | instid1(VALU_DEP_3)
	v_ldexp_f32 v9, v9, v13
	v_dual_add_f32 v13, -1.0, v12 :: v_dual_add_f32 v14, -1.0, v15
	s_delay_alu instid0(VALU_DEP_1) | instskip(NEXT) | instid1(VALU_DEP_1)
	v_dual_add_f32 v17, 1.0, v13 :: v_dual_sub_f32 v14, v12, v14
	v_sub_f32_e32 v12, v12, v17
	s_delay_alu instid0(VALU_DEP_2) | instskip(NEXT) | instid1(VALU_DEP_2)
	v_add_f32_e32 v14, v9, v14
	v_add_f32_e32 v9, v9, v12
	s_delay_alu instid0(VALU_DEP_2) | instskip(SKIP_2) | instid1(VALU_DEP_3)
	v_add_f32_e32 v17, v15, v14
	v_cmp_eq_f32_e32 vcc_lo, 0x7f800000, v10
	v_cmp_gt_f32_e64 s29, 0x33800000, v10
	v_rcp_f32_e32 v12, v17
	v_sub_f32_e32 v15, v15, v17
	s_delay_alu instid0(VALU_DEP_2) | instskip(NEXT) | instid1(VALU_DEP_1)
	s_or_b32 vcc_lo, s29, vcc_lo
	v_add_f32_e32 v14, v14, v15
	v_add_f32_e32 v102, v13, v9
	s_waitcnt_depctr 0xfff
	v_mul_f32_e32 v103, v102, v12
	s_delay_alu instid0(VALU_DEP_1) | instskip(NEXT) | instid1(VALU_DEP_1)
	v_mul_f32_e32 v105, v17, v103
	v_fma_f32 v15, v103, v17, -v105
	s_delay_alu instid0(VALU_DEP_1) | instskip(SKIP_1) | instid1(VALU_DEP_2)
	v_fmac_f32_e32 v15, v103, v14
	v_sub_f32_e32 v13, v13, v102
	v_add_f32_e32 v106, v105, v15
	s_delay_alu instid0(VALU_DEP_2) | instskip(NEXT) | instid1(VALU_DEP_2)
	v_add_f32_e32 v9, v9, v13
	v_sub_f32_e32 v107, v102, v106
	v_sub_f32_e32 v13, v106, v105
	s_delay_alu instid0(VALU_DEP_2) | instskip(NEXT) | instid1(VALU_DEP_1)
	v_sub_f32_e32 v102, v102, v107
	v_dual_sub_f32 v13, v13, v15 :: v_dual_sub_f32 v102, v102, v106
	s_delay_alu instid0(VALU_DEP_1) | instskip(NEXT) | instid1(VALU_DEP_1)
	v_add_f32_e32 v9, v9, v102
	v_add_f32_e32 v9, v13, v9
	s_delay_alu instid0(VALU_DEP_1) | instskip(NEXT) | instid1(VALU_DEP_1)
	v_add_f32_e32 v13, v107, v9
	v_mul_f32_e32 v15, v12, v13
	v_sub_f32_e32 v106, v107, v13
	s_delay_alu instid0(VALU_DEP_2) | instskip(NEXT) | instid1(VALU_DEP_1)
	v_mul_f32_e32 v102, v17, v15
	v_fma_f32 v17, v15, v17, -v102
	s_delay_alu instid0(VALU_DEP_1) | instskip(NEXT) | instid1(VALU_DEP_1)
	v_fmac_f32_e32 v17, v15, v14
	v_add_f32_e32 v14, v102, v17
	s_delay_alu instid0(VALU_DEP_1) | instskip(SKIP_2) | instid1(VALU_DEP_3)
	v_sub_f32_e32 v105, v13, v14
	v_sub_f32_e32 v102, v14, v102
	v_add_f32_e32 v9, v9, v106
	v_sub_f32_e32 v13, v13, v105
	s_delay_alu instid0(VALU_DEP_1) | instskip(NEXT) | instid1(VALU_DEP_1)
	v_dual_sub_f32 v13, v13, v14 :: v_dual_sub_f32 v14, v102, v17
	v_add_f32_e32 v9, v9, v13
	v_add_f32_e32 v13, v103, v15
	s_delay_alu instid0(VALU_DEP_1) | instskip(NEXT) | instid1(VALU_DEP_1)
	v_dual_add_f32 v9, v14, v9 :: v_dual_sub_f32 v14, v13, v103
	v_dual_add_f32 v9, v105, v9 :: v_dual_sub_f32 v14, v15, v14
	s_delay_alu instid0(VALU_DEP_1) | instskip(NEXT) | instid1(VALU_DEP_1)
	v_mul_f32_e32 v9, v12, v9
	v_add_f32_e32 v9, v14, v9
	s_delay_alu instid0(VALU_DEP_1) | instskip(NEXT) | instid1(VALU_DEP_1)
	v_add_f32_e32 v12, v13, v9
	v_mul_f32_e32 v14, v12, v12
	s_delay_alu instid0(VALU_DEP_1) | instskip(NEXT) | instid1(VALU_DEP_1)
	v_fmaak_f32 v15, s84, v14, 0x3ecc95a3
	v_dual_mul_f32 v17, v12, v14 :: v_dual_fmaak_f32 v14, v14, v15, 0x3f2aaada
	v_ldexp_f32 v15, v12, 1
	s_delay_alu instid0(VALU_DEP_2) | instskip(SKIP_1) | instid1(VALU_DEP_2)
	v_mul_f32_e32 v14, v17, v14
	v_dual_sub_f32 v12, v12, v13 :: v_dual_mul_f32 v17, 0x3f317218, v8
	v_add_f32_e32 v13, v15, v14
	s_delay_alu instid0(VALU_DEP_2) | instskip(NEXT) | instid1(VALU_DEP_2)
	v_sub_f32_e32 v9, v9, v12
	v_sub_f32_e32 v12, v13, v15
	s_delay_alu instid0(VALU_DEP_4) | instskip(NEXT) | instid1(VALU_DEP_3)
	v_fma_f32 v15, 0x3f317218, v8, -v17
	v_ldexp_f32 v9, v9, 1
	s_delay_alu instid0(VALU_DEP_3) | instskip(NEXT) | instid1(VALU_DEP_3)
	v_sub_f32_e32 v12, v14, v12
	v_fmac_f32_e32 v15, 0xb102e308, v8
	s_delay_alu instid0(VALU_DEP_2) | instskip(NEXT) | instid1(VALU_DEP_1)
	v_add_f32_e32 v8, v9, v12
	v_add_f32_e32 v12, v13, v8
	s_delay_alu instid0(VALU_DEP_1) | instskip(NEXT) | instid1(VALU_DEP_1)
	v_sub_f32_e32 v13, v12, v13
	v_dual_sub_f32 v8, v8, v13 :: v_dual_add_f32 v9, v17, v15
	s_delay_alu instid0(VALU_DEP_1) | instskip(NEXT) | instid1(VALU_DEP_1)
	v_add_f32_e32 v14, v9, v12
	v_sub_f32_e32 v102, v14, v9
	s_delay_alu instid0(VALU_DEP_1) | instskip(NEXT) | instid1(VALU_DEP_1)
	v_dual_sub_f32 v17, v9, v17 :: v_dual_sub_f32 v12, v12, v102
	v_sub_f32_e32 v15, v15, v17
	s_delay_alu instid0(VALU_DEP_1) | instskip(SKIP_1) | instid1(VALU_DEP_1)
	v_add_f32_e32 v13, v15, v8
	v_sub_f32_e32 v103, v14, v102
	v_sub_f32_e32 v9, v9, v103
	s_delay_alu instid0(VALU_DEP_1) | instskip(NEXT) | instid1(VALU_DEP_1)
	v_dual_add_f32 v9, v12, v9 :: v_dual_sub_f32 v12, v13, v15
	v_add_f32_e32 v9, v13, v9
	s_delay_alu instid0(VALU_DEP_2) | instskip(NEXT) | instid1(VALU_DEP_2)
	v_sub_f32_e32 v13, v13, v12
	v_dual_sub_f32 v8, v8, v12 :: v_dual_add_f32 v17, v14, v9
	s_delay_alu instid0(VALU_DEP_1) | instskip(NEXT) | instid1(VALU_DEP_1)
	v_dual_sub_f32 v13, v15, v13 :: v_dual_sub_f32 v12, v17, v14
	v_dual_add_f32 v8, v8, v13 :: v_dual_sub_f32 v9, v9, v12
	s_delay_alu instid0(VALU_DEP_1) | instskip(NEXT) | instid1(VALU_DEP_1)
	v_add_f32_e32 v8, v8, v9
	v_add_f32_e32 v8, v17, v8
	s_delay_alu instid0(VALU_DEP_1)
	v_cndmask_b32_e32 v123, v8, v10, vcc_lo
.LBB120_102:                            ;   in Loop: Header=BB120_12 Depth=1
	s_or_b32 exec_lo, exec_lo, s30
	v_cvt_f32_f16_e32 v8, v11
	s_delay_alu instid0(VALU_DEP_1) | instskip(NEXT) | instid1(VALU_DEP_1)
	v_add_f32_e32 v124, s67, v8
	v_cmp_ge_f32_e32 vcc_lo, 0x41a00000, v124
	s_and_b32 s29, s80, vcc_lo
	s_delay_alu instid0(SALU_CYCLE_1)
	s_and_saveexec_b32 s30, s29
	s_cbranch_execz .LBB120_104
; %bb.103:                              ;   in Loop: Header=BB120_12 Depth=1
	v_mul_f32_e32 v8, 0x3fb8aa3b, v124
	v_cmp_ngt_f32_e32 vcc_lo, 0xc2ce8ed0, v124
	s_delay_alu instid0(VALU_DEP_2) | instskip(SKIP_1) | instid1(VALU_DEP_2)
	v_rndne_f32_e32 v9, v8
	v_fma_f32 v10, 0x3fb8aa3b, v124, -v8
	v_sub_f32_e32 v8, v8, v9
	s_delay_alu instid0(VALU_DEP_2) | instskip(SKIP_1) | instid1(VALU_DEP_2)
	v_fmac_f32_e32 v10, 0x32a5705f, v124
	v_cvt_i32_f32_e32 v9, v9
	v_add_f32_e32 v8, v8, v10
	s_delay_alu instid0(VALU_DEP_1) | instskip(SKIP_2) | instid1(VALU_DEP_1)
	v_exp_f32_e32 v8, v8
	s_waitcnt_depctr 0xfff
	v_ldexp_f32 v8, v8, v9
	v_cndmask_b32_e32 v8, 0, v8, vcc_lo
	v_cmp_nlt_f32_e32 vcc_lo, 0x42b17218, v124
	s_delay_alu instid0(VALU_DEP_2) | instskip(NEXT) | instid1(VALU_DEP_1)
	v_cndmask_b32_e32 v10, 0x7f800000, v8, vcc_lo
	v_add_f32_e32 v12, 1.0, v10
	s_delay_alu instid0(VALU_DEP_1) | instskip(NEXT) | instid1(VALU_DEP_1)
	v_cvt_f64_f32_e32 v[8:9], v12
	v_frexp_exp_i32_f64_e32 v8, v[8:9]
	v_frexp_mant_f32_e32 v9, v12
	s_delay_alu instid0(VALU_DEP_1) | instskip(SKIP_1) | instid1(VALU_DEP_1)
	v_cmp_gt_f32_e32 vcc_lo, 0x3f2aaaab, v9
	v_add_f32_e32 v9, -1.0, v12
	v_dual_sub_f32 v14, v9, v12 :: v_dual_sub_f32 v9, v10, v9
	v_subrev_co_ci_u32_e32 v8, vcc_lo, 0, v8, vcc_lo
	s_delay_alu instid0(VALU_DEP_1) | instskip(SKIP_1) | instid1(VALU_DEP_2)
	v_sub_nc_u32_e32 v13, 0, v8
	v_cvt_f32_i32_e32 v8, v8
	v_ldexp_f32 v12, v12, v13
	s_delay_alu instid0(VALU_DEP_1) | instskip(NEXT) | instid1(VALU_DEP_1)
	v_dual_add_f32 v14, 1.0, v14 :: v_dual_add_f32 v15, 1.0, v12
	v_add_f32_e32 v9, v9, v14
	s_delay_alu instid0(VALU_DEP_1) | instskip(NEXT) | instid1(VALU_DEP_3)
	v_ldexp_f32 v9, v9, v13
	v_dual_add_f32 v13, -1.0, v12 :: v_dual_add_f32 v14, -1.0, v15
	s_delay_alu instid0(VALU_DEP_1) | instskip(NEXT) | instid1(VALU_DEP_1)
	v_dual_add_f32 v17, 1.0, v13 :: v_dual_sub_f32 v14, v12, v14
	v_sub_f32_e32 v12, v12, v17
	s_delay_alu instid0(VALU_DEP_2) | instskip(NEXT) | instid1(VALU_DEP_2)
	v_add_f32_e32 v14, v9, v14
	v_add_f32_e32 v9, v9, v12
	s_delay_alu instid0(VALU_DEP_2) | instskip(SKIP_2) | instid1(VALU_DEP_3)
	v_add_f32_e32 v17, v15, v14
	v_cmp_eq_f32_e32 vcc_lo, 0x7f800000, v10
	v_cmp_gt_f32_e64 s29, 0x33800000, v10
	v_rcp_f32_e32 v12, v17
	v_sub_f32_e32 v15, v15, v17
	s_delay_alu instid0(VALU_DEP_2) | instskip(NEXT) | instid1(VALU_DEP_1)
	s_or_b32 vcc_lo, s29, vcc_lo
	v_add_f32_e32 v14, v14, v15
	v_add_f32_e32 v102, v13, v9
	s_waitcnt_depctr 0xfff
	v_mul_f32_e32 v103, v102, v12
	s_delay_alu instid0(VALU_DEP_1) | instskip(NEXT) | instid1(VALU_DEP_1)
	v_mul_f32_e32 v105, v17, v103
	v_fma_f32 v15, v103, v17, -v105
	s_delay_alu instid0(VALU_DEP_1) | instskip(SKIP_1) | instid1(VALU_DEP_2)
	v_fmac_f32_e32 v15, v103, v14
	v_sub_f32_e32 v13, v13, v102
	v_add_f32_e32 v106, v105, v15
	s_delay_alu instid0(VALU_DEP_2) | instskip(NEXT) | instid1(VALU_DEP_2)
	v_add_f32_e32 v9, v9, v13
	v_sub_f32_e32 v107, v102, v106
	v_sub_f32_e32 v13, v106, v105
	s_delay_alu instid0(VALU_DEP_2) | instskip(NEXT) | instid1(VALU_DEP_1)
	v_sub_f32_e32 v102, v102, v107
	v_dual_sub_f32 v13, v13, v15 :: v_dual_sub_f32 v102, v102, v106
	s_delay_alu instid0(VALU_DEP_1) | instskip(NEXT) | instid1(VALU_DEP_1)
	v_add_f32_e32 v9, v9, v102
	v_add_f32_e32 v9, v13, v9
	s_delay_alu instid0(VALU_DEP_1) | instskip(NEXT) | instid1(VALU_DEP_1)
	v_add_f32_e32 v13, v107, v9
	v_mul_f32_e32 v15, v12, v13
	v_sub_f32_e32 v106, v107, v13
	s_delay_alu instid0(VALU_DEP_2) | instskip(NEXT) | instid1(VALU_DEP_1)
	v_mul_f32_e32 v102, v17, v15
	v_fma_f32 v17, v15, v17, -v102
	s_delay_alu instid0(VALU_DEP_1) | instskip(NEXT) | instid1(VALU_DEP_1)
	v_fmac_f32_e32 v17, v15, v14
	v_add_f32_e32 v14, v102, v17
	s_delay_alu instid0(VALU_DEP_1) | instskip(SKIP_2) | instid1(VALU_DEP_3)
	v_sub_f32_e32 v105, v13, v14
	v_sub_f32_e32 v102, v14, v102
	v_add_f32_e32 v9, v9, v106
	v_sub_f32_e32 v13, v13, v105
	s_delay_alu instid0(VALU_DEP_1) | instskip(NEXT) | instid1(VALU_DEP_1)
	v_dual_sub_f32 v13, v13, v14 :: v_dual_sub_f32 v14, v102, v17
	v_add_f32_e32 v9, v9, v13
	v_add_f32_e32 v13, v103, v15
	s_delay_alu instid0(VALU_DEP_1) | instskip(NEXT) | instid1(VALU_DEP_1)
	v_dual_add_f32 v9, v14, v9 :: v_dual_sub_f32 v14, v13, v103
	v_dual_add_f32 v9, v105, v9 :: v_dual_sub_f32 v14, v15, v14
	s_delay_alu instid0(VALU_DEP_1) | instskip(NEXT) | instid1(VALU_DEP_1)
	v_mul_f32_e32 v9, v12, v9
	v_add_f32_e32 v9, v14, v9
	s_delay_alu instid0(VALU_DEP_1) | instskip(NEXT) | instid1(VALU_DEP_1)
	v_add_f32_e32 v12, v13, v9
	v_mul_f32_e32 v14, v12, v12
	s_delay_alu instid0(VALU_DEP_1) | instskip(NEXT) | instid1(VALU_DEP_1)
	v_fmaak_f32 v15, s84, v14, 0x3ecc95a3
	v_dual_mul_f32 v17, v12, v14 :: v_dual_fmaak_f32 v14, v14, v15, 0x3f2aaada
	v_ldexp_f32 v15, v12, 1
	s_delay_alu instid0(VALU_DEP_2) | instskip(SKIP_1) | instid1(VALU_DEP_2)
	v_mul_f32_e32 v14, v17, v14
	v_dual_sub_f32 v12, v12, v13 :: v_dual_mul_f32 v17, 0x3f317218, v8
	v_add_f32_e32 v13, v15, v14
	s_delay_alu instid0(VALU_DEP_2) | instskip(NEXT) | instid1(VALU_DEP_2)
	v_sub_f32_e32 v9, v9, v12
	v_sub_f32_e32 v12, v13, v15
	s_delay_alu instid0(VALU_DEP_4) | instskip(NEXT) | instid1(VALU_DEP_3)
	v_fma_f32 v15, 0x3f317218, v8, -v17
	v_ldexp_f32 v9, v9, 1
	s_delay_alu instid0(VALU_DEP_3) | instskip(NEXT) | instid1(VALU_DEP_3)
	v_sub_f32_e32 v12, v14, v12
	v_fmac_f32_e32 v15, 0xb102e308, v8
	s_delay_alu instid0(VALU_DEP_2) | instskip(NEXT) | instid1(VALU_DEP_1)
	v_add_f32_e32 v8, v9, v12
	v_add_f32_e32 v12, v13, v8
	s_delay_alu instid0(VALU_DEP_1) | instskip(NEXT) | instid1(VALU_DEP_1)
	v_sub_f32_e32 v13, v12, v13
	v_dual_sub_f32 v8, v8, v13 :: v_dual_add_f32 v9, v17, v15
	s_delay_alu instid0(VALU_DEP_1) | instskip(NEXT) | instid1(VALU_DEP_1)
	v_add_f32_e32 v14, v9, v12
	v_sub_f32_e32 v102, v14, v9
	s_delay_alu instid0(VALU_DEP_1) | instskip(NEXT) | instid1(VALU_DEP_1)
	v_dual_sub_f32 v17, v9, v17 :: v_dual_sub_f32 v12, v12, v102
	v_sub_f32_e32 v15, v15, v17
	s_delay_alu instid0(VALU_DEP_1) | instskip(SKIP_1) | instid1(VALU_DEP_1)
	v_add_f32_e32 v13, v15, v8
	v_sub_f32_e32 v103, v14, v102
	v_sub_f32_e32 v9, v9, v103
	s_delay_alu instid0(VALU_DEP_1) | instskip(NEXT) | instid1(VALU_DEP_1)
	v_dual_add_f32 v9, v12, v9 :: v_dual_sub_f32 v12, v13, v15
	v_add_f32_e32 v9, v13, v9
	s_delay_alu instid0(VALU_DEP_2) | instskip(NEXT) | instid1(VALU_DEP_2)
	v_sub_f32_e32 v13, v13, v12
	v_dual_sub_f32 v8, v8, v12 :: v_dual_add_f32 v17, v14, v9
	s_delay_alu instid0(VALU_DEP_1) | instskip(NEXT) | instid1(VALU_DEP_1)
	v_dual_sub_f32 v13, v15, v13 :: v_dual_sub_f32 v12, v17, v14
	v_dual_add_f32 v8, v8, v13 :: v_dual_sub_f32 v9, v9, v12
	s_delay_alu instid0(VALU_DEP_1) | instskip(NEXT) | instid1(VALU_DEP_1)
	v_add_f32_e32 v8, v8, v9
	v_add_f32_e32 v8, v17, v8
	s_delay_alu instid0(VALU_DEP_1)
	v_cndmask_b32_e32 v124, v8, v10, vcc_lo
.LBB120_104:                            ;   in Loop: Header=BB120_12 Depth=1
	s_or_b32 exec_lo, exec_lo, s30
	v_lshrrev_b32_e32 v8, 16, v11
	s_delay_alu instid0(VALU_DEP_1) | instskip(NEXT) | instid1(VALU_DEP_1)
	v_cvt_f32_f16_e32 v8, v8
	v_add_f32_e32 v125, s67, v8
	s_delay_alu instid0(VALU_DEP_1) | instskip(SKIP_1) | instid1(SALU_CYCLE_1)
	v_cmp_ge_f32_e32 vcc_lo, 0x41a00000, v125
	s_and_b32 s29, s80, vcc_lo
	s_and_saveexec_b32 s30, s29
	s_cbranch_execz .LBB120_106
; %bb.105:                              ;   in Loop: Header=BB120_12 Depth=1
	v_mul_f32_e32 v8, 0x3fb8aa3b, v125
	v_cmp_ngt_f32_e32 vcc_lo, 0xc2ce8ed0, v125
	s_delay_alu instid0(VALU_DEP_2) | instskip(SKIP_1) | instid1(VALU_DEP_2)
	v_rndne_f32_e32 v9, v8
	v_fma_f32 v10, 0x3fb8aa3b, v125, -v8
	v_sub_f32_e32 v8, v8, v9
	s_delay_alu instid0(VALU_DEP_2) | instskip(SKIP_1) | instid1(VALU_DEP_2)
	v_fmac_f32_e32 v10, 0x32a5705f, v125
	v_cvt_i32_f32_e32 v9, v9
	v_add_f32_e32 v8, v8, v10
	s_delay_alu instid0(VALU_DEP_1) | instskip(SKIP_2) | instid1(VALU_DEP_1)
	v_exp_f32_e32 v8, v8
	s_waitcnt_depctr 0xfff
	v_ldexp_f32 v8, v8, v9
	v_cndmask_b32_e32 v8, 0, v8, vcc_lo
	v_cmp_nlt_f32_e32 vcc_lo, 0x42b17218, v125
	s_delay_alu instid0(VALU_DEP_2) | instskip(NEXT) | instid1(VALU_DEP_1)
	v_cndmask_b32_e32 v10, 0x7f800000, v8, vcc_lo
	v_add_f32_e32 v11, 1.0, v10
	s_delay_alu instid0(VALU_DEP_1) | instskip(NEXT) | instid1(VALU_DEP_1)
	v_cvt_f64_f32_e32 v[8:9], v11
	v_frexp_exp_i32_f64_e32 v8, v[8:9]
	v_frexp_mant_f32_e32 v9, v11
	s_delay_alu instid0(VALU_DEP_1) | instskip(SKIP_1) | instid1(VALU_DEP_1)
	v_cmp_gt_f32_e32 vcc_lo, 0x3f2aaaab, v9
	v_add_f32_e32 v9, -1.0, v11
	v_sub_f32_e32 v13, v9, v11
	v_sub_f32_e32 v9, v10, v9
	s_delay_alu instid0(VALU_DEP_2) | instskip(NEXT) | instid1(VALU_DEP_1)
	v_add_f32_e32 v13, 1.0, v13
	v_add_f32_e32 v9, v9, v13
	v_cmp_gt_f32_e64 s29, 0x33800000, v10
	v_subrev_co_ci_u32_e32 v8, vcc_lo, 0, v8, vcc_lo
	v_cmp_eq_f32_e32 vcc_lo, 0x7f800000, v10
	s_delay_alu instid0(VALU_DEP_2) | instskip(SKIP_2) | instid1(VALU_DEP_2)
	v_sub_nc_u32_e32 v12, 0, v8
	v_cvt_f32_i32_e32 v8, v8
	s_or_b32 vcc_lo, s29, vcc_lo
	v_ldexp_f32 v11, v11, v12
	v_ldexp_f32 v9, v9, v12
	s_delay_alu instid0(VALU_DEP_2) | instskip(NEXT) | instid1(VALU_DEP_1)
	v_add_f32_e32 v14, 1.0, v11
	v_dual_add_f32 v12, -1.0, v11 :: v_dual_add_f32 v13, -1.0, v14
	s_delay_alu instid0(VALU_DEP_1) | instskip(NEXT) | instid1(VALU_DEP_2)
	v_add_f32_e32 v15, 1.0, v12
	v_sub_f32_e32 v13, v11, v13
	s_delay_alu instid0(VALU_DEP_2) | instskip(NEXT) | instid1(VALU_DEP_2)
	v_sub_f32_e32 v11, v11, v15
	v_add_f32_e32 v13, v9, v13
	s_delay_alu instid0(VALU_DEP_2) | instskip(NEXT) | instid1(VALU_DEP_2)
	v_add_f32_e32 v9, v9, v11
	v_add_f32_e32 v15, v14, v13
	s_delay_alu instid0(VALU_DEP_1) | instskip(NEXT) | instid1(VALU_DEP_2)
	v_rcp_f32_e32 v11, v15
	v_dual_add_f32 v17, v12, v9 :: v_dual_sub_f32 v14, v14, v15
	s_delay_alu instid0(VALU_DEP_1) | instskip(SKIP_2) | instid1(VALU_DEP_1)
	v_dual_sub_f32 v12, v12, v17 :: v_dual_add_f32 v13, v13, v14
	s_waitcnt_depctr 0xfff
	v_mul_f32_e32 v102, v17, v11
	v_mul_f32_e32 v103, v15, v102
	s_delay_alu instid0(VALU_DEP_1) | instskip(NEXT) | instid1(VALU_DEP_1)
	v_fma_f32 v14, v102, v15, -v103
	v_dual_fmac_f32 v14, v102, v13 :: v_dual_add_f32 v9, v9, v12
	s_delay_alu instid0(VALU_DEP_1) | instskip(NEXT) | instid1(VALU_DEP_1)
	v_add_f32_e32 v105, v103, v14
	v_sub_f32_e32 v106, v17, v105
	v_sub_f32_e32 v12, v105, v103
	s_delay_alu instid0(VALU_DEP_2) | instskip(NEXT) | instid1(VALU_DEP_1)
	v_sub_f32_e32 v17, v17, v106
	v_dual_sub_f32 v12, v12, v14 :: v_dual_sub_f32 v17, v17, v105
	s_delay_alu instid0(VALU_DEP_1) | instskip(NEXT) | instid1(VALU_DEP_1)
	v_add_f32_e32 v9, v9, v17
	v_add_f32_e32 v9, v12, v9
	s_delay_alu instid0(VALU_DEP_1) | instskip(NEXT) | instid1(VALU_DEP_1)
	v_add_f32_e32 v12, v106, v9
	v_mul_f32_e32 v14, v11, v12
	v_sub_f32_e32 v105, v106, v12
	s_delay_alu instid0(VALU_DEP_2) | instskip(NEXT) | instid1(VALU_DEP_2)
	v_mul_f32_e32 v17, v15, v14
	v_add_f32_e32 v9, v9, v105
	s_delay_alu instid0(VALU_DEP_2) | instskip(NEXT) | instid1(VALU_DEP_1)
	v_fma_f32 v15, v14, v15, -v17
	v_fmac_f32_e32 v15, v14, v13
	s_delay_alu instid0(VALU_DEP_1) | instskip(NEXT) | instid1(VALU_DEP_1)
	v_add_f32_e32 v13, v17, v15
	v_sub_f32_e32 v103, v12, v13
	s_delay_alu instid0(VALU_DEP_1) | instskip(NEXT) | instid1(VALU_DEP_1)
	v_dual_sub_f32 v17, v13, v17 :: v_dual_sub_f32 v12, v12, v103
	v_dual_sub_f32 v12, v12, v13 :: v_dual_sub_f32 v13, v17, v15
	s_delay_alu instid0(VALU_DEP_1) | instskip(NEXT) | instid1(VALU_DEP_1)
	v_dual_add_f32 v9, v9, v12 :: v_dual_add_f32 v12, v102, v14
	v_add_f32_e32 v9, v13, v9
	s_delay_alu instid0(VALU_DEP_2) | instskip(NEXT) | instid1(VALU_DEP_2)
	v_sub_f32_e32 v13, v12, v102
	v_add_f32_e32 v9, v103, v9
	s_delay_alu instid0(VALU_DEP_2) | instskip(NEXT) | instid1(VALU_DEP_2)
	v_sub_f32_e32 v13, v14, v13
	v_mul_f32_e32 v9, v11, v9
	s_delay_alu instid0(VALU_DEP_1) | instskip(NEXT) | instid1(VALU_DEP_1)
	v_add_f32_e32 v9, v13, v9
	v_add_f32_e32 v11, v12, v9
	s_delay_alu instid0(VALU_DEP_1) | instskip(NEXT) | instid1(VALU_DEP_1)
	v_mul_f32_e32 v13, v11, v11
	v_fmaak_f32 v14, s84, v13, 0x3ecc95a3
	v_mul_f32_e32 v15, v11, v13
	s_delay_alu instid0(VALU_DEP_2) | instskip(SKIP_2) | instid1(VALU_DEP_3)
	v_fmaak_f32 v13, v13, v14, 0x3f2aaada
	v_ldexp_f32 v14, v11, 1
	v_sub_f32_e32 v11, v11, v12
	v_mul_f32_e32 v13, v15, v13
	v_mul_f32_e32 v15, 0x3f317218, v8
	s_delay_alu instid0(VALU_DEP_2) | instskip(NEXT) | instid1(VALU_DEP_1)
	v_dual_sub_f32 v9, v9, v11 :: v_dual_add_f32 v12, v14, v13
	v_ldexp_f32 v9, v9, 1
	s_delay_alu instid0(VALU_DEP_2) | instskip(NEXT) | instid1(VALU_DEP_4)
	v_sub_f32_e32 v11, v12, v14
	v_fma_f32 v14, 0x3f317218, v8, -v15
	s_delay_alu instid0(VALU_DEP_1) | instskip(NEXT) | instid1(VALU_DEP_1)
	v_dual_sub_f32 v11, v13, v11 :: v_dual_fmac_f32 v14, 0xb102e308, v8
	v_dual_add_f32 v8, v9, v11 :: v_dual_add_f32 v9, v15, v14
	s_delay_alu instid0(VALU_DEP_1) | instskip(NEXT) | instid1(VALU_DEP_2)
	v_add_f32_e32 v11, v12, v8
	v_sub_f32_e32 v15, v9, v15
	s_delay_alu instid0(VALU_DEP_2) | instskip(NEXT) | instid1(VALU_DEP_1)
	v_dual_add_f32 v13, v9, v11 :: v_dual_sub_f32 v12, v11, v12
	v_dual_sub_f32 v14, v14, v15 :: v_dual_sub_f32 v17, v13, v9
	s_delay_alu instid0(VALU_DEP_2) | instskip(NEXT) | instid1(VALU_DEP_2)
	v_sub_f32_e32 v8, v8, v12
	v_sub_f32_e32 v102, v13, v17
	s_delay_alu instid0(VALU_DEP_2) | instskip(NEXT) | instid1(VALU_DEP_2)
	v_dual_sub_f32 v11, v11, v17 :: v_dual_add_f32 v12, v14, v8
	v_sub_f32_e32 v9, v9, v102
	s_delay_alu instid0(VALU_DEP_1) | instskip(NEXT) | instid1(VALU_DEP_3)
	v_add_f32_e32 v9, v11, v9
	v_sub_f32_e32 v11, v12, v14
	s_delay_alu instid0(VALU_DEP_2) | instskip(NEXT) | instid1(VALU_DEP_2)
	v_add_f32_e32 v9, v12, v9
	v_sub_f32_e32 v12, v12, v11
	s_delay_alu instid0(VALU_DEP_2) | instskip(NEXT) | instid1(VALU_DEP_1)
	v_dual_sub_f32 v8, v8, v11 :: v_dual_add_f32 v15, v13, v9
	v_dual_sub_f32 v12, v14, v12 :: v_dual_sub_f32 v11, v15, v13
	s_delay_alu instid0(VALU_DEP_1) | instskip(NEXT) | instid1(VALU_DEP_1)
	v_dual_add_f32 v8, v8, v12 :: v_dual_sub_f32 v9, v9, v11
	v_add_f32_e32 v8, v8, v9
	s_delay_alu instid0(VALU_DEP_1) | instskip(NEXT) | instid1(VALU_DEP_1)
	v_add_f32_e32 v8, v15, v8
	v_cndmask_b32_e32 v125, v8, v10, vcc_lo
.LBB120_106:                            ;   in Loop: Header=BB120_12 Depth=1
	s_or_b32 exec_lo, exec_lo, s30
	v_lshrrev_b32_e32 v9, 16, v6
	v_lshrrev_b32_e32 v10, 16, v7
	;; [unrolled: 1-line block ×6, first 2 shown]
	v_cvt_f32_f16_e32 v8, v7
	v_cvt_f32_f16_e32 v7, v9
	;; [unrolled: 1-line block ×7, first 2 shown]
	v_lshrrev_b32_e32 v14, 16, v1
	v_lshrrev_b32_e32 v15, 16, v0
	v_cvt_f32_f16_e32 v6, v6
	v_cvt_f32_f16_e32 v5, v5
	;; [unrolled: 1-line block ×9, first 2 shown]
	v_dual_mul_f32 v106, s68, v8 :: v_dual_mul_f32 v107, s68, v6
	v_dual_mul_f32 v102, s68, v7 :: v_dual_mul_f32 v103, s68, v9
	;; [unrolled: 1-line block ×7, first 2 shown]
	v_mul_f32_e32 v113, s68, v15
	v_mul_f32_e32 v112, s68, v11
	s_and_b32 vcc_lo, exec_lo, s81
	s_barrier
	buffer_gl0_inv
	s_cbranch_vccz .LBB120_204
; %bb.107:                              ;   in Loop: Header=BB120_12 Depth=1
	v_dual_mul_f32 v126, v125, v11 :: v_dual_mul_f32 v131, v124, v8
	v_add_co_u32 v11, s29, s61, v16
	s_delay_alu instid0(VALU_DEP_1) | instskip(SKIP_1) | instid1(VALU_DEP_1)
	v_add_co_ci_u32_e64 v17, null, s62, 0, s29
	v_add_co_u32 v16, s29, s49, v16
	v_add_co_ci_u32_e64 v130, null, s74, 0, s29
	s_delay_alu instid0(VALU_DEP_4) | instskip(NEXT) | instid1(VALU_DEP_4)
	v_add_co_u32 v127, vcc_lo, v11, v93
	v_add_co_ci_u32_e32 v128, vcc_lo, 0, v17, vcc_lo
	s_delay_alu instid0(VALU_DEP_4) | instskip(NEXT) | instid1(VALU_DEP_4)
	v_add_co_u32 v129, vcc_lo, v16, v93
	v_add_co_ci_u32_e32 v130, vcc_lo, 0, v130, vcc_lo
	v_cmp_gt_u32_e32 vcc_lo, s41, v18
	s_cmp_lg_u32 s88, 0
	v_cmp_gt_u32_e64 s31, s41, v79
	s_cselect_b32 s51, -1, 0
	s_cmp_eq_u32 s88, s83
	v_cmp_gt_u32_e64 s33, s41, v80
	s_cselect_b32 s89, -1, 0
	s_or_b32 s29, s82, vcc_lo
	v_cmp_gt_u32_e32 vcc_lo, s41, v78
	v_cmp_gt_u32_e64 s34, s41, v81
	v_cmp_gt_u32_e64 s35, s41, v82
	;; [unrolled: 1-line block ×4, first 2 shown]
	s_or_b32 s30, s82, vcc_lo
	v_cmp_gt_u32_e32 vcc_lo, s41, v83
	v_cmp_gt_u32_e64 s39, s41, v86
	v_cmp_gt_u32_e64 s40, s41, v87
	;; [unrolled: 1-line block ×4, first 2 shown]
	s_or_b32 s36, s82, vcc_lo
	v_cmp_gt_u32_e32 vcc_lo, s41, v88
	v_cmp_gt_u32_e64 s44, s41, v91
	v_cmp_gt_u32_e64 s45, s41, v92
	v_dual_mul_f32 v132, v123, v7 :: v_dual_mul_f32 v133, v122, v6
	v_dual_mul_f32 v134, v121, v9 :: v_dual_mul_f32 v137, v104, v4
	;; [unrolled: 1-line block ×7, first 2 shown]
	s_mov_b32 s64, 0
	s_or_b32 s31, s82, s31
	s_or_b32 s33, s82, s33
	;; [unrolled: 1-line block ×8, first 2 shown]
	s_or_b32 s41, s82, vcc_lo
	s_or_b32 s42, s82, s42
	s_or_b32 s43, s82, s43
	;; [unrolled: 1-line block ×4, first 2 shown]
	s_mov_b32 s52, s64
	s_mov_b32 s54, s64
	;; [unrolled: 1-line block ×5, first 2 shown]
	s_branch .LBB120_109
.LBB120_108:                            ;   in Loop: Header=BB120_109 Depth=2
	s_or_b32 exec_lo, exec_lo, s46
	v_cndmask_b32_e64 v9, v175, v11, s12
	v_cndmask_b32_e64 v10, v174, v10, s12
	s_add_i32 s90, s90, -1
	s_add_i32 s91, s91, 8
	s_add_i32 s58, s58, s75
	v_fma_f32 v9, v9, v146, v15
	v_mul_f32_e32 v10, v10, v146
	s_add_i32 s54, s54, s48
	s_add_i32 s52, s52, s60
	;; [unrolled: 1-line block ×3, first 2 shown]
	v_cndmask_b32_e64 v9, v9, v15, s11
	v_cndmask_b32_e64 v10, v10, v146, s11
	s_cmp_eq_u32 s90, 0
	s_waitcnt lgkmcnt(0)
	s_delay_alu instid0(VALU_DEP_1) | instskip(NEXT) | instid1(VALU_DEP_1)
	v_fmac_f32_e32 v9, v8, v10
	v_fmac_f32_e32 v12, v9, v148
	s_delay_alu instid0(VALU_DEP_1) | instskip(NEXT) | instid1(VALU_DEP_1)
	v_fmac_f32_e32 v13, v12, v150
	v_fmac_f32_e32 v14, v13, v152
	v_fma_mix_f32 v120, v9, v4, v120 op_sel_hi:[0,1,0]
	s_delay_alu instid0(VALU_DEP_2) | instskip(SKIP_2) | instid1(VALU_DEP_3)
	v_fmac_f32_e32 v147, v14, v154
	v_fma_mix_f32 v113, v12, v4, v113 op_sel:[0,1,0] op_sel_hi:[0,1,0]
	v_fma_mix_f32 v114, v14, v5, v114 op_sel:[0,1,0] op_sel_hi:[0,1,0]
	v_fmac_f32_e32 v149, v147, v155
	v_fma_mix_f32 v117, v147, v6, v117 op_sel_hi:[0,1,0]
	s_delay_alu instid0(VALU_DEP_2) | instskip(SKIP_1) | instid1(VALU_DEP_2)
	v_fmac_f32_e32 v151, v149, v157
	v_fma_mix_f32 v110, v149, v6, v110 op_sel:[0,1,0] op_sel_hi:[0,1,0]
	v_fmac_f32_e32 v153, v151, v160
	s_delay_alu instid0(VALU_DEP_1) | instskip(SKIP_1) | instid1(VALU_DEP_2)
	v_fmac_f32_e32 v156, v153, v161
	v_fma_mix_f32 v119, v13, v5, v119 op_sel_hi:[0,1,0]
	v_fmac_f32_e32 v158, v156, v162
	v_fma_mix_f32 v116, v151, v7, v116 op_sel_hi:[0,1,0]
	v_fma_mix_f32 v111, v156, v0, v111 op_sel_hi:[0,1,0]
	s_delay_alu instid0(VALU_DEP_3) | instskip(SKIP_1) | instid1(VALU_DEP_2)
	v_fmac_f32_e32 v159, v158, v163
	v_fma_mix_f32 v105, v158, v0, v105 op_sel:[0,1,0] op_sel_hi:[0,1,0]
	v_fmac_f32_e32 v164, v159, v170
	v_fma_mix_f32 v108, v159, v1, v108 op_sel_hi:[0,1,0]
	s_delay_alu instid0(VALU_DEP_2) | instskip(NEXT) | instid1(VALU_DEP_1)
	v_fmac_f32_e32 v165, v164, v167
	v_fmac_f32_e32 v166, v165, v169
	v_fma_mix_f32 v109, v153, v7, v109 op_sel:[0,1,0] op_sel_hi:[0,1,0]
	s_delay_alu instid0(VALU_DEP_2) | instskip(SKIP_2) | instid1(VALU_DEP_3)
	v_fmac_f32_e32 v168, v166, v172
	v_fma_mix_f32 v107, v165, v2, v107 op_sel_hi:[0,1,0]
	v_fma_mix_f32 v102, v166, v2, v102 op_sel:[0,1,0] op_sel_hi:[0,1,0]
	v_fmac_f32_e32 v171, v168, v173
	v_fma_mix_f32 v103, v164, v1, v103 op_sel:[0,1,0] op_sel_hi:[0,1,0]
	v_fma_mix_f32 v106, v168, v3, v106 op_sel_hi:[0,1,0]
	s_delay_alu instid0(VALU_DEP_3)
	v_fma_mix_f32 v112, v171, v3, v112 op_sel:[0,1,0] op_sel_hi:[0,1,0]
	s_cbranch_scc1 .LBB120_204
.LBB120_109:                            ;   Parent Loop BB120_12 Depth=1
                                        ; =>  This Inner Loop Header: Depth=2
	s_lshl_b64 s[46:47], s[64:65], 2
	s_mov_b32 s53, s65
	s_add_u32 s46, s72, s46
	s_addc_u32 s47, s73, s47
	v_dual_mov_b32 v2, 0 :: v_dual_mov_b32 v3, 0
	global_load_b32 v146, v21, s[46:47]
	s_lshl_b64 s[46:47], s[52:53], 1
	s_delay_alu instid0(SALU_CYCLE_1)
	v_add_co_u32 v0, vcc_lo, v127, s46
	v_add_co_ci_u32_e32 v1, vcc_lo, s47, v128, vcc_lo
	s_and_saveexec_b32 s46, s13
	s_cbranch_execnz .LBB120_145
; %bb.110:                              ;   in Loop: Header=BB120_109 Depth=2
	s_or_b32 exec_lo, exec_lo, s46
	s_and_saveexec_b32 s46, s14
	s_cbranch_execnz .LBB120_146
.LBB120_111:                            ;   in Loop: Header=BB120_109 Depth=2
	s_or_b32 exec_lo, exec_lo, s46
	v_mov_b32_e32 v4, 0
	s_and_saveexec_b32 s46, s15
	s_cbranch_execnz .LBB120_147
.LBB120_112:                            ;   in Loop: Header=BB120_109 Depth=2
	s_or_b32 exec_lo, exec_lo, s46
	s_and_saveexec_b32 s46, s16
	s_cbranch_execnz .LBB120_148
.LBB120_113:                            ;   in Loop: Header=BB120_109 Depth=2
	s_or_b32 exec_lo, exec_lo, s46
	v_mov_b32_e32 v5, 0
	s_and_saveexec_b32 s46, s17
	s_cbranch_execnz .LBB120_149
.LBB120_114:                            ;   in Loop: Header=BB120_109 Depth=2
	s_or_b32 exec_lo, exec_lo, s46
	s_and_saveexec_b32 s46, s18
	s_cbranch_execnz .LBB120_150
.LBB120_115:                            ;   in Loop: Header=BB120_109 Depth=2
	s_or_b32 exec_lo, exec_lo, s46
	v_mov_b32_e32 v6, 0
	s_and_saveexec_b32 s46, s19
	s_cbranch_execnz .LBB120_151
.LBB120_116:                            ;   in Loop: Header=BB120_109 Depth=2
	s_or_b32 exec_lo, exec_lo, s46
	s_and_saveexec_b32 s46, s20
	s_cbranch_execnz .LBB120_152
.LBB120_117:                            ;   in Loop: Header=BB120_109 Depth=2
	s_or_b32 exec_lo, exec_lo, s46
	v_mov_b32_e32 v7, 0
	s_and_saveexec_b32 s46, s21
	s_cbranch_execnz .LBB120_153
.LBB120_118:                            ;   in Loop: Header=BB120_109 Depth=2
	s_or_b32 exec_lo, exec_lo, s46
	s_and_saveexec_b32 s46, s22
	s_cbranch_execnz .LBB120_154
.LBB120_119:                            ;   in Loop: Header=BB120_109 Depth=2
	s_or_b32 exec_lo, exec_lo, s46
	v_mov_b32_e32 v8, 0
	s_and_saveexec_b32 s46, s23
	s_cbranch_execnz .LBB120_155
.LBB120_120:                            ;   in Loop: Header=BB120_109 Depth=2
	s_or_b32 exec_lo, exec_lo, s46
	s_and_saveexec_b32 s46, s24
	s_cbranch_execnz .LBB120_156
.LBB120_121:                            ;   in Loop: Header=BB120_109 Depth=2
	s_or_b32 exec_lo, exec_lo, s46
	v_mov_b32_e32 v9, 0
	s_and_saveexec_b32 s46, s25
	s_cbranch_execnz .LBB120_157
.LBB120_122:                            ;   in Loop: Header=BB120_109 Depth=2
	s_or_b32 exec_lo, exec_lo, s46
	s_and_saveexec_b32 s46, s26
	s_cbranch_execnz .LBB120_158
.LBB120_123:                            ;   in Loop: Header=BB120_109 Depth=2
	s_or_b32 exec_lo, exec_lo, s46
	v_mov_b32_e32 v10, 0
	s_and_saveexec_b32 s46, s27
	s_cbranch_execnz .LBB120_159
.LBB120_124:                            ;   in Loop: Header=BB120_109 Depth=2
	s_or_b32 exec_lo, exec_lo, s46
	s_and_saveexec_b32 s46, s28
	s_cbranch_execz .LBB120_126
.LBB120_125:                            ;   in Loop: Header=BB120_109 Depth=2
	global_load_u16 v0, v[0:1], off offset:960
	s_waitcnt vmcnt(0)
	v_lshl_or_b32 v10, v0, 16, v10
.LBB120_126:                            ;   in Loop: Header=BB120_109 Depth=2
	s_or_b32 exec_lo, exec_lo, s46
	s_waitcnt vmcnt(0)
	ds_store_b16 v37, v3
	ds_store_b16 v37, v2 offset:64
	ds_store_b16 v38, v4 offset:128
	ds_store_b16_d16_hi v39, v4 offset:192
	ds_store_b16 v40, v5 offset:256
	ds_store_b16_d16_hi v41, v5 offset:320
	ds_store_b16 v42, v6 offset:384
	ds_store_b16_d16_hi v43, v6 offset:448
	ds_store_b16 v44, v7 offset:512
	ds_store_b16_d16_hi v45, v7 offset:576
	ds_store_b16 v46, v8 offset:640
	ds_store_b16_d16_hi v47, v8 offset:704
	ds_store_b16 v48, v9 offset:768
	ds_store_b16_d16_hi v49, v9 offset:832
	ds_store_b16 v50, v10 offset:896
	ds_store_b16_d16_hi v51, v10 offset:960
	; wave barrier
	ds_load_b128 v[12:15], v52
	ds_load_b128 v[8:11], v52 offset:16
	s_mov_b32 s55, s65
	v_dual_mov_b32 v2, 0 :: v_dual_mov_b32 v3, 0
	s_lshl_b64 s[46:47], s[54:55], 1
	s_delay_alu instid0(SALU_CYCLE_1)
	v_add_co_u32 v0, vcc_lo, v129, s46
	v_add_co_ci_u32_e32 v1, vcc_lo, s47, v130, vcc_lo
	s_and_saveexec_b32 s46, s13
	s_cbranch_execnz .LBB120_160
; %bb.127:                              ;   in Loop: Header=BB120_109 Depth=2
	s_or_b32 exec_lo, exec_lo, s46
	s_and_saveexec_b32 s46, s14
	s_cbranch_execnz .LBB120_161
.LBB120_128:                            ;   in Loop: Header=BB120_109 Depth=2
	s_or_b32 exec_lo, exec_lo, s46
	v_mov_b32_e32 v4, 0
	s_and_saveexec_b32 s46, s15
	s_cbranch_execnz .LBB120_162
.LBB120_129:                            ;   in Loop: Header=BB120_109 Depth=2
	s_or_b32 exec_lo, exec_lo, s46
	s_and_saveexec_b32 s46, s16
	s_cbranch_execnz .LBB120_163
.LBB120_130:                            ;   in Loop: Header=BB120_109 Depth=2
	s_or_b32 exec_lo, exec_lo, s46
	v_mov_b32_e32 v5, 0
	s_and_saveexec_b32 s46, s17
	s_cbranch_execnz .LBB120_164
.LBB120_131:                            ;   in Loop: Header=BB120_109 Depth=2
	s_or_b32 exec_lo, exec_lo, s46
	s_and_saveexec_b32 s46, s18
	s_cbranch_execnz .LBB120_165
.LBB120_132:                            ;   in Loop: Header=BB120_109 Depth=2
	s_or_b32 exec_lo, exec_lo, s46
	v_mov_b32_e32 v6, 0
	s_and_saveexec_b32 s46, s19
	s_cbranch_execnz .LBB120_166
.LBB120_133:                            ;   in Loop: Header=BB120_109 Depth=2
	s_or_b32 exec_lo, exec_lo, s46
	s_and_saveexec_b32 s46, s20
	s_cbranch_execnz .LBB120_167
.LBB120_134:                            ;   in Loop: Header=BB120_109 Depth=2
	s_or_b32 exec_lo, exec_lo, s46
	v_mov_b32_e32 v7, 0
	s_and_saveexec_b32 s46, s21
	s_cbranch_execnz .LBB120_168
.LBB120_135:                            ;   in Loop: Header=BB120_109 Depth=2
	s_or_b32 exec_lo, exec_lo, s46
	s_and_saveexec_b32 s46, s22
	s_cbranch_execnz .LBB120_169
.LBB120_136:                            ;   in Loop: Header=BB120_109 Depth=2
	s_or_b32 exec_lo, exec_lo, s46
	v_mov_b32_e32 v16, 0
	s_and_saveexec_b32 s46, s23
	s_cbranch_execnz .LBB120_170
.LBB120_137:                            ;   in Loop: Header=BB120_109 Depth=2
	s_or_b32 exec_lo, exec_lo, s46
	s_and_saveexec_b32 s46, s24
	s_cbranch_execnz .LBB120_171
.LBB120_138:                            ;   in Loop: Header=BB120_109 Depth=2
	s_or_b32 exec_lo, exec_lo, s46
	v_mov_b32_e32 v17, 0
	s_and_saveexec_b32 s46, s25
	s_cbranch_execnz .LBB120_172
.LBB120_139:                            ;   in Loop: Header=BB120_109 Depth=2
	s_or_b32 exec_lo, exec_lo, s46
	s_and_saveexec_b32 s46, s26
	s_cbranch_execnz .LBB120_173
.LBB120_140:                            ;   in Loop: Header=BB120_109 Depth=2
	s_or_b32 exec_lo, exec_lo, s46
	v_mov_b32_e32 v147, 0
	s_and_saveexec_b32 s46, s27
	s_cbranch_execnz .LBB120_174
.LBB120_141:                            ;   in Loop: Header=BB120_109 Depth=2
	s_or_b32 exec_lo, exec_lo, s46
	s_and_saveexec_b32 s46, s28
	s_cbranch_execz .LBB120_143
.LBB120_142:                            ;   in Loop: Header=BB120_109 Depth=2
	global_load_u16 v0, v[0:1], off offset:960
	s_waitcnt vmcnt(0)
	v_lshl_or_b32 v147, v0, 16, v147
.LBB120_143:                            ;   in Loop: Header=BB120_109 Depth=2
	s_or_b32 exec_lo, exec_lo, s46
	s_waitcnt vmcnt(0)
	ds_store_b16 v37, v3 offset:4224
	ds_store_b16 v53, v2 offset:64
	;; [unrolled: 1-line block ×3, first 2 shown]
	ds_store_b16_d16_hi v55, v4 offset:192
	ds_store_b16 v56, v5 offset:256
	ds_store_b16_d16_hi v57, v5 offset:320
	ds_store_b16 v58, v6 offset:384
	ds_store_b16_d16_hi v59, v6 offset:448
	ds_store_b16 v60, v7 offset:512
	ds_store_b16_d16_hi v61, v7 offset:576
	ds_store_b16 v62, v16 offset:640
	ds_store_b16_d16_hi v63, v16 offset:704
	ds_store_b16 v64, v17 offset:768
	ds_store_b16_d16_hi v65, v17 offset:832
	ds_store_b16 v66, v147 offset:896
	ds_store_b16_d16_hi v67, v147 offset:960
	; wave barrier
	ds_load_b128 v[4:7], v52 offset:4224
	ds_load_b128 v[0:3], v68 offset:16
	s_and_not1_b32 vcc_lo, exec_lo, s51
	s_cbranch_vccnz .LBB120_175
; %bb.144:                              ;   in Loop: Header=BB120_109 Depth=2
	v_mov_b32_e32 v16, s91
	ds_load_b64 v[16:17], v16
	s_cbranch_execz .LBB120_176
	s_branch .LBB120_179
.LBB120_145:                            ;   in Loop: Header=BB120_109 Depth=2
	global_load_u16 v3, v[0:1], off
	s_or_b32 exec_lo, exec_lo, s46
	s_and_saveexec_b32 s46, s14
	s_cbranch_execz .LBB120_111
.LBB120_146:                            ;   in Loop: Header=BB120_109 Depth=2
	global_load_u16 v2, v[0:1], off offset:64
	s_or_b32 exec_lo, exec_lo, s46
	v_mov_b32_e32 v4, 0
	s_and_saveexec_b32 s46, s15
	s_cbranch_execz .LBB120_112
.LBB120_147:                            ;   in Loop: Header=BB120_109 Depth=2
	global_load_u16 v4, v[0:1], off offset:128
	s_or_b32 exec_lo, exec_lo, s46
	s_and_saveexec_b32 s46, s16
	s_cbranch_execz .LBB120_113
.LBB120_148:                            ;   in Loop: Header=BB120_109 Depth=2
	global_load_u16 v5, v[0:1], off offset:192
	s_waitcnt vmcnt(0)
	v_lshl_or_b32 v4, v5, 16, v4
	s_or_b32 exec_lo, exec_lo, s46
	v_mov_b32_e32 v5, 0
	s_and_saveexec_b32 s46, s17
	s_cbranch_execz .LBB120_114
.LBB120_149:                            ;   in Loop: Header=BB120_109 Depth=2
	global_load_u16 v5, v[0:1], off offset:256
	s_or_b32 exec_lo, exec_lo, s46
	s_and_saveexec_b32 s46, s18
	s_cbranch_execz .LBB120_115
.LBB120_150:                            ;   in Loop: Header=BB120_109 Depth=2
	global_load_u16 v6, v[0:1], off offset:320
	s_waitcnt vmcnt(0)
	v_lshl_or_b32 v5, v6, 16, v5
	s_or_b32 exec_lo, exec_lo, s46
	v_mov_b32_e32 v6, 0
	s_and_saveexec_b32 s46, s19
	s_cbranch_execz .LBB120_116
.LBB120_151:                            ;   in Loop: Header=BB120_109 Depth=2
	global_load_u16 v6, v[0:1], off offset:384
	s_or_b32 exec_lo, exec_lo, s46
	s_and_saveexec_b32 s46, s20
	s_cbranch_execz .LBB120_117
.LBB120_152:                            ;   in Loop: Header=BB120_109 Depth=2
	global_load_u16 v7, v[0:1], off offset:448
	s_waitcnt vmcnt(0)
	v_lshl_or_b32 v6, v7, 16, v6
	s_or_b32 exec_lo, exec_lo, s46
	v_mov_b32_e32 v7, 0
	s_and_saveexec_b32 s46, s21
	s_cbranch_execz .LBB120_118
.LBB120_153:                            ;   in Loop: Header=BB120_109 Depth=2
	global_load_u16 v7, v[0:1], off offset:512
	s_or_b32 exec_lo, exec_lo, s46
	s_and_saveexec_b32 s46, s22
	s_cbranch_execz .LBB120_119
.LBB120_154:                            ;   in Loop: Header=BB120_109 Depth=2
	global_load_u16 v8, v[0:1], off offset:576
	s_waitcnt vmcnt(0)
	v_lshl_or_b32 v7, v8, 16, v7
	s_or_b32 exec_lo, exec_lo, s46
	v_mov_b32_e32 v8, 0
	s_and_saveexec_b32 s46, s23
	s_cbranch_execz .LBB120_120
.LBB120_155:                            ;   in Loop: Header=BB120_109 Depth=2
	global_load_u16 v8, v[0:1], off offset:640
	s_or_b32 exec_lo, exec_lo, s46
	s_and_saveexec_b32 s46, s24
	s_cbranch_execz .LBB120_121
.LBB120_156:                            ;   in Loop: Header=BB120_109 Depth=2
	global_load_u16 v9, v[0:1], off offset:704
	s_waitcnt vmcnt(0)
	v_lshl_or_b32 v8, v9, 16, v8
	s_or_b32 exec_lo, exec_lo, s46
	v_mov_b32_e32 v9, 0
	s_and_saveexec_b32 s46, s25
	s_cbranch_execz .LBB120_122
.LBB120_157:                            ;   in Loop: Header=BB120_109 Depth=2
	global_load_u16 v9, v[0:1], off offset:768
	s_or_b32 exec_lo, exec_lo, s46
	s_and_saveexec_b32 s46, s26
	s_cbranch_execz .LBB120_123
.LBB120_158:                            ;   in Loop: Header=BB120_109 Depth=2
	global_load_u16 v10, v[0:1], off offset:832
	s_waitcnt vmcnt(0)
	v_lshl_or_b32 v9, v10, 16, v9
	s_or_b32 exec_lo, exec_lo, s46
	v_mov_b32_e32 v10, 0
	s_and_saveexec_b32 s46, s27
	s_cbranch_execz .LBB120_124
.LBB120_159:                            ;   in Loop: Header=BB120_109 Depth=2
	global_load_u16 v10, v[0:1], off offset:896
	s_or_b32 exec_lo, exec_lo, s46
	s_and_saveexec_b32 s46, s28
	s_cbranch_execnz .LBB120_125
	s_branch .LBB120_126
.LBB120_160:                            ;   in Loop: Header=BB120_109 Depth=2
	global_load_u16 v3, v[0:1], off
	s_or_b32 exec_lo, exec_lo, s46
	s_and_saveexec_b32 s46, s14
	s_cbranch_execz .LBB120_128
.LBB120_161:                            ;   in Loop: Header=BB120_109 Depth=2
	global_load_u16 v2, v[0:1], off offset:64
	s_or_b32 exec_lo, exec_lo, s46
	v_mov_b32_e32 v4, 0
	s_and_saveexec_b32 s46, s15
	s_cbranch_execz .LBB120_129
.LBB120_162:                            ;   in Loop: Header=BB120_109 Depth=2
	global_load_u16 v4, v[0:1], off offset:128
	s_or_b32 exec_lo, exec_lo, s46
	s_and_saveexec_b32 s46, s16
	s_cbranch_execz .LBB120_130
.LBB120_163:                            ;   in Loop: Header=BB120_109 Depth=2
	global_load_u16 v5, v[0:1], off offset:192
	s_waitcnt vmcnt(0)
	v_lshl_or_b32 v4, v5, 16, v4
	s_or_b32 exec_lo, exec_lo, s46
	v_mov_b32_e32 v5, 0
	s_and_saveexec_b32 s46, s17
	s_cbranch_execz .LBB120_131
.LBB120_164:                            ;   in Loop: Header=BB120_109 Depth=2
	global_load_u16 v5, v[0:1], off offset:256
	s_or_b32 exec_lo, exec_lo, s46
	s_and_saveexec_b32 s46, s18
	s_cbranch_execz .LBB120_132
.LBB120_165:                            ;   in Loop: Header=BB120_109 Depth=2
	global_load_u16 v6, v[0:1], off offset:320
	s_waitcnt vmcnt(0)
	v_lshl_or_b32 v5, v6, 16, v5
	s_or_b32 exec_lo, exec_lo, s46
	v_mov_b32_e32 v6, 0
	s_and_saveexec_b32 s46, s19
	s_cbranch_execz .LBB120_133
.LBB120_166:                            ;   in Loop: Header=BB120_109 Depth=2
	global_load_u16 v6, v[0:1], off offset:384
	s_or_b32 exec_lo, exec_lo, s46
	s_and_saveexec_b32 s46, s20
	s_cbranch_execz .LBB120_134
.LBB120_167:                            ;   in Loop: Header=BB120_109 Depth=2
	global_load_u16 v7, v[0:1], off offset:448
	s_waitcnt vmcnt(0)
	v_lshl_or_b32 v6, v7, 16, v6
	s_or_b32 exec_lo, exec_lo, s46
	v_mov_b32_e32 v7, 0
	s_and_saveexec_b32 s46, s21
	s_cbranch_execz .LBB120_135
.LBB120_168:                            ;   in Loop: Header=BB120_109 Depth=2
	global_load_u16 v7, v[0:1], off offset:512
	s_or_b32 exec_lo, exec_lo, s46
	s_and_saveexec_b32 s46, s22
	s_cbranch_execz .LBB120_136
.LBB120_169:                            ;   in Loop: Header=BB120_109 Depth=2
	global_load_u16 v16, v[0:1], off offset:576
	s_waitcnt vmcnt(0)
	v_lshl_or_b32 v7, v16, 16, v7
	s_or_b32 exec_lo, exec_lo, s46
	v_mov_b32_e32 v16, 0
	s_and_saveexec_b32 s46, s23
	s_cbranch_execz .LBB120_137
.LBB120_170:                            ;   in Loop: Header=BB120_109 Depth=2
	global_load_u16 v16, v[0:1], off offset:640
	s_or_b32 exec_lo, exec_lo, s46
	s_and_saveexec_b32 s46, s24
	s_cbranch_execz .LBB120_138
.LBB120_171:                            ;   in Loop: Header=BB120_109 Depth=2
	global_load_u16 v17, v[0:1], off offset:704
	s_waitcnt vmcnt(0)
	v_lshl_or_b32 v16, v17, 16, v16
	s_or_b32 exec_lo, exec_lo, s46
	v_mov_b32_e32 v17, 0
	s_and_saveexec_b32 s46, s25
	s_cbranch_execz .LBB120_139
.LBB120_172:                            ;   in Loop: Header=BB120_109 Depth=2
	global_load_u16 v17, v[0:1], off offset:768
	s_or_b32 exec_lo, exec_lo, s46
	s_and_saveexec_b32 s46, s26
	s_cbranch_execz .LBB120_140
.LBB120_173:                            ;   in Loop: Header=BB120_109 Depth=2
	global_load_u16 v147, v[0:1], off offset:832
	s_waitcnt vmcnt(0)
	v_lshl_or_b32 v17, v147, 16, v17
	s_or_b32 exec_lo, exec_lo, s46
	v_mov_b32_e32 v147, 0
	s_and_saveexec_b32 s46, s27
	s_cbranch_execz .LBB120_141
.LBB120_174:                            ;   in Loop: Header=BB120_109 Depth=2
	global_load_u16 v147, v[0:1], off offset:896
	s_or_b32 exec_lo, exec_lo, s46
	s_and_saveexec_b32 s46, s28
	s_cbranch_execnz .LBB120_142
	s_branch .LBB120_143
.LBB120_175:                            ;   in Loop: Header=BB120_109 Depth=2
                                        ; implicit-def: $vgpr16
.LBB120_176:                            ;   in Loop: Header=BB120_109 Depth=2
	s_waitcnt lgkmcnt(0)
	v_mov_b32_e32 v17, 0
	s_and_not1_b32 vcc_lo, exec_lo, s66
	s_cbranch_vccnz .LBB120_178
; %bb.177:                              ;   in Loop: Header=BB120_109 Depth=2
	s_mov_b32 s59, s65
	s_delay_alu instid0(SALU_CYCLE_1) | instskip(NEXT) | instid1(SALU_CYCLE_1)
	s_lshl_b64 s[46:47], s[58:59], 2
	s_add_u32 s46, s76, s46
	s_addc_u32 s47, s77, s47
	global_load_b32 v17, v21, s[46:47]
.LBB120_178:                            ;   in Loop: Header=BB120_109 Depth=2
	v_mov_b32_e32 v16, 1.0
.LBB120_179:                            ;   in Loop: Header=BB120_109 Depth=2
	v_mul_f32_e32 v168, 0x3fb8aa3b, v146
	s_waitcnt lgkmcnt(19)
	v_lshrrev_b32_e32 v148, 16, v13
	v_lshrrev_b32_e32 v149, 16, v14
	v_cvt_f32_f16_e32 v13, v13
	v_cvt_f32_f16_e64 v156, v14
	v_mul_f32_e32 v14, v168, v94
	v_lshrrev_b32_e32 v147, 16, v12
	v_lshrrev_b32_e32 v150, 16, v15
	v_mul_f32_e32 v13, v143, v13
	v_cvt_f32_f16_e32 v12, v12
	v_cmp_gt_f32_e32 vcc_lo, 0xc2fc0000, v14
	v_cvt_f32_f16_e64 v157, v15
	v_mul_f32_e32 v15, v168, v95
	v_cvt_f32_f16_e64 v155, v148
	v_mul_f32_e32 v12, v145, v12
	v_cndmask_b32_e64 v14, 0, 0x42800000, vcc_lo
	v_mul_f32_e32 v146, v168, v96
	v_cmp_gt_f32_e64 s46, 0xc2fc0000, v15
	v_cndmask_b32_e64 v148, 1.0, 0x1f800000, vcc_lo
	s_waitcnt lgkmcnt(18)
	v_lshrrev_b32_e32 v151, 16, v8
	v_fmac_f32_e32 v14, v168, v94
	v_cvt_f32_f16_e64 v147, v147
	v_cndmask_b32_e64 v15, 0, 0x42800000, s46
	v_cvt_f32_f16_e64 v158, v150
	v_cmp_gt_f32_e32 vcc_lo, 0xc2fc0000, v146
	v_exp_f32_e32 v14, v14
	v_mul_f32_e32 v146, v168, v97
	v_fmac_f32_e32 v15, v168, v95
	v_cvt_f32_f16_e64 v159, v151
	v_cndmask_b32_e64 v151, 0, 0x42800000, vcc_lo
	v_lshrrev_b32_e32 v152, 16, v9
	v_lshrrev_b32_e32 v153, 16, v10
	;; [unrolled: 1-line block ×3, first 2 shown]
	v_cvt_f32_f16_e32 v9, v9
	v_cvt_f32_f16_e32 v8, v8
	v_mul_f32_e32 v14, v14, v148
	v_exp_f32_e32 v150, v15
	v_cndmask_b32_e64 v15, 0, v12, s29
	v_cndmask_b32_e64 v12, 1.0, 0x1f800000, s46
	v_cmp_gt_f32_e64 s46, 0xc2fc0000, v146
	v_cndmask_b32_e64 v146, 1.0, v14, s29
	v_mul_f32_e32 v14, v144, v147
	v_cvt_f32_f16_e64 v164, v152
	v_cvt_f32_f16_e64 v166, v153
	v_cndmask_b32_e64 v148, 0, 0x42800000, s46
	v_cvt_f32_f16_e64 v171, v154
	v_mul_f32_e32 v147, v150, v12
	v_cndmask_b32_e64 v12, 0, v14, s30
	v_cndmask_b32_e64 v14, 1.0, 0x1f800000, vcc_lo
	v_fmac_f32_e32 v151, v168, v96
	v_fmac_f32_e32 v148, v168, v97
	v_dual_mul_f32 v153, v168, v99 :: v_dual_mul_f32 v158, v138, v158
	v_dual_mul_f32 v154, v168, v100 :: v_dual_mul_f32 v9, v135, v9
	s_delay_alu instid0(VALU_DEP_4)
	v_exp_f32_e32 v150, v151
	v_mul_f32_e32 v151, v168, v98
	v_exp_f32_e32 v152, v148
	v_cndmask_b32_e64 v148, 1.0, v147, s30
	v_cndmask_b32_e64 v147, 1.0, 0x1f800000, s46
	v_cmp_gt_f32_e64 s46, 0xc2fc0000, v153
	v_cvt_f32_f16_e32 v10, v10
	v_cvt_f32_f16_e32 v11, v11
	v_mul_f32_e32 v169, v168, v122
	s_delay_alu instid0(TRANS32_DEP_2) | instskip(SKIP_1) | instid1(TRANS32_DEP_1)
	v_dual_mul_f32 v159, v136, v159 :: v_dual_mul_f32 v14, v150, v14
	v_cndmask_b32_e64 v153, 0, 0x42800000, s46
	v_dual_mul_f32 v147, v152, v147 :: v_dual_mul_f32 v10, v133, v10
	v_cndmask_b32_e64 v13, 0, v13, s31
	s_delay_alu instid0(VALU_DEP_4)
	v_cndmask_b32_e64 v150, 1.0, v14, s31
	v_mul_f32_e32 v14, v142, v155
	v_cmp_gt_f32_e32 vcc_lo, 0xc2fc0000, v151
	v_cndmask_b32_e64 v152, 1.0, v147, s33
	v_dual_fmac_f32 v153, v168, v99 :: v_dual_mul_f32 v8, v137, v8
	v_mul_f32_e32 v155, v168, v101
	v_cndmask_b32_e64 v151, 0, 0x42800000, vcc_lo
	v_cndmask_b32_e64 v147, 1.0, 0x1f800000, vcc_lo
	v_cmp_gt_f32_e32 vcc_lo, 0xc2fc0000, v154
	v_exp_f32_e32 v153, v153
	v_cmp_gt_f32_e64 s47, 0xc2fc0000, v155
	v_fmac_f32_e32 v151, v168, v98
	v_mul_f32_e32 v162, v168, v115
	v_cndmask_b32_e64 v154, 0, 0x42800000, vcc_lo
	v_cvt_f32_f16_e64 v149, v149
	v_cndmask_b32_e64 v155, 0, 0x42800000, s47
	v_exp_f32_e32 v151, v151
	v_cndmask_b32_e64 v14, 0, v14, s33
	v_dual_fmac_f32 v154, v168, v100 :: v_dual_mul_f32 v11, v131, v11
	s_delay_alu instid0(VALU_DEP_3) | instskip(SKIP_2) | instid1(VALU_DEP_4)
	v_fmac_f32_e32 v155, v168, v101
	v_mul_f32_e32 v170, v168, v123
	v_mul_f32_e32 v166, v132, v166
	v_exp_f32_e32 v160, v154
	s_delay_alu instid0(TRANS32_DEP_2)
	v_mul_f32_e32 v151, v151, v147
	v_mul_f32_e32 v147, v141, v156
	v_cndmask_b32_e64 v156, 1.0, 0x1f800000, s46
	v_cmp_gt_f32_e64 s46, 0xc2fc0000, v162
	v_mul_f32_e32 v162, v168, v121
	v_cndmask_b32_e64 v154, 1.0, v151, s34
	v_cndmask_b32_e64 v147, 0, v147, s34
	v_mul_f32_e32 v151, v153, v156
	v_cndmask_b32_e64 v153, 1.0, 0x1f800000, vcc_lo
	v_exp_f32_e32 v156, v155
	v_cndmask_b32_e64 v166, 0, v166, s43
	s_delay_alu instid0(VALU_DEP_3) | instskip(NEXT) | instid1(VALU_DEP_3)
	v_cndmask_b32_e64 v155, 1.0, v151, s35
	v_mul_f32_e32 v153, v160, v153
	v_mul_f32_e32 v151, v139, v157
	v_cndmask_b32_e64 v160, 1.0, 0x1f800000, s47
	s_delay_alu instid0(VALU_DEP_3)
	v_cndmask_b32_e64 v157, 1.0, v153, s36
	v_mul_f32_e32 v161, v168, v104
	v_cndmask_b32_e64 v153, 0, v158, s37
	v_mul_f32_e32 v158, v168, v118
	v_mul_f32_e32 v156, v156, v160
	v_cndmask_b32_e64 v151, 0, v151, s36
	v_cmp_gt_f32_e32 vcc_lo, 0xc2fc0000, v161
	s_delay_alu instid0(VALU_DEP_4) | instskip(NEXT) | instid1(VALU_DEP_4)
	v_cmp_gt_f32_e64 s47, 0xc2fc0000, v158
	v_cndmask_b32_e64 v160, 1.0, v156, s37
	v_cndmask_b32_e64 v161, 0, 0x42800000, vcc_lo
	v_cndmask_b32_e64 v163, 1.0, 0x1f800000, vcc_lo
	s_delay_alu instid0(VALU_DEP_4) | instskip(SKIP_1) | instid1(VALU_DEP_4)
	v_cndmask_b32_e64 v158, 0, 0x42800000, s47
	v_cmp_gt_f32_e32 vcc_lo, 0xc2fc0000, v162
	v_fmac_f32_e32 v161, v168, v104
	s_delay_alu instid0(VALU_DEP_3) | instskip(SKIP_1) | instid1(VALU_DEP_3)
	v_fmac_f32_e32 v158, v168, v118
	v_cndmask_b32_e64 v162, 0, 0x42800000, vcc_lo
	v_exp_f32_e32 v156, v161
	v_cndmask_b32_e64 v161, 0, 0x42800000, s46
	s_delay_alu instid0(VALU_DEP_2) | instskip(NEXT) | instid1(VALU_DEP_2)
	v_fmac_f32_e32 v162, v168, v121
	v_fmac_f32_e32 v161, v168, v115
	s_delay_alu instid0(VALU_DEP_2) | instskip(NEXT) | instid1(VALU_DEP_1)
	v_exp_f32_e32 v167, v162
	v_exp_f32_e32 v165, v161
	s_delay_alu instid0(TRANS32_DEP_3)
	v_mul_f32_e32 v161, v156, v163
	v_cndmask_b32_e64 v156, 0, v8, s38
	v_exp_f32_e32 v8, v158
	v_cndmask_b32_e64 v158, 1.0, 0x1f800000, s46
	v_cndmask_b32_e64 v163, 1.0, 0x1f800000, s47
	v_cmp_gt_f32_e64 s46, 0xc2fc0000, v170
	v_cndmask_b32_e64 v161, 1.0, v161, s38
	s_delay_alu instid0(TRANS32_DEP_2) | instid1(VALU_DEP_4)
	v_mul_f32_e32 v162, v165, v158
	v_cndmask_b32_e64 v165, 1.0, 0x1f800000, vcc_lo
	v_cmp_gt_f32_e32 vcc_lo, 0xc2fc0000, v169
	s_delay_alu instid0(TRANS32_DEP_1)
	v_mul_f32_e32 v8, v8, v163
	v_cndmask_b32_e64 v158, 0, v159, s39
	v_cndmask_b32_e64 v159, 0, v9, s40
	v_mul_f32_e32 v9, v134, v164
	v_fma_f32 v169, v148, v15, v12
	v_cndmask_b32_e64 v163, 1.0, v8, s40
	v_mul_f32_e32 v8, v167, v165
	v_cndmask_b32_e64 v165, 0, 0x42800000, vcc_lo
	v_mul_f32_e32 v167, v148, v146
	v_cndmask_b32_e64 v164, 0, v9, s41
	v_cndmask_b32_e64 v162, 1.0, v162, s39
	v_cndmask_b32_e64 v170, 1.0, v8, s41
	v_fmac_f32_e32 v165, v168, v122
	v_mul_f32_e32 v9, v167, v150
	v_fma_f32 v167, v169, v150, v13
	v_cndmask_b32_e64 v8, 1.0, 0x1f800000, vcc_lo
	v_cndmask_b32_e64 v169, 0, 0x42800000, s46
	v_exp_f32_e32 v165, v165
	v_mul_f32_e32 v149, v140, v149
	v_mul_f32_e32 v9, v9, v152
	v_fma_f32 v167, v167, v152, v14
	v_fmac_f32_e32 v169, v168, v123
	s_delay_alu instid0(VALU_DEP_3) | instskip(NEXT) | instid1(VALU_DEP_3)
	v_mul_f32_e32 v9, v9, v154
	v_fma_f32 v167, v167, v154, v147
	s_delay_alu instid0(VALU_DEP_3) | instskip(NEXT) | instid1(TRANS32_DEP_2)
	v_exp_f32_e32 v169, v169
	v_mul_f32_e32 v8, v165, v8
	v_cndmask_b32_e64 v149, 0, v149, s35
	v_mul_f32_e32 v9, v9, v155
	v_cndmask_b32_e64 v165, 0, v10, s42
	v_cndmask_b32_e64 v10, 1.0, 0x1f800000, s46
	s_delay_alu instid0(VALU_DEP_4)
	v_fma_f32 v172, v167, v155, v149
	v_cndmask_b32_e64 v167, 1.0, v8, s42
	v_mul_f32_e32 v8, v9, v157
	s_delay_alu instid0(TRANS32_DEP_1) | instid1(VALU_DEP_4)
	v_mul_f32_e32 v10, v169, v10
	s_delay_alu instid0(VALU_DEP_4) | instskip(SKIP_1) | instid1(VALU_DEP_4)
	v_fma_f32 v9, v172, v157, v151
	v_mul_f32_e32 v172, v168, v124
	v_mul_f32_e32 v8, v8, v160
	s_delay_alu instid0(VALU_DEP_3) | instskip(NEXT) | instid1(VALU_DEP_3)
	v_fma_f32 v9, v9, v160, v153
	v_cmp_gt_f32_e32 vcc_lo, 0xc2fc0000, v172
	v_mul_f32_e32 v172, v168, v125
	s_delay_alu instid0(VALU_DEP_4) | instskip(NEXT) | instid1(VALU_DEP_4)
	v_mul_f32_e32 v8, v8, v161
	v_fma_f32 v9, v9, v161, v156
	v_cndmask_b32_e64 v169, 0, 0x42800000, vcc_lo
	s_delay_alu instid0(VALU_DEP_4) | instskip(NEXT) | instid1(VALU_DEP_4)
	v_cmp_gt_f32_e64 s46, 0xc2fc0000, v172
	v_mul_f32_e32 v8, v8, v162
	s_delay_alu instid0(VALU_DEP_4) | instskip(NEXT) | instid1(VALU_DEP_4)
	v_fma_f32 v9, v9, v162, v158
	v_fmac_f32_e32 v169, v168, v124
	s_delay_alu instid0(VALU_DEP_4) | instskip(NEXT) | instid1(VALU_DEP_4)
	v_cndmask_b32_e64 v172, 0, 0x42800000, s46
	v_mul_f32_e32 v8, v8, v163
	s_delay_alu instid0(VALU_DEP_4) | instskip(NEXT) | instid1(VALU_DEP_4)
	v_fma_f32 v9, v9, v163, v159
	v_exp_f32_e32 v173, v169
	s_delay_alu instid0(VALU_DEP_3)
	v_fmac_f32_e32 v172, v168, v125
	v_cndmask_b32_e64 v169, 1.0, v10, s43
	v_cndmask_b32_e64 v10, 1.0, 0x1f800000, vcc_lo
	v_mul_f32_e32 v8, v8, v170
	v_fma_f32 v9, v9, v170, v164
	v_exp_f32_e32 v174, v172
	v_cndmask_b32_e64 v168, 0, v11, s44
	v_cndmask_b32_e64 v11, 1.0, 0x1f800000, s46
	v_mul_f32_e32 v8, v8, v167
	v_mul_f32_e32 v10, v173, v10
	v_fma_f32 v9, v9, v167, v165
	s_delay_alu instid0(VALU_DEP_3) | instskip(NEXT) | instid1(VALU_DEP_3)
	v_mul_f32_e32 v8, v8, v169
	v_cndmask_b32_e64 v172, 1.0, v10, s44
	v_mul_f32_e32 v10, v126, v171
	s_delay_alu instid0(TRANS32_DEP_1) | instskip(SKIP_1) | instid1(VALU_DEP_4)
	v_mul_f32_e32 v11, v174, v11
	v_fma_f32 v9, v9, v169, v166
	v_mul_f32_e32 v8, v8, v172
	s_delay_alu instid0(VALU_DEP_4) | instskip(NEXT) | instid1(VALU_DEP_4)
	v_cndmask_b32_e64 v171, 0, v10, s45
	v_cndmask_b32_e64 v173, 1.0, v11, s45
	s_delay_alu instid0(VALU_DEP_4) | instskip(NEXT) | instid1(VALU_DEP_2)
	v_fma_f32 v9, v9, v172, v168
	v_mul_f32_e32 v8, v8, v173
	s_delay_alu instid0(VALU_DEP_2) | instskip(NEXT) | instid1(VALU_DEP_2)
	v_fma_f32 v9, v9, v173, v171
	v_mov_b32_dpp v11, v8 row_shr:1 row_mask:0xf bank_mask:0xf
	s_delay_alu instid0(VALU_DEP_2)
	v_mov_b32_dpp v10, v9 row_shr:1 row_mask:0xf bank_mask:0xf
	s_and_saveexec_b32 s46, s0
; %bb.180:                              ;   in Loop: Header=BB120_109 Depth=2
	s_delay_alu instid0(VALU_DEP_2) | instskip(NEXT) | instid1(VALU_DEP_1)
	v_mul_f32_e32 v11, v8, v11
	v_dual_fmac_f32 v9, v8, v10 :: v_dual_mov_b32 v8, v11
; %bb.181:                              ;   in Loop: Header=BB120_109 Depth=2
	s_or_b32 exec_lo, exec_lo, s46
	s_delay_alu instid0(VALU_DEP_1) | instskip(NEXT) | instid1(VALU_DEP_2)
	v_mov_b32_dpp v10, v8 row_shr:2 row_mask:0xf bank_mask:0xf
	v_mov_b32_dpp v11, v9 row_shr:2 row_mask:0xf bank_mask:0xf
	s_and_saveexec_b32 s46, s1
; %bb.182:                              ;   in Loop: Header=BB120_109 Depth=2
	s_delay_alu instid0(VALU_DEP_1) | instskip(NEXT) | instid1(VALU_DEP_3)
	v_fmac_f32_e32 v9, v8, v11
	v_mul_f32_e32 v8, v8, v10
; %bb.183:                              ;   in Loop: Header=BB120_109 Depth=2
	s_or_b32 exec_lo, exec_lo, s46
	s_delay_alu instid0(VALU_DEP_1) | instskip(NEXT) | instid1(VALU_DEP_3)
	v_mov_b32_dpp v10, v8 row_shr:4 row_mask:0xf bank_mask:0xf
	v_mov_b32_dpp v11, v9 row_shr:4 row_mask:0xf bank_mask:0xf
	s_and_saveexec_b32 s46, s2
; %bb.184:                              ;   in Loop: Header=BB120_109 Depth=2
	s_delay_alu instid0(VALU_DEP_1) | instskip(NEXT) | instid1(VALU_DEP_3)
	v_fmac_f32_e32 v9, v8, v11
	v_mul_f32_e32 v8, v8, v10
; %bb.185:                              ;   in Loop: Header=BB120_109 Depth=2
	s_or_b32 exec_lo, exec_lo, s46
	s_delay_alu instid0(VALU_DEP_1) | instskip(NEXT) | instid1(VALU_DEP_3)
	v_mov_b32_dpp v10, v8 row_shr:8 row_mask:0xf bank_mask:0xf
	v_mov_b32_dpp v11, v9 row_shr:8 row_mask:0xf bank_mask:0xf
	s_and_saveexec_b32 s46, s3
; %bb.186:                              ;   in Loop: Header=BB120_109 Depth=2
	s_delay_alu instid0(VALU_DEP_1) | instskip(NEXT) | instid1(VALU_DEP_3)
	v_fmac_f32_e32 v9, v8, v11
	v_mul_f32_e32 v8, v8, v10
; %bb.187:                              ;   in Loop: Header=BB120_109 Depth=2
	s_or_b32 exec_lo, exec_lo, s46
	ds_swizzle_b32 v11, v8 offset:swizzle(BROADCAST,32,15)
	ds_swizzle_b32 v10, v9 offset:swizzle(BROADCAST,32,15)
	s_and_saveexec_b32 s46, s4
	s_cbranch_execz .LBB120_189
; %bb.188:                              ;   in Loop: Header=BB120_109 Depth=2
	s_waitcnt lgkmcnt(1)
	v_mul_f32_e32 v11, v8, v11
	s_waitcnt lgkmcnt(0)
	s_delay_alu instid0(VALU_DEP_1)
	v_dual_fmac_f32 v9, v8, v10 :: v_dual_mov_b32 v8, v11
.LBB120_189:                            ;   in Loop: Header=BB120_109 Depth=2
	s_or_b32 exec_lo, exec_lo, s46
	s_and_saveexec_b32 s46, s5
	s_cbranch_execz .LBB120_191
; %bb.190:                              ;   in Loop: Header=BB120_109 Depth=2
	ds_store_b64 v69, v[8:9] offset:8448
.LBB120_191:                            ;   in Loop: Header=BB120_109 Depth=2
	s_or_b32 exec_lo, exec_lo, s46
	s_waitcnt vmcnt(0) lgkmcnt(0)
	s_waitcnt_vscnt null, 0x0
	s_barrier
	buffer_gl0_inv
	s_and_saveexec_b32 s46, s6
	s_cbranch_execz .LBB120_195
; %bb.192:                              ;   in Loop: Header=BB120_109 Depth=2
	ds_load_b64 v[10:11], v70 offset:8448
	s_waitcnt lgkmcnt(0)
	v_mov_b32_dpp v176, v10 row_shr:1 row_mask:0xf bank_mask:0xf
	v_mov_b32_dpp v175, v11 row_shr:1 row_mask:0xf bank_mask:0xf
	v_mov_b32_e32 v174, v10
	s_and_saveexec_b32 s47, s7
; %bb.193:                              ;   in Loop: Header=BB120_109 Depth=2
	s_delay_alu instid0(VALU_DEP_3) | instskip(NEXT) | instid1(VALU_DEP_3)
	v_mul_f32_e32 v174, v10, v176
	v_fmac_f32_e32 v11, v10, v175
	s_delay_alu instid0(VALU_DEP_2)
	v_mov_b32_e32 v10, v174
; %bb.194:                              ;   in Loop: Header=BB120_109 Depth=2
	s_or_b32 exec_lo, exec_lo, s47
	v_mov_b32_dpp v174, v174 row_shr:2 row_mask:0xf bank_mask:0xf
	s_delay_alu instid0(VALU_DEP_3) | instskip(NEXT) | instid1(VALU_DEP_2)
	v_mov_b32_dpp v175, v11 row_shr:2 row_mask:0xf bank_mask:0xf
	v_mul_f32_e32 v174, v10, v174
	s_delay_alu instid0(VALU_DEP_2) | instskip(NEXT) | instid1(VALU_DEP_2)
	v_fma_f32 v175, v10, v175, v11
	v_cndmask_b32_e64 v10, v10, v174, s8
	s_delay_alu instid0(VALU_DEP_2)
	v_cndmask_b32_e64 v11, v11, v175, s8
	ds_store_b64 v70, v[10:11] offset:8448
.LBB120_195:                            ;   in Loop: Header=BB120_109 Depth=2
	s_or_b32 exec_lo, exec_lo, s46
	s_waitcnt lgkmcnt(0)
	s_barrier
	buffer_gl0_inv
                                        ; implicit-def: $vgpr11
	s_and_saveexec_b32 s46, s10
	s_cbranch_execz .LBB120_197
; %bb.196:                              ;   in Loop: Header=BB120_109 Depth=2
	ds_load_b64 v[10:11], v69 offset:8440
	s_waitcnt lgkmcnt(0)
	v_mul_f32_e32 v174, v8, v10
	s_delay_alu instid0(VALU_DEP_1)
	v_dual_fmac_f32 v9, v8, v11 :: v_dual_mov_b32 v8, v174
.LBB120_197:                            ;   in Loop: Header=BB120_109 Depth=2
	s_or_b32 exec_lo, exec_lo, s46
	ds_bpermute_b32 v174, v71, v8
	ds_bpermute_b32 v175, v71, v9
	s_and_saveexec_b32 s46, s9
	s_cbranch_execz .LBB120_201
; %bb.198:                              ;   in Loop: Header=BB120_109 Depth=2
	ds_load_b64 v[8:9], v21 offset:8472
	s_and_saveexec_b32 s47, s11
	s_cbranch_execz .LBB120_200
; %bb.199:                              ;   in Loop: Header=BB120_109 Depth=2
	ds_store_b64 v21, v[16:17] offset:8472
.LBB120_200:                            ;   in Loop: Header=BB120_109 Depth=2
	s_or_b32 exec_lo, exec_lo, s47
	s_waitcnt lgkmcnt(0)
	v_fmac_f32_e32 v9, v17, v8
	s_delay_alu instid0(VALU_DEP_1)
	v_dual_mul_f32 v16, v16, v8 :: v_dual_mov_b32 v17, v9
.LBB120_201:                            ;   in Loop: Header=BB120_109 Depth=2
	s_or_b32 exec_lo, exec_lo, s46
	s_waitcnt lgkmcnt(0)
	s_barrier
	buffer_gl0_inv
	ds_load_b32 v8, v21 offset:8476
	s_and_saveexec_b32 s46, s11
	s_cbranch_execz .LBB120_108
; %bb.202:                              ;   in Loop: Header=BB120_109 Depth=2
	v_mov_b32_e32 v9, s91
	s_and_not1_b32 vcc_lo, exec_lo, s89
	ds_store_b64 v9, v[16:17]
	s_cbranch_vccnz .LBB120_108
; %bb.203:                              ;   in Loop: Header=BB120_109 Depth=2
	s_mov_b32 s59, s65
	s_delay_alu instid0(SALU_CYCLE_1) | instskip(NEXT) | instid1(SALU_CYCLE_1)
	s_lshl_b64 s[92:93], s[58:59], 2
	s_add_u32 s92, s76, s92
	s_addc_u32 s93, s77, s93
	global_store_b32 v21, v17, s[92:93]
	s_branch .LBB120_108
.LBB120_204:                            ;   in Loop: Header=BB120_12 Depth=1
	v_cvt_f16_f32_e32 v0, v120
	v_cvt_f16_f32_e32 v4, v113
	;; [unrolled: 1-line block ×16, first 2 shown]
	v_pack_b32_f16 v3, v3, v7
	v_pack_b32_f16 v2, v2, v6
	;; [unrolled: 1-line block ×8, first 2 shown]
	s_waitcnt_vscnt null, 0x0
	s_barrier
	buffer_gl0_inv
	ds_store_b128 v52, v[0:3]
	ds_store_b128 v52, v[4:7] offset:16
	; wave barrier
	ds_load_u16 v16, v37 offset:64
	ds_load_u16 v15, v38 offset:128
	;; [unrolled: 1-line block ×15, first 2 shown]
	s_mov_b32 s51, s65
	s_delay_alu instid0(SALU_CYCLE_1) | instskip(NEXT) | instid1(SALU_CYCLE_1)
	s_lshl_b64 s[34:35], s[50:51], 1
	v_add_co_u32 v0, vcc_lo, v72, s34
	v_add_co_ci_u32_e32 v1, vcc_lo, s35, v73, vcc_lo
	s_and_saveexec_b32 s29, s13
	s_cbranch_execnz .LBB120_271
; %bb.205:                              ;   in Loop: Header=BB120_12 Depth=1
	s_or_b32 exec_lo, exec_lo, s29
	s_and_saveexec_b32 s29, s14
	s_cbranch_execnz .LBB120_272
.LBB120_206:                            ;   in Loop: Header=BB120_12 Depth=1
	s_or_b32 exec_lo, exec_lo, s29
	s_and_saveexec_b32 s29, s15
	s_cbranch_execnz .LBB120_273
.LBB120_207:                            ;   in Loop: Header=BB120_12 Depth=1
	s_or_b32 exec_lo, exec_lo, s29
	s_and_saveexec_b32 s29, s16
	s_cbranch_execnz .LBB120_274
.LBB120_208:                            ;   in Loop: Header=BB120_12 Depth=1
	s_or_b32 exec_lo, exec_lo, s29
	s_and_saveexec_b32 s29, s17
	s_cbranch_execnz .LBB120_275
.LBB120_209:                            ;   in Loop: Header=BB120_12 Depth=1
	s_or_b32 exec_lo, exec_lo, s29
	s_and_saveexec_b32 s29, s18
	s_cbranch_execnz .LBB120_276
.LBB120_210:                            ;   in Loop: Header=BB120_12 Depth=1
	s_or_b32 exec_lo, exec_lo, s29
	s_and_saveexec_b32 s29, s19
	s_cbranch_execnz .LBB120_277
.LBB120_211:                            ;   in Loop: Header=BB120_12 Depth=1
	s_or_b32 exec_lo, exec_lo, s29
	s_and_saveexec_b32 s29, s20
	s_cbranch_execnz .LBB120_278
.LBB120_212:                            ;   in Loop: Header=BB120_12 Depth=1
	s_or_b32 exec_lo, exec_lo, s29
	s_and_saveexec_b32 s29, s21
	s_cbranch_execnz .LBB120_279
.LBB120_213:                            ;   in Loop: Header=BB120_12 Depth=1
	s_or_b32 exec_lo, exec_lo, s29
	s_and_saveexec_b32 s29, s22
	s_cbranch_execnz .LBB120_280
.LBB120_214:                            ;   in Loop: Header=BB120_12 Depth=1
	s_or_b32 exec_lo, exec_lo, s29
	s_and_saveexec_b32 s29, s23
	s_cbranch_execnz .LBB120_281
.LBB120_215:                            ;   in Loop: Header=BB120_12 Depth=1
	s_or_b32 exec_lo, exec_lo, s29
	s_and_saveexec_b32 s29, s24
	s_cbranch_execnz .LBB120_282
.LBB120_216:                            ;   in Loop: Header=BB120_12 Depth=1
	s_or_b32 exec_lo, exec_lo, s29
	s_and_saveexec_b32 s29, s25
	s_cbranch_execnz .LBB120_283
.LBB120_217:                            ;   in Loop: Header=BB120_12 Depth=1
	s_or_b32 exec_lo, exec_lo, s29
	s_and_saveexec_b32 s29, s26
	s_cbranch_execnz .LBB120_284
.LBB120_218:                            ;   in Loop: Header=BB120_12 Depth=1
	s_or_b32 exec_lo, exec_lo, s29
	s_and_saveexec_b32 s29, s27
	s_cbranch_execnz .LBB120_285
.LBB120_219:                            ;   in Loop: Header=BB120_12 Depth=1
	s_or_b32 exec_lo, exec_lo, s29
	s_and_saveexec_b32 s29, s28
	s_cbranch_execz .LBB120_221
.LBB120_220:                            ;   in Loop: Header=BB120_12 Depth=1
	s_waitcnt lgkmcnt(0)
	global_store_b16 v[0:1], v2, off offset:960
.LBB120_221:                            ;   in Loop: Header=BB120_12 Depth=1
	s_or_b32 exec_lo, exec_lo, s29
	v_add_co_u32 v0, vcc_lo, v74, s34
	v_add_co_ci_u32_e32 v1, vcc_lo, s35, v75, vcc_lo
	s_waitcnt lgkmcnt(0)
	v_dual_mov_b32 v2, 0 :: v_dual_mov_b32 v3, 0
	s_waitcnt_vscnt null, 0x0
	s_barrier
	buffer_gl0_inv
	s_and_saveexec_b32 s29, s13
	s_cbranch_execz .LBB120_223
; %bb.222:                              ;   in Loop: Header=BB120_12 Depth=1
	global_load_u16 v3, v[0:1], off
.LBB120_223:                            ;   in Loop: Header=BB120_12 Depth=1
	s_or_b32 exec_lo, exec_lo, s29
	s_and_saveexec_b32 s29, s14
	s_cbranch_execz .LBB120_225
; %bb.224:                              ;   in Loop: Header=BB120_12 Depth=1
	global_load_u16 v2, v[0:1], off offset:64
.LBB120_225:                            ;   in Loop: Header=BB120_12 Depth=1
	s_or_b32 exec_lo, exec_lo, s29
	v_dual_mov_b32 v4, 0 :: v_dual_mov_b32 v5, 0
	s_and_saveexec_b32 s29, s15
	s_cbranch_execz .LBB120_227
; %bb.226:                              ;   in Loop: Header=BB120_12 Depth=1
	global_load_u16 v5, v[0:1], off offset:128
.LBB120_227:                            ;   in Loop: Header=BB120_12 Depth=1
	s_or_b32 exec_lo, exec_lo, s29
	s_and_saveexec_b32 s29, s16
	s_cbranch_execz .LBB120_229
; %bb.228:                              ;   in Loop: Header=BB120_12 Depth=1
	global_load_u16 v4, v[0:1], off offset:192
.LBB120_229:                            ;   in Loop: Header=BB120_12 Depth=1
	s_or_b32 exec_lo, exec_lo, s29
	v_dual_mov_b32 v6, 0 :: v_dual_mov_b32 v7, 0
	s_and_saveexec_b32 s29, s17
	s_cbranch_execz .LBB120_231
; %bb.230:                              ;   in Loop: Header=BB120_12 Depth=1
	global_load_u16 v7, v[0:1], off offset:256
.LBB120_231:                            ;   in Loop: Header=BB120_12 Depth=1
	;; [unrolled: 13-line block ×7, first 2 shown]
	s_or_b32 exec_lo, exec_lo, s29
	s_and_saveexec_b32 s29, s28
	s_cbranch_execz .LBB120_253
; %bb.252:                              ;   in Loop: Header=BB120_12 Depth=1
	global_load_u16 v16, v[0:1], off offset:960
.LBB120_253:                            ;   in Loop: Header=BB120_12 Depth=1
	s_or_b32 exec_lo, exec_lo, s29
	s_waitcnt vmcnt(0)
	ds_store_b16 v37, v3
	ds_store_b16 v37, v2 offset:64
	ds_store_b16 v38, v5 offset:128
	;; [unrolled: 1-line block ×15, first 2 shown]
	; wave barrier
	ds_load_b128 v[4:7], v52
	ds_load_b128 v[0:3], v52 offset:16
	s_waitcnt lgkmcnt(0)
	s_barrier
	buffer_gl0_inv
	v_lshrrev_b32_e32 v8, 16, v4
	v_lshrrev_b32_e32 v9, 16, v5
	v_cvt_f32_f16_e32 v10, v5
	v_cvt_f32_f16_e32 v11, v4
	v_lshrrev_b32_e32 v104, 16, v6
	v_cvt_f32_f16_e32 v8, v8
	v_cvt_f32_f16_e32 v9, v9
	v_mul_f32_e32 v12, 0xbfb8aa3b, v10
	v_mul_f32_e32 v14, 0xbfb8aa3b, v11
	v_cvt_f32_f16_e32 v104, v104
	v_mul_f32_e32 v13, 0xbfb8aa3b, v8
	v_mul_f32_e32 v15, 0xbfb8aa3b, v9
	v_rndne_f32_e32 v16, v12
	v_fma_mix_f32 v17, v5, s86, -v12 op_sel_hi:[1,0,0]
	v_cmp_nlt_f32_e32 vcc_lo, 0x42ce8ed0, v8
	v_rndne_f32_e32 v94, v13
	v_fma_mix_f32 v95, v4, s86, -v13 op_sel:[1,0,0] op_sel_hi:[1,0,0]
	v_fma_mix_f32 v97, v5, s86, -v15 op_sel:[1,0,0] op_sel_hi:[1,0,0]
	v_rndne_f32_e32 v96, v15
	s_delay_alu instid0(VALU_DEP_4) | instskip(NEXT) | instid1(VALU_DEP_4)
	v_dual_sub_f32 v12, v12, v16 :: v_dual_sub_f32 v13, v13, v94
	v_fma_mix_f32 v95, v4, s87, v95 op_sel:[1,0,0] op_sel_hi:[1,0,0]
	s_delay_alu instid0(VALU_DEP_4) | instskip(SKIP_4) | instid1(VALU_DEP_4)
	v_fma_mix_f32 v97, v5, s87, v97 op_sel:[1,0,0] op_sel_hi:[1,0,0]
	v_fma_mix_f32 v5, v5, s87, v17 op_sel_hi:[1,0,0]
	v_rndne_f32_e32 v17, v14
	v_sub_f32_e32 v15, v15, v96
	v_cvt_i32_f32_e32 v16, v16
	v_add_f32_e32 v5, v12, v5
	s_delay_alu instid0(VALU_DEP_4) | instskip(SKIP_2) | instid1(VALU_DEP_4)
	v_dual_sub_f32 v12, v14, v17 :: v_dual_add_f32 v13, v13, v95
	v_fma_mix_f32 v95, v4, s86, -v14 op_sel_hi:[1,0,0]
	v_add_f32_e32 v15, v15, v97
	v_exp_f32_e32 v5, v5
	v_cvt_i32_f32_e32 v17, v17
	s_delay_alu instid0(VALU_DEP_3) | instskip(NEXT) | instid1(VALU_DEP_3)
	v_fma_mix_f32 v4, v4, s87, v95 op_sel_hi:[1,0,0]
	v_exp_f32_e32 v14, v15
	v_cvt_i32_f32_e32 v15, v94
	s_delay_alu instid0(VALU_DEP_2) | instskip(SKIP_2) | instid1(TRANS32_DEP_3)
	v_add_f32_e32 v4, v12, v4
	v_exp_f32_e32 v13, v13
	v_cvt_i32_f32_e32 v12, v96
	v_ldexp_f32 v5, v5, v16
	s_delay_alu instid0(VALU_DEP_3)
	v_exp_f32_e32 v4, v4
	s_delay_alu instid0(TRANS32_DEP_3) | instid1(VALU_DEP_2)
	v_ldexp_f32 v12, v14, v12
	s_waitcnt_depctr 0xfff
	v_ldexp_f32 v13, v13, v15
	v_ldexp_f32 v4, v4, v17
	s_delay_alu instid0(VALU_DEP_2)
	v_cndmask_b32_e32 v13, 0, v13, vcc_lo
	v_cmp_nlt_f32_e32 vcc_lo, 0x42ce8ed0, v9
	v_cndmask_b32_e32 v12, 0, v12, vcc_lo
	v_cmp_nlt_f32_e32 vcc_lo, 0x42ce8ed0, v10
	v_cndmask_b32_e32 v5, 0, v5, vcc_lo
	v_cmp_ngt_f32_e32 vcc_lo, 0xc2b17218, v8
	v_cndmask_b32_e32 v13, 0x7f800000, v13, vcc_lo
	v_cmp_ngt_f32_e32 vcc_lo, 0xc2b17218, v9
	;; [unrolled: 2-line block ×3, first 2 shown]
	s_delay_alu instid0(VALU_DEP_2) | instskip(NEXT) | instid1(VALU_DEP_1)
	v_add_f32_e32 v12, 1.0, v12
	v_div_scale_f32 v15, null, v12, v12, v9
	v_div_scale_f32 v99, s29, v9, v12, v9
	s_delay_alu instid0(VALU_DEP_2) | instskip(SKIP_4) | instid1(VALU_DEP_3)
	v_rcp_f32_e32 v94, v15
	s_waitcnt_depctr 0xfff
	v_fma_f32 v98, -v15, v94, 1.0
	v_cndmask_b32_e32 v5, 0x7f800000, v5, vcc_lo
	v_cmp_nlt_f32_e32 vcc_lo, 0x42ce8ed0, v11
	v_fmac_f32_e32 v94, v98, v94
	s_delay_alu instid0(VALU_DEP_3) | instskip(SKIP_2) | instid1(VALU_DEP_3)
	v_add_f32_e32 v14, 1.0, v5
	v_cndmask_b32_e32 v4, 0, v4, vcc_lo
	v_cmp_ngt_f32_e32 vcc_lo, 0xc2b17218, v11
	v_div_scale_f32 v16, null, v14, v14, v10
	s_delay_alu instid0(VALU_DEP_3) | instskip(NEXT) | instid1(VALU_DEP_2)
	v_cndmask_b32_e32 v4, 0x7f800000, v4, vcc_lo
	v_rcp_f32_e32 v95, v16
	s_delay_alu instid0(VALU_DEP_1) | instskip(NEXT) | instid1(VALU_DEP_1)
	v_dual_add_f32 v96, 1.0, v4 :: v_dual_add_f32 v13, 1.0, v13
	v_div_scale_f32 v101, null, v96, v96, v11
	s_waitcnt_depctr 0xfff
	v_fma_f32 v100, -v16, v95, 1.0
	v_rcp_f32_e32 v122, v101
	s_delay_alu instid0(VALU_DEP_1) | instskip(SKIP_2) | instid1(VALU_DEP_3)
	v_dual_fmac_f32 v95, v100, v95 :: v_dual_mul_f32 v100, v99, v94
	v_div_scale_f32 v5, null, v13, v13, v8
	v_div_scale_f32 v4, vcc_lo, v8, v13, v8
	v_fma_f32 v121, -v15, v100, v99
	s_delay_alu instid0(VALU_DEP_3) | instskip(SKIP_2) | instid1(VALU_DEP_1)
	v_rcp_f32_e32 v17, v5
	s_waitcnt_depctr 0xfff
	v_fma_f32 v97, -v5, v17, 1.0
	v_fmac_f32_e32 v17, v97, v17
	v_div_scale_f32 v97, s30, v10, v14, v10
	s_delay_alu instid0(VALU_DEP_1) | instskip(NEXT) | instid1(VALU_DEP_1)
	v_dual_mul_f32 v98, v4, v17 :: v_dual_mul_f32 v115, v97, v95
	v_fma_f32 v118, -v5, v98, v4
	s_delay_alu instid0(VALU_DEP_2) | instskip(SKIP_1) | instid1(VALU_DEP_3)
	v_fma_f32 v123, -v16, v115, v97
	v_dual_fmac_f32 v100, v121, v94 :: v_dual_mul_f32 v121, 0xbfb8aa3b, v104
	v_fmac_f32_e32 v98, v118, v17
	v_lshrrev_b32_e32 v118, 16, v7
	s_delay_alu instid0(VALU_DEP_4) | instskip(NEXT) | instid1(VALU_DEP_3)
	v_fmac_f32_e32 v115, v123, v95
	v_fma_f32 v4, -v5, v98, v4
	v_fma_f32 v5, -v15, v100, v99
	v_fma_f32 v15, -v101, v122, 1.0
	v_cvt_f32_f16_e32 v99, v118
	v_rndne_f32_e32 v118, v121
	v_div_fmas_f32 v4, v4, v17, v98
	s_mov_b32 vcc_lo, s29
	v_fma_mix_f32 v17, v6, s86, -v121 op_sel:[1,0,0] op_sel_hi:[1,0,0]
	v_div_fmas_f32 v5, v5, v94, v100
	v_fmac_f32_e32 v122, v15, v122
	v_div_fixup_f32 v4, v4, v13, v8
	v_mul_f32_e32 v13, 0xbfb8aa3b, v99
	v_div_scale_f32 v8, s29, v11, v96, v11
	v_div_fixup_f32 v5, v5, v12, v9
	v_sub_f32_e32 v9, v121, v118
	v_fma_mix_f32 v12, v6, s87, v17 op_sel:[1,0,0] op_sel_hi:[1,0,0]
	v_fma_f32 v15, -v16, v115, v97
	v_mul_f32_e32 v16, v8, v122
	s_mov_b32 vcc_lo, s30
	v_rndne_f32_e32 v17, v13
	v_add_f32_e32 v9, v9, v12
	v_cvt_f32_f16_e32 v12, v7
	v_div_fmas_f32 v15, v15, v95, v115
	v_fma_mix_f32 v94, v7, s86, -v13 op_sel:[1,0,0] op_sel_hi:[1,0,0]
	v_fma_f32 v97, -v101, v16, v8
	v_sub_f32_e32 v13, v13, v17
	v_mul_f32_e32 v95, 0xbfb8aa3b, v12
	v_exp_f32_e32 v9, v9
	v_fma_mix_f32 v94, v7, s87, v94 op_sel:[1,0,0] op_sel_hi:[1,0,0]
	v_fmac_f32_e32 v16, v97, v122
	v_cvt_i32_f32_e32 v98, v118
	v_rndne_f32_e32 v100, v95
	v_fma_mix_f32 v115, v7, s86, -v95 op_sel_hi:[1,0,0]
	v_add_f32_e32 v13, v13, v94
	v_cmp_nlt_f32_e32 vcc_lo, 0x42ce8ed0, v104
	v_cvt_i32_f32_e32 v17, v17
	v_sub_f32_e32 v94, v95, v100
	v_fma_mix_f32 v7, v7, s87, v115 op_sel_hi:[1,0,0]
	v_cvt_f32_f16_e32 v95, v6
	v_ldexp_f32 v9, v9, v98
	v_fma_f32 v8, -v101, v16, v8
	v_div_fixup_f32 v10, v15, v14, v10
	v_add_f32_e32 v7, v94, v7
	v_mul_f32_e32 v94, 0xbfb8aa3b, v95
	s_delay_alu instid0(VALU_DEP_2) | instskip(NEXT) | instid1(VALU_DEP_1)
	v_exp_f32_e32 v7, v7
	v_rndne_f32_e32 v97, v94
	v_fma_mix_f32 v98, v6, s86, -v94 op_sel_hi:[1,0,0]
	s_delay_alu instid0(VALU_DEP_2) | instskip(SKIP_1) | instid1(VALU_DEP_2)
	v_sub_f32_e32 v94, v94, v97
	v_exp_f32_e32 v13, v13
	v_fma_mix_f32 v6, v6, s87, v98 op_sel_hi:[1,0,0]
	v_cndmask_b32_e32 v9, 0, v9, vcc_lo
	v_cmp_ngt_f32_e32 vcc_lo, 0xc2b17218, v104
	s_delay_alu instid0(VALU_DEP_3) | instskip(SKIP_1) | instid1(VALU_DEP_4)
	v_add_f32_e32 v6, v94, v6
	v_cvt_i32_f32_e32 v94, v97
	v_cndmask_b32_e32 v9, 0x7f800000, v9, vcc_lo
	v_cmp_nlt_f32_e32 vcc_lo, 0x42ce8ed0, v99
	s_delay_alu instid0(TRANS32_DEP_1) | instskip(SKIP_2) | instid1(VALU_DEP_2)
	v_ldexp_f32 v13, v13, v17
	v_cvt_i32_f32_e32 v17, v100
	v_exp_f32_e32 v6, v6
	v_cndmask_b32_e32 v13, 0, v13, vcc_lo
	v_cmp_ngt_f32_e32 vcc_lo, 0xc2b17218, v99
	s_delay_alu instid0(VALU_DEP_3) | instskip(NEXT) | instid1(VALU_DEP_3)
	v_ldexp_f32 v7, v7, v17
	v_cndmask_b32_e32 v13, 0x7f800000, v13, vcc_lo
	v_cmp_nlt_f32_e32 vcc_lo, 0x42ce8ed0, v12
	s_waitcnt_depctr 0xfff
	v_ldexp_f32 v6, v6, v94
	v_add_f32_e32 v13, 1.0, v13
	v_cndmask_b32_e32 v7, 0, v7, vcc_lo
	v_cmp_ngt_f32_e32 vcc_lo, 0xc2b17218, v12
	s_delay_alu instid0(VALU_DEP_3) | instskip(NEXT) | instid1(VALU_DEP_3)
	v_div_scale_f32 v100, null, v13, v13, v99
	v_cndmask_b32_e32 v7, 0x7f800000, v7, vcc_lo
	s_mov_b32 vcc_lo, s29
	v_cmp_nlt_f32_e64 s29, 0x42ce8ed0, v95
	v_div_fmas_f32 v8, v8, v122, v16
	v_rcp_f32_e32 v16, v100
	v_add_f32_e32 v94, 1.0, v7
	s_delay_alu instid0(VALU_DEP_3) | instskip(SKIP_2) | instid1(VALU_DEP_2)
	v_cndmask_b32_e64 v6, 0, v6, s29
	v_cmp_ngt_f32_e64 s29, 0xc2b17218, v95
	v_div_fixup_f32 v8, v8, v96, v11
	v_cndmask_b32_e64 v6, 0x7f800000, v6, s29
	s_waitcnt_depctr 0xfff
	v_fma_f32 v115, -v100, v16, 1.0
	s_delay_alu instid0(VALU_DEP_1) | instskip(SKIP_1) | instid1(VALU_DEP_1)
	v_dual_add_f32 v11, 1.0, v6 :: v_dual_fmac_f32 v16, v115, v16
	v_div_scale_f32 v115, s29, v99, v13, v99
	v_dual_add_f32 v9, 1.0, v9 :: v_dual_mul_f32 v14, v115, v16
	s_delay_alu instid0(VALU_DEP_1) | instskip(SKIP_1) | instid1(VALU_DEP_3)
	v_div_scale_f32 v98, null, v9, v9, v104
	v_div_scale_f32 v7, vcc_lo, v104, v9, v104
	v_fma_f32 v96, -v100, v14, v115
	s_delay_alu instid0(VALU_DEP_3) | instskip(NEXT) | instid1(VALU_DEP_1)
	v_rcp_f32_e32 v17, v98
	v_fmac_f32_e32 v14, v96, v16
	s_waitcnt_depctr 0xfff
	v_fma_f32 v97, -v98, v17, 1.0
	s_delay_alu instid0(VALU_DEP_1) | instskip(SKIP_1) | instid1(VALU_DEP_2)
	v_fmac_f32_e32 v17, v97, v17
	v_div_scale_f32 v97, null, v94, v94, v12
	v_mul_f32_e32 v101, v7, v17
	s_delay_alu instid0(VALU_DEP_2) | instskip(NEXT) | instid1(VALU_DEP_1)
	v_rcp_f32_e32 v118, v97
	v_fma_f32 v121, -v98, v101, v7
	s_delay_alu instid0(VALU_DEP_1) | instskip(SKIP_3) | instid1(VALU_DEP_2)
	v_fmac_f32_e32 v101, v121, v17
	s_waitcnt_depctr 0xfff
	v_fma_f32 v6, -v97, v118, 1.0
	v_fma_f32 v7, -v98, v101, v7
	v_fmac_f32_e32 v118, v6, v118
	v_div_scale_f32 v98, s30, v12, v94, v12
	v_fma_mixlo_f16 v6, v120, v8, 0
	s_delay_alu instid0(VALU_DEP_4) | instskip(SKIP_1) | instid1(VALU_DEP_4)
	v_div_fmas_f32 v17, v7, v17, v101
	v_fma_f32 v8, -v100, v14, v115
	v_mul_f32_e32 v96, v98, v118
	v_lshrrev_b32_e32 v101, 16, v0
	s_mov_b32 vcc_lo, s29
	v_fma_mixlo_f16 v7, v119, v10, 0
	v_div_fixup_f32 v10, v17, v9, v104
	v_fma_f32 v9, -v97, v96, v98
	v_div_fmas_f32 v8, v8, v16, v14
	v_cvt_f32_f16_e32 v14, v101
	v_lshrrev_b32_e32 v100, 16, v1
	s_mov_b32 vcc_lo, s30
	v_fmac_f32_e32 v96, v9, v118
	v_div_fixup_f32 v13, v8, v13, v99
	v_mul_f32_e32 v8, 0xbfb8aa3b, v14
	v_cvt_f32_f16_e32 v16, v100
	v_cvt_f32_f16_e32 v99, v1
	v_fma_mixhi_f16 v7, v114, v5, 0
	v_fma_mixhi_f16 v6, v113, v4, 0
	v_rndne_f32_e32 v100, v8
	v_fma_mix_f32 v101, v0, s86, -v8 op_sel:[1,0,0] op_sel_hi:[1,0,0]
	s_delay_alu instid0(VALU_DEP_2) | instskip(NEXT) | instid1(VALU_DEP_2)
	v_sub_f32_e32 v8, v8, v100
	v_fma_mix_f32 v101, v0, s87, v101 op_sel:[1,0,0] op_sel_hi:[1,0,0]
	v_cvt_i32_f32_e32 v100, v100
	s_delay_alu instid0(VALU_DEP_2) | instskip(SKIP_2) | instid1(VALU_DEP_3)
	v_add_f32_e32 v8, v8, v101
	v_div_scale_f32 v15, null, v11, v11, v95
	v_div_scale_f32 v9, s29, v95, v11, v95
	v_exp_f32_e32 v8, v8
	s_delay_alu instid0(VALU_DEP_2) | instskip(SKIP_3) | instid1(VALU_DEP_1)
	v_rcp_f32_e32 v121, v15
	s_waitcnt_depctr 0xfff
	v_ldexp_f32 v8, v8, v100
	v_fma_f32 v17, -v15, v121, 1.0
	v_fmac_f32_e32 v121, v17, v121
	v_fma_f32 v17, -v97, v96, v98
	v_mul_f32_e32 v97, 0xbfb8aa3b, v16
	s_delay_alu instid0(VALU_DEP_2) | instskip(NEXT) | instid1(VALU_DEP_2)
	v_div_fmas_f32 v17, v17, v118, v96
	v_rndne_f32_e32 v104, v97
	v_fma_mix_f32 v115, v1, s86, -v97 op_sel:[1,0,0] op_sel_hi:[1,0,0]
	v_cmp_nlt_f32_e32 vcc_lo, 0x42ce8ed0, v14
	s_delay_alu instid0(VALU_DEP_4) | instskip(NEXT) | instid1(VALU_DEP_4)
	v_div_fixup_f32 v12, v17, v94, v12
	v_sub_f32_e32 v97, v97, v104
	s_delay_alu instid0(VALU_DEP_4) | instskip(SKIP_3) | instid1(VALU_DEP_4)
	v_fma_mix_f32 v115, v1, s87, v115 op_sel:[1,0,0] op_sel_hi:[1,0,0]
	v_cndmask_b32_e32 v8, 0, v8, vcc_lo
	v_cvt_i32_f32_e32 v96, v104
	v_cmp_nlt_f32_e32 vcc_lo, 0x42ce8ed0, v16
	v_add_f32_e32 v97, v97, v115
	s_delay_alu instid0(VALU_DEP_1) | instskip(SKIP_2) | instid1(VALU_DEP_1)
	v_exp_f32_e32 v97, v97
	s_waitcnt_depctr 0xfff
	v_ldexp_f32 v96, v97, v96
	v_cndmask_b32_e32 v96, 0, v96, vcc_lo
	v_cmp_ngt_f32_e32 vcc_lo, 0xc2b17218, v14
	v_mul_f32_e32 v98, v9, v121
	v_cndmask_b32_e32 v8, 0x7f800000, v8, vcc_lo
	v_mul_f32_e32 v119, 0xbfb8aa3b, v99
	s_delay_alu instid0(VALU_DEP_3) | instskip(SKIP_1) | instid1(VALU_DEP_4)
	v_fma_f32 v101, -v15, v98, v9
	v_cmp_ngt_f32_e32 vcc_lo, 0xc2b17218, v16
	v_add_f32_e32 v100, 1.0, v8
	s_delay_alu instid0(VALU_DEP_4)
	v_rndne_f32_e32 v120, v119
	v_fma_mix_f32 v122, v1, s86, -v119 op_sel_hi:[1,0,0]
	v_fmac_f32_e32 v98, v101, v121
	v_cndmask_b32_e32 v96, 0x7f800000, v96, vcc_lo
	v_cmp_nlt_f32_e32 vcc_lo, 0x42ce8ed0, v99
	v_sub_f32_e32 v115, v119, v120
	v_fma_mix_f32 v1, v1, s87, v122 op_sel_hi:[1,0,0]
	v_fma_f32 v9, -v15, v98, v9
	v_cvt_f32_f16_e32 v15, v0
	v_cvt_i32_f32_e32 v97, v120
	s_delay_alu instid0(VALU_DEP_4) | instskip(SKIP_1) | instid1(VALU_DEP_4)
	v_dual_add_f32 v96, 1.0, v96 :: v_dual_add_f32 v1, v115, v1
	v_div_scale_f32 v101, null, v100, v100, v14
	v_cmp_nlt_f32_e64 s30, 0x42ce8ed0, v15
	v_cmp_ngt_f32_e64 s31, 0xc2b17218, v15
	s_delay_alu instid0(VALU_DEP_4) | instskip(NEXT) | instid1(VALU_DEP_3)
	v_exp_f32_e32 v1, v1
	v_rcp_f32_e32 v115, v101
	s_waitcnt_depctr 0xfff
	v_ldexp_f32 v1, v1, v97
	v_mul_f32_e32 v97, 0xbfb8aa3b, v15
	s_delay_alu instid0(VALU_DEP_1) | instskip(SKIP_1) | instid1(VALU_DEP_2)
	v_rndne_f32_e32 v8, v97
	v_fma_mix_f32 v104, v0, s86, -v97 op_sel_hi:[1,0,0]
	v_sub_f32_e32 v97, v97, v8
	s_delay_alu instid0(VALU_DEP_2) | instskip(SKIP_3) | instid1(VALU_DEP_4)
	v_fma_mix_f32 v0, v0, s87, v104 op_sel_hi:[1,0,0]
	v_cndmask_b32_e32 v1, 0, v1, vcc_lo
	v_cmp_ngt_f32_e32 vcc_lo, 0xc2b17218, v99
	v_div_scale_f32 v104, null, v96, v96, v16
	v_add_f32_e32 v0, v97, v0
	v_fma_f32 v97, -v101, v115, 1.0
	v_cndmask_b32_e32 v1, 0x7f800000, v1, vcc_lo
	s_mov_b32 vcc_lo, s29
	v_div_scale_f32 v17, s29, v16, v96, v16
	v_div_fmas_f32 v9, v9, v121, v98
	v_exp_f32_e32 v0, v0
	v_rcp_f32_e32 v98, v104
	v_fmac_f32_e32 v115, v97, v115
	v_div_scale_f32 v97, vcc_lo, v14, v100, v14
	v_div_fixup_f32 v9, v9, v11, v95
	v_cvt_i32_f32_e32 v11, v8
	s_delay_alu instid0(VALU_DEP_2)
	v_fma_mixlo_f16 v8, v117, v9, 0
	s_delay_alu instid0(TRANS32_DEP_2) | instid1(VALU_DEP_2)
	v_ldexp_f32 v0, v0, v11
	s_delay_alu instid0(TRANS32_DEP_1) | instskip(SKIP_1) | instid1(VALU_DEP_4)
	v_fma_f32 v119, -v104, v98, 1.0
	v_mul_f32_e32 v11, v97, v115
	v_fma_mixhi_f16 v8, v110, v10, 0
	s_delay_alu instid0(VALU_DEP_4) | instskip(NEXT) | instid1(VALU_DEP_4)
	v_cndmask_b32_e64 v0, 0, v0, s30
	v_fmac_f32_e32 v98, v119, v98
	s_delay_alu instid0(VALU_DEP_4) | instskip(NEXT) | instid1(VALU_DEP_3)
	v_fma_f32 v94, -v101, v11, v97
	v_cndmask_b32_e64 v0, 0x7f800000, v0, s31
	v_add_f32_e32 v1, 1.0, v1
	s_delay_alu instid0(VALU_DEP_4) | instskip(NEXT) | instid1(VALU_DEP_3)
	v_mul_f32_e32 v117, v17, v98
	v_dual_fmac_f32 v11, v94, v115 :: v_dual_add_f32 v0, 1.0, v0
	s_delay_alu instid0(VALU_DEP_3) | instskip(SKIP_1) | instid1(VALU_DEP_4)
	v_div_scale_f32 v118, null, v1, v1, v99
	v_div_scale_f32 v119, s30, v99, v1, v99
	v_fma_f32 v94, -v104, v117, v17
	s_delay_alu instid0(VALU_DEP_3) | instskip(NEXT) | instid1(VALU_DEP_1)
	v_rcp_f32_e32 v95, v118
	v_fmac_f32_e32 v117, v94, v98
	s_delay_alu instid0(VALU_DEP_1) | instskip(SKIP_3) | instid1(VALU_DEP_2)
	v_fma_f32 v17, -v104, v117, v17
	s_waitcnt_depctr 0xfff
	v_fma_f32 v9, -v118, v95, 1.0
	v_lshrrev_b32_e32 v104, 16, v3
	v_fmac_f32_e32 v95, v9, v95
	v_fma_mixlo_f16 v9, v116, v12, 0
	v_fma_f32 v12, -v101, v11, v97
	s_delay_alu instid0(VALU_DEP_4) | instskip(NEXT) | instid1(VALU_DEP_4)
	v_cvt_f32_f16_e32 v104, v104
	v_mul_f32_e32 v120, v119, v95
	s_delay_alu instid0(VALU_DEP_4) | instskip(NEXT) | instid1(VALU_DEP_4)
	v_fma_mixhi_f16 v9, v109, v13, 0
	v_div_fmas_f32 v11, v12, v115, v11
	v_lshrrev_b32_e32 v12, 16, v2
	s_mov_b32 vcc_lo, s29
	v_fma_f32 v94, -v118, v120, v119
	v_div_fmas_f32 v17, v17, v98, v117
	s_mov_b32 vcc_lo, s30
	v_cvt_f32_f16_e32 v12, v12
	v_cvt_f32_f16_e32 v117, v3
	v_fmac_f32_e32 v120, v94, v95
	v_div_scale_f32 v94, null, v0, v0, v15
	s_delay_alu instid0(VALU_DEP_4) | instskip(SKIP_1) | instid1(VALU_DEP_4)
	v_mul_f32_e32 v101, 0xbfb8aa3b, v12
	v_cmp_nlt_f32_e64 s29, 0x42ce8ed0, v12
	v_fma_f32 v98, -v118, v120, v119
	s_delay_alu instid0(VALU_DEP_4)
	v_rcp_f32_e32 v97, v94
	v_mul_f32_e32 v118, 0xbfb8aa3b, v104
	v_fma_mix_f32 v115, v2, s86, -v101 op_sel:[1,0,0] op_sel_hi:[1,0,0]
	v_cvt_f32_f16_e32 v119, v2
	v_div_fmas_f32 v95, v98, v95, v120
	v_rndne_f32_e32 v98, v101
	v_fma_mix_f32 v120, v3, s86, -v118 op_sel:[1,0,0] op_sel_hi:[1,0,0]
	v_fma_mix_f32 v115, v2, s87, v115 op_sel:[1,0,0] op_sel_hi:[1,0,0]
	v_div_scale_f32 v123, vcc_lo, v15, v0, v15
	s_delay_alu instid0(TRANS32_DEP_1)
	v_fma_f32 v116, -v94, v97, 1.0
	v_sub_f32_e32 v101, v101, v98
	v_fma_mix_f32 v120, v3, s87, v120 op_sel:[1,0,0] op_sel_hi:[1,0,0]
	v_cvt_i32_f32_e32 v98, v98
	v_div_fixup_f32 v1, v95, v1, v99
	v_fmac_f32_e32 v97, v116, v97
	v_dual_mul_f32 v116, 0xbfb8aa3b, v117 :: v_dual_add_f32 v101, v101, v115
	v_rndne_f32_e32 v115, v118
	v_div_fixup_f32 v11, v11, v100, v14
	v_div_fixup_f32 v14, v17, v96, v16
	s_delay_alu instid0(VALU_DEP_4)
	v_rndne_f32_e32 v121, v116
	v_fma_mix_f32 v122, v3, s86, -v116 op_sel_hi:[1,0,0]
	v_exp_f32_e32 v101, v101
	v_sub_f32_e32 v118, v118, v115
	v_cvt_i32_f32_e32 v115, v115
	v_sub_f32_e32 v116, v116, v121
	v_fma_mix_f32 v3, v3, s87, v122 op_sel_hi:[1,0,0]
	v_mul_f32_e32 v122, 0xbfb8aa3b, v119
	v_add_f32_e32 v118, v118, v120
	v_fma_mixlo_f16 v1, v108, v1, 0
	s_delay_alu instid0(VALU_DEP_4) | instskip(NEXT) | instid1(VALU_DEP_4)
	v_add_f32_e32 v3, v116, v3
	v_rndne_f32_e32 v116, v122
	v_fma_mix_f32 v120, v2, s86, -v122 op_sel_hi:[1,0,0]
	v_exp_f32_e32 v118, v118
	v_ldexp_f32 v98, v101, v98
	v_exp_f32_e32 v3, v3
	v_sub_f32_e32 v101, v122, v116
	v_fma_mix_f32 v2, v2, s87, v120 op_sel_hi:[1,0,0]
	v_cvt_i32_f32_e32 v120, v121
	v_cndmask_b32_e64 v98, 0, v98, s29
	v_cmp_ngt_f32_e64 s29, 0xc2b17218, v12
	v_fma_mixhi_f16 v1, v103, v14, 0
	v_add_f32_e32 v2, v101, v2
	v_ldexp_f32 v101, v118, v115
	v_cvt_i32_f32_e32 v115, v116
	v_cndmask_b32_e64 v98, 0x7f800000, v98, s29
	v_cmp_nlt_f32_e64 s29, 0x42ce8ed0, v104
	v_ldexp_f32 v3, v3, v120
	v_exp_f32_e32 v2, v2
	s_delay_alu instid0(VALU_DEP_3) | instskip(NEXT) | instid1(VALU_DEP_3)
	v_add_f32_e32 v98, 1.0, v98
	v_cndmask_b32_e64 v101, 0, v101, s29
	v_cmp_nlt_f32_e64 s29, 0x42ce8ed0, v117
	s_delay_alu instid0(VALU_DEP_1)
	v_cndmask_b32_e64 v3, 0, v3, s29
	v_cmp_ngt_f32_e64 s29, 0xc2b17218, v104
	s_waitcnt_depctr 0xfff
	v_ldexp_f32 v2, v2, v115
	v_div_scale_f32 v115, null, v98, v98, v12
	v_cndmask_b32_e64 v101, 0x7f800000, v101, s29
	v_cmp_ngt_f32_e64 s29, 0xc2b17218, v117
	s_delay_alu instid0(VALU_DEP_3) | instskip(NEXT) | instid1(VALU_DEP_2)
	v_rcp_f32_e32 v116, v115
	v_add_f32_e32 v101, 1.0, v101
	s_delay_alu instid0(VALU_DEP_2) | instskip(SKIP_1) | instid1(VALU_DEP_3)
	v_cndmask_b32_e64 v3, 0x7f800000, v3, s29
	v_cmp_nlt_f32_e64 s29, 0x42ce8ed0, v119
	v_div_scale_f32 v118, null, v101, v101, v104
	s_delay_alu instid0(VALU_DEP_2) | instskip(SKIP_1) | instid1(TRANS32_DEP_1)
	v_cndmask_b32_e64 v2, 0, v2, s29
	v_cmp_ngt_f32_e64 s29, 0xc2b17218, v119
	v_fma_f32 v124, -v115, v116, 1.0
	s_delay_alu instid0(VALU_DEP_4) | instskip(NEXT) | instid1(VALU_DEP_2)
	v_rcp_f32_e32 v122, v118
	v_cndmask_b32_e64 v2, 0x7f800000, v2, s29
	s_delay_alu instid0(VALU_DEP_2) | instskip(SKIP_1) | instid1(VALU_DEP_3)
	v_fmac_f32_e32 v116, v124, v116
	v_div_scale_f32 v124, s29, v12, v98, v12
	v_dual_add_f32 v2, 1.0, v2 :: v_dual_mul_f32 v121, v123, v97
	s_waitcnt_depctr 0xfff
	v_fma_f32 v128, -v118, v122, 1.0
	v_mul_f32_e32 v130, v124, v116
	v_div_scale_f32 v127, null, v2, v2, v119
	v_fma_f32 v126, -v94, v121, v123
	s_delay_alu instid0(VALU_DEP_4) | instskip(SKIP_1) | instid1(VALU_DEP_4)
	v_fmac_f32_e32 v122, v128, v122
	v_div_scale_f32 v128, s30, v104, v101, v104
	v_rcp_f32_e32 v129, v127
	s_delay_alu instid0(VALU_DEP_1) | instskip(NEXT) | instid1(VALU_DEP_1)
	v_dual_fmac_f32 v121, v126, v97 :: v_dual_mul_f32 v132, v128, v122
	v_fma_f32 v94, -v94, v121, v123
	v_fma_f32 v123, -v115, v130, v124
	s_waitcnt_depctr 0xfff
	v_fma_f32 v131, -v127, v129, 1.0
	v_div_fmas_f32 v94, v94, v97, v121
	v_fma_f32 v97, -v118, v132, v128
	v_dual_add_f32 v3, 1.0, v3 :: v_dual_fmac_f32 v130, v123, v116
	s_delay_alu instid0(VALU_DEP_4) | instskip(SKIP_1) | instid1(VALU_DEP_4)
	v_fmac_f32_e32 v129, v131, v129
	v_div_scale_f32 v131, s33, v119, v2, v119
	v_fmac_f32_e32 v132, v97, v122
	s_delay_alu instid0(VALU_DEP_4) | instskip(NEXT) | instid1(VALU_DEP_3)
	v_div_scale_f32 v120, null, v3, v3, v117
	v_mul_f32_e32 v123, v131, v129
	v_div_fixup_f32 v0, v94, v0, v15
	v_fma_f32 v15, -v115, v130, v124
	s_delay_alu instid0(VALU_DEP_4)
	v_rcp_f32_e32 v125, v120
	v_fma_f32 v97, -v118, v132, v128
	v_fma_f32 v94, -v127, v123, v131
	s_mov_b32 vcc_lo, s29
	v_fma_mixlo_f16 v0, v111, v0, 0
	v_div_fmas_f32 v15, v15, v116, v130
	s_mov_b32 vcc_lo, s30
	v_fmac_f32_e32 v123, v94, v129
	v_div_fmas_f32 v97, v97, v122, v132
	v_fma_mixhi_f16 v0, v105, v11, 0
	v_fma_f32 v126, -v120, v125, 1.0
	v_div_fixup_f32 v12, v15, v98, v12
	v_fma_f32 v115, -v127, v123, v131
	v_div_fixup_f32 v15, v97, v101, v104
	s_delay_alu instid0(VALU_DEP_4) | instskip(SKIP_1) | instid1(VALU_DEP_1)
	v_fmac_f32_e32 v125, v126, v125
	v_div_scale_f32 v126, s31, v117, v3, v117
	s_mov_b32 vcc_lo, s31
	s_delay_alu instid0(VALU_DEP_1) | instskip(NEXT) | instid1(VALU_DEP_1)
	v_mul_f32_e32 v133, v126, v125
	v_fma_f32 v121, -v120, v133, v126
	s_delay_alu instid0(VALU_DEP_1) | instskip(NEXT) | instid1(VALU_DEP_1)
	v_fmac_f32_e32 v133, v121, v125
	v_fma_f32 v94, -v120, v133, v126
	s_delay_alu instid0(VALU_DEP_1) | instskip(SKIP_2) | instid1(VALU_DEP_2)
	v_div_fmas_f32 v94, v94, v125, v133
	s_mov_b32 vcc_lo, s33
	v_div_fmas_f32 v115, v115, v129, v123
	v_div_fixup_f32 v3, v94, v3, v117
	s_delay_alu instid0(VALU_DEP_2) | instskip(NEXT) | instid1(VALU_DEP_2)
	v_div_fixup_f32 v2, v115, v2, v119
	v_fma_mixlo_f16 v3, v106, v3, 0
	s_delay_alu instid0(VALU_DEP_2) | instskip(NEXT) | instid1(VALU_DEP_2)
	v_fma_mixlo_f16 v2, v107, v2, 0
	v_fma_mixhi_f16 v3, v112, v15, 0
	s_delay_alu instid0(VALU_DEP_2)
	v_fma_mixhi_f16 v2, v102, v12, 0
	ds_store_b128 v52, v[6:9]
	ds_store_b128 v52, v[0:3] offset:16
	; wave barrier
	ds_load_u16 v16, v37 offset:64
	ds_load_u16 v15, v38 offset:128
	;; [unrolled: 1-line block ×15, first 2 shown]
	v_add_co_u32 v0, vcc_lo, v76, s34
	v_add_co_ci_u32_e32 v1, vcc_lo, s35, v77, vcc_lo
	s_and_saveexec_b32 s29, s13
	s_cbranch_execnz .LBB120_286
; %bb.254:                              ;   in Loop: Header=BB120_12 Depth=1
	s_or_b32 exec_lo, exec_lo, s29
	s_and_saveexec_b32 s13, s14
	s_cbranch_execnz .LBB120_287
.LBB120_255:                            ;   in Loop: Header=BB120_12 Depth=1
	s_or_b32 exec_lo, exec_lo, s13
	s_and_saveexec_b32 s13, s15
	s_cbranch_execnz .LBB120_288
.LBB120_256:                            ;   in Loop: Header=BB120_12 Depth=1
	s_or_b32 exec_lo, exec_lo, s13
	s_and_saveexec_b32 s13, s16
	s_cbranch_execnz .LBB120_289
.LBB120_257:                            ;   in Loop: Header=BB120_12 Depth=1
	s_or_b32 exec_lo, exec_lo, s13
	s_and_saveexec_b32 s13, s17
	s_cbranch_execnz .LBB120_290
.LBB120_258:                            ;   in Loop: Header=BB120_12 Depth=1
	s_or_b32 exec_lo, exec_lo, s13
	s_and_saveexec_b32 s13, s18
	s_cbranch_execnz .LBB120_291
.LBB120_259:                            ;   in Loop: Header=BB120_12 Depth=1
	s_or_b32 exec_lo, exec_lo, s13
	s_and_saveexec_b32 s13, s19
	s_cbranch_execnz .LBB120_292
.LBB120_260:                            ;   in Loop: Header=BB120_12 Depth=1
	s_or_b32 exec_lo, exec_lo, s13
	s_and_saveexec_b32 s13, s20
	s_cbranch_execnz .LBB120_293
.LBB120_261:                            ;   in Loop: Header=BB120_12 Depth=1
	s_or_b32 exec_lo, exec_lo, s13
	s_and_saveexec_b32 s13, s21
	s_cbranch_execnz .LBB120_294
.LBB120_262:                            ;   in Loop: Header=BB120_12 Depth=1
	s_or_b32 exec_lo, exec_lo, s13
	s_and_saveexec_b32 s13, s22
	s_cbranch_execnz .LBB120_295
.LBB120_263:                            ;   in Loop: Header=BB120_12 Depth=1
	s_or_b32 exec_lo, exec_lo, s13
	s_and_saveexec_b32 s13, s23
	s_cbranch_execnz .LBB120_296
.LBB120_264:                            ;   in Loop: Header=BB120_12 Depth=1
	s_or_b32 exec_lo, exec_lo, s13
	s_and_saveexec_b32 s13, s24
	s_cbranch_execnz .LBB120_297
.LBB120_265:                            ;   in Loop: Header=BB120_12 Depth=1
	s_or_b32 exec_lo, exec_lo, s13
	s_and_saveexec_b32 s13, s25
	s_cbranch_execnz .LBB120_298
.LBB120_266:                            ;   in Loop: Header=BB120_12 Depth=1
	s_or_b32 exec_lo, exec_lo, s13
	s_and_saveexec_b32 s13, s26
	s_cbranch_execnz .LBB120_299
.LBB120_267:                            ;   in Loop: Header=BB120_12 Depth=1
	s_or_b32 exec_lo, exec_lo, s13
	s_and_saveexec_b32 s13, s27
	s_cbranch_execnz .LBB120_300
.LBB120_268:                            ;   in Loop: Header=BB120_12 Depth=1
	s_or_b32 exec_lo, exec_lo, s13
	s_and_saveexec_b32 s13, s28
	s_cbranch_execz .LBB120_11
	s_branch .LBB120_301
.LBB120_269:                            ;   in Loop: Header=BB120_12 Depth=1
	global_load_u16 v101, v[8:9], off offset:832
	s_or_b32 exec_lo, exec_lo, s29
	s_and_saveexec_b32 s29, s27
	s_cbranch_execz .LBB120_72
.LBB120_270:                            ;   in Loop: Header=BB120_12 Depth=1
	global_load_u16 v100, v[8:9], off offset:896
	s_or_b32 exec_lo, exec_lo, s29
	v_mov_b32_e32 v102, 0
	s_and_saveexec_b32 s29, s28
	s_cbranch_execnz .LBB120_73
	s_branch .LBB120_74
.LBB120_271:                            ;   in Loop: Header=BB120_12 Depth=1
	ds_load_u16 v17, v37
	s_waitcnt lgkmcnt(0)
	global_store_b16 v[0:1], v17, off
	s_or_b32 exec_lo, exec_lo, s29
	s_and_saveexec_b32 s29, s14
	s_cbranch_execz .LBB120_206
.LBB120_272:                            ;   in Loop: Header=BB120_12 Depth=1
	s_waitcnt lgkmcnt(14)
	global_store_b16 v[0:1], v16, off offset:64
	s_or_b32 exec_lo, exec_lo, s29
	s_and_saveexec_b32 s29, s15
	s_cbranch_execz .LBB120_207
.LBB120_273:                            ;   in Loop: Header=BB120_12 Depth=1
	s_waitcnt lgkmcnt(13)
	global_store_b16 v[0:1], v15, off offset:128
	s_or_b32 exec_lo, exec_lo, s29
	s_and_saveexec_b32 s29, s16
	s_cbranch_execz .LBB120_208
.LBB120_274:                            ;   in Loop: Header=BB120_12 Depth=1
	s_waitcnt lgkmcnt(12)
	global_store_b16 v[0:1], v14, off offset:192
	s_or_b32 exec_lo, exec_lo, s29
	s_and_saveexec_b32 s29, s17
	s_cbranch_execz .LBB120_209
.LBB120_275:                            ;   in Loop: Header=BB120_12 Depth=1
	s_waitcnt lgkmcnt(11)
	global_store_b16 v[0:1], v13, off offset:256
	s_or_b32 exec_lo, exec_lo, s29
	s_and_saveexec_b32 s29, s18
	s_cbranch_execz .LBB120_210
.LBB120_276:                            ;   in Loop: Header=BB120_12 Depth=1
	s_waitcnt lgkmcnt(10)
	global_store_b16 v[0:1], v12, off offset:320
	s_or_b32 exec_lo, exec_lo, s29
	s_and_saveexec_b32 s29, s19
	s_cbranch_execz .LBB120_211
.LBB120_277:                            ;   in Loop: Header=BB120_12 Depth=1
	s_waitcnt lgkmcnt(9)
	global_store_b16 v[0:1], v11, off offset:384
	s_or_b32 exec_lo, exec_lo, s29
	s_and_saveexec_b32 s29, s20
	s_cbranch_execz .LBB120_212
.LBB120_278:                            ;   in Loop: Header=BB120_12 Depth=1
	s_waitcnt lgkmcnt(8)
	global_store_b16 v[0:1], v10, off offset:448
	s_or_b32 exec_lo, exec_lo, s29
	s_and_saveexec_b32 s29, s21
	s_cbranch_execz .LBB120_213
.LBB120_279:                            ;   in Loop: Header=BB120_12 Depth=1
	s_waitcnt lgkmcnt(7)
	global_store_b16 v[0:1], v9, off offset:512
	s_or_b32 exec_lo, exec_lo, s29
	s_and_saveexec_b32 s29, s22
	s_cbranch_execz .LBB120_214
.LBB120_280:                            ;   in Loop: Header=BB120_12 Depth=1
	s_waitcnt lgkmcnt(6)
	global_store_b16 v[0:1], v8, off offset:576
	s_or_b32 exec_lo, exec_lo, s29
	s_and_saveexec_b32 s29, s23
	s_cbranch_execz .LBB120_215
.LBB120_281:                            ;   in Loop: Header=BB120_12 Depth=1
	s_waitcnt lgkmcnt(5)
	global_store_b16 v[0:1], v7, off offset:640
	s_or_b32 exec_lo, exec_lo, s29
	s_and_saveexec_b32 s29, s24
	s_cbranch_execz .LBB120_216
.LBB120_282:                            ;   in Loop: Header=BB120_12 Depth=1
	s_waitcnt lgkmcnt(4)
	global_store_b16 v[0:1], v6, off offset:704
	s_or_b32 exec_lo, exec_lo, s29
	s_and_saveexec_b32 s29, s25
	s_cbranch_execz .LBB120_217
.LBB120_283:                            ;   in Loop: Header=BB120_12 Depth=1
	s_waitcnt lgkmcnt(3)
	global_store_b16 v[0:1], v5, off offset:768
	s_or_b32 exec_lo, exec_lo, s29
	s_and_saveexec_b32 s29, s26
	s_cbranch_execz .LBB120_218
.LBB120_284:                            ;   in Loop: Header=BB120_12 Depth=1
	s_waitcnt lgkmcnt(2)
	global_store_b16 v[0:1], v4, off offset:832
	s_or_b32 exec_lo, exec_lo, s29
	s_and_saveexec_b32 s29, s27
	s_cbranch_execz .LBB120_219
.LBB120_285:                            ;   in Loop: Header=BB120_12 Depth=1
	s_waitcnt lgkmcnt(1)
	global_store_b16 v[0:1], v3, off offset:896
	s_or_b32 exec_lo, exec_lo, s29
	s_and_saveexec_b32 s29, s28
	s_cbranch_execnz .LBB120_220
	s_branch .LBB120_221
.LBB120_286:                            ;   in Loop: Header=BB120_12 Depth=1
	ds_load_u16 v17, v37
	s_waitcnt lgkmcnt(0)
	global_store_b16 v[0:1], v17, off
	s_or_b32 exec_lo, exec_lo, s29
	s_and_saveexec_b32 s13, s14
	s_cbranch_execz .LBB120_255
.LBB120_287:                            ;   in Loop: Header=BB120_12 Depth=1
	s_waitcnt lgkmcnt(14)
	global_store_b16 v[0:1], v16, off offset:64
	s_or_b32 exec_lo, exec_lo, s13
	s_and_saveexec_b32 s13, s15
	s_cbranch_execz .LBB120_256
.LBB120_288:                            ;   in Loop: Header=BB120_12 Depth=1
	s_waitcnt lgkmcnt(13)
	global_store_b16 v[0:1], v15, off offset:128
	s_or_b32 exec_lo, exec_lo, s13
	s_and_saveexec_b32 s13, s16
	s_cbranch_execz .LBB120_257
.LBB120_289:                            ;   in Loop: Header=BB120_12 Depth=1
	s_waitcnt lgkmcnt(12)
	global_store_b16 v[0:1], v14, off offset:192
	s_or_b32 exec_lo, exec_lo, s13
	s_and_saveexec_b32 s13, s17
	s_cbranch_execz .LBB120_258
.LBB120_290:                            ;   in Loop: Header=BB120_12 Depth=1
	s_waitcnt lgkmcnt(11)
	global_store_b16 v[0:1], v13, off offset:256
	s_or_b32 exec_lo, exec_lo, s13
	s_and_saveexec_b32 s13, s18
	s_cbranch_execz .LBB120_259
.LBB120_291:                            ;   in Loop: Header=BB120_12 Depth=1
	s_waitcnt lgkmcnt(10)
	global_store_b16 v[0:1], v12, off offset:320
	s_or_b32 exec_lo, exec_lo, s13
	s_and_saveexec_b32 s13, s19
	s_cbranch_execz .LBB120_260
.LBB120_292:                            ;   in Loop: Header=BB120_12 Depth=1
	s_waitcnt lgkmcnt(9)
	global_store_b16 v[0:1], v11, off offset:384
	s_or_b32 exec_lo, exec_lo, s13
	s_and_saveexec_b32 s13, s20
	s_cbranch_execz .LBB120_261
.LBB120_293:                            ;   in Loop: Header=BB120_12 Depth=1
	s_waitcnt lgkmcnt(8)
	global_store_b16 v[0:1], v10, off offset:448
	s_or_b32 exec_lo, exec_lo, s13
	s_and_saveexec_b32 s13, s21
	s_cbranch_execz .LBB120_262
.LBB120_294:                            ;   in Loop: Header=BB120_12 Depth=1
	s_waitcnt lgkmcnt(7)
	global_store_b16 v[0:1], v9, off offset:512
	s_or_b32 exec_lo, exec_lo, s13
	s_and_saveexec_b32 s13, s22
	s_cbranch_execz .LBB120_263
.LBB120_295:                            ;   in Loop: Header=BB120_12 Depth=1
	s_waitcnt lgkmcnt(6)
	global_store_b16 v[0:1], v8, off offset:576
	s_or_b32 exec_lo, exec_lo, s13
	s_and_saveexec_b32 s13, s23
	s_cbranch_execz .LBB120_264
.LBB120_296:                            ;   in Loop: Header=BB120_12 Depth=1
	s_waitcnt lgkmcnt(5)
	global_store_b16 v[0:1], v7, off offset:640
	s_or_b32 exec_lo, exec_lo, s13
	s_and_saveexec_b32 s13, s24
	s_cbranch_execz .LBB120_265
.LBB120_297:                            ;   in Loop: Header=BB120_12 Depth=1
	s_waitcnt lgkmcnt(4)
	global_store_b16 v[0:1], v6, off offset:704
	s_or_b32 exec_lo, exec_lo, s13
	s_and_saveexec_b32 s13, s25
	s_cbranch_execz .LBB120_266
.LBB120_298:                            ;   in Loop: Header=BB120_12 Depth=1
	s_waitcnt lgkmcnt(3)
	global_store_b16 v[0:1], v5, off offset:768
	s_or_b32 exec_lo, exec_lo, s13
	s_and_saveexec_b32 s13, s26
	s_cbranch_execz .LBB120_267
.LBB120_299:                            ;   in Loop: Header=BB120_12 Depth=1
	s_waitcnt lgkmcnt(2)
	global_store_b16 v[0:1], v4, off offset:832
	s_or_b32 exec_lo, exec_lo, s13
	s_and_saveexec_b32 s13, s27
	s_cbranch_execz .LBB120_268
.LBB120_300:                            ;   in Loop: Header=BB120_12 Depth=1
	s_waitcnt lgkmcnt(1)
	global_store_b16 v[0:1], v3, off offset:896
	s_or_b32 exec_lo, exec_lo, s13
	s_and_saveexec_b32 s13, s28
	s_cbranch_execz .LBB120_11
.LBB120_301:                            ;   in Loop: Header=BB120_12 Depth=1
	s_waitcnt lgkmcnt(0)
	global_store_b16 v[0:1], v2, off offset:960
	s_branch .LBB120_11
.LBB120_302:
	s_nop 0
	s_sendmsg sendmsg(MSG_DEALLOC_VGPRS)
	s_endpgm
	.section	.rodata,"a",@progbits
	.p2align	6, 0x0
	.amdhsa_kernel _Z25selective_scan_fwd_kernelI32Selective_Scan_fwd_kernel_traitsILi128ELi16ELi1ELb1ELb1ELb1ELb1ELb1EN3c104HalfEffEEv13SSMParamsBase
		.amdhsa_group_segment_fixed_size 0
		.amdhsa_private_segment_fixed_size 0
		.amdhsa_kernarg_size 248
		.amdhsa_user_sgpr_count 14
		.amdhsa_user_sgpr_dispatch_ptr 0
		.amdhsa_user_sgpr_queue_ptr 0
		.amdhsa_user_sgpr_kernarg_segment_ptr 1
		.amdhsa_user_sgpr_dispatch_id 0
		.amdhsa_user_sgpr_private_segment_size 0
		.amdhsa_wavefront_size32 1
		.amdhsa_uses_dynamic_stack 0
		.amdhsa_enable_private_segment 0
		.amdhsa_system_sgpr_workgroup_id_x 1
		.amdhsa_system_sgpr_workgroup_id_y 1
		.amdhsa_system_sgpr_workgroup_id_z 0
		.amdhsa_system_sgpr_workgroup_info 0
		.amdhsa_system_vgpr_workitem_id 0
		.amdhsa_next_free_vgpr 177
		.amdhsa_next_free_sgpr 94
		.amdhsa_reserve_vcc 1
		.amdhsa_float_round_mode_32 0
		.amdhsa_float_round_mode_16_64 0
		.amdhsa_float_denorm_mode_32 3
		.amdhsa_float_denorm_mode_16_64 3
		.amdhsa_dx10_clamp 1
		.amdhsa_ieee_mode 1
		.amdhsa_fp16_overflow 0
		.amdhsa_workgroup_processor_mode 1
		.amdhsa_memory_ordered 1
		.amdhsa_forward_progress 0
		.amdhsa_shared_vgpr_count 0
		.amdhsa_exception_fp_ieee_invalid_op 0
		.amdhsa_exception_fp_denorm_src 0
		.amdhsa_exception_fp_ieee_div_zero 0
		.amdhsa_exception_fp_ieee_overflow 0
		.amdhsa_exception_fp_ieee_underflow 0
		.amdhsa_exception_fp_ieee_inexact 0
		.amdhsa_exception_int_div_zero 0
	.end_amdhsa_kernel
	.section	.text._Z25selective_scan_fwd_kernelI32Selective_Scan_fwd_kernel_traitsILi128ELi16ELi1ELb1ELb1ELb1ELb1ELb1EN3c104HalfEffEEv13SSMParamsBase,"axG",@progbits,_Z25selective_scan_fwd_kernelI32Selective_Scan_fwd_kernel_traitsILi128ELi16ELi1ELb1ELb1ELb1ELb1ELb1EN3c104HalfEffEEv13SSMParamsBase,comdat
.Lfunc_end120:
	.size	_Z25selective_scan_fwd_kernelI32Selective_Scan_fwd_kernel_traitsILi128ELi16ELi1ELb1ELb1ELb1ELb1ELb1EN3c104HalfEffEEv13SSMParamsBase, .Lfunc_end120-_Z25selective_scan_fwd_kernelI32Selective_Scan_fwd_kernel_traitsILi128ELi16ELi1ELb1ELb1ELb1ELb1ELb1EN3c104HalfEffEEv13SSMParamsBase
                                        ; -- End function
	.section	.AMDGPU.csdata,"",@progbits
; Kernel info:
; codeLenInByte = 26124
; NumSgprs: 96
; NumVgprs: 177
; ScratchSize: 0
; MemoryBound: 0
; FloatMode: 240
; IeeeMode: 1
; LDSByteSize: 0 bytes/workgroup (compile time only)
; SGPRBlocks: 11
; VGPRBlocks: 22
; NumSGPRsForWavesPerEU: 96
; NumVGPRsForWavesPerEU: 177
; Occupancy: 8
; WaveLimiterHint : 1
; COMPUTE_PGM_RSRC2:SCRATCH_EN: 0
; COMPUTE_PGM_RSRC2:USER_SGPR: 14
; COMPUTE_PGM_RSRC2:TRAP_HANDLER: 0
; COMPUTE_PGM_RSRC2:TGID_X_EN: 1
; COMPUTE_PGM_RSRC2:TGID_Y_EN: 1
; COMPUTE_PGM_RSRC2:TGID_Z_EN: 0
; COMPUTE_PGM_RSRC2:TIDIG_COMP_CNT: 0
	.section	.text._Z25selective_scan_fwd_kernelI32Selective_Scan_fwd_kernel_traitsILi128ELi16ELi1ELb1ELb1ELb1ELb1ELb0EN3c104HalfEffEEv13SSMParamsBase,"axG",@progbits,_Z25selective_scan_fwd_kernelI32Selective_Scan_fwd_kernel_traitsILi128ELi16ELi1ELb1ELb1ELb1ELb1ELb0EN3c104HalfEffEEv13SSMParamsBase,comdat
	.protected	_Z25selective_scan_fwd_kernelI32Selective_Scan_fwd_kernel_traitsILi128ELi16ELi1ELb1ELb1ELb1ELb1ELb0EN3c104HalfEffEEv13SSMParamsBase ; -- Begin function _Z25selective_scan_fwd_kernelI32Selective_Scan_fwd_kernel_traitsILi128ELi16ELi1ELb1ELb1ELb1ELb1ELb0EN3c104HalfEffEEv13SSMParamsBase
	.globl	_Z25selective_scan_fwd_kernelI32Selective_Scan_fwd_kernel_traitsILi128ELi16ELi1ELb1ELb1ELb1ELb1ELb0EN3c104HalfEffEEv13SSMParamsBase
	.p2align	8
	.type	_Z25selective_scan_fwd_kernelI32Selective_Scan_fwd_kernel_traitsILi128ELi16ELi1ELb1ELb1ELb1ELb1ELb0EN3c104HalfEffEEv13SSMParamsBase,@function
_Z25selective_scan_fwd_kernelI32Selective_Scan_fwd_kernel_traitsILi128ELi16ELi1ELb1ELb1ELb1ELb1ELb0EN3c104HalfEffEEv13SSMParamsBase: ; @_Z25selective_scan_fwd_kernelI32Selective_Scan_fwd_kernel_traitsILi128ELi16ELi1ELb1ELb1ELb1ELb1ELb0EN3c104HalfEffEEv13SSMParamsBase
; %bb.0:
	s_clause 0x1
	s_load_b32 s9, s[0:1], 0x18
	s_load_b128 s[4:7], s[0:1], 0xe8
	s_mov_b32 s54, s15
	s_mov_b32 s56, 0
	s_waitcnt lgkmcnt(0)
	s_abs_i32 s8, s9
	s_cmp_eq_u64 s[6:7], 0
	v_cvt_f32_u32_e32 v1, s8
	s_delay_alu instid0(VALU_DEP_1) | instskip(SKIP_2) | instid1(VALU_DEP_1)
	v_rcp_iflag_f32_e32 v1, v1
	s_waitcnt_depctr 0xfff
	v_mul_f32_e32 v1, 0x4f7ffffe, v1
	v_cvt_u32_f32_e32 v1, v1
	s_delay_alu instid0(VALU_DEP_1)
	v_readfirstlane_b32 s10, v1
	s_cbranch_scc1 .LBB121_2
; %bb.1:
	v_mov_b32_e32 v1, 0
	s_ashr_i32 s3, s14, 31
	s_add_u32 s2, s6, s14
	s_addc_u32 s3, s7, s3
	global_load_u8 v1, v1, s[2:3]
	s_waitcnt vmcnt(0)
	v_and_b32_e32 v1, 1, v1
	s_delay_alu instid0(VALU_DEP_1)
	v_cmp_eq_u32_e64 s56, 1, v1
.LBB121_2:
	s_load_b64 s[6:7], s[0:1], 0x20
	s_cmp_eq_u64 s[4:5], 0
	s_cbranch_scc1 .LBB121_4
; %bb.3:
	s_ashr_i32 s15, s14, 31
	s_delay_alu instid0(SALU_CYCLE_1) | instskip(NEXT) | instid1(SALU_CYCLE_1)
	s_lshl_b64 s[2:3], s[14:15], 2
	s_add_u32 s2, s4, s2
	s_addc_u32 s3, s5, s3
	s_load_b32 s2, s[2:3], 0x0
	s_waitcnt lgkmcnt(0)
	s_ashr_i32 s3, s2, 31
	s_delay_alu instid0(SALU_CYCLE_1)
	s_cmp_eq_u64 s[6:7], s[2:3]
	s_cbranch_scc0 .LBB121_5
	s_branch .LBB121_90
.LBB121_4:
	s_mov_b32 s2, s14
	s_delay_alu instid0(SALU_CYCLE_1)
	s_ashr_i32 s3, s2, 31
	s_waitcnt lgkmcnt(0)
	s_cmp_eq_u64 s[6:7], s[2:3]
	s_cbranch_scc1 .LBB121_90
.LBB121_5:
	s_clause 0x1
	s_load_b512 s[16:31], s[0:1], 0x88
	s_load_b64 s[34:35], s[0:1], 0x8
	s_mov_b32 s57, 0
	s_mov_b32 s58, 0
	s_waitcnt lgkmcnt(0)
	s_cmp_eq_u64 s[22:23], 0
	s_cbranch_scc1 .LBB121_7
; %bb.6:
	s_ashr_i32 s55, s54, 31
	s_delay_alu instid0(SALU_CYCLE_1) | instskip(NEXT) | instid1(SALU_CYCLE_1)
	s_lshl_b64 s[4:5], s[54:55], 2
	s_add_u32 s4, s22, s4
	s_addc_u32 s5, s23, s5
	s_load_b32 s58, s[4:5], 0x0
.LBB121_7:
	s_cmp_eq_u64 s[28:29], 0
	s_cbranch_scc1 .LBB121_9
; %bb.8:
	s_ashr_i32 s55, s54, 31
	s_delay_alu instid0(SALU_CYCLE_1) | instskip(NEXT) | instid1(SALU_CYCLE_1)
	s_lshl_b64 s[4:5], s[54:55], 2
	s_add_u32 s4, s28, s4
	s_addc_u32 s5, s29, s5
	s_load_b32 s57, s[4:5], 0x0
.LBB121_9:
	s_cmp_lt_i32 s34, 1
	s_cbranch_scc1 .LBB121_90
; %bb.10:
	s_sub_i32 s3, 0, s8
	s_load_b256 s[36:43], s[0:1], 0x4c
	s_mul_i32 s3, s3, s10
	s_abs_i32 s4, s54
	s_mul_hi_u32 s3, s10, s3
	s_ashr_i32 s6, s9, 31
	s_add_i32 s10, s10, s3
	s_ashr_i32 s3, s54, 31
	s_mul_hi_u32 s5, s4, s10
	s_xor_b32 s3, s3, s6
	s_mul_i32 s7, s5, s8
	s_add_i32 s6, s5, 1
	s_sub_i32 s4, s4, s7
	s_load_b256 s[44:51], s[0:1], 0x2c
	s_sub_i32 s7, s4, s8
	s_cmp_ge_u32 s4, s8
	s_mov_b32 s53, 0
	s_cselect_b32 s5, s6, s5
	s_cselect_b32 s4, s7, s4
	s_add_i32 s6, s5, 1
	s_cmp_ge_u32 s4, s8
	s_waitcnt lgkmcnt(0)
	s_mul_i32 s52, s38, s14
	s_cselect_b32 s6, s6, s5
	s_lshl_b64 s[4:5], s[52:53], 1
	s_xor_b32 s6, s6, s3
	s_mul_i32 s52, s39, s54
	s_sub_i32 s3, s6, s3
	s_add_u32 s6, s24, s4
	s_addc_u32 s7, s25, s5
	s_lshl_b64 s[4:5], s[52:53], 1
	s_mul_i32 s52, s40, s14
	s_add_u32 s51, s6, s4
	s_addc_u32 s55, s7, s5
	s_lshl_b64 s[4:5], s[52:53], 1
	s_mul_i32 s52, s41, s54
	;; [unrolled: 4-line block ×3, first 2 shown]
	s_add_u32 s59, s6, s4
	s_addc_u32 s44, s7, s5
	s_clause 0x1
	s_load_b64 s[6:7], s[0:1], 0x7c
	s_load_b32 s63, s[0:1], 0x84
	s_lshl_b64 s[4:5], s[52:53], 2
	s_mul_i32 s52, s46, s14
	s_add_u32 s60, s16, s4
	s_addc_u32 s61, s17, s5
	s_lshl_b64 s[4:5], s[52:53], 1
	s_mul_i32 s52, s3, s49
	s_load_b128 s[24:27], s[0:1], 0xc8
	s_add_u32 s8, s18, s4
	s_addc_u32 s9, s19, s5
	s_lshl_b64 s[4:5], s[52:53], 1
	s_mul_i32 s52, s50, s14
	s_add_u32 s49, s8, s4
	v_dual_mov_b32 v42, 0 :: v_dual_lshlrev_b32 v1, 1, v0
	s_addc_u32 s50, s9, s5
	s_lshl_b64 s[4:5], s[52:53], 1
	s_mul_i32 s52, s3, s37
	s_add_u32 s8, s20, s4
	s_addc_u32 s3, s21, s5
	s_lshl_b64 s[4:5], s[52:53], 1
	s_load_b128 s[16:19], s[0:1], 0x6c
	s_waitcnt lgkmcnt(0)
	s_mul_i32 s52, s2, s6
	s_load_b32 s6, s[0:1], 0x28
	v_mbcnt_lo_u32_b32 v2, -1, 0
	v_and_b32_e32 v1, 0xc0, v1
	s_add_u32 s37, s8, s4
	s_addc_u32 s62, s3, s5
	s_lshl_b64 s[2:3], s[52:53], 2
	v_and_b32_e32 v4, 0x60, v0
	v_or_b32_e32 v3, v2, v1
	s_mul_i32 s52, s7, s54
	s_load_b64 s[20:21], s[0:1], 0xd8
	s_add_u32 s4, s24, s2
	s_addc_u32 s5, s25, s3
	v_or_b32_e32 v6, 32, v3
	s_lshl_b64 s[2:3], s[52:53], 2
	v_lshrrev_b32_e32 v5, 5, v1
	s_add_u32 s64, s4, s2
	v_or_b32_e32 v7, v2, v4
	v_lshrrev_b32_e32 v8, 5, v6
	s_addc_u32 s65, s5, s3
	s_add_i32 s2, s34, 0x7ff
	v_cmp_gt_u32_e64 s0, 0x100, v3
	s_lshr_b32 s66, s2, 11
	s_waitcnt lgkmcnt(0)
	s_bitcmp1_b32 s6, 0
	v_add_nc_u32_e32 v5, v5, v3
	v_lshlrev_b32_e32 v9, 1, v7
	v_bfe_u32 v7, v7, 4, 27
	v_add_lshl_u32 v3, v8, v3, 4
	s_cselect_b32 s67, -1, 0
	s_cmp_gt_i32 s35, 0
	v_lshl_add_u32 v43, v5, 4, 0
	s_cselect_b32 s68, -1, 0
	s_add_i32 s2, 0, 0x1080
	v_add_lshl_u32 v5, v7, v9, 4
	v_add_nc_u32_e32 v44, 0, v3
	v_add_nc_u32_e32 v46, s2, v3
	v_and_b32_e32 v3, 15, v2
	s_and_b32 s3, s34, 0x7ff
	v_add_nc_u32_e32 v47, s2, v5
	s_cmp_eq_u32 s3, 0
	s_mul_i32 s52, s16, s14
	v_cmp_ne_u32_e64 s2, 0, v3
	v_cmp_lt_u32_e64 s3, 1, v3
	v_cmp_lt_u32_e64 s4, 3, v3
	;; [unrolled: 1-line block ×3, first 2 shown]
	v_add_nc_u32_e32 v3, -1, v2
	s_cselect_b32 s69, -1, 0
	s_lshl_b64 s[22:23], s[52:53], 1
	s_add_i32 s70, s66, -1
	s_mul_i32 s52, s17, s54
	v_cmp_gt_i32_e32 vcc_lo, 0, v3
	v_add_nc_u32_e32 v45, 0, v5
	v_lshrrev_b32_e32 v5, 2, v0
	s_add_u32 s22, s30, s22
	s_addc_u32 s23, s31, s23
	v_cndmask_b32_e32 v3, v3, v2, vcc_lo
	v_or_b32_e32 v4, 31, v4
	s_lshl_b64 s[16:17], s[52:53], 1
	v_lshlrev_b32_e32 v48, 4, v0
	v_cmp_gt_u32_e64 s8, 4, v0
	v_lshl_add_u32 v50, v0, 3, 0
	v_cmp_eq_u32_e64 s7, v4, v0
	v_cmp_gt_u32_e64 s11, 32, v0
	v_cmp_lt_u32_e64 s12, 31, v0
	v_cmp_eq_u32_e64 s13, 0, v0
	s_mul_i32 s52, s42, s14
	v_lshlrev_b32_e32 v0, 4, v2
	s_add_u32 s22, s22, s16
	v_and_b32_e32 v4, 3, v2
	s_addc_u32 s23, s23, s17
	s_lshl_b64 s[16:17], s[52:53], 1
	v_and_b32_e32 v5, 24, v5
	s_mul_i32 s52, s43, s54
	s_add_u32 s24, s26, s16
	v_lshlrev_b32_e32 v51, 2, v3
	s_addc_u32 s25, s27, s17
	s_lshl_b64 s[16:17], s[52:53], 1
	v_add_co_u32 v3, s22, s22, v0
	s_mul_i32 s52, s18, s14
	v_cmp_ne_u32_e64 s9, 0, v4
	v_cmp_lt_u32_e64 s10, 1, v4
	v_add_co_ci_u32_e64 v4, null, s23, 0, s22
	s_add_u32 s22, s24, s16
	v_add_nc_u32_e32 v49, 0, v5
	s_addc_u32 s14, s25, s17
	s_lshl_b64 s[16:17], s[52:53], 1
	v_lshlrev_b32_e32 v5, 4, v1
	s_mul_i32 s52, s19, s54
	s_add_u32 s18, s20, s16
	s_addc_u32 s19, s21, s17
	s_lshl_b64 s[16:17], s[52:53], 1
	v_cmp_gt_u32_e64 s1, 0x100, v6
	v_and_b32_e32 v6, 16, v2
	v_add_co_u32 v52, vcc_lo, v3, v5
	s_add_u32 s16, s18, s16
	v_add_co_u32 v3, s18, s22, v0
	v_add_co_ci_u32_e32 v53, vcc_lo, 0, v4, vcc_lo
	v_add_co_ci_u32_e64 v4, null, s14, 0, s18
	s_addc_u32 s17, s19, s17
	v_add_co_u32 v0, s14, s16, v0
	v_cmp_ne_u32_e64 s6, 0, v6
	v_add_co_ci_u32_e64 v6, null, s17, 0, s14
	v_add_co_u32 v54, vcc_lo, v3, v5
	v_add_co_ci_u32_e32 v55, vcc_lo, 0, v4, vcc_lo
	v_add_co_u32 v56, vcc_lo, v0, v5
	v_cmp_eq_u32_e64 s15, 0, v2
	v_add_co_ci_u32_e32 v57, vcc_lo, 0, v6, vcc_lo
	v_or_b32_e32 v58, 1, v48
	v_or_b32_e32 v59, 2, v48
	;; [unrolled: 1-line block ×15, first 2 shown]
	v_lshlrev_b32_e32 v73, 4, v2
	v_lshlrev_b32_e32 v74, 4, v1
	s_mov_b32 s54, 0x3e9b6dac
	s_add_i32 s71, 0, 0x2120
	s_mov_b32 s72, 0xbfb8aa3b
	s_mov_b32 s73, 0xb2a5705f
	s_mov_b32 s74, 0
                                        ; implicit-def: $vgpr0
                                        ; implicit-def: $vgpr4
                                        ; implicit-def: $vgpr12
                                        ; implicit-def: $vgpr8
                                        ; implicit-def: $vgpr20
                                        ; implicit-def: $vgpr16
	s_branch .LBB121_12
.LBB121_11:                             ;   in Loop: Header=BB121_12 Depth=1
	s_or_b32 exec_lo, exec_lo, s14
	s_waitcnt vmcnt(0)
	ds_store_2addr_b32 v43, v0, v1 offset1:1
	ds_store_2addr_b32 v43, v2, v3 offset0:2 offset1:3
	ds_store_b128 v44, v[4:7] offset:512
	; wave barrier
	ds_load_b128 v[0:3], v45
	ds_load_b128 v[4:7], v45 offset:16
	s_waitcnt lgkmcnt(0)
	s_barrier
	buffer_gl0_inv
	s_add_u32 s59, s59, 0x1000
	s_addc_u32 s44, s44, 0
	s_add_u32 s51, s51, 0x1000
	s_addc_u32 s55, s55, 0
	;; [unrolled: 2-line block ×4, first 2 shown]
	s_add_i32 s74, s74, 1
	s_delay_alu instid0(SALU_CYCLE_1)
	s_cmp_eq_u32 s74, s66
	v_cvt_f32_f16_e32 v25, v0
	v_lshrrev_b32_e32 v28, 16, v2
	v_cvt_f32_f16_e32 v30, v2
	v_lshrrev_b32_e32 v26, 16, v1
	v_cvt_f32_f16_e32 v27, v1
	v_mul_f32_e32 v29, 0xbfb8aa3b, v25
	v_cvt_f32_f16_e32 v32, v28
	v_mul_f32_e32 v28, 0xbfb8aa3b, v30
	v_lshrrev_b32_e32 v24, 16, v0
	v_cvt_f32_f16_e32 v26, v26
	v_mul_f32_e32 v31, 0xbfb8aa3b, v27
	v_rndne_f32_e32 v34, v29
	v_rndne_f32_e32 v40, v28
	v_fma_mix_f32 v41, v2, s72, -v28 op_sel_hi:[1,0,0]
	v_mul_f32_e32 v36, 0xbfb8aa3b, v26
	v_cvt_f32_f16_e32 v24, v24
	v_fma_mix_f32 v35, v0, s72, -v29 op_sel_hi:[1,0,0]
	v_rndne_f32_e32 v37, v31
	v_fma_mix_f32 v38, v1, s72, -v31 op_sel_hi:[1,0,0]
	v_dual_sub_f32 v29, v29, v34 :: v_dual_sub_f32 v28, v28, v40
	v_fma_mix_f32 v41, v2, s73, v41 op_sel_hi:[1,0,0]
	v_mul_f32_e32 v39, 0xbfb8aa3b, v32
	v_sub_f32_e32 v31, v31, v37
	v_fma_mix_f32 v38, v1, s73, v38 op_sel_hi:[1,0,0]
	v_fma_mix_f32 v35, v0, s73, v35 op_sel_hi:[1,0,0]
	v_add_f32_e32 v28, v28, v41
	v_rndne_f32_e32 v79, v39
	v_mul_f32_e32 v33, 0xbfb8aa3b, v24
	v_add_f32_e32 v31, v31, v38
	v_cmp_nlt_f32_e32 vcc_lo, 0x42ce8ed0, v24
	v_rndne_f32_e32 v77, v36
	v_sub_f32_e32 v38, v39, v79
	v_rndne_f32_e32 v75, v33
	v_fma_mix_f32 v76, v0, s72, -v33 op_sel:[1,0,0] op_sel_hi:[1,0,0]
	v_fma_mix_f32 v78, v1, s72, -v36 op_sel:[1,0,0] op_sel_hi:[1,0,0]
	v_cvt_i32_f32_e32 v34, v34
	v_fma_mix_f32 v80, v2, s72, -v39 op_sel:[1,0,0] op_sel_hi:[1,0,0]
	v_sub_f32_e32 v33, v33, v75
	v_fma_mix_f32 v76, v0, s73, v76 op_sel:[1,0,0] op_sel_hi:[1,0,0]
	v_cvt_i32_f32_e32 v75, v75
	v_exp_f32_e32 v31, v31
	v_fma_mix_f32 v39, v2, s73, v80 op_sel:[1,0,0] op_sel_hi:[1,0,0]
	v_cvt_i32_f32_e32 v37, v37
	v_add_f32_e32 v33, v33, v76
	v_cvt_i32_f32_e32 v76, v77
	v_cmp_nlt_f32_e64 s17, 0x42ce8ed0, v32
	v_add_f32_e32 v38, v38, v39
	s_delay_alu instid0(VALU_DEP_4) | instskip(NEXT) | instid1(TRANS32_DEP_2)
	v_exp_f32_e32 v33, v33
	v_ldexp_f32 v31, v31, v37
	s_waitcnt_depctr 0xfff
	v_ldexp_f32 v33, v33, v75
	s_delay_alu instid0(VALU_DEP_1) | instskip(SKIP_4) | instid1(VALU_DEP_3)
	v_cndmask_b32_e32 v33, 0, v33, vcc_lo
	v_cmp_ngt_f32_e32 vcc_lo, 0xc2b17218, v24
	v_add_f32_e32 v29, v29, v35
	v_sub_f32_e32 v35, v36, v77
	v_fma_mix_f32 v36, v1, s73, v78 op_sel:[1,0,0] op_sel_hi:[1,0,0]
	v_exp_f32_e32 v29, v29
	s_delay_alu instid0(VALU_DEP_1) | instskip(SKIP_1) | instid1(VALU_DEP_2)
	v_add_f32_e32 v35, v35, v36
	v_cvt_i32_f32_e32 v36, v79
	v_exp_f32_e32 v35, v35
	s_waitcnt_depctr 0xfff
	v_ldexp_f32 v29, v29, v34
	v_exp_f32_e32 v34, v28
	v_cndmask_b32_e32 v28, 0x7f800000, v33, vcc_lo
	v_cmp_nlt_f32_e32 vcc_lo, 0x42ce8ed0, v25
	v_exp_f32_e32 v33, v38
	s_delay_alu instid0(VALU_DEP_2) | instskip(SKIP_2) | instid1(VALU_DEP_3)
	v_dual_add_f32 v28, 1.0, v28 :: v_dual_cndmask_b32 v29, 0, v29
	v_cmp_ngt_f32_e32 vcc_lo, 0xc2b17218, v25
	v_ldexp_f32 v35, v35, v76
	v_div_scale_f32 v38, null, v28, v28, v24
	s_delay_alu instid0(VALU_DEP_4) | instskip(SKIP_1) | instid1(TRANS32_DEP_1)
	v_cndmask_b32_e32 v29, 0x7f800000, v29, vcc_lo
	v_cmp_nlt_f32_e32 vcc_lo, 0x42ce8ed0, v26
	v_ldexp_f32 v33, v33, v36
	s_delay_alu instid0(VALU_DEP_4) | instskip(NEXT) | instid1(VALU_DEP_3)
	v_rcp_f32_e32 v37, v38
	v_add_f32_e32 v29, 1.0, v29
	v_cndmask_b32_e32 v35, 0, v35, vcc_lo
	v_cmp_ngt_f32_e32 vcc_lo, 0xc2b17218, v26
	v_cndmask_b32_e64 v33, 0, v33, s17
	s_delay_alu instid0(VALU_DEP_4) | instskip(NEXT) | instid1(VALU_DEP_4)
	v_div_scale_f32 v39, null, v29, v29, v25
	v_cndmask_b32_e32 v35, 0x7f800000, v35, vcc_lo
	v_cmp_nlt_f32_e32 vcc_lo, 0x42ce8ed0, v27
	s_delay_alu instid0(TRANS32_DEP_1) | instskip(NEXT) | instid1(VALU_DEP_4)
	v_fma_f32 v75, -v38, v37, 1.0
	v_rcp_f32_e32 v36, v39
	v_div_scale_f32 v78, s14, v25, v29, v25
	v_add_f32_e32 v35, 1.0, v35
	v_cndmask_b32_e32 v31, 0, v31, vcc_lo
	v_cmp_ngt_f32_e32 vcc_lo, 0xc2b17218, v27
	v_fmac_f32_e32 v37, v75, v37
	s_delay_alu instid0(VALU_DEP_4) | instskip(NEXT) | instid1(VALU_DEP_4)
	v_div_scale_f32 v41, null, v35, v35, v26
	v_cndmask_b32_e32 v31, 0x7f800000, v31, vcc_lo
	v_div_scale_f32 v76, vcc_lo, v24, v28, v24
	s_delay_alu instid0(VALU_DEP_3) | instskip(SKIP_1) | instid1(VALU_DEP_3)
	v_rcp_f32_e32 v77, v41
	v_fma_f32 v75, -v39, v36, 1.0
	v_add_f32_e32 v31, 1.0, v31
	s_delay_alu instid0(VALU_DEP_3) | instskip(SKIP_1) | instid1(VALU_DEP_4)
	v_mul_f32_e32 v79, v76, v37
	v_div_scale_f32 v83, s16, v26, v35, v26
	v_fmac_f32_e32 v36, v75, v36
	s_delay_alu instid0(VALU_DEP_4) | instskip(NEXT) | instid1(VALU_DEP_4)
	v_div_scale_f32 v75, null, v31, v31, v27
	v_fma_f32 v81, -v38, v79, v76
	s_delay_alu instid0(TRANS32_DEP_1) | instskip(NEXT) | instid1(VALU_DEP_4)
	v_fma_f32 v80, -v41, v77, 1.0
	v_mul_f32_e32 v82, v78, v36
	s_delay_alu instid0(VALU_DEP_4) | instskip(NEXT) | instid1(VALU_DEP_3)
	v_rcp_f32_e32 v84, v75
	v_fmac_f32_e32 v79, v81, v37
	s_delay_alu instid0(VALU_DEP_3) | instskip(NEXT) | instid1(VALU_DEP_3)
	v_fmac_f32_e32 v77, v80, v77
	v_fma_f32 v80, -v39, v82, v78
	s_delay_alu instid0(VALU_DEP_3) | instskip(NEXT) | instid1(VALU_DEP_3)
	v_fma_f32 v38, -v38, v79, v76
	v_mul_f32_e32 v76, v83, v77
	s_delay_alu instid0(VALU_DEP_3) | instskip(NEXT) | instid1(VALU_DEP_3)
	v_fmac_f32_e32 v82, v80, v36
	v_div_fmas_f32 v37, v38, v37, v79
	v_cmp_ngt_f32_e32 vcc_lo, 0xc2b17218, v32
	s_delay_alu instid0(VALU_DEP_3)
	v_fma_f32 v39, -v39, v82, v78
	v_fma_f32 v78, -v41, v76, v83
	v_fma_f32 v38, -v75, v84, 1.0
	v_div_fixup_f32 v28, v37, v28, v24
	v_cndmask_b32_e32 v33, 0x7f800000, v33, vcc_lo
	s_mov_b32 vcc_lo, s14
	v_fmac_f32_e32 v76, v78, v77
	v_div_fmas_f32 v24, v39, v36, v82
	v_cvt_i32_f32_e32 v36, v40
	v_cmp_nlt_f32_e32 vcc_lo, 0x42ce8ed0, v30
	v_dual_add_f32 v33, 1.0, v33 :: v_dual_fmac_f32 v84, v38, v84
	v_div_scale_f32 v37, s14, v27, v31, v27
	s_delay_alu instid0(VALU_DEP_4) | instskip(SKIP_1) | instid1(VALU_DEP_4)
	v_ldexp_f32 v34, v34, v36
	v_lshrrev_b32_e32 v36, 16, v3
	v_div_scale_f32 v38, null, v33, v33, v32
	s_delay_alu instid0(VALU_DEP_3) | instskip(NEXT) | instid1(VALU_DEP_3)
	v_dual_mul_f32 v39, v37, v84 :: v_dual_cndmask_b32 v34, 0, v34
	v_cvt_f32_f16_e32 v36, v36
	v_cmp_ngt_f32_e32 vcc_lo, 0xc2b17218, v30
	s_delay_alu instid0(VALU_DEP_4) | instskip(NEXT) | instid1(VALU_DEP_2)
	v_rcp_f32_e32 v40, v38
	v_mul_f32_e32 v78, 0xbfb8aa3b, v36
	v_cndmask_b32_e32 v34, 0x7f800000, v34, vcc_lo
	v_div_fixup_f32 v24, v24, v29, v25
	v_fma_f32 v25, -v41, v76, v83
	s_mov_b32 vcc_lo, s16
	v_rndne_f32_e32 v41, v78
	v_fma_mix_f32 v79, v3, s72, -v78 op_sel:[1,0,0] op_sel_hi:[1,0,0]
	v_add_f32_e32 v34, 1.0, v34
	v_fma_f32 v29, -v75, v39, v37
	v_div_fmas_f32 v25, v25, v77, v76
	v_sub_f32_e32 v78, v78, v41
	v_fma_mix_f32 v79, v3, s73, v79 op_sel:[1,0,0] op_sel_hi:[1,0,0]
	v_div_scale_f32 v81, null, v34, v34, v30
	v_fma_f32 v80, -v38, v40, 1.0
	v_fmac_f32_e32 v39, v29, v84
	s_delay_alu instid0(VALU_DEP_4) | instskip(NEXT) | instid1(VALU_DEP_4)
	v_add_f32_e32 v77, v78, v79
	v_rcp_f32_e32 v76, v81
	v_div_fixup_f32 v29, v25, v35, v26
	v_fmac_f32_e32 v40, v80, v40
	v_div_scale_f32 v78, s16, v32, v33, v32
	v_exp_f32_e32 v26, v77
	v_fma_f32 v25, -v75, v39, v37
	v_cvt_i32_f32_e32 v41, v41
	s_mov_b32 vcc_lo, s14
	v_mul_f32_e32 v35, v78, v40
	s_delay_alu instid0(TRANS32_DEP_2)
	v_fma_f32 v37, -v81, v76, 1.0
	v_div_fmas_f32 v25, v25, v84, v39
	v_cvt_f32_f16_e32 v75, v3
	v_cmp_nlt_f32_e32 vcc_lo, 0x42ce8ed0, v36
	v_fma_f32 v39, -v38, v35, v78
	v_ldexp_f32 v26, v26, v41
	v_fmac_f32_e32 v76, v37, v76
	v_div_scale_f32 v37, s14, v30, v34, v30
	s_delay_alu instid0(VALU_DEP_3) | instskip(SKIP_2) | instid1(VALU_DEP_4)
	v_dual_mul_f32 v41, 0xbfb8aa3b, v75 :: v_dual_cndmask_b32 v26, 0, v26
	v_cmp_ngt_f32_e32 vcc_lo, 0xc2b17218, v36
	v_fmac_f32_e32 v35, v39, v40
	v_mul_f32_e32 v39, v37, v76
	s_delay_alu instid0(VALU_DEP_4)
	v_rndne_f32_e32 v77, v41
	v_fma_mix_f32 v79, v3, s72, -v41 op_sel_hi:[1,0,0]
	v_cndmask_b32_e32 v26, 0x7f800000, v26, vcc_lo
	v_div_fixup_f32 v25, v25, v31, v27
	v_fma_f32 v80, -v81, v39, v37
	v_sub_f32_e32 v41, v41, v77
	v_fma_mix_f32 v79, v3, s73, v79 op_sel_hi:[1,0,0]
	v_add_f32_e32 v27, 1.0, v26
	v_fma_f32 v26, -v38, v35, v78
	v_fmac_f32_e32 v39, v80, v76
	s_mov_b32 vcc_lo, s16
	v_add_f32_e32 v31, v41, v79
	v_div_scale_f32 v38, null, v27, v27, v36
	v_lshrrev_b32_e32 v41, 16, v4
	v_div_fmas_f32 v26, v26, v40, v35
	v_fma_f32 v35, -v81, v39, v37
	v_exp_f32_e32 v31, v31
	v_rcp_f32_e32 v37, v38
	v_cvt_f32_f16_e32 v40, v41
	s_mov_b32 vcc_lo, s14
	v_cmp_ngt_f32_e64 s14, 0xc2b17218, v75
	v_div_fmas_f32 v35, v35, v76, v39
	v_cvt_i32_f32_e32 v39, v77
	v_mul_f32_e32 v41, 0xbfb8aa3b, v40
	v_div_fixup_f32 v76, v26, v33, v32
	v_cmp_nlt_f32_e32 vcc_lo, 0x42ce8ed0, v75
	v_div_fixup_f32 v26, v35, v34, v30
	v_ldexp_f32 v30, v31, v39
	v_fma_f32 v31, -v38, v37, 1.0
	v_rndne_f32_e32 v32, v41
	v_fma_mix_f32 v33, v4, s72, -v41 op_sel:[1,0,0] op_sel_hi:[1,0,0]
	v_lshrrev_b32_e32 v80, 16, v5
	s_delay_alu instid0(VALU_DEP_4) | instskip(NEXT) | instid1(VALU_DEP_4)
	v_dual_cndmask_b32 v30, 0, v30 :: v_dual_fmac_f32 v37, v31, v37
	v_sub_f32_e32 v31, v41, v32
	s_delay_alu instid0(VALU_DEP_4) | instskip(SKIP_1) | instid1(VALU_DEP_4)
	v_fma_mix_f32 v33, v4, s73, v33 op_sel:[1,0,0] op_sel_hi:[1,0,0]
	v_div_scale_f32 v34, vcc_lo, v36, v27, v36
	v_cndmask_b32_e64 v30, 0x7f800000, v30, s14
	v_cvt_i32_f32_e32 v32, v32
	s_delay_alu instid0(VALU_DEP_4) | instskip(SKIP_1) | instid1(VALU_DEP_4)
	v_add_f32_e32 v31, v31, v33
	v_cvt_f32_f16_e32 v33, v4
	v_dual_mul_f32 v35, v34, v37 :: v_dual_add_f32 v30, 1.0, v30
	v_cmp_nlt_f32_e64 s14, 0x42ce8ed0, v40
	s_delay_alu instid0(VALU_DEP_4) | instskip(NEXT) | instid1(VALU_DEP_3)
	v_exp_f32_e32 v31, v31
	v_mul_f32_e32 v39, 0xbfb8aa3b, v33
	s_delay_alu instid0(VALU_DEP_3) | instskip(SKIP_2) | instid1(VALU_DEP_4)
	v_fma_f32 v41, -v38, v35, v34
	v_div_scale_f32 v77, null, v30, v30, v75
	v_cmp_nlt_f32_e64 s16, 0x42ce8ed0, v33
	v_rndne_f32_e32 v78, v39
	v_fma_mix_f32 v79, v4, s72, -v39 op_sel_hi:[1,0,0]
	s_delay_alu instid0(VALU_DEP_4) | instskip(SKIP_1) | instid1(TRANS32_DEP_2)
	v_rcp_f32_e32 v81, v77
	v_fmac_f32_e32 v35, v41, v37
	v_ldexp_f32 v31, v31, v32
	v_sub_f32_e32 v32, v39, v78
	v_fma_mix_f32 v39, v4, s73, v79 op_sel_hi:[1,0,0]
	v_cvt_f32_f16_e32 v79, v80
	v_fma_f32 v34, -v38, v35, v34
	v_cndmask_b32_e64 v31, 0, v31, s14
	v_cmp_ngt_f32_e64 s14, 0xc2b17218, v40
	v_add_f32_e32 v32, v32, v39
	v_mul_f32_e32 v39, 0xbfb8aa3b, v79
	v_fma_f32 v41, -v77, v81, 1.0
	v_fma_mixlo_f16 v26, v100, v26, 0
	v_cndmask_b32_e64 v31, 0x7f800000, v31, s14
	v_exp_f32_e32 v32, v32
	v_rndne_f32_e32 v80, v39
	v_fma_mix_f32 v82, v5, s72, -v39 op_sel:[1,0,0] op_sel_hi:[1,0,0]
	v_fmac_f32_e32 v81, v41, v81
	v_cvt_i32_f32_e32 v41, v78
	v_add_f32_e32 v31, 1.0, v31
	v_sub_f32_e32 v39, v39, v80
	v_fma_mix_f32 v78, v5, s73, v82 op_sel:[1,0,0] op_sel_hi:[1,0,0]
	v_cvt_i32_f32_e32 v38, v80
	v_cvt_f32_f16_e32 v80, v5
	v_ldexp_f32 v32, v32, v41
	v_div_scale_f32 v82, s14, v75, v30, v75
	v_add_f32_e32 v39, v39, v78
	v_div_scale_f32 v41, null, v31, v31, v40
	s_delay_alu instid0(VALU_DEP_4) | instskip(SKIP_1) | instid1(VALU_DEP_4)
	v_cndmask_b32_e64 v32, 0, v32, s16
	v_cmp_ngt_f32_e64 s16, 0xc2b17218, v33
	v_exp_f32_e32 v39, v39
	v_mul_f32_e32 v78, v82, v81
	v_fma_mixlo_f16 v25, v101, v25, 0
	v_rcp_f32_e32 v83, v41
	v_cndmask_b32_e64 v32, 0x7f800000, v32, s16
	v_cmp_nlt_f32_e64 s16, 0x42ce8ed0, v79
	v_fma_f32 v84, -v77, v78, v82
	v_div_fmas_f32 v34, v34, v37, v35
	s_mov_b32 vcc_lo, s14
	v_add_f32_e32 v32, 1.0, v32
	v_ldexp_f32 v38, v39, v38
	v_dual_mul_f32 v39, 0xbfb8aa3b, v80 :: v_dual_fmac_f32 v78, v84, v81
	s_delay_alu instid0(TRANS32_DEP_1) | instskip(NEXT) | instid1(VALU_DEP_4)
	v_fma_f32 v84, -v41, v83, 1.0
	v_div_scale_f32 v97, null, v32, v32, v33
	s_delay_alu instid0(VALU_DEP_3) | instskip(SKIP_2) | instid1(VALU_DEP_4)
	v_rndne_f32_e32 v99, v39
	v_fma_mix_f32 v100, v5, s72, -v39 op_sel_hi:[1,0,0]
	v_cndmask_b32_e64 v38, 0, v38, s16
	v_rcp_f32_e32 v101, v97
	v_cmp_ngt_f32_e64 s16, 0xc2b17218, v79
	v_sub_f32_e32 v39, v39, v99
	v_fma_mix_f32 v100, v5, s73, v100 op_sel_hi:[1,0,0]
	v_fma_f32 v35, -v77, v78, v82
	v_fmac_f32_e32 v83, v84, v83
	v_cndmask_b32_e64 v38, 0x7f800000, v38, s16
	v_div_scale_f32 v84, s14, v33, v32, v33
	v_add_f32_e32 v37, v39, v100
	s_delay_alu instid0(TRANS32_DEP_1) | instskip(NEXT) | instid1(VALU_DEP_4)
	v_fma_f32 v77, -v97, v101, 1.0
	v_add_f32_e32 v38, 1.0, v38
	v_div_scale_f32 v39, s16, v40, v31, v40
	s_delay_alu instid0(VALU_DEP_4) | instskip(NEXT) | instid1(VALU_DEP_3)
	v_exp_f32_e32 v37, v37
	v_fmac_f32_e32 v101, v77, v101
	s_delay_alu instid0(VALU_DEP_3) | instskip(SKIP_3) | instid1(VALU_DEP_4)
	v_div_scale_f32 v82, null, v38, v38, v79
	v_cvt_i32_f32_e32 v77, v99
	v_div_fmas_f32 v35, v35, v81, v78
	v_mul_f32_e32 v78, v39, v83
	v_rcp_f32_e32 v81, v82
	v_div_fixup_f32 v34, v34, v27, v36
	v_cmp_nlt_f32_e32 vcc_lo, 0x42ce8ed0, v80
	s_delay_alu instid0(TRANS32_DEP_2)
	v_ldexp_f32 v27, v37, v77
	v_div_fixup_f32 v30, v35, v30, v75
	v_fma_f32 v35, -v41, v78, v39
	v_mul_f32_e32 v36, v84, v101
	v_fma_mixlo_f16 v24, v103, v24, 0
	v_cndmask_b32_e32 v27, 0, v27, vcc_lo
	v_cmp_ngt_f32_e32 vcc_lo, 0xc2b17218, v80
	v_fma_f32 v37, -v82, v81, 1.0
	v_fmac_f32_e32 v78, v35, v83
	v_fma_f32 v35, -v97, v36, v84
	v_fma_mixhi_f16 v26, v92, v76, 0
	v_cndmask_b32_e32 v75, 0x7f800000, v27, vcc_lo
	v_fmac_f32_e32 v81, v37, v81
	v_div_scale_f32 v37, s17, v79, v38, v79
	v_fma_mixlo_f16 v27, v98, v30, 0
	s_delay_alu instid0(VALU_DEP_4)
	v_add_f32_e32 v30, 1.0, v75
	v_fma_f32 v39, -v41, v78, v39
	v_fmac_f32_e32 v36, v35, v101
	v_lshrrev_b32_e32 v75, 16, v6
	s_mov_b32 vcc_lo, s16
	v_mul_f32_e32 v35, v37, v81
	v_div_fmas_f32 v39, v39, v83, v78
	v_fma_f32 v77, -v97, v36, v84
	v_cvt_f32_f16_e32 v75, v75
	s_mov_b32 vcc_lo, s14
	v_fma_f32 v78, -v82, v35, v37
	v_div_fixup_f32 v39, v39, v31, v40
	v_div_fmas_f32 v36, v77, v101, v36
	v_cvt_f32_f16_e32 v77, v6
	v_mul_f32_e32 v31, 0xbfb8aa3b, v75
	v_div_scale_f32 v41, null, v30, v30, v80
	v_fmac_f32_e32 v35, v78, v81
	v_div_fixup_f32 v32, v36, v32, v33
	v_mul_f32_e32 v33, 0xbfb8aa3b, v77
	v_rndne_f32_e32 v40, v31
	v_fma_mix_f32 v78, v6, s72, -v31 op_sel:[1,0,0] op_sel_hi:[1,0,0]
	v_rcp_f32_e32 v83, v41
	v_fma_f32 v36, -v82, v35, v37
	v_rndne_f32_e32 v82, v33
	v_lshrrev_b32_e32 v84, 16, v7
	v_fma_mix_f32 v97, v6, s72, -v33 op_sel_hi:[1,0,0]
	v_sub_f32_e32 v31, v31, v40
	v_fma_mix_f32 v78, v6, s73, v78 op_sel:[1,0,0] op_sel_hi:[1,0,0]
	v_sub_f32_e32 v33, v33, v82
	v_cvt_f32_f16_e32 v84, v84
	v_fma_mix_f32 v97, v6, s73, v97 op_sel_hi:[1,0,0]
	s_mov_b32 vcc_lo, s17
	v_add_f32_e32 v31, v31, v78
	v_fma_f32 v37, -v41, v83, 1.0
	v_div_fmas_f32 v35, v36, v81, v35
	v_dual_mul_f32 v36, 0xbfb8aa3b, v84 :: v_dual_add_f32 v33, v33, v97
	s_delay_alu instid0(VALU_DEP_4) | instskip(NEXT) | instid1(VALU_DEP_3)
	v_exp_f32_e32 v31, v31
	v_fmac_f32_e32 v83, v37, v83
	v_cvt_f32_f16_e32 v37, v7
	s_delay_alu instid0(VALU_DEP_3) | instskip(SKIP_3) | instid1(VALU_DEP_3)
	v_rndne_f32_e32 v78, v36
	v_fma_mix_f32 v81, v7, s72, -v36 op_sel:[1,0,0] op_sel_hi:[1,0,0]
	v_exp_f32_e32 v33, v33
	v_cvt_i32_f32_e32 v40, v40
	v_dual_mul_f32 v97, 0xbfb8aa3b, v37 :: v_dual_sub_f32 v36, v36, v78
	s_delay_alu instid0(VALU_DEP_3) | instskip(SKIP_1) | instid1(VALU_DEP_4)
	v_fma_mix_f32 v81, v7, s73, v81 op_sel:[1,0,0] op_sel_hi:[1,0,0]
	v_cvt_i32_f32_e32 v82, v82
	v_ldexp_f32 v31, v31, v40
	v_cmp_nlt_f32_e32 vcc_lo, 0x42ce8ed0, v75
	v_rndne_f32_e32 v98, v97
	v_fma_mix_f32 v99, v7, s72, -v97 op_sel_hi:[1,0,0]
	v_add_f32_e32 v36, v36, v81
	v_ldexp_f32 v33, v33, v82
	v_cndmask_b32_e32 v31, 0, v31, vcc_lo
	v_cmp_nlt_f32_e32 vcc_lo, 0x42ce8ed0, v77
	v_sub_f32_e32 v40, v97, v98
	v_fma_mix_f32 v81, v7, s73, v99 op_sel_hi:[1,0,0]
	v_exp_f32_e32 v36, v36
	v_cvt_i32_f32_e32 v78, v78
	v_cndmask_b32_e32 v33, 0, v33, vcc_lo
	v_cmp_ngt_f32_e32 vcc_lo, 0xc2b17218, v75
	v_add_f32_e32 v40, v40, v81
	v_div_fixup_f32 v35, v35, v38, v79
	v_fma_mixhi_f16 v27, v91, v34, 0
	v_fma_mixhi_f16 v25, v96, v29, 0
	v_cndmask_b32_e32 v31, 0x7f800000, v31, vcc_lo
	v_cmp_ngt_f32_e32 vcc_lo, 0xc2b17218, v77
	v_exp_f32_e32 v40, v40
	v_ldexp_f32 v36, v36, v78
	v_fma_mixhi_f16 v24, v95, v28, 0
	v_dual_add_f32 v78, 1.0, v31 :: v_dual_cndmask_b32 v33, 0x7f800000, v33
	v_cmp_nlt_f32_e32 vcc_lo, 0x42ce8ed0, v84
	v_cvt_i32_f32_e32 v31, v98
	s_delay_alu instid0(VALU_DEP_3)
	v_div_scale_f32 v81, null, v78, v78, v75
	v_cndmask_b32_e32 v36, 0, v36, vcc_lo
	v_cmp_ngt_f32_e32 vcc_lo, 0xc2b17218, v84
	s_delay_alu instid0(TRANS32_DEP_1) | instid1(VALU_DEP_4)
	v_ldexp_f32 v31, v40, v31
	v_add_f32_e32 v33, 1.0, v33
	v_rcp_f32_e32 v40, v81
	v_cndmask_b32_e32 v36, 0x7f800000, v36, vcc_lo
	v_cmp_nlt_f32_e32 vcc_lo, 0x42ce8ed0, v37
	s_delay_alu instid0(VALU_DEP_3) | instskip(NEXT) | instid1(VALU_DEP_3)
	v_div_scale_f32 v82, null, v33, v33, v77
	v_dual_add_f32 v36, 1.0, v36 :: v_dual_cndmask_b32 v31, 0, v31
	v_cmp_ngt_f32_e32 vcc_lo, 0xc2b17218, v37
	s_delay_alu instid0(VALU_DEP_3) | instskip(NEXT) | instid1(TRANS32_DEP_2)
	v_rcp_f32_e32 v99, v82
	v_fma_f32 v100, -v81, v40, 1.0
	s_delay_alu instid0(VALU_DEP_3) | instskip(SKIP_2) | instid1(VALU_DEP_3)
	v_div_scale_f32 v97, null, v36, v36, v84
	v_cndmask_b32_e32 v31, 0x7f800000, v31, vcc_lo
	v_div_scale_f32 v98, vcc_lo, v80, v30, v80
	v_rcp_f32_e32 v101, v97
	s_delay_alu instid0(VALU_DEP_2) | instskip(NEXT) | instid1(VALU_DEP_2)
	v_dual_fmac_f32 v40, v100, v40 :: v_dual_add_f32 v31, 1.0, v31
	v_mul_f32_e32 v102, v98, v83
	v_div_scale_f32 v100, s14, v75, v78, v75
	s_delay_alu instid0(TRANS32_DEP_2) | instskip(NEXT) | instid1(VALU_DEP_4)
	v_fma_f32 v104, -v82, v99, 1.0
	v_div_scale_f32 v103, null, v31, v31, v37
	s_delay_alu instid0(VALU_DEP_4) | instskip(NEXT) | instid1(TRANS32_DEP_1)
	v_fma_f32 v106, -v41, v102, v98
	v_fma_f32 v107, -v97, v101, 1.0
	v_mul_f32_e32 v108, v100, v40
	s_delay_alu instid0(VALU_DEP_4)
	v_rcp_f32_e32 v105, v103
	v_fmac_f32_e32 v99, v104, v99
	v_div_scale_f32 v104, s16, v77, v33, v77
	v_fmac_f32_e32 v101, v107, v101
	v_div_scale_f32 v107, s17, v84, v36, v84
	v_fmac_f32_e32 v102, v106, v83
	v_fma_f32 v106, -v81, v108, v100
	v_mul_f32_e32 v110, v104, v99
	s_delay_alu instid0(TRANS32_DEP_1)
	v_fma_f32 v109, -v103, v105, 1.0
	v_mul_f32_e32 v111, v107, v101
	v_fma_f32 v41, -v41, v102, v98
	v_fmac_f32_e32 v108, v106, v40
	v_fma_f32 v98, -v82, v110, v104
	v_fmac_f32_e32 v105, v109, v105
	v_div_scale_f32 v109, s18, v37, v31, v37
	v_fma_f32 v106, -v97, v111, v107
	v_div_fmas_f32 v41, v41, v83, v102
	v_fma_f32 v81, -v81, v108, v100
	s_delay_alu instid0(VALU_DEP_4)
	v_mul_f32_e32 v112, v109, v105
	v_fmac_f32_e32 v110, v98, v99
	v_fmac_f32_e32 v111, v106, v101
	s_mov_b32 vcc_lo, s14
	v_div_fixup_f32 v41, v41, v30, v80
	v_fma_f32 v83, -v103, v112, v109
	v_div_fmas_f32 v40, v81, v40, v108
	v_fma_f32 v81, -v82, v110, v104
	v_fma_f32 v82, -v97, v111, v107
	s_mov_b32 vcc_lo, s16
	v_fmac_f32_e32 v112, v83, v105
	v_fma_mixlo_f16 v30, v93, v32, 0
	v_div_fmas_f32 v81, v81, v99, v110
	s_mov_b32 vcc_lo, s17
	s_delay_alu instid0(VALU_DEP_3)
	v_fma_f32 v83, -v103, v112, v109
	v_div_fmas_f32 v82, v82, v101, v111
	s_mov_b32 vcc_lo, s18
	v_div_fixup_f32 v32, v81, v33, v77
	v_fma_mixhi_f16 v30, v88, v39, 0
	v_div_fmas_f32 v83, v83, v105, v112
	v_div_fixup_f32 v36, v82, v36, v84
	s_delay_alu instid0(VALU_DEP_4) | instskip(NEXT) | instid1(VALU_DEP_3)
	v_fma_mixlo_f16 v32, v89, v32, 0
	v_div_fixup_f32 v33, v83, v31, v37
	v_fma_mixlo_f16 v31, v90, v41, 0
	v_div_fixup_f32 v37, v40, v78, v75
	s_delay_alu instid0(VALU_DEP_3) | instskip(NEXT) | instid1(VALU_DEP_3)
	v_fma_mixlo_f16 v33, v87, v33, 0
	v_fma_mixhi_f16 v31, v86, v35, 0
	s_delay_alu instid0(VALU_DEP_3) | instskip(NEXT) | instid1(VALU_DEP_3)
	v_fma_mixhi_f16 v32, v85, v37, 0
	v_fma_mixhi_f16 v33, v94, v36, 0
	ds_store_b128 v45, v[24:27]
	ds_store_b128 v45, v[30:33] offset:16
	; wave barrier
	ds_load_b128 v[24:27], v43
	ds_load_b128 v[28:31], v44 offset:512
	v_add_co_u32 v32, vcc_lo, v56, s20
	v_add_co_ci_u32_e32 v33, vcc_lo, s21, v57, vcc_lo
	s_waitcnt lgkmcnt(1)
	v_lshrrev_b32_e32 v36, 16, v27
	v_alignbit_b32 v35, v26, v25, 16
	v_alignbit_b32 v34, v25, v24, 16
	;; [unrolled: 1-line block ×3, first 2 shown]
	s_clause 0x3
	global_store_b16 v[32:33], v24, off
	global_store_b16 v[32:33], v36, off offset:14
	global_store_b32 v[32:33], v25, off offset:10
	global_store_b64 v[32:33], v[34:35], off offset:2
	s_waitcnt lgkmcnt(0)
	global_store_b128 v[32:33], v[28:31], off offset:512
	s_cbranch_scc1 .LBB121_90
.LBB121_12:                             ; =>This Loop Header: Depth=1
                                        ;     Child Loop BB121_55 Depth 2
	v_add_co_u32 v24, s14, s51, v73
	s_delay_alu instid0(VALU_DEP_1) | instskip(NEXT) | instid1(VALU_DEP_2)
	v_add_co_ci_u32_e64 v25, null, s55, 0, s14
	v_add_co_u32 v24, vcc_lo, v24, v74
	s_delay_alu instid0(VALU_DEP_2)
	v_add_co_ci_u32_e32 v25, vcc_lo, 0, v25, vcc_lo
	s_waitcnt_vscnt null, 0x0
	s_barrier
	buffer_gl0_inv
	s_and_saveexec_b32 s14, s0
	s_cbranch_execz .LBB121_14
; %bb.13:                               ;   in Loop: Header=BB121_12 Depth=1
	global_load_b128 v[20:23], v[24:25], off
.LBB121_14:                             ;   in Loop: Header=BB121_12 Depth=1
	s_or_b32 exec_lo, exec_lo, s14
	s_and_saveexec_b32 s14, s1
	s_cbranch_execz .LBB121_16
; %bb.15:                               ;   in Loop: Header=BB121_12 Depth=1
	global_load_b128 v[16:19], v[24:25], off offset:512
.LBB121_16:                             ;   in Loop: Header=BB121_12 Depth=1
	s_or_b32 exec_lo, exec_lo, s14
	s_waitcnt vmcnt(0)
	ds_store_b128 v43, v[20:23]
	ds_store_b128 v44, v[16:19] offset:512
	; wave barrier
	ds_load_b128 v[20:23], v45
	ds_load_b128 v[16:19], v45 offset:16
	v_add_co_u32 v24, s14, s59, v73
	s_delay_alu instid0(VALU_DEP_1) | instskip(SKIP_1) | instid1(VALU_DEP_2)
	v_add_co_ci_u32_e64 v25, null, s44, 0, s14
	s_waitcnt lgkmcnt(0)
	v_add_co_u32 v24, vcc_lo, v24, v74
	s_delay_alu instid0(VALU_DEP_2)
	v_add_co_ci_u32_e32 v25, vcc_lo, 0, v25, vcc_lo
	s_barrier
	buffer_gl0_inv
	s_and_saveexec_b32 s14, s0
	s_cbranch_execz .LBB121_18
; %bb.17:                               ;   in Loop: Header=BB121_12 Depth=1
	global_load_b128 v[12:15], v[24:25], off
.LBB121_18:                             ;   in Loop: Header=BB121_12 Depth=1
	s_or_b32 exec_lo, exec_lo, s14
	s_and_saveexec_b32 s14, s1
	s_cbranch_execz .LBB121_20
; %bb.19:                               ;   in Loop: Header=BB121_12 Depth=1
	global_load_b128 v[8:11], v[24:25], off offset:512
.LBB121_20:                             ;   in Loop: Header=BB121_12 Depth=1
	s_or_b32 exec_lo, exec_lo, s14
	s_waitcnt vmcnt(0)
	ds_store_b128 v43, v[12:15]
	ds_store_b128 v44, v[8:11] offset:512
	; wave barrier
	ds_load_b128 v[12:15], v45
	ds_load_b128 v[8:11], v45 offset:16
	s_waitcnt lgkmcnt(1)
	v_cvt_f32_f16_e32 v24, v12
	s_delay_alu instid0(VALU_DEP_1) | instskip(NEXT) | instid1(VALU_DEP_1)
	v_add_f32_e32 v75, s57, v24
	v_cmp_ge_f32_e32 vcc_lo, 0x41a00000, v75
	s_and_b32 s14, s67, vcc_lo
	s_delay_alu instid0(SALU_CYCLE_1)
	s_and_saveexec_b32 s16, s14
	s_cbranch_execz .LBB121_22
; %bb.21:                               ;   in Loop: Header=BB121_12 Depth=1
	v_mul_f32_e32 v24, 0x3fb8aa3b, v75
	v_cmp_ngt_f32_e32 vcc_lo, 0xc2ce8ed0, v75
	s_delay_alu instid0(VALU_DEP_2) | instskip(SKIP_1) | instid1(VALU_DEP_2)
	v_rndne_f32_e32 v25, v24
	v_fma_f32 v26, 0x3fb8aa3b, v75, -v24
	v_sub_f32_e32 v24, v24, v25
	s_delay_alu instid0(VALU_DEP_2) | instskip(SKIP_1) | instid1(VALU_DEP_2)
	v_fmac_f32_e32 v26, 0x32a5705f, v75
	v_cvt_i32_f32_e32 v25, v25
	v_add_f32_e32 v24, v24, v26
	s_delay_alu instid0(VALU_DEP_1) | instskip(SKIP_2) | instid1(VALU_DEP_1)
	v_exp_f32_e32 v24, v24
	s_waitcnt_depctr 0xfff
	v_ldexp_f32 v24, v24, v25
	v_cndmask_b32_e32 v24, 0, v24, vcc_lo
	v_cmp_nlt_f32_e32 vcc_lo, 0x42b17218, v75
	s_delay_alu instid0(VALU_DEP_2) | instskip(NEXT) | instid1(VALU_DEP_1)
	v_cndmask_b32_e32 v26, 0x7f800000, v24, vcc_lo
	v_add_f32_e32 v27, 1.0, v26
	s_delay_alu instid0(VALU_DEP_1) | instskip(NEXT) | instid1(VALU_DEP_1)
	v_cvt_f64_f32_e32 v[24:25], v27
	v_frexp_exp_i32_f64_e32 v24, v[24:25]
	v_frexp_mant_f32_e32 v25, v27
	s_delay_alu instid0(VALU_DEP_1) | instskip(SKIP_1) | instid1(VALU_DEP_1)
	v_cmp_gt_f32_e32 vcc_lo, 0x3f2aaaab, v25
	v_add_f32_e32 v25, -1.0, v27
	v_sub_f32_e32 v29, v25, v27
	v_sub_f32_e32 v25, v26, v25
	s_delay_alu instid0(VALU_DEP_2) | instskip(NEXT) | instid1(VALU_DEP_1)
	v_add_f32_e32 v29, 1.0, v29
	v_add_f32_e32 v25, v25, v29
	v_cmp_gt_f32_e64 s14, 0x33800000, v26
	v_subrev_co_ci_u32_e32 v24, vcc_lo, 0, v24, vcc_lo
	v_cmp_eq_f32_e32 vcc_lo, 0x7f800000, v26
	s_delay_alu instid0(VALU_DEP_2) | instskip(SKIP_2) | instid1(VALU_DEP_2)
	v_sub_nc_u32_e32 v28, 0, v24
	v_cvt_f32_i32_e32 v24, v24
	s_or_b32 vcc_lo, s14, vcc_lo
	v_ldexp_f32 v27, v27, v28
	v_ldexp_f32 v25, v25, v28
	s_delay_alu instid0(VALU_DEP_2) | instskip(NEXT) | instid1(VALU_DEP_1)
	v_add_f32_e32 v30, 1.0, v27
	v_dual_add_f32 v28, -1.0, v27 :: v_dual_add_f32 v29, -1.0, v30
	s_delay_alu instid0(VALU_DEP_1) | instskip(NEXT) | instid1(VALU_DEP_2)
	v_add_f32_e32 v31, 1.0, v28
	v_sub_f32_e32 v29, v27, v29
	s_delay_alu instid0(VALU_DEP_2) | instskip(NEXT) | instid1(VALU_DEP_2)
	v_sub_f32_e32 v27, v27, v31
	v_add_f32_e32 v29, v25, v29
	s_delay_alu instid0(VALU_DEP_2) | instskip(NEXT) | instid1(VALU_DEP_1)
	v_add_f32_e32 v25, v25, v27
	v_add_f32_e32 v32, v28, v25
	s_delay_alu instid0(VALU_DEP_1) | instskip(NEXT) | instid1(VALU_DEP_1)
	v_dual_add_f32 v31, v30, v29 :: v_dual_sub_f32 v28, v28, v32
	v_rcp_f32_e32 v27, v31
	v_sub_f32_e32 v30, v30, v31
	s_delay_alu instid0(VALU_DEP_1) | instskip(SKIP_2) | instid1(VALU_DEP_1)
	v_add_f32_e32 v29, v29, v30
	s_waitcnt_depctr 0xfff
	v_mul_f32_e32 v33, v32, v27
	v_mul_f32_e32 v34, v31, v33
	s_delay_alu instid0(VALU_DEP_1) | instskip(NEXT) | instid1(VALU_DEP_1)
	v_fma_f32 v30, v33, v31, -v34
	v_fmac_f32_e32 v30, v33, v29
	s_delay_alu instid0(VALU_DEP_1) | instskip(NEXT) | instid1(VALU_DEP_1)
	v_add_f32_e32 v35, v34, v30
	v_sub_f32_e32 v36, v32, v35
	s_delay_alu instid0(VALU_DEP_1) | instskip(SKIP_1) | instid1(VALU_DEP_2)
	v_sub_f32_e32 v32, v32, v36
	v_dual_add_f32 v25, v25, v28 :: v_dual_sub_f32 v28, v35, v34
	v_sub_f32_e32 v32, v32, v35
	s_delay_alu instid0(VALU_DEP_1) | instskip(NEXT) | instid1(VALU_DEP_1)
	v_dual_sub_f32 v28, v28, v30 :: v_dual_add_f32 v25, v25, v32
	v_add_f32_e32 v25, v28, v25
	s_delay_alu instid0(VALU_DEP_1) | instskip(NEXT) | instid1(VALU_DEP_1)
	v_add_f32_e32 v28, v36, v25
	v_mul_f32_e32 v30, v27, v28
	s_delay_alu instid0(VALU_DEP_1) | instskip(NEXT) | instid1(VALU_DEP_1)
	v_dual_sub_f32 v35, v36, v28 :: v_dual_mul_f32 v32, v31, v30
	v_add_f32_e32 v25, v25, v35
	s_delay_alu instid0(VALU_DEP_2) | instskip(NEXT) | instid1(VALU_DEP_1)
	v_fma_f32 v31, v30, v31, -v32
	v_fmac_f32_e32 v31, v30, v29
	s_delay_alu instid0(VALU_DEP_1) | instskip(NEXT) | instid1(VALU_DEP_1)
	v_add_f32_e32 v29, v32, v31
	v_sub_f32_e32 v34, v28, v29
	s_delay_alu instid0(VALU_DEP_1) | instskip(NEXT) | instid1(VALU_DEP_1)
	v_sub_f32_e32 v28, v28, v34
	v_sub_f32_e32 v28, v28, v29
	s_delay_alu instid0(VALU_DEP_1) | instskip(SKIP_2) | instid1(VALU_DEP_1)
	v_add_f32_e32 v25, v25, v28
	v_add_f32_e32 v28, v33, v30
	v_sub_f32_e32 v32, v29, v32
	v_sub_f32_e32 v29, v32, v31
	s_delay_alu instid0(VALU_DEP_1) | instskip(NEXT) | instid1(VALU_DEP_4)
	v_add_f32_e32 v25, v29, v25
	v_sub_f32_e32 v29, v28, v33
	s_delay_alu instid0(VALU_DEP_2) | instskip(NEXT) | instid1(VALU_DEP_2)
	v_add_f32_e32 v25, v34, v25
	v_sub_f32_e32 v29, v30, v29
	s_delay_alu instid0(VALU_DEP_2) | instskip(NEXT) | instid1(VALU_DEP_1)
	v_mul_f32_e32 v25, v27, v25
	v_add_f32_e32 v25, v29, v25
	s_delay_alu instid0(VALU_DEP_1) | instskip(NEXT) | instid1(VALU_DEP_1)
	v_add_f32_e32 v27, v28, v25
	v_mul_f32_e32 v29, v27, v27
	s_delay_alu instid0(VALU_DEP_1) | instskip(SKIP_1) | instid1(VALU_DEP_2)
	v_fmaak_f32 v30, s54, v29, 0x3ecc95a3
	v_mul_f32_e32 v31, v27, v29
	v_fmaak_f32 v29, v29, v30, 0x3f2aaada
	v_ldexp_f32 v30, v27, 1
	s_delay_alu instid0(VALU_DEP_2) | instskip(SKIP_1) | instid1(VALU_DEP_2)
	v_mul_f32_e32 v29, v31, v29
	v_sub_f32_e32 v27, v27, v28
	v_dual_mul_f32 v31, 0x3f317218, v24 :: v_dual_add_f32 v28, v30, v29
	s_delay_alu instid0(VALU_DEP_2) | instskip(NEXT) | instid1(VALU_DEP_2)
	v_sub_f32_e32 v25, v25, v27
	v_sub_f32_e32 v27, v28, v30
	s_delay_alu instid0(VALU_DEP_3) | instskip(NEXT) | instid1(VALU_DEP_3)
	v_fma_f32 v30, 0x3f317218, v24, -v31
	v_ldexp_f32 v25, v25, 1
	s_delay_alu instid0(VALU_DEP_2) | instskip(NEXT) | instid1(VALU_DEP_1)
	v_dual_sub_f32 v27, v29, v27 :: v_dual_fmac_f32 v30, 0xb102e308, v24
	v_dual_add_f32 v24, v25, v27 :: v_dual_add_f32 v25, v31, v30
	s_delay_alu instid0(VALU_DEP_1) | instskip(NEXT) | instid1(VALU_DEP_1)
	v_add_f32_e32 v27, v28, v24
	v_dual_add_f32 v29, v25, v27 :: v_dual_sub_f32 v28, v27, v28
	s_delay_alu instid0(VALU_DEP_1) | instskip(NEXT) | instid1(VALU_DEP_2)
	v_sub_f32_e32 v32, v29, v25
	v_dual_sub_f32 v31, v25, v31 :: v_dual_sub_f32 v24, v24, v28
	s_delay_alu instid0(VALU_DEP_1) | instskip(SKIP_1) | instid1(VALU_DEP_2)
	v_dual_sub_f32 v33, v29, v32 :: v_dual_sub_f32 v30, v30, v31
	v_sub_f32_e32 v27, v27, v32
	v_dual_sub_f32 v25, v25, v33 :: v_dual_add_f32 v28, v30, v24
	s_delay_alu instid0(VALU_DEP_1) | instskip(NEXT) | instid1(VALU_DEP_2)
	v_add_f32_e32 v25, v27, v25
	v_sub_f32_e32 v27, v28, v30
	s_delay_alu instid0(VALU_DEP_2) | instskip(NEXT) | instid1(VALU_DEP_2)
	v_add_f32_e32 v25, v28, v25
	v_sub_f32_e32 v28, v28, v27
	s_delay_alu instid0(VALU_DEP_2) | instskip(NEXT) | instid1(VALU_DEP_1)
	v_dual_sub_f32 v24, v24, v27 :: v_dual_add_f32 v31, v29, v25
	v_dual_sub_f32 v28, v30, v28 :: v_dual_sub_f32 v27, v31, v29
	s_delay_alu instid0(VALU_DEP_1) | instskip(NEXT) | instid1(VALU_DEP_1)
	v_dual_add_f32 v24, v24, v28 :: v_dual_sub_f32 v25, v25, v27
	v_add_f32_e32 v24, v24, v25
	s_delay_alu instid0(VALU_DEP_1) | instskip(NEXT) | instid1(VALU_DEP_1)
	v_add_f32_e32 v24, v31, v24
	v_cndmask_b32_e32 v75, v24, v26, vcc_lo
.LBB121_22:                             ;   in Loop: Header=BB121_12 Depth=1
	s_or_b32 exec_lo, exec_lo, s16
	v_lshrrev_b32_e32 v24, 16, v12
	s_delay_alu instid0(VALU_DEP_1) | instskip(NEXT) | instid1(VALU_DEP_1)
	v_cvt_f32_f16_e32 v24, v24
	v_add_f32_e32 v76, s57, v24
	s_delay_alu instid0(VALU_DEP_1) | instskip(SKIP_1) | instid1(SALU_CYCLE_1)
	v_cmp_ge_f32_e32 vcc_lo, 0x41a00000, v76
	s_and_b32 s14, s67, vcc_lo
	s_and_saveexec_b32 s16, s14
	s_cbranch_execz .LBB121_24
; %bb.23:                               ;   in Loop: Header=BB121_12 Depth=1
	v_mul_f32_e32 v24, 0x3fb8aa3b, v76
	v_cmp_ngt_f32_e32 vcc_lo, 0xc2ce8ed0, v76
	s_delay_alu instid0(VALU_DEP_2) | instskip(SKIP_1) | instid1(VALU_DEP_2)
	v_rndne_f32_e32 v25, v24
	v_fma_f32 v26, 0x3fb8aa3b, v76, -v24
	v_sub_f32_e32 v24, v24, v25
	s_delay_alu instid0(VALU_DEP_2) | instskip(SKIP_1) | instid1(VALU_DEP_2)
	v_fmac_f32_e32 v26, 0x32a5705f, v76
	v_cvt_i32_f32_e32 v25, v25
	v_add_f32_e32 v24, v24, v26
	s_delay_alu instid0(VALU_DEP_1) | instskip(SKIP_2) | instid1(VALU_DEP_1)
	v_exp_f32_e32 v24, v24
	s_waitcnt_depctr 0xfff
	v_ldexp_f32 v24, v24, v25
	v_cndmask_b32_e32 v24, 0, v24, vcc_lo
	v_cmp_nlt_f32_e32 vcc_lo, 0x42b17218, v76
	s_delay_alu instid0(VALU_DEP_2) | instskip(NEXT) | instid1(VALU_DEP_1)
	v_cndmask_b32_e32 v26, 0x7f800000, v24, vcc_lo
	v_add_f32_e32 v27, 1.0, v26
	s_delay_alu instid0(VALU_DEP_1) | instskip(NEXT) | instid1(VALU_DEP_1)
	v_cvt_f64_f32_e32 v[24:25], v27
	v_frexp_exp_i32_f64_e32 v24, v[24:25]
	v_frexp_mant_f32_e32 v25, v27
	s_delay_alu instid0(VALU_DEP_1) | instskip(SKIP_1) | instid1(VALU_DEP_1)
	v_cmp_gt_f32_e32 vcc_lo, 0x3f2aaaab, v25
	v_add_f32_e32 v25, -1.0, v27
	v_sub_f32_e32 v29, v25, v27
	v_sub_f32_e32 v25, v26, v25
	s_delay_alu instid0(VALU_DEP_2) | instskip(NEXT) | instid1(VALU_DEP_1)
	v_add_f32_e32 v29, 1.0, v29
	v_add_f32_e32 v25, v25, v29
	v_cmp_gt_f32_e64 s14, 0x33800000, v26
	v_subrev_co_ci_u32_e32 v24, vcc_lo, 0, v24, vcc_lo
	v_cmp_eq_f32_e32 vcc_lo, 0x7f800000, v26
	s_delay_alu instid0(VALU_DEP_2) | instskip(SKIP_2) | instid1(VALU_DEP_2)
	v_sub_nc_u32_e32 v28, 0, v24
	v_cvt_f32_i32_e32 v24, v24
	s_or_b32 vcc_lo, s14, vcc_lo
	v_ldexp_f32 v27, v27, v28
	v_ldexp_f32 v25, v25, v28
	s_delay_alu instid0(VALU_DEP_2) | instskip(NEXT) | instid1(VALU_DEP_1)
	v_add_f32_e32 v30, 1.0, v27
	v_dual_add_f32 v28, -1.0, v27 :: v_dual_add_f32 v29, -1.0, v30
	s_delay_alu instid0(VALU_DEP_1) | instskip(NEXT) | instid1(VALU_DEP_2)
	v_add_f32_e32 v31, 1.0, v28
	v_sub_f32_e32 v29, v27, v29
	s_delay_alu instid0(VALU_DEP_2) | instskip(NEXT) | instid1(VALU_DEP_2)
	v_sub_f32_e32 v27, v27, v31
	v_add_f32_e32 v29, v25, v29
	s_delay_alu instid0(VALU_DEP_2) | instskip(NEXT) | instid1(VALU_DEP_1)
	v_add_f32_e32 v25, v25, v27
	v_add_f32_e32 v32, v28, v25
	s_delay_alu instid0(VALU_DEP_1) | instskip(NEXT) | instid1(VALU_DEP_1)
	v_dual_add_f32 v31, v30, v29 :: v_dual_sub_f32 v28, v28, v32
	v_rcp_f32_e32 v27, v31
	v_sub_f32_e32 v30, v30, v31
	s_delay_alu instid0(VALU_DEP_1) | instskip(SKIP_2) | instid1(VALU_DEP_1)
	v_add_f32_e32 v29, v29, v30
	s_waitcnt_depctr 0xfff
	v_mul_f32_e32 v33, v32, v27
	v_mul_f32_e32 v34, v31, v33
	s_delay_alu instid0(VALU_DEP_1) | instskip(NEXT) | instid1(VALU_DEP_1)
	v_fma_f32 v30, v33, v31, -v34
	v_fmac_f32_e32 v30, v33, v29
	s_delay_alu instid0(VALU_DEP_1) | instskip(NEXT) | instid1(VALU_DEP_1)
	v_add_f32_e32 v35, v34, v30
	v_sub_f32_e32 v36, v32, v35
	s_delay_alu instid0(VALU_DEP_1) | instskip(SKIP_1) | instid1(VALU_DEP_2)
	v_sub_f32_e32 v32, v32, v36
	v_dual_add_f32 v25, v25, v28 :: v_dual_sub_f32 v28, v35, v34
	v_sub_f32_e32 v32, v32, v35
	s_delay_alu instid0(VALU_DEP_1) | instskip(NEXT) | instid1(VALU_DEP_1)
	v_dual_sub_f32 v28, v28, v30 :: v_dual_add_f32 v25, v25, v32
	v_add_f32_e32 v25, v28, v25
	s_delay_alu instid0(VALU_DEP_1) | instskip(NEXT) | instid1(VALU_DEP_1)
	v_add_f32_e32 v28, v36, v25
	v_mul_f32_e32 v30, v27, v28
	s_delay_alu instid0(VALU_DEP_1) | instskip(NEXT) | instid1(VALU_DEP_1)
	v_dual_sub_f32 v35, v36, v28 :: v_dual_mul_f32 v32, v31, v30
	v_add_f32_e32 v25, v25, v35
	s_delay_alu instid0(VALU_DEP_2) | instskip(NEXT) | instid1(VALU_DEP_1)
	v_fma_f32 v31, v30, v31, -v32
	v_fmac_f32_e32 v31, v30, v29
	s_delay_alu instid0(VALU_DEP_1) | instskip(NEXT) | instid1(VALU_DEP_1)
	v_add_f32_e32 v29, v32, v31
	v_sub_f32_e32 v34, v28, v29
	s_delay_alu instid0(VALU_DEP_1) | instskip(NEXT) | instid1(VALU_DEP_1)
	v_sub_f32_e32 v28, v28, v34
	v_sub_f32_e32 v28, v28, v29
	s_delay_alu instid0(VALU_DEP_1) | instskip(SKIP_2) | instid1(VALU_DEP_1)
	v_add_f32_e32 v25, v25, v28
	v_add_f32_e32 v28, v33, v30
	v_sub_f32_e32 v32, v29, v32
	v_sub_f32_e32 v29, v32, v31
	s_delay_alu instid0(VALU_DEP_1) | instskip(NEXT) | instid1(VALU_DEP_4)
	v_add_f32_e32 v25, v29, v25
	v_sub_f32_e32 v29, v28, v33
	s_delay_alu instid0(VALU_DEP_2) | instskip(NEXT) | instid1(VALU_DEP_2)
	v_add_f32_e32 v25, v34, v25
	v_sub_f32_e32 v29, v30, v29
	s_delay_alu instid0(VALU_DEP_2) | instskip(NEXT) | instid1(VALU_DEP_1)
	v_mul_f32_e32 v25, v27, v25
	v_add_f32_e32 v25, v29, v25
	s_delay_alu instid0(VALU_DEP_1) | instskip(NEXT) | instid1(VALU_DEP_1)
	v_add_f32_e32 v27, v28, v25
	v_mul_f32_e32 v29, v27, v27
	s_delay_alu instid0(VALU_DEP_1) | instskip(SKIP_1) | instid1(VALU_DEP_2)
	v_fmaak_f32 v30, s54, v29, 0x3ecc95a3
	v_mul_f32_e32 v31, v27, v29
	v_fmaak_f32 v29, v29, v30, 0x3f2aaada
	v_ldexp_f32 v30, v27, 1
	s_delay_alu instid0(VALU_DEP_2) | instskip(SKIP_1) | instid1(VALU_DEP_2)
	v_mul_f32_e32 v29, v31, v29
	v_sub_f32_e32 v27, v27, v28
	v_dual_mul_f32 v31, 0x3f317218, v24 :: v_dual_add_f32 v28, v30, v29
	s_delay_alu instid0(VALU_DEP_2) | instskip(NEXT) | instid1(VALU_DEP_2)
	v_sub_f32_e32 v25, v25, v27
	v_sub_f32_e32 v27, v28, v30
	s_delay_alu instid0(VALU_DEP_3) | instskip(NEXT) | instid1(VALU_DEP_3)
	v_fma_f32 v30, 0x3f317218, v24, -v31
	v_ldexp_f32 v25, v25, 1
	s_delay_alu instid0(VALU_DEP_2) | instskip(NEXT) | instid1(VALU_DEP_1)
	v_dual_sub_f32 v27, v29, v27 :: v_dual_fmac_f32 v30, 0xb102e308, v24
	v_dual_add_f32 v24, v25, v27 :: v_dual_add_f32 v25, v31, v30
	s_delay_alu instid0(VALU_DEP_1) | instskip(NEXT) | instid1(VALU_DEP_1)
	v_add_f32_e32 v27, v28, v24
	v_dual_add_f32 v29, v25, v27 :: v_dual_sub_f32 v28, v27, v28
	s_delay_alu instid0(VALU_DEP_1) | instskip(NEXT) | instid1(VALU_DEP_2)
	v_sub_f32_e32 v32, v29, v25
	v_dual_sub_f32 v31, v25, v31 :: v_dual_sub_f32 v24, v24, v28
	s_delay_alu instid0(VALU_DEP_1) | instskip(SKIP_1) | instid1(VALU_DEP_2)
	v_dual_sub_f32 v33, v29, v32 :: v_dual_sub_f32 v30, v30, v31
	v_sub_f32_e32 v27, v27, v32
	v_dual_sub_f32 v25, v25, v33 :: v_dual_add_f32 v28, v30, v24
	s_delay_alu instid0(VALU_DEP_1) | instskip(NEXT) | instid1(VALU_DEP_2)
	v_add_f32_e32 v25, v27, v25
	v_sub_f32_e32 v27, v28, v30
	s_delay_alu instid0(VALU_DEP_2) | instskip(NEXT) | instid1(VALU_DEP_2)
	v_add_f32_e32 v25, v28, v25
	v_sub_f32_e32 v28, v28, v27
	s_delay_alu instid0(VALU_DEP_2) | instskip(NEXT) | instid1(VALU_DEP_1)
	v_dual_sub_f32 v24, v24, v27 :: v_dual_add_f32 v31, v29, v25
	v_dual_sub_f32 v28, v30, v28 :: v_dual_sub_f32 v27, v31, v29
	s_delay_alu instid0(VALU_DEP_1) | instskip(NEXT) | instid1(VALU_DEP_1)
	v_dual_add_f32 v24, v24, v28 :: v_dual_sub_f32 v25, v25, v27
	v_add_f32_e32 v24, v24, v25
	s_delay_alu instid0(VALU_DEP_1) | instskip(NEXT) | instid1(VALU_DEP_1)
	v_add_f32_e32 v24, v31, v24
	v_cndmask_b32_e32 v76, v24, v26, vcc_lo
.LBB121_24:                             ;   in Loop: Header=BB121_12 Depth=1
	s_or_b32 exec_lo, exec_lo, s16
	v_cvt_f32_f16_e32 v24, v13
	s_delay_alu instid0(VALU_DEP_1) | instskip(NEXT) | instid1(VALU_DEP_1)
	v_add_f32_e32 v77, s57, v24
	v_cmp_ge_f32_e32 vcc_lo, 0x41a00000, v77
	s_and_b32 s14, s67, vcc_lo
	s_delay_alu instid0(SALU_CYCLE_1)
	s_and_saveexec_b32 s16, s14
	s_cbranch_execz .LBB121_26
; %bb.25:                               ;   in Loop: Header=BB121_12 Depth=1
	v_mul_f32_e32 v24, 0x3fb8aa3b, v77
	v_cmp_ngt_f32_e32 vcc_lo, 0xc2ce8ed0, v77
	s_delay_alu instid0(VALU_DEP_2) | instskip(SKIP_1) | instid1(VALU_DEP_2)
	v_rndne_f32_e32 v25, v24
	v_fma_f32 v26, 0x3fb8aa3b, v77, -v24
	v_sub_f32_e32 v24, v24, v25
	s_delay_alu instid0(VALU_DEP_2) | instskip(SKIP_1) | instid1(VALU_DEP_2)
	v_fmac_f32_e32 v26, 0x32a5705f, v77
	v_cvt_i32_f32_e32 v25, v25
	v_add_f32_e32 v24, v24, v26
	s_delay_alu instid0(VALU_DEP_1) | instskip(SKIP_2) | instid1(VALU_DEP_1)
	v_exp_f32_e32 v24, v24
	s_waitcnt_depctr 0xfff
	v_ldexp_f32 v24, v24, v25
	v_cndmask_b32_e32 v24, 0, v24, vcc_lo
	v_cmp_nlt_f32_e32 vcc_lo, 0x42b17218, v77
	s_delay_alu instid0(VALU_DEP_2) | instskip(NEXT) | instid1(VALU_DEP_1)
	v_cndmask_b32_e32 v26, 0x7f800000, v24, vcc_lo
	v_add_f32_e32 v27, 1.0, v26
	s_delay_alu instid0(VALU_DEP_1) | instskip(NEXT) | instid1(VALU_DEP_1)
	v_cvt_f64_f32_e32 v[24:25], v27
	v_frexp_exp_i32_f64_e32 v24, v[24:25]
	v_frexp_mant_f32_e32 v25, v27
	s_delay_alu instid0(VALU_DEP_1) | instskip(SKIP_1) | instid1(VALU_DEP_1)
	v_cmp_gt_f32_e32 vcc_lo, 0x3f2aaaab, v25
	v_add_f32_e32 v25, -1.0, v27
	v_sub_f32_e32 v29, v25, v27
	v_sub_f32_e32 v25, v26, v25
	s_delay_alu instid0(VALU_DEP_2) | instskip(NEXT) | instid1(VALU_DEP_1)
	v_add_f32_e32 v29, 1.0, v29
	v_add_f32_e32 v25, v25, v29
	v_cmp_gt_f32_e64 s14, 0x33800000, v26
	v_subrev_co_ci_u32_e32 v24, vcc_lo, 0, v24, vcc_lo
	v_cmp_eq_f32_e32 vcc_lo, 0x7f800000, v26
	s_delay_alu instid0(VALU_DEP_2) | instskip(SKIP_2) | instid1(VALU_DEP_2)
	v_sub_nc_u32_e32 v28, 0, v24
	v_cvt_f32_i32_e32 v24, v24
	s_or_b32 vcc_lo, s14, vcc_lo
	v_ldexp_f32 v27, v27, v28
	v_ldexp_f32 v25, v25, v28
	s_delay_alu instid0(VALU_DEP_2) | instskip(NEXT) | instid1(VALU_DEP_1)
	v_add_f32_e32 v30, 1.0, v27
	v_dual_add_f32 v28, -1.0, v27 :: v_dual_add_f32 v29, -1.0, v30
	s_delay_alu instid0(VALU_DEP_1) | instskip(NEXT) | instid1(VALU_DEP_2)
	v_add_f32_e32 v31, 1.0, v28
	v_sub_f32_e32 v29, v27, v29
	s_delay_alu instid0(VALU_DEP_2) | instskip(NEXT) | instid1(VALU_DEP_2)
	v_sub_f32_e32 v27, v27, v31
	v_add_f32_e32 v29, v25, v29
	s_delay_alu instid0(VALU_DEP_2) | instskip(NEXT) | instid1(VALU_DEP_1)
	v_add_f32_e32 v25, v25, v27
	v_add_f32_e32 v32, v28, v25
	s_delay_alu instid0(VALU_DEP_1) | instskip(NEXT) | instid1(VALU_DEP_1)
	v_dual_add_f32 v31, v30, v29 :: v_dual_sub_f32 v28, v28, v32
	v_rcp_f32_e32 v27, v31
	v_sub_f32_e32 v30, v30, v31
	s_delay_alu instid0(VALU_DEP_1) | instskip(SKIP_2) | instid1(VALU_DEP_1)
	v_add_f32_e32 v29, v29, v30
	s_waitcnt_depctr 0xfff
	v_mul_f32_e32 v33, v32, v27
	v_mul_f32_e32 v34, v31, v33
	s_delay_alu instid0(VALU_DEP_1) | instskip(NEXT) | instid1(VALU_DEP_1)
	v_fma_f32 v30, v33, v31, -v34
	v_fmac_f32_e32 v30, v33, v29
	s_delay_alu instid0(VALU_DEP_1) | instskip(NEXT) | instid1(VALU_DEP_1)
	v_add_f32_e32 v35, v34, v30
	v_sub_f32_e32 v36, v32, v35
	s_delay_alu instid0(VALU_DEP_1) | instskip(SKIP_1) | instid1(VALU_DEP_2)
	v_sub_f32_e32 v32, v32, v36
	v_dual_add_f32 v25, v25, v28 :: v_dual_sub_f32 v28, v35, v34
	v_sub_f32_e32 v32, v32, v35
	s_delay_alu instid0(VALU_DEP_1) | instskip(NEXT) | instid1(VALU_DEP_1)
	v_dual_sub_f32 v28, v28, v30 :: v_dual_add_f32 v25, v25, v32
	v_add_f32_e32 v25, v28, v25
	s_delay_alu instid0(VALU_DEP_1) | instskip(NEXT) | instid1(VALU_DEP_1)
	v_add_f32_e32 v28, v36, v25
	v_mul_f32_e32 v30, v27, v28
	s_delay_alu instid0(VALU_DEP_1) | instskip(NEXT) | instid1(VALU_DEP_1)
	v_dual_sub_f32 v35, v36, v28 :: v_dual_mul_f32 v32, v31, v30
	v_add_f32_e32 v25, v25, v35
	s_delay_alu instid0(VALU_DEP_2) | instskip(NEXT) | instid1(VALU_DEP_1)
	v_fma_f32 v31, v30, v31, -v32
	v_fmac_f32_e32 v31, v30, v29
	s_delay_alu instid0(VALU_DEP_1) | instskip(NEXT) | instid1(VALU_DEP_1)
	v_add_f32_e32 v29, v32, v31
	v_sub_f32_e32 v34, v28, v29
	s_delay_alu instid0(VALU_DEP_1) | instskip(NEXT) | instid1(VALU_DEP_1)
	v_sub_f32_e32 v28, v28, v34
	v_sub_f32_e32 v28, v28, v29
	s_delay_alu instid0(VALU_DEP_1) | instskip(SKIP_2) | instid1(VALU_DEP_1)
	v_add_f32_e32 v25, v25, v28
	v_add_f32_e32 v28, v33, v30
	v_sub_f32_e32 v32, v29, v32
	v_sub_f32_e32 v29, v32, v31
	s_delay_alu instid0(VALU_DEP_1) | instskip(NEXT) | instid1(VALU_DEP_4)
	v_add_f32_e32 v25, v29, v25
	v_sub_f32_e32 v29, v28, v33
	s_delay_alu instid0(VALU_DEP_2) | instskip(NEXT) | instid1(VALU_DEP_2)
	v_add_f32_e32 v25, v34, v25
	v_sub_f32_e32 v29, v30, v29
	s_delay_alu instid0(VALU_DEP_2) | instskip(NEXT) | instid1(VALU_DEP_1)
	v_mul_f32_e32 v25, v27, v25
	v_add_f32_e32 v25, v29, v25
	s_delay_alu instid0(VALU_DEP_1) | instskip(NEXT) | instid1(VALU_DEP_1)
	v_add_f32_e32 v27, v28, v25
	v_mul_f32_e32 v29, v27, v27
	s_delay_alu instid0(VALU_DEP_1) | instskip(SKIP_1) | instid1(VALU_DEP_2)
	v_fmaak_f32 v30, s54, v29, 0x3ecc95a3
	v_mul_f32_e32 v31, v27, v29
	v_fmaak_f32 v29, v29, v30, 0x3f2aaada
	v_ldexp_f32 v30, v27, 1
	s_delay_alu instid0(VALU_DEP_2) | instskip(SKIP_1) | instid1(VALU_DEP_2)
	v_mul_f32_e32 v29, v31, v29
	v_sub_f32_e32 v27, v27, v28
	v_dual_mul_f32 v31, 0x3f317218, v24 :: v_dual_add_f32 v28, v30, v29
	s_delay_alu instid0(VALU_DEP_2) | instskip(NEXT) | instid1(VALU_DEP_2)
	v_sub_f32_e32 v25, v25, v27
	v_sub_f32_e32 v27, v28, v30
	s_delay_alu instid0(VALU_DEP_3) | instskip(NEXT) | instid1(VALU_DEP_3)
	v_fma_f32 v30, 0x3f317218, v24, -v31
	v_ldexp_f32 v25, v25, 1
	s_delay_alu instid0(VALU_DEP_2) | instskip(NEXT) | instid1(VALU_DEP_1)
	v_dual_sub_f32 v27, v29, v27 :: v_dual_fmac_f32 v30, 0xb102e308, v24
	v_dual_add_f32 v24, v25, v27 :: v_dual_add_f32 v25, v31, v30
	s_delay_alu instid0(VALU_DEP_1) | instskip(NEXT) | instid1(VALU_DEP_1)
	v_add_f32_e32 v27, v28, v24
	v_dual_add_f32 v29, v25, v27 :: v_dual_sub_f32 v28, v27, v28
	s_delay_alu instid0(VALU_DEP_1) | instskip(NEXT) | instid1(VALU_DEP_2)
	v_sub_f32_e32 v32, v29, v25
	v_dual_sub_f32 v31, v25, v31 :: v_dual_sub_f32 v24, v24, v28
	s_delay_alu instid0(VALU_DEP_1) | instskip(SKIP_1) | instid1(VALU_DEP_2)
	v_dual_sub_f32 v33, v29, v32 :: v_dual_sub_f32 v30, v30, v31
	v_sub_f32_e32 v27, v27, v32
	v_dual_sub_f32 v25, v25, v33 :: v_dual_add_f32 v28, v30, v24
	s_delay_alu instid0(VALU_DEP_1) | instskip(NEXT) | instid1(VALU_DEP_2)
	v_add_f32_e32 v25, v27, v25
	v_sub_f32_e32 v27, v28, v30
	s_delay_alu instid0(VALU_DEP_2) | instskip(NEXT) | instid1(VALU_DEP_2)
	v_add_f32_e32 v25, v28, v25
	v_sub_f32_e32 v28, v28, v27
	s_delay_alu instid0(VALU_DEP_2) | instskip(NEXT) | instid1(VALU_DEP_1)
	v_dual_sub_f32 v24, v24, v27 :: v_dual_add_f32 v31, v29, v25
	v_dual_sub_f32 v28, v30, v28 :: v_dual_sub_f32 v27, v31, v29
	s_delay_alu instid0(VALU_DEP_1) | instskip(NEXT) | instid1(VALU_DEP_1)
	v_dual_add_f32 v24, v24, v28 :: v_dual_sub_f32 v25, v25, v27
	v_add_f32_e32 v24, v24, v25
	s_delay_alu instid0(VALU_DEP_1) | instskip(NEXT) | instid1(VALU_DEP_1)
	v_add_f32_e32 v24, v31, v24
	v_cndmask_b32_e32 v77, v24, v26, vcc_lo
.LBB121_26:                             ;   in Loop: Header=BB121_12 Depth=1
	s_or_b32 exec_lo, exec_lo, s16
	v_lshrrev_b32_e32 v24, 16, v13
	s_delay_alu instid0(VALU_DEP_1) | instskip(NEXT) | instid1(VALU_DEP_1)
	v_cvt_f32_f16_e32 v24, v24
	v_add_f32_e32 v78, s57, v24
	s_delay_alu instid0(VALU_DEP_1) | instskip(SKIP_1) | instid1(SALU_CYCLE_1)
	v_cmp_ge_f32_e32 vcc_lo, 0x41a00000, v78
	s_and_b32 s14, s67, vcc_lo
	s_and_saveexec_b32 s16, s14
	s_cbranch_execz .LBB121_28
; %bb.27:                               ;   in Loop: Header=BB121_12 Depth=1
	v_mul_f32_e32 v24, 0x3fb8aa3b, v78
	v_cmp_ngt_f32_e32 vcc_lo, 0xc2ce8ed0, v78
	s_delay_alu instid0(VALU_DEP_2) | instskip(SKIP_1) | instid1(VALU_DEP_2)
	v_rndne_f32_e32 v25, v24
	v_fma_f32 v26, 0x3fb8aa3b, v78, -v24
	v_sub_f32_e32 v24, v24, v25
	s_delay_alu instid0(VALU_DEP_2) | instskip(SKIP_1) | instid1(VALU_DEP_2)
	v_fmac_f32_e32 v26, 0x32a5705f, v78
	v_cvt_i32_f32_e32 v25, v25
	v_add_f32_e32 v24, v24, v26
	s_delay_alu instid0(VALU_DEP_1) | instskip(SKIP_2) | instid1(VALU_DEP_1)
	v_exp_f32_e32 v24, v24
	s_waitcnt_depctr 0xfff
	v_ldexp_f32 v24, v24, v25
	v_cndmask_b32_e32 v24, 0, v24, vcc_lo
	v_cmp_nlt_f32_e32 vcc_lo, 0x42b17218, v78
	s_delay_alu instid0(VALU_DEP_2) | instskip(NEXT) | instid1(VALU_DEP_1)
	v_cndmask_b32_e32 v26, 0x7f800000, v24, vcc_lo
	v_add_f32_e32 v27, 1.0, v26
	s_delay_alu instid0(VALU_DEP_1) | instskip(NEXT) | instid1(VALU_DEP_1)
	v_cvt_f64_f32_e32 v[24:25], v27
	v_frexp_exp_i32_f64_e32 v24, v[24:25]
	v_frexp_mant_f32_e32 v25, v27
	s_delay_alu instid0(VALU_DEP_1) | instskip(SKIP_1) | instid1(VALU_DEP_1)
	v_cmp_gt_f32_e32 vcc_lo, 0x3f2aaaab, v25
	v_add_f32_e32 v25, -1.0, v27
	v_sub_f32_e32 v29, v25, v27
	v_sub_f32_e32 v25, v26, v25
	s_delay_alu instid0(VALU_DEP_2) | instskip(NEXT) | instid1(VALU_DEP_1)
	v_add_f32_e32 v29, 1.0, v29
	v_add_f32_e32 v25, v25, v29
	v_cmp_gt_f32_e64 s14, 0x33800000, v26
	v_subrev_co_ci_u32_e32 v24, vcc_lo, 0, v24, vcc_lo
	v_cmp_eq_f32_e32 vcc_lo, 0x7f800000, v26
	s_delay_alu instid0(VALU_DEP_2) | instskip(SKIP_2) | instid1(VALU_DEP_2)
	v_sub_nc_u32_e32 v28, 0, v24
	v_cvt_f32_i32_e32 v24, v24
	s_or_b32 vcc_lo, s14, vcc_lo
	v_ldexp_f32 v27, v27, v28
	v_ldexp_f32 v25, v25, v28
	s_delay_alu instid0(VALU_DEP_2) | instskip(NEXT) | instid1(VALU_DEP_1)
	v_add_f32_e32 v30, 1.0, v27
	v_dual_add_f32 v28, -1.0, v27 :: v_dual_add_f32 v29, -1.0, v30
	s_delay_alu instid0(VALU_DEP_1) | instskip(NEXT) | instid1(VALU_DEP_2)
	v_add_f32_e32 v31, 1.0, v28
	v_sub_f32_e32 v29, v27, v29
	s_delay_alu instid0(VALU_DEP_2) | instskip(NEXT) | instid1(VALU_DEP_2)
	v_sub_f32_e32 v27, v27, v31
	v_add_f32_e32 v29, v25, v29
	s_delay_alu instid0(VALU_DEP_2) | instskip(NEXT) | instid1(VALU_DEP_1)
	v_add_f32_e32 v25, v25, v27
	v_add_f32_e32 v32, v28, v25
	s_delay_alu instid0(VALU_DEP_1) | instskip(NEXT) | instid1(VALU_DEP_1)
	v_dual_add_f32 v31, v30, v29 :: v_dual_sub_f32 v28, v28, v32
	v_rcp_f32_e32 v27, v31
	v_sub_f32_e32 v30, v30, v31
	s_delay_alu instid0(VALU_DEP_1) | instskip(SKIP_2) | instid1(VALU_DEP_1)
	v_add_f32_e32 v29, v29, v30
	s_waitcnt_depctr 0xfff
	v_mul_f32_e32 v33, v32, v27
	v_mul_f32_e32 v34, v31, v33
	s_delay_alu instid0(VALU_DEP_1) | instskip(NEXT) | instid1(VALU_DEP_1)
	v_fma_f32 v30, v33, v31, -v34
	v_fmac_f32_e32 v30, v33, v29
	s_delay_alu instid0(VALU_DEP_1) | instskip(NEXT) | instid1(VALU_DEP_1)
	v_add_f32_e32 v35, v34, v30
	v_sub_f32_e32 v36, v32, v35
	s_delay_alu instid0(VALU_DEP_1) | instskip(SKIP_1) | instid1(VALU_DEP_2)
	v_sub_f32_e32 v32, v32, v36
	v_dual_add_f32 v25, v25, v28 :: v_dual_sub_f32 v28, v35, v34
	v_sub_f32_e32 v32, v32, v35
	s_delay_alu instid0(VALU_DEP_1) | instskip(NEXT) | instid1(VALU_DEP_1)
	v_dual_sub_f32 v28, v28, v30 :: v_dual_add_f32 v25, v25, v32
	v_add_f32_e32 v25, v28, v25
	s_delay_alu instid0(VALU_DEP_1) | instskip(NEXT) | instid1(VALU_DEP_1)
	v_add_f32_e32 v28, v36, v25
	v_mul_f32_e32 v30, v27, v28
	s_delay_alu instid0(VALU_DEP_1) | instskip(NEXT) | instid1(VALU_DEP_1)
	v_dual_sub_f32 v35, v36, v28 :: v_dual_mul_f32 v32, v31, v30
	v_add_f32_e32 v25, v25, v35
	s_delay_alu instid0(VALU_DEP_2) | instskip(NEXT) | instid1(VALU_DEP_1)
	v_fma_f32 v31, v30, v31, -v32
	v_fmac_f32_e32 v31, v30, v29
	s_delay_alu instid0(VALU_DEP_1) | instskip(NEXT) | instid1(VALU_DEP_1)
	v_add_f32_e32 v29, v32, v31
	v_sub_f32_e32 v34, v28, v29
	s_delay_alu instid0(VALU_DEP_1) | instskip(NEXT) | instid1(VALU_DEP_1)
	v_sub_f32_e32 v28, v28, v34
	v_sub_f32_e32 v28, v28, v29
	s_delay_alu instid0(VALU_DEP_1) | instskip(SKIP_2) | instid1(VALU_DEP_1)
	v_add_f32_e32 v25, v25, v28
	v_add_f32_e32 v28, v33, v30
	v_sub_f32_e32 v32, v29, v32
	v_sub_f32_e32 v29, v32, v31
	s_delay_alu instid0(VALU_DEP_1) | instskip(NEXT) | instid1(VALU_DEP_4)
	v_add_f32_e32 v25, v29, v25
	v_sub_f32_e32 v29, v28, v33
	s_delay_alu instid0(VALU_DEP_2) | instskip(NEXT) | instid1(VALU_DEP_2)
	v_add_f32_e32 v25, v34, v25
	v_sub_f32_e32 v29, v30, v29
	s_delay_alu instid0(VALU_DEP_2) | instskip(NEXT) | instid1(VALU_DEP_1)
	v_mul_f32_e32 v25, v27, v25
	v_add_f32_e32 v25, v29, v25
	s_delay_alu instid0(VALU_DEP_1) | instskip(NEXT) | instid1(VALU_DEP_1)
	v_add_f32_e32 v27, v28, v25
	v_mul_f32_e32 v29, v27, v27
	s_delay_alu instid0(VALU_DEP_1) | instskip(SKIP_1) | instid1(VALU_DEP_2)
	v_fmaak_f32 v30, s54, v29, 0x3ecc95a3
	v_mul_f32_e32 v31, v27, v29
	v_fmaak_f32 v29, v29, v30, 0x3f2aaada
	v_ldexp_f32 v30, v27, 1
	s_delay_alu instid0(VALU_DEP_2) | instskip(SKIP_1) | instid1(VALU_DEP_2)
	v_mul_f32_e32 v29, v31, v29
	v_sub_f32_e32 v27, v27, v28
	v_dual_mul_f32 v31, 0x3f317218, v24 :: v_dual_add_f32 v28, v30, v29
	s_delay_alu instid0(VALU_DEP_2) | instskip(NEXT) | instid1(VALU_DEP_2)
	v_sub_f32_e32 v25, v25, v27
	v_sub_f32_e32 v27, v28, v30
	s_delay_alu instid0(VALU_DEP_3) | instskip(NEXT) | instid1(VALU_DEP_3)
	v_fma_f32 v30, 0x3f317218, v24, -v31
	v_ldexp_f32 v25, v25, 1
	s_delay_alu instid0(VALU_DEP_2) | instskip(NEXT) | instid1(VALU_DEP_1)
	v_dual_sub_f32 v27, v29, v27 :: v_dual_fmac_f32 v30, 0xb102e308, v24
	v_dual_add_f32 v24, v25, v27 :: v_dual_add_f32 v25, v31, v30
	s_delay_alu instid0(VALU_DEP_1) | instskip(NEXT) | instid1(VALU_DEP_1)
	v_add_f32_e32 v27, v28, v24
	v_dual_add_f32 v29, v25, v27 :: v_dual_sub_f32 v28, v27, v28
	s_delay_alu instid0(VALU_DEP_1) | instskip(NEXT) | instid1(VALU_DEP_2)
	v_sub_f32_e32 v32, v29, v25
	v_dual_sub_f32 v31, v25, v31 :: v_dual_sub_f32 v24, v24, v28
	s_delay_alu instid0(VALU_DEP_1) | instskip(SKIP_1) | instid1(VALU_DEP_2)
	v_dual_sub_f32 v33, v29, v32 :: v_dual_sub_f32 v30, v30, v31
	v_sub_f32_e32 v27, v27, v32
	v_dual_sub_f32 v25, v25, v33 :: v_dual_add_f32 v28, v30, v24
	s_delay_alu instid0(VALU_DEP_1) | instskip(NEXT) | instid1(VALU_DEP_2)
	v_add_f32_e32 v25, v27, v25
	v_sub_f32_e32 v27, v28, v30
	s_delay_alu instid0(VALU_DEP_2) | instskip(NEXT) | instid1(VALU_DEP_2)
	v_add_f32_e32 v25, v28, v25
	v_sub_f32_e32 v28, v28, v27
	s_delay_alu instid0(VALU_DEP_2) | instskip(NEXT) | instid1(VALU_DEP_1)
	v_dual_sub_f32 v24, v24, v27 :: v_dual_add_f32 v31, v29, v25
	v_dual_sub_f32 v28, v30, v28 :: v_dual_sub_f32 v27, v31, v29
	s_delay_alu instid0(VALU_DEP_1) | instskip(NEXT) | instid1(VALU_DEP_1)
	v_dual_add_f32 v24, v24, v28 :: v_dual_sub_f32 v25, v25, v27
	v_add_f32_e32 v24, v24, v25
	s_delay_alu instid0(VALU_DEP_1) | instskip(NEXT) | instid1(VALU_DEP_1)
	v_add_f32_e32 v24, v31, v24
	v_cndmask_b32_e32 v78, v24, v26, vcc_lo
.LBB121_28:                             ;   in Loop: Header=BB121_12 Depth=1
	s_or_b32 exec_lo, exec_lo, s16
	v_cvt_f32_f16_e32 v24, v14
	s_delay_alu instid0(VALU_DEP_1) | instskip(NEXT) | instid1(VALU_DEP_1)
	v_add_f32_e32 v79, s57, v24
	v_cmp_ge_f32_e32 vcc_lo, 0x41a00000, v79
	s_and_b32 s14, s67, vcc_lo
	s_delay_alu instid0(SALU_CYCLE_1)
	s_and_saveexec_b32 s16, s14
	s_cbranch_execz .LBB121_30
; %bb.29:                               ;   in Loop: Header=BB121_12 Depth=1
	v_mul_f32_e32 v24, 0x3fb8aa3b, v79
	v_cmp_ngt_f32_e32 vcc_lo, 0xc2ce8ed0, v79
	s_delay_alu instid0(VALU_DEP_2) | instskip(SKIP_1) | instid1(VALU_DEP_2)
	v_rndne_f32_e32 v25, v24
	v_fma_f32 v26, 0x3fb8aa3b, v79, -v24
	v_sub_f32_e32 v24, v24, v25
	s_delay_alu instid0(VALU_DEP_2) | instskip(SKIP_1) | instid1(VALU_DEP_2)
	v_fmac_f32_e32 v26, 0x32a5705f, v79
	v_cvt_i32_f32_e32 v25, v25
	v_add_f32_e32 v24, v24, v26
	s_delay_alu instid0(VALU_DEP_1) | instskip(SKIP_2) | instid1(VALU_DEP_1)
	v_exp_f32_e32 v24, v24
	s_waitcnt_depctr 0xfff
	v_ldexp_f32 v24, v24, v25
	v_cndmask_b32_e32 v24, 0, v24, vcc_lo
	v_cmp_nlt_f32_e32 vcc_lo, 0x42b17218, v79
	s_delay_alu instid0(VALU_DEP_2) | instskip(NEXT) | instid1(VALU_DEP_1)
	v_cndmask_b32_e32 v26, 0x7f800000, v24, vcc_lo
	v_add_f32_e32 v27, 1.0, v26
	s_delay_alu instid0(VALU_DEP_1) | instskip(NEXT) | instid1(VALU_DEP_1)
	v_cvt_f64_f32_e32 v[24:25], v27
	v_frexp_exp_i32_f64_e32 v24, v[24:25]
	v_frexp_mant_f32_e32 v25, v27
	s_delay_alu instid0(VALU_DEP_1) | instskip(SKIP_1) | instid1(VALU_DEP_1)
	v_cmp_gt_f32_e32 vcc_lo, 0x3f2aaaab, v25
	v_add_f32_e32 v25, -1.0, v27
	v_sub_f32_e32 v29, v25, v27
	v_sub_f32_e32 v25, v26, v25
	s_delay_alu instid0(VALU_DEP_2) | instskip(NEXT) | instid1(VALU_DEP_1)
	v_add_f32_e32 v29, 1.0, v29
	v_add_f32_e32 v25, v25, v29
	v_cmp_gt_f32_e64 s14, 0x33800000, v26
	v_subrev_co_ci_u32_e32 v24, vcc_lo, 0, v24, vcc_lo
	v_cmp_eq_f32_e32 vcc_lo, 0x7f800000, v26
	s_delay_alu instid0(VALU_DEP_2) | instskip(SKIP_2) | instid1(VALU_DEP_2)
	v_sub_nc_u32_e32 v28, 0, v24
	v_cvt_f32_i32_e32 v24, v24
	s_or_b32 vcc_lo, s14, vcc_lo
	v_ldexp_f32 v27, v27, v28
	v_ldexp_f32 v25, v25, v28
	s_delay_alu instid0(VALU_DEP_2) | instskip(NEXT) | instid1(VALU_DEP_1)
	v_add_f32_e32 v30, 1.0, v27
	v_dual_add_f32 v28, -1.0, v27 :: v_dual_add_f32 v29, -1.0, v30
	s_delay_alu instid0(VALU_DEP_1) | instskip(NEXT) | instid1(VALU_DEP_2)
	v_add_f32_e32 v31, 1.0, v28
	v_sub_f32_e32 v29, v27, v29
	s_delay_alu instid0(VALU_DEP_2) | instskip(NEXT) | instid1(VALU_DEP_2)
	v_sub_f32_e32 v27, v27, v31
	v_add_f32_e32 v29, v25, v29
	s_delay_alu instid0(VALU_DEP_2) | instskip(NEXT) | instid1(VALU_DEP_1)
	v_add_f32_e32 v25, v25, v27
	v_add_f32_e32 v32, v28, v25
	s_delay_alu instid0(VALU_DEP_1) | instskip(NEXT) | instid1(VALU_DEP_1)
	v_dual_add_f32 v31, v30, v29 :: v_dual_sub_f32 v28, v28, v32
	v_rcp_f32_e32 v27, v31
	v_sub_f32_e32 v30, v30, v31
	s_delay_alu instid0(VALU_DEP_1) | instskip(SKIP_2) | instid1(VALU_DEP_1)
	v_add_f32_e32 v29, v29, v30
	s_waitcnt_depctr 0xfff
	v_mul_f32_e32 v33, v32, v27
	v_mul_f32_e32 v34, v31, v33
	s_delay_alu instid0(VALU_DEP_1) | instskip(NEXT) | instid1(VALU_DEP_1)
	v_fma_f32 v30, v33, v31, -v34
	v_fmac_f32_e32 v30, v33, v29
	s_delay_alu instid0(VALU_DEP_1) | instskip(NEXT) | instid1(VALU_DEP_1)
	v_add_f32_e32 v35, v34, v30
	v_sub_f32_e32 v36, v32, v35
	s_delay_alu instid0(VALU_DEP_1) | instskip(SKIP_1) | instid1(VALU_DEP_2)
	v_sub_f32_e32 v32, v32, v36
	v_dual_add_f32 v25, v25, v28 :: v_dual_sub_f32 v28, v35, v34
	v_sub_f32_e32 v32, v32, v35
	s_delay_alu instid0(VALU_DEP_1) | instskip(NEXT) | instid1(VALU_DEP_1)
	v_dual_sub_f32 v28, v28, v30 :: v_dual_add_f32 v25, v25, v32
	v_add_f32_e32 v25, v28, v25
	s_delay_alu instid0(VALU_DEP_1) | instskip(NEXT) | instid1(VALU_DEP_1)
	v_add_f32_e32 v28, v36, v25
	v_mul_f32_e32 v30, v27, v28
	s_delay_alu instid0(VALU_DEP_1) | instskip(NEXT) | instid1(VALU_DEP_1)
	v_dual_sub_f32 v35, v36, v28 :: v_dual_mul_f32 v32, v31, v30
	v_add_f32_e32 v25, v25, v35
	s_delay_alu instid0(VALU_DEP_2) | instskip(NEXT) | instid1(VALU_DEP_1)
	v_fma_f32 v31, v30, v31, -v32
	v_fmac_f32_e32 v31, v30, v29
	s_delay_alu instid0(VALU_DEP_1) | instskip(NEXT) | instid1(VALU_DEP_1)
	v_add_f32_e32 v29, v32, v31
	v_sub_f32_e32 v34, v28, v29
	s_delay_alu instid0(VALU_DEP_1) | instskip(NEXT) | instid1(VALU_DEP_1)
	v_sub_f32_e32 v28, v28, v34
	v_sub_f32_e32 v28, v28, v29
	s_delay_alu instid0(VALU_DEP_1) | instskip(SKIP_2) | instid1(VALU_DEP_1)
	v_add_f32_e32 v25, v25, v28
	v_add_f32_e32 v28, v33, v30
	v_sub_f32_e32 v32, v29, v32
	v_sub_f32_e32 v29, v32, v31
	s_delay_alu instid0(VALU_DEP_1) | instskip(NEXT) | instid1(VALU_DEP_4)
	v_add_f32_e32 v25, v29, v25
	v_sub_f32_e32 v29, v28, v33
	s_delay_alu instid0(VALU_DEP_2) | instskip(NEXT) | instid1(VALU_DEP_2)
	v_add_f32_e32 v25, v34, v25
	v_sub_f32_e32 v29, v30, v29
	s_delay_alu instid0(VALU_DEP_2) | instskip(NEXT) | instid1(VALU_DEP_1)
	v_mul_f32_e32 v25, v27, v25
	v_add_f32_e32 v25, v29, v25
	s_delay_alu instid0(VALU_DEP_1) | instskip(NEXT) | instid1(VALU_DEP_1)
	v_add_f32_e32 v27, v28, v25
	v_mul_f32_e32 v29, v27, v27
	s_delay_alu instid0(VALU_DEP_1) | instskip(SKIP_1) | instid1(VALU_DEP_2)
	v_fmaak_f32 v30, s54, v29, 0x3ecc95a3
	v_mul_f32_e32 v31, v27, v29
	v_fmaak_f32 v29, v29, v30, 0x3f2aaada
	v_ldexp_f32 v30, v27, 1
	s_delay_alu instid0(VALU_DEP_2) | instskip(SKIP_1) | instid1(VALU_DEP_2)
	v_mul_f32_e32 v29, v31, v29
	v_sub_f32_e32 v27, v27, v28
	v_dual_mul_f32 v31, 0x3f317218, v24 :: v_dual_add_f32 v28, v30, v29
	s_delay_alu instid0(VALU_DEP_2) | instskip(NEXT) | instid1(VALU_DEP_2)
	v_sub_f32_e32 v25, v25, v27
	v_sub_f32_e32 v27, v28, v30
	s_delay_alu instid0(VALU_DEP_3) | instskip(NEXT) | instid1(VALU_DEP_3)
	v_fma_f32 v30, 0x3f317218, v24, -v31
	v_ldexp_f32 v25, v25, 1
	s_delay_alu instid0(VALU_DEP_2) | instskip(NEXT) | instid1(VALU_DEP_1)
	v_dual_sub_f32 v27, v29, v27 :: v_dual_fmac_f32 v30, 0xb102e308, v24
	v_dual_add_f32 v24, v25, v27 :: v_dual_add_f32 v25, v31, v30
	s_delay_alu instid0(VALU_DEP_1) | instskip(NEXT) | instid1(VALU_DEP_1)
	v_add_f32_e32 v27, v28, v24
	v_dual_add_f32 v29, v25, v27 :: v_dual_sub_f32 v28, v27, v28
	s_delay_alu instid0(VALU_DEP_1) | instskip(NEXT) | instid1(VALU_DEP_2)
	v_sub_f32_e32 v32, v29, v25
	v_dual_sub_f32 v31, v25, v31 :: v_dual_sub_f32 v24, v24, v28
	s_delay_alu instid0(VALU_DEP_1) | instskip(SKIP_1) | instid1(VALU_DEP_2)
	v_dual_sub_f32 v33, v29, v32 :: v_dual_sub_f32 v30, v30, v31
	v_sub_f32_e32 v27, v27, v32
	v_dual_sub_f32 v25, v25, v33 :: v_dual_add_f32 v28, v30, v24
	s_delay_alu instid0(VALU_DEP_1) | instskip(NEXT) | instid1(VALU_DEP_2)
	v_add_f32_e32 v25, v27, v25
	v_sub_f32_e32 v27, v28, v30
	s_delay_alu instid0(VALU_DEP_2) | instskip(NEXT) | instid1(VALU_DEP_2)
	v_add_f32_e32 v25, v28, v25
	v_sub_f32_e32 v28, v28, v27
	s_delay_alu instid0(VALU_DEP_2) | instskip(NEXT) | instid1(VALU_DEP_1)
	v_dual_sub_f32 v24, v24, v27 :: v_dual_add_f32 v31, v29, v25
	v_dual_sub_f32 v28, v30, v28 :: v_dual_sub_f32 v27, v31, v29
	s_delay_alu instid0(VALU_DEP_1) | instskip(NEXT) | instid1(VALU_DEP_1)
	v_dual_add_f32 v24, v24, v28 :: v_dual_sub_f32 v25, v25, v27
	v_add_f32_e32 v24, v24, v25
	s_delay_alu instid0(VALU_DEP_1) | instskip(NEXT) | instid1(VALU_DEP_1)
	v_add_f32_e32 v24, v31, v24
	v_cndmask_b32_e32 v79, v24, v26, vcc_lo
.LBB121_30:                             ;   in Loop: Header=BB121_12 Depth=1
	s_or_b32 exec_lo, exec_lo, s16
	v_lshrrev_b32_e32 v24, 16, v14
	s_delay_alu instid0(VALU_DEP_1) | instskip(NEXT) | instid1(VALU_DEP_1)
	v_cvt_f32_f16_e32 v24, v24
	v_add_f32_e32 v80, s57, v24
	s_delay_alu instid0(VALU_DEP_1) | instskip(SKIP_1) | instid1(SALU_CYCLE_1)
	v_cmp_ge_f32_e32 vcc_lo, 0x41a00000, v80
	s_and_b32 s14, s67, vcc_lo
	s_and_saveexec_b32 s16, s14
	s_cbranch_execz .LBB121_32
; %bb.31:                               ;   in Loop: Header=BB121_12 Depth=1
	v_mul_f32_e32 v24, 0x3fb8aa3b, v80
	v_cmp_ngt_f32_e32 vcc_lo, 0xc2ce8ed0, v80
	s_delay_alu instid0(VALU_DEP_2) | instskip(SKIP_1) | instid1(VALU_DEP_2)
	v_rndne_f32_e32 v25, v24
	v_fma_f32 v26, 0x3fb8aa3b, v80, -v24
	v_sub_f32_e32 v24, v24, v25
	s_delay_alu instid0(VALU_DEP_2) | instskip(SKIP_1) | instid1(VALU_DEP_2)
	v_fmac_f32_e32 v26, 0x32a5705f, v80
	v_cvt_i32_f32_e32 v25, v25
	v_add_f32_e32 v24, v24, v26
	s_delay_alu instid0(VALU_DEP_1) | instskip(SKIP_2) | instid1(VALU_DEP_1)
	v_exp_f32_e32 v24, v24
	s_waitcnt_depctr 0xfff
	v_ldexp_f32 v24, v24, v25
	v_cndmask_b32_e32 v24, 0, v24, vcc_lo
	v_cmp_nlt_f32_e32 vcc_lo, 0x42b17218, v80
	s_delay_alu instid0(VALU_DEP_2) | instskip(NEXT) | instid1(VALU_DEP_1)
	v_cndmask_b32_e32 v26, 0x7f800000, v24, vcc_lo
	v_add_f32_e32 v27, 1.0, v26
	s_delay_alu instid0(VALU_DEP_1) | instskip(NEXT) | instid1(VALU_DEP_1)
	v_cvt_f64_f32_e32 v[24:25], v27
	v_frexp_exp_i32_f64_e32 v24, v[24:25]
	v_frexp_mant_f32_e32 v25, v27
	s_delay_alu instid0(VALU_DEP_1) | instskip(SKIP_1) | instid1(VALU_DEP_1)
	v_cmp_gt_f32_e32 vcc_lo, 0x3f2aaaab, v25
	v_add_f32_e32 v25, -1.0, v27
	v_sub_f32_e32 v29, v25, v27
	v_sub_f32_e32 v25, v26, v25
	s_delay_alu instid0(VALU_DEP_2) | instskip(NEXT) | instid1(VALU_DEP_1)
	v_add_f32_e32 v29, 1.0, v29
	v_add_f32_e32 v25, v25, v29
	v_cmp_gt_f32_e64 s14, 0x33800000, v26
	v_subrev_co_ci_u32_e32 v24, vcc_lo, 0, v24, vcc_lo
	v_cmp_eq_f32_e32 vcc_lo, 0x7f800000, v26
	s_delay_alu instid0(VALU_DEP_2) | instskip(SKIP_2) | instid1(VALU_DEP_2)
	v_sub_nc_u32_e32 v28, 0, v24
	v_cvt_f32_i32_e32 v24, v24
	s_or_b32 vcc_lo, s14, vcc_lo
	v_ldexp_f32 v27, v27, v28
	v_ldexp_f32 v25, v25, v28
	s_delay_alu instid0(VALU_DEP_2) | instskip(NEXT) | instid1(VALU_DEP_1)
	v_add_f32_e32 v30, 1.0, v27
	v_dual_add_f32 v28, -1.0, v27 :: v_dual_add_f32 v29, -1.0, v30
	s_delay_alu instid0(VALU_DEP_1) | instskip(NEXT) | instid1(VALU_DEP_2)
	v_add_f32_e32 v31, 1.0, v28
	v_sub_f32_e32 v29, v27, v29
	s_delay_alu instid0(VALU_DEP_2) | instskip(NEXT) | instid1(VALU_DEP_2)
	v_sub_f32_e32 v27, v27, v31
	v_add_f32_e32 v29, v25, v29
	s_delay_alu instid0(VALU_DEP_2) | instskip(NEXT) | instid1(VALU_DEP_1)
	v_add_f32_e32 v25, v25, v27
	v_add_f32_e32 v32, v28, v25
	s_delay_alu instid0(VALU_DEP_1) | instskip(NEXT) | instid1(VALU_DEP_1)
	v_dual_add_f32 v31, v30, v29 :: v_dual_sub_f32 v28, v28, v32
	v_rcp_f32_e32 v27, v31
	v_sub_f32_e32 v30, v30, v31
	s_delay_alu instid0(VALU_DEP_1) | instskip(SKIP_2) | instid1(VALU_DEP_1)
	v_add_f32_e32 v29, v29, v30
	s_waitcnt_depctr 0xfff
	v_mul_f32_e32 v33, v32, v27
	v_mul_f32_e32 v34, v31, v33
	s_delay_alu instid0(VALU_DEP_1) | instskip(NEXT) | instid1(VALU_DEP_1)
	v_fma_f32 v30, v33, v31, -v34
	v_fmac_f32_e32 v30, v33, v29
	s_delay_alu instid0(VALU_DEP_1) | instskip(NEXT) | instid1(VALU_DEP_1)
	v_add_f32_e32 v35, v34, v30
	v_sub_f32_e32 v36, v32, v35
	s_delay_alu instid0(VALU_DEP_1) | instskip(SKIP_1) | instid1(VALU_DEP_2)
	v_sub_f32_e32 v32, v32, v36
	v_dual_add_f32 v25, v25, v28 :: v_dual_sub_f32 v28, v35, v34
	v_sub_f32_e32 v32, v32, v35
	s_delay_alu instid0(VALU_DEP_1) | instskip(NEXT) | instid1(VALU_DEP_1)
	v_dual_sub_f32 v28, v28, v30 :: v_dual_add_f32 v25, v25, v32
	v_add_f32_e32 v25, v28, v25
	s_delay_alu instid0(VALU_DEP_1) | instskip(NEXT) | instid1(VALU_DEP_1)
	v_add_f32_e32 v28, v36, v25
	v_mul_f32_e32 v30, v27, v28
	s_delay_alu instid0(VALU_DEP_1) | instskip(NEXT) | instid1(VALU_DEP_1)
	v_dual_sub_f32 v35, v36, v28 :: v_dual_mul_f32 v32, v31, v30
	v_add_f32_e32 v25, v25, v35
	s_delay_alu instid0(VALU_DEP_2) | instskip(NEXT) | instid1(VALU_DEP_1)
	v_fma_f32 v31, v30, v31, -v32
	v_fmac_f32_e32 v31, v30, v29
	s_delay_alu instid0(VALU_DEP_1) | instskip(NEXT) | instid1(VALU_DEP_1)
	v_add_f32_e32 v29, v32, v31
	v_sub_f32_e32 v34, v28, v29
	s_delay_alu instid0(VALU_DEP_1) | instskip(NEXT) | instid1(VALU_DEP_1)
	v_sub_f32_e32 v28, v28, v34
	v_sub_f32_e32 v28, v28, v29
	s_delay_alu instid0(VALU_DEP_1) | instskip(SKIP_2) | instid1(VALU_DEP_1)
	v_add_f32_e32 v25, v25, v28
	v_add_f32_e32 v28, v33, v30
	v_sub_f32_e32 v32, v29, v32
	v_sub_f32_e32 v29, v32, v31
	s_delay_alu instid0(VALU_DEP_1) | instskip(NEXT) | instid1(VALU_DEP_4)
	v_add_f32_e32 v25, v29, v25
	v_sub_f32_e32 v29, v28, v33
	s_delay_alu instid0(VALU_DEP_2) | instskip(NEXT) | instid1(VALU_DEP_2)
	v_add_f32_e32 v25, v34, v25
	v_sub_f32_e32 v29, v30, v29
	s_delay_alu instid0(VALU_DEP_2) | instskip(NEXT) | instid1(VALU_DEP_1)
	v_mul_f32_e32 v25, v27, v25
	v_add_f32_e32 v25, v29, v25
	s_delay_alu instid0(VALU_DEP_1) | instskip(NEXT) | instid1(VALU_DEP_1)
	v_add_f32_e32 v27, v28, v25
	v_mul_f32_e32 v29, v27, v27
	s_delay_alu instid0(VALU_DEP_1) | instskip(SKIP_1) | instid1(VALU_DEP_2)
	v_fmaak_f32 v30, s54, v29, 0x3ecc95a3
	v_mul_f32_e32 v31, v27, v29
	v_fmaak_f32 v29, v29, v30, 0x3f2aaada
	v_ldexp_f32 v30, v27, 1
	s_delay_alu instid0(VALU_DEP_2) | instskip(SKIP_1) | instid1(VALU_DEP_2)
	v_mul_f32_e32 v29, v31, v29
	v_sub_f32_e32 v27, v27, v28
	v_dual_mul_f32 v31, 0x3f317218, v24 :: v_dual_add_f32 v28, v30, v29
	s_delay_alu instid0(VALU_DEP_2) | instskip(NEXT) | instid1(VALU_DEP_2)
	v_sub_f32_e32 v25, v25, v27
	v_sub_f32_e32 v27, v28, v30
	s_delay_alu instid0(VALU_DEP_3) | instskip(NEXT) | instid1(VALU_DEP_3)
	v_fma_f32 v30, 0x3f317218, v24, -v31
	v_ldexp_f32 v25, v25, 1
	s_delay_alu instid0(VALU_DEP_2) | instskip(NEXT) | instid1(VALU_DEP_1)
	v_dual_sub_f32 v27, v29, v27 :: v_dual_fmac_f32 v30, 0xb102e308, v24
	v_dual_add_f32 v24, v25, v27 :: v_dual_add_f32 v25, v31, v30
	s_delay_alu instid0(VALU_DEP_1) | instskip(NEXT) | instid1(VALU_DEP_1)
	v_add_f32_e32 v27, v28, v24
	v_dual_add_f32 v29, v25, v27 :: v_dual_sub_f32 v28, v27, v28
	s_delay_alu instid0(VALU_DEP_1) | instskip(NEXT) | instid1(VALU_DEP_2)
	v_sub_f32_e32 v32, v29, v25
	v_dual_sub_f32 v31, v25, v31 :: v_dual_sub_f32 v24, v24, v28
	s_delay_alu instid0(VALU_DEP_1) | instskip(SKIP_1) | instid1(VALU_DEP_2)
	v_dual_sub_f32 v33, v29, v32 :: v_dual_sub_f32 v30, v30, v31
	v_sub_f32_e32 v27, v27, v32
	v_dual_sub_f32 v25, v25, v33 :: v_dual_add_f32 v28, v30, v24
	s_delay_alu instid0(VALU_DEP_1) | instskip(NEXT) | instid1(VALU_DEP_2)
	v_add_f32_e32 v25, v27, v25
	v_sub_f32_e32 v27, v28, v30
	s_delay_alu instid0(VALU_DEP_2) | instskip(NEXT) | instid1(VALU_DEP_2)
	v_add_f32_e32 v25, v28, v25
	v_sub_f32_e32 v28, v28, v27
	s_delay_alu instid0(VALU_DEP_2) | instskip(NEXT) | instid1(VALU_DEP_1)
	v_dual_sub_f32 v24, v24, v27 :: v_dual_add_f32 v31, v29, v25
	v_dual_sub_f32 v28, v30, v28 :: v_dual_sub_f32 v27, v31, v29
	s_delay_alu instid0(VALU_DEP_1) | instskip(NEXT) | instid1(VALU_DEP_1)
	v_dual_add_f32 v24, v24, v28 :: v_dual_sub_f32 v25, v25, v27
	v_add_f32_e32 v24, v24, v25
	s_delay_alu instid0(VALU_DEP_1) | instskip(NEXT) | instid1(VALU_DEP_1)
	v_add_f32_e32 v24, v31, v24
	v_cndmask_b32_e32 v80, v24, v26, vcc_lo
.LBB121_32:                             ;   in Loop: Header=BB121_12 Depth=1
	s_or_b32 exec_lo, exec_lo, s16
	v_cvt_f32_f16_e32 v24, v15
	s_delay_alu instid0(VALU_DEP_1) | instskip(NEXT) | instid1(VALU_DEP_1)
	v_add_f32_e32 v81, s57, v24
	v_cmp_ge_f32_e32 vcc_lo, 0x41a00000, v81
	s_and_b32 s14, s67, vcc_lo
	s_delay_alu instid0(SALU_CYCLE_1)
	s_and_saveexec_b32 s16, s14
	s_cbranch_execz .LBB121_34
; %bb.33:                               ;   in Loop: Header=BB121_12 Depth=1
	v_mul_f32_e32 v24, 0x3fb8aa3b, v81
	v_cmp_ngt_f32_e32 vcc_lo, 0xc2ce8ed0, v81
	s_delay_alu instid0(VALU_DEP_2) | instskip(SKIP_1) | instid1(VALU_DEP_2)
	v_rndne_f32_e32 v25, v24
	v_fma_f32 v26, 0x3fb8aa3b, v81, -v24
	v_sub_f32_e32 v24, v24, v25
	s_delay_alu instid0(VALU_DEP_2) | instskip(SKIP_1) | instid1(VALU_DEP_2)
	v_fmac_f32_e32 v26, 0x32a5705f, v81
	v_cvt_i32_f32_e32 v25, v25
	v_add_f32_e32 v24, v24, v26
	s_delay_alu instid0(VALU_DEP_1) | instskip(SKIP_2) | instid1(VALU_DEP_1)
	v_exp_f32_e32 v24, v24
	s_waitcnt_depctr 0xfff
	v_ldexp_f32 v24, v24, v25
	v_cndmask_b32_e32 v24, 0, v24, vcc_lo
	v_cmp_nlt_f32_e32 vcc_lo, 0x42b17218, v81
	s_delay_alu instid0(VALU_DEP_2) | instskip(NEXT) | instid1(VALU_DEP_1)
	v_cndmask_b32_e32 v26, 0x7f800000, v24, vcc_lo
	v_add_f32_e32 v27, 1.0, v26
	s_delay_alu instid0(VALU_DEP_1) | instskip(NEXT) | instid1(VALU_DEP_1)
	v_cvt_f64_f32_e32 v[24:25], v27
	v_frexp_exp_i32_f64_e32 v24, v[24:25]
	v_frexp_mant_f32_e32 v25, v27
	s_delay_alu instid0(VALU_DEP_1) | instskip(SKIP_1) | instid1(VALU_DEP_1)
	v_cmp_gt_f32_e32 vcc_lo, 0x3f2aaaab, v25
	v_add_f32_e32 v25, -1.0, v27
	v_sub_f32_e32 v29, v25, v27
	v_sub_f32_e32 v25, v26, v25
	s_delay_alu instid0(VALU_DEP_2) | instskip(NEXT) | instid1(VALU_DEP_1)
	v_add_f32_e32 v29, 1.0, v29
	v_add_f32_e32 v25, v25, v29
	v_cmp_gt_f32_e64 s14, 0x33800000, v26
	v_subrev_co_ci_u32_e32 v24, vcc_lo, 0, v24, vcc_lo
	v_cmp_eq_f32_e32 vcc_lo, 0x7f800000, v26
	s_delay_alu instid0(VALU_DEP_2) | instskip(SKIP_2) | instid1(VALU_DEP_2)
	v_sub_nc_u32_e32 v28, 0, v24
	v_cvt_f32_i32_e32 v24, v24
	s_or_b32 vcc_lo, s14, vcc_lo
	v_ldexp_f32 v27, v27, v28
	v_ldexp_f32 v25, v25, v28
	s_delay_alu instid0(VALU_DEP_2) | instskip(NEXT) | instid1(VALU_DEP_1)
	v_add_f32_e32 v30, 1.0, v27
	v_dual_add_f32 v28, -1.0, v27 :: v_dual_add_f32 v29, -1.0, v30
	s_delay_alu instid0(VALU_DEP_1) | instskip(NEXT) | instid1(VALU_DEP_2)
	v_add_f32_e32 v31, 1.0, v28
	v_sub_f32_e32 v29, v27, v29
	s_delay_alu instid0(VALU_DEP_2) | instskip(NEXT) | instid1(VALU_DEP_2)
	v_sub_f32_e32 v27, v27, v31
	v_add_f32_e32 v29, v25, v29
	s_delay_alu instid0(VALU_DEP_2) | instskip(NEXT) | instid1(VALU_DEP_1)
	v_add_f32_e32 v25, v25, v27
	v_add_f32_e32 v32, v28, v25
	s_delay_alu instid0(VALU_DEP_1) | instskip(NEXT) | instid1(VALU_DEP_1)
	v_dual_add_f32 v31, v30, v29 :: v_dual_sub_f32 v28, v28, v32
	v_rcp_f32_e32 v27, v31
	v_sub_f32_e32 v30, v30, v31
	s_delay_alu instid0(VALU_DEP_1) | instskip(SKIP_2) | instid1(VALU_DEP_1)
	v_add_f32_e32 v29, v29, v30
	s_waitcnt_depctr 0xfff
	v_mul_f32_e32 v33, v32, v27
	v_mul_f32_e32 v34, v31, v33
	s_delay_alu instid0(VALU_DEP_1) | instskip(NEXT) | instid1(VALU_DEP_1)
	v_fma_f32 v30, v33, v31, -v34
	v_fmac_f32_e32 v30, v33, v29
	s_delay_alu instid0(VALU_DEP_1) | instskip(NEXT) | instid1(VALU_DEP_1)
	v_add_f32_e32 v35, v34, v30
	v_sub_f32_e32 v36, v32, v35
	s_delay_alu instid0(VALU_DEP_1) | instskip(SKIP_1) | instid1(VALU_DEP_2)
	v_sub_f32_e32 v32, v32, v36
	v_dual_add_f32 v25, v25, v28 :: v_dual_sub_f32 v28, v35, v34
	v_sub_f32_e32 v32, v32, v35
	s_delay_alu instid0(VALU_DEP_1) | instskip(NEXT) | instid1(VALU_DEP_1)
	v_dual_sub_f32 v28, v28, v30 :: v_dual_add_f32 v25, v25, v32
	v_add_f32_e32 v25, v28, v25
	s_delay_alu instid0(VALU_DEP_1) | instskip(NEXT) | instid1(VALU_DEP_1)
	v_add_f32_e32 v28, v36, v25
	v_mul_f32_e32 v30, v27, v28
	s_delay_alu instid0(VALU_DEP_1) | instskip(NEXT) | instid1(VALU_DEP_1)
	v_dual_sub_f32 v35, v36, v28 :: v_dual_mul_f32 v32, v31, v30
	v_add_f32_e32 v25, v25, v35
	s_delay_alu instid0(VALU_DEP_2) | instskip(NEXT) | instid1(VALU_DEP_1)
	v_fma_f32 v31, v30, v31, -v32
	v_fmac_f32_e32 v31, v30, v29
	s_delay_alu instid0(VALU_DEP_1) | instskip(NEXT) | instid1(VALU_DEP_1)
	v_add_f32_e32 v29, v32, v31
	v_sub_f32_e32 v34, v28, v29
	s_delay_alu instid0(VALU_DEP_1) | instskip(NEXT) | instid1(VALU_DEP_1)
	v_sub_f32_e32 v28, v28, v34
	v_sub_f32_e32 v28, v28, v29
	s_delay_alu instid0(VALU_DEP_1) | instskip(SKIP_2) | instid1(VALU_DEP_1)
	v_add_f32_e32 v25, v25, v28
	v_add_f32_e32 v28, v33, v30
	v_sub_f32_e32 v32, v29, v32
	v_sub_f32_e32 v29, v32, v31
	s_delay_alu instid0(VALU_DEP_1) | instskip(NEXT) | instid1(VALU_DEP_4)
	v_add_f32_e32 v25, v29, v25
	v_sub_f32_e32 v29, v28, v33
	s_delay_alu instid0(VALU_DEP_2) | instskip(NEXT) | instid1(VALU_DEP_2)
	v_add_f32_e32 v25, v34, v25
	v_sub_f32_e32 v29, v30, v29
	s_delay_alu instid0(VALU_DEP_2) | instskip(NEXT) | instid1(VALU_DEP_1)
	v_mul_f32_e32 v25, v27, v25
	v_add_f32_e32 v25, v29, v25
	s_delay_alu instid0(VALU_DEP_1) | instskip(NEXT) | instid1(VALU_DEP_1)
	v_add_f32_e32 v27, v28, v25
	v_mul_f32_e32 v29, v27, v27
	s_delay_alu instid0(VALU_DEP_1) | instskip(SKIP_1) | instid1(VALU_DEP_2)
	v_fmaak_f32 v30, s54, v29, 0x3ecc95a3
	v_mul_f32_e32 v31, v27, v29
	v_fmaak_f32 v29, v29, v30, 0x3f2aaada
	v_ldexp_f32 v30, v27, 1
	s_delay_alu instid0(VALU_DEP_2) | instskip(SKIP_1) | instid1(VALU_DEP_2)
	v_mul_f32_e32 v29, v31, v29
	v_sub_f32_e32 v27, v27, v28
	v_dual_mul_f32 v31, 0x3f317218, v24 :: v_dual_add_f32 v28, v30, v29
	s_delay_alu instid0(VALU_DEP_2) | instskip(NEXT) | instid1(VALU_DEP_2)
	v_sub_f32_e32 v25, v25, v27
	v_sub_f32_e32 v27, v28, v30
	s_delay_alu instid0(VALU_DEP_3) | instskip(NEXT) | instid1(VALU_DEP_3)
	v_fma_f32 v30, 0x3f317218, v24, -v31
	v_ldexp_f32 v25, v25, 1
	s_delay_alu instid0(VALU_DEP_2) | instskip(NEXT) | instid1(VALU_DEP_1)
	v_dual_sub_f32 v27, v29, v27 :: v_dual_fmac_f32 v30, 0xb102e308, v24
	v_dual_add_f32 v24, v25, v27 :: v_dual_add_f32 v25, v31, v30
	s_delay_alu instid0(VALU_DEP_1) | instskip(NEXT) | instid1(VALU_DEP_1)
	v_add_f32_e32 v27, v28, v24
	v_dual_add_f32 v29, v25, v27 :: v_dual_sub_f32 v28, v27, v28
	s_delay_alu instid0(VALU_DEP_1) | instskip(NEXT) | instid1(VALU_DEP_2)
	v_sub_f32_e32 v32, v29, v25
	v_dual_sub_f32 v31, v25, v31 :: v_dual_sub_f32 v24, v24, v28
	s_delay_alu instid0(VALU_DEP_1) | instskip(SKIP_1) | instid1(VALU_DEP_2)
	v_dual_sub_f32 v33, v29, v32 :: v_dual_sub_f32 v30, v30, v31
	v_sub_f32_e32 v27, v27, v32
	v_dual_sub_f32 v25, v25, v33 :: v_dual_add_f32 v28, v30, v24
	s_delay_alu instid0(VALU_DEP_1) | instskip(NEXT) | instid1(VALU_DEP_2)
	v_add_f32_e32 v25, v27, v25
	v_sub_f32_e32 v27, v28, v30
	s_delay_alu instid0(VALU_DEP_2) | instskip(NEXT) | instid1(VALU_DEP_2)
	v_add_f32_e32 v25, v28, v25
	v_sub_f32_e32 v28, v28, v27
	s_delay_alu instid0(VALU_DEP_2) | instskip(NEXT) | instid1(VALU_DEP_1)
	v_dual_sub_f32 v24, v24, v27 :: v_dual_add_f32 v31, v29, v25
	v_dual_sub_f32 v28, v30, v28 :: v_dual_sub_f32 v27, v31, v29
	s_delay_alu instid0(VALU_DEP_1) | instskip(NEXT) | instid1(VALU_DEP_1)
	v_dual_add_f32 v24, v24, v28 :: v_dual_sub_f32 v25, v25, v27
	v_add_f32_e32 v24, v24, v25
	s_delay_alu instid0(VALU_DEP_1) | instskip(NEXT) | instid1(VALU_DEP_1)
	v_add_f32_e32 v24, v31, v24
	v_cndmask_b32_e32 v81, v24, v26, vcc_lo
.LBB121_34:                             ;   in Loop: Header=BB121_12 Depth=1
	s_or_b32 exec_lo, exec_lo, s16
	v_lshrrev_b32_e32 v24, 16, v15
	s_delay_alu instid0(VALU_DEP_1) | instskip(NEXT) | instid1(VALU_DEP_1)
	v_cvt_f32_f16_e32 v24, v24
	v_add_f32_e32 v82, s57, v24
	s_delay_alu instid0(VALU_DEP_1) | instskip(SKIP_1) | instid1(SALU_CYCLE_1)
	v_cmp_ge_f32_e32 vcc_lo, 0x41a00000, v82
	s_and_b32 s14, s67, vcc_lo
	s_and_saveexec_b32 s16, s14
	s_cbranch_execz .LBB121_36
; %bb.35:                               ;   in Loop: Header=BB121_12 Depth=1
	v_mul_f32_e32 v24, 0x3fb8aa3b, v82
	v_cmp_ngt_f32_e32 vcc_lo, 0xc2ce8ed0, v82
	s_delay_alu instid0(VALU_DEP_2) | instskip(SKIP_1) | instid1(VALU_DEP_2)
	v_rndne_f32_e32 v25, v24
	v_fma_f32 v26, 0x3fb8aa3b, v82, -v24
	v_sub_f32_e32 v24, v24, v25
	s_delay_alu instid0(VALU_DEP_2) | instskip(SKIP_1) | instid1(VALU_DEP_2)
	v_fmac_f32_e32 v26, 0x32a5705f, v82
	v_cvt_i32_f32_e32 v25, v25
	v_add_f32_e32 v24, v24, v26
	s_delay_alu instid0(VALU_DEP_1) | instskip(SKIP_2) | instid1(VALU_DEP_1)
	v_exp_f32_e32 v24, v24
	s_waitcnt_depctr 0xfff
	v_ldexp_f32 v24, v24, v25
	v_cndmask_b32_e32 v24, 0, v24, vcc_lo
	v_cmp_nlt_f32_e32 vcc_lo, 0x42b17218, v82
	s_delay_alu instid0(VALU_DEP_2) | instskip(NEXT) | instid1(VALU_DEP_1)
	v_cndmask_b32_e32 v26, 0x7f800000, v24, vcc_lo
	v_add_f32_e32 v27, 1.0, v26
	s_delay_alu instid0(VALU_DEP_1) | instskip(NEXT) | instid1(VALU_DEP_1)
	v_cvt_f64_f32_e32 v[24:25], v27
	v_frexp_exp_i32_f64_e32 v24, v[24:25]
	v_frexp_mant_f32_e32 v25, v27
	s_delay_alu instid0(VALU_DEP_1) | instskip(SKIP_1) | instid1(VALU_DEP_1)
	v_cmp_gt_f32_e32 vcc_lo, 0x3f2aaaab, v25
	v_add_f32_e32 v25, -1.0, v27
	v_sub_f32_e32 v29, v25, v27
	v_sub_f32_e32 v25, v26, v25
	s_delay_alu instid0(VALU_DEP_2) | instskip(NEXT) | instid1(VALU_DEP_1)
	v_add_f32_e32 v29, 1.0, v29
	v_add_f32_e32 v25, v25, v29
	v_cmp_gt_f32_e64 s14, 0x33800000, v26
	v_subrev_co_ci_u32_e32 v24, vcc_lo, 0, v24, vcc_lo
	v_cmp_eq_f32_e32 vcc_lo, 0x7f800000, v26
	s_delay_alu instid0(VALU_DEP_2) | instskip(SKIP_2) | instid1(VALU_DEP_2)
	v_sub_nc_u32_e32 v28, 0, v24
	v_cvt_f32_i32_e32 v24, v24
	s_or_b32 vcc_lo, s14, vcc_lo
	v_ldexp_f32 v27, v27, v28
	v_ldexp_f32 v25, v25, v28
	s_delay_alu instid0(VALU_DEP_2) | instskip(NEXT) | instid1(VALU_DEP_1)
	v_add_f32_e32 v30, 1.0, v27
	v_dual_add_f32 v28, -1.0, v27 :: v_dual_add_f32 v29, -1.0, v30
	s_delay_alu instid0(VALU_DEP_1) | instskip(NEXT) | instid1(VALU_DEP_2)
	v_add_f32_e32 v31, 1.0, v28
	v_sub_f32_e32 v29, v27, v29
	s_delay_alu instid0(VALU_DEP_2) | instskip(NEXT) | instid1(VALU_DEP_2)
	v_sub_f32_e32 v27, v27, v31
	v_add_f32_e32 v29, v25, v29
	s_delay_alu instid0(VALU_DEP_2) | instskip(NEXT) | instid1(VALU_DEP_1)
	v_add_f32_e32 v25, v25, v27
	v_add_f32_e32 v32, v28, v25
	s_delay_alu instid0(VALU_DEP_1) | instskip(NEXT) | instid1(VALU_DEP_1)
	v_dual_add_f32 v31, v30, v29 :: v_dual_sub_f32 v28, v28, v32
	v_rcp_f32_e32 v27, v31
	v_sub_f32_e32 v30, v30, v31
	s_delay_alu instid0(VALU_DEP_1) | instskip(SKIP_2) | instid1(VALU_DEP_1)
	v_add_f32_e32 v29, v29, v30
	s_waitcnt_depctr 0xfff
	v_mul_f32_e32 v33, v32, v27
	v_mul_f32_e32 v34, v31, v33
	s_delay_alu instid0(VALU_DEP_1) | instskip(NEXT) | instid1(VALU_DEP_1)
	v_fma_f32 v30, v33, v31, -v34
	v_fmac_f32_e32 v30, v33, v29
	s_delay_alu instid0(VALU_DEP_1) | instskip(NEXT) | instid1(VALU_DEP_1)
	v_add_f32_e32 v35, v34, v30
	v_sub_f32_e32 v36, v32, v35
	s_delay_alu instid0(VALU_DEP_1) | instskip(SKIP_1) | instid1(VALU_DEP_2)
	v_sub_f32_e32 v32, v32, v36
	v_dual_add_f32 v25, v25, v28 :: v_dual_sub_f32 v28, v35, v34
	v_sub_f32_e32 v32, v32, v35
	s_delay_alu instid0(VALU_DEP_1) | instskip(NEXT) | instid1(VALU_DEP_1)
	v_dual_sub_f32 v28, v28, v30 :: v_dual_add_f32 v25, v25, v32
	v_add_f32_e32 v25, v28, v25
	s_delay_alu instid0(VALU_DEP_1) | instskip(NEXT) | instid1(VALU_DEP_1)
	v_add_f32_e32 v28, v36, v25
	v_mul_f32_e32 v30, v27, v28
	s_delay_alu instid0(VALU_DEP_1) | instskip(NEXT) | instid1(VALU_DEP_1)
	v_dual_sub_f32 v35, v36, v28 :: v_dual_mul_f32 v32, v31, v30
	v_add_f32_e32 v25, v25, v35
	s_delay_alu instid0(VALU_DEP_2) | instskip(NEXT) | instid1(VALU_DEP_1)
	v_fma_f32 v31, v30, v31, -v32
	v_fmac_f32_e32 v31, v30, v29
	s_delay_alu instid0(VALU_DEP_1) | instskip(NEXT) | instid1(VALU_DEP_1)
	v_add_f32_e32 v29, v32, v31
	v_sub_f32_e32 v34, v28, v29
	s_delay_alu instid0(VALU_DEP_1) | instskip(NEXT) | instid1(VALU_DEP_1)
	v_sub_f32_e32 v28, v28, v34
	v_sub_f32_e32 v28, v28, v29
	s_delay_alu instid0(VALU_DEP_1) | instskip(SKIP_2) | instid1(VALU_DEP_1)
	v_add_f32_e32 v25, v25, v28
	v_add_f32_e32 v28, v33, v30
	v_sub_f32_e32 v32, v29, v32
	v_sub_f32_e32 v29, v32, v31
	s_delay_alu instid0(VALU_DEP_1) | instskip(NEXT) | instid1(VALU_DEP_4)
	v_add_f32_e32 v25, v29, v25
	v_sub_f32_e32 v29, v28, v33
	s_delay_alu instid0(VALU_DEP_2) | instskip(NEXT) | instid1(VALU_DEP_2)
	v_add_f32_e32 v25, v34, v25
	v_sub_f32_e32 v29, v30, v29
	s_delay_alu instid0(VALU_DEP_2) | instskip(NEXT) | instid1(VALU_DEP_1)
	v_mul_f32_e32 v25, v27, v25
	v_add_f32_e32 v25, v29, v25
	s_delay_alu instid0(VALU_DEP_1) | instskip(NEXT) | instid1(VALU_DEP_1)
	v_add_f32_e32 v27, v28, v25
	v_mul_f32_e32 v29, v27, v27
	s_delay_alu instid0(VALU_DEP_1) | instskip(SKIP_1) | instid1(VALU_DEP_2)
	v_fmaak_f32 v30, s54, v29, 0x3ecc95a3
	v_mul_f32_e32 v31, v27, v29
	v_fmaak_f32 v29, v29, v30, 0x3f2aaada
	v_ldexp_f32 v30, v27, 1
	s_delay_alu instid0(VALU_DEP_2) | instskip(SKIP_1) | instid1(VALU_DEP_2)
	v_mul_f32_e32 v29, v31, v29
	v_sub_f32_e32 v27, v27, v28
	v_dual_mul_f32 v31, 0x3f317218, v24 :: v_dual_add_f32 v28, v30, v29
	s_delay_alu instid0(VALU_DEP_2) | instskip(NEXT) | instid1(VALU_DEP_2)
	v_sub_f32_e32 v25, v25, v27
	v_sub_f32_e32 v27, v28, v30
	s_delay_alu instid0(VALU_DEP_3) | instskip(NEXT) | instid1(VALU_DEP_3)
	v_fma_f32 v30, 0x3f317218, v24, -v31
	v_ldexp_f32 v25, v25, 1
	s_delay_alu instid0(VALU_DEP_2) | instskip(NEXT) | instid1(VALU_DEP_1)
	v_dual_sub_f32 v27, v29, v27 :: v_dual_fmac_f32 v30, 0xb102e308, v24
	v_dual_add_f32 v24, v25, v27 :: v_dual_add_f32 v25, v31, v30
	s_delay_alu instid0(VALU_DEP_1) | instskip(NEXT) | instid1(VALU_DEP_1)
	v_add_f32_e32 v27, v28, v24
	v_dual_add_f32 v29, v25, v27 :: v_dual_sub_f32 v28, v27, v28
	s_delay_alu instid0(VALU_DEP_1) | instskip(NEXT) | instid1(VALU_DEP_2)
	v_sub_f32_e32 v32, v29, v25
	v_dual_sub_f32 v31, v25, v31 :: v_dual_sub_f32 v24, v24, v28
	s_delay_alu instid0(VALU_DEP_1) | instskip(SKIP_1) | instid1(VALU_DEP_2)
	v_dual_sub_f32 v33, v29, v32 :: v_dual_sub_f32 v30, v30, v31
	v_sub_f32_e32 v27, v27, v32
	v_dual_sub_f32 v25, v25, v33 :: v_dual_add_f32 v28, v30, v24
	s_delay_alu instid0(VALU_DEP_1) | instskip(NEXT) | instid1(VALU_DEP_2)
	v_add_f32_e32 v25, v27, v25
	v_sub_f32_e32 v27, v28, v30
	s_delay_alu instid0(VALU_DEP_2) | instskip(NEXT) | instid1(VALU_DEP_2)
	v_add_f32_e32 v25, v28, v25
	v_sub_f32_e32 v28, v28, v27
	s_delay_alu instid0(VALU_DEP_2) | instskip(NEXT) | instid1(VALU_DEP_1)
	v_dual_sub_f32 v24, v24, v27 :: v_dual_add_f32 v31, v29, v25
	v_dual_sub_f32 v28, v30, v28 :: v_dual_sub_f32 v27, v31, v29
	s_delay_alu instid0(VALU_DEP_1) | instskip(NEXT) | instid1(VALU_DEP_1)
	v_dual_add_f32 v24, v24, v28 :: v_dual_sub_f32 v25, v25, v27
	v_add_f32_e32 v24, v24, v25
	s_delay_alu instid0(VALU_DEP_1) | instskip(NEXT) | instid1(VALU_DEP_1)
	v_add_f32_e32 v24, v31, v24
	v_cndmask_b32_e32 v82, v24, v26, vcc_lo
.LBB121_36:                             ;   in Loop: Header=BB121_12 Depth=1
	s_or_b32 exec_lo, exec_lo, s16
	s_waitcnt lgkmcnt(0)
	v_cvt_f32_f16_e32 v24, v8
	s_delay_alu instid0(VALU_DEP_1) | instskip(NEXT) | instid1(VALU_DEP_1)
	v_add_f32_e32 v83, s57, v24
	v_cmp_ge_f32_e32 vcc_lo, 0x41a00000, v83
	s_and_b32 s14, s67, vcc_lo
	s_delay_alu instid0(SALU_CYCLE_1)
	s_and_saveexec_b32 s16, s14
	s_cbranch_execz .LBB121_38
; %bb.37:                               ;   in Loop: Header=BB121_12 Depth=1
	v_mul_f32_e32 v24, 0x3fb8aa3b, v83
	v_cmp_ngt_f32_e32 vcc_lo, 0xc2ce8ed0, v83
	s_delay_alu instid0(VALU_DEP_2) | instskip(SKIP_1) | instid1(VALU_DEP_2)
	v_rndne_f32_e32 v25, v24
	v_fma_f32 v26, 0x3fb8aa3b, v83, -v24
	v_sub_f32_e32 v24, v24, v25
	s_delay_alu instid0(VALU_DEP_2) | instskip(SKIP_1) | instid1(VALU_DEP_2)
	v_fmac_f32_e32 v26, 0x32a5705f, v83
	v_cvt_i32_f32_e32 v25, v25
	v_add_f32_e32 v24, v24, v26
	s_delay_alu instid0(VALU_DEP_1) | instskip(SKIP_2) | instid1(VALU_DEP_1)
	v_exp_f32_e32 v24, v24
	s_waitcnt_depctr 0xfff
	v_ldexp_f32 v24, v24, v25
	v_cndmask_b32_e32 v24, 0, v24, vcc_lo
	v_cmp_nlt_f32_e32 vcc_lo, 0x42b17218, v83
	s_delay_alu instid0(VALU_DEP_2) | instskip(NEXT) | instid1(VALU_DEP_1)
	v_cndmask_b32_e32 v26, 0x7f800000, v24, vcc_lo
	v_add_f32_e32 v27, 1.0, v26
	s_delay_alu instid0(VALU_DEP_1) | instskip(NEXT) | instid1(VALU_DEP_1)
	v_cvt_f64_f32_e32 v[24:25], v27
	v_frexp_exp_i32_f64_e32 v24, v[24:25]
	v_frexp_mant_f32_e32 v25, v27
	s_delay_alu instid0(VALU_DEP_1) | instskip(SKIP_1) | instid1(VALU_DEP_1)
	v_cmp_gt_f32_e32 vcc_lo, 0x3f2aaaab, v25
	v_add_f32_e32 v25, -1.0, v27
	v_sub_f32_e32 v29, v25, v27
	v_sub_f32_e32 v25, v26, v25
	s_delay_alu instid0(VALU_DEP_2) | instskip(NEXT) | instid1(VALU_DEP_1)
	v_add_f32_e32 v29, 1.0, v29
	v_add_f32_e32 v25, v25, v29
	v_cmp_gt_f32_e64 s14, 0x33800000, v26
	v_subrev_co_ci_u32_e32 v24, vcc_lo, 0, v24, vcc_lo
	v_cmp_eq_f32_e32 vcc_lo, 0x7f800000, v26
	s_delay_alu instid0(VALU_DEP_2) | instskip(SKIP_2) | instid1(VALU_DEP_2)
	v_sub_nc_u32_e32 v28, 0, v24
	v_cvt_f32_i32_e32 v24, v24
	s_or_b32 vcc_lo, s14, vcc_lo
	v_ldexp_f32 v27, v27, v28
	v_ldexp_f32 v25, v25, v28
	s_delay_alu instid0(VALU_DEP_2) | instskip(NEXT) | instid1(VALU_DEP_1)
	v_add_f32_e32 v30, 1.0, v27
	v_dual_add_f32 v28, -1.0, v27 :: v_dual_add_f32 v29, -1.0, v30
	s_delay_alu instid0(VALU_DEP_1) | instskip(NEXT) | instid1(VALU_DEP_2)
	v_add_f32_e32 v31, 1.0, v28
	v_sub_f32_e32 v29, v27, v29
	s_delay_alu instid0(VALU_DEP_2) | instskip(NEXT) | instid1(VALU_DEP_2)
	v_sub_f32_e32 v27, v27, v31
	v_add_f32_e32 v29, v25, v29
	s_delay_alu instid0(VALU_DEP_2) | instskip(NEXT) | instid1(VALU_DEP_1)
	v_add_f32_e32 v25, v25, v27
	v_add_f32_e32 v32, v28, v25
	s_delay_alu instid0(VALU_DEP_1) | instskip(NEXT) | instid1(VALU_DEP_1)
	v_dual_add_f32 v31, v30, v29 :: v_dual_sub_f32 v28, v28, v32
	v_rcp_f32_e32 v27, v31
	v_sub_f32_e32 v30, v30, v31
	s_delay_alu instid0(VALU_DEP_1) | instskip(SKIP_2) | instid1(VALU_DEP_1)
	v_add_f32_e32 v29, v29, v30
	s_waitcnt_depctr 0xfff
	v_mul_f32_e32 v33, v32, v27
	v_mul_f32_e32 v34, v31, v33
	s_delay_alu instid0(VALU_DEP_1) | instskip(NEXT) | instid1(VALU_DEP_1)
	v_fma_f32 v30, v33, v31, -v34
	v_fmac_f32_e32 v30, v33, v29
	s_delay_alu instid0(VALU_DEP_1) | instskip(NEXT) | instid1(VALU_DEP_1)
	v_add_f32_e32 v35, v34, v30
	v_sub_f32_e32 v36, v32, v35
	s_delay_alu instid0(VALU_DEP_1) | instskip(SKIP_1) | instid1(VALU_DEP_2)
	v_sub_f32_e32 v32, v32, v36
	v_dual_add_f32 v25, v25, v28 :: v_dual_sub_f32 v28, v35, v34
	v_sub_f32_e32 v32, v32, v35
	s_delay_alu instid0(VALU_DEP_1) | instskip(NEXT) | instid1(VALU_DEP_1)
	v_dual_sub_f32 v28, v28, v30 :: v_dual_add_f32 v25, v25, v32
	v_add_f32_e32 v25, v28, v25
	s_delay_alu instid0(VALU_DEP_1) | instskip(NEXT) | instid1(VALU_DEP_1)
	v_add_f32_e32 v28, v36, v25
	v_mul_f32_e32 v30, v27, v28
	s_delay_alu instid0(VALU_DEP_1) | instskip(NEXT) | instid1(VALU_DEP_1)
	v_dual_sub_f32 v35, v36, v28 :: v_dual_mul_f32 v32, v31, v30
	v_add_f32_e32 v25, v25, v35
	s_delay_alu instid0(VALU_DEP_2) | instskip(NEXT) | instid1(VALU_DEP_1)
	v_fma_f32 v31, v30, v31, -v32
	v_fmac_f32_e32 v31, v30, v29
	s_delay_alu instid0(VALU_DEP_1) | instskip(NEXT) | instid1(VALU_DEP_1)
	v_add_f32_e32 v29, v32, v31
	v_sub_f32_e32 v34, v28, v29
	s_delay_alu instid0(VALU_DEP_1) | instskip(NEXT) | instid1(VALU_DEP_1)
	v_sub_f32_e32 v28, v28, v34
	v_sub_f32_e32 v28, v28, v29
	s_delay_alu instid0(VALU_DEP_1) | instskip(SKIP_2) | instid1(VALU_DEP_1)
	v_add_f32_e32 v25, v25, v28
	v_add_f32_e32 v28, v33, v30
	v_sub_f32_e32 v32, v29, v32
	v_sub_f32_e32 v29, v32, v31
	s_delay_alu instid0(VALU_DEP_1) | instskip(NEXT) | instid1(VALU_DEP_4)
	v_add_f32_e32 v25, v29, v25
	v_sub_f32_e32 v29, v28, v33
	s_delay_alu instid0(VALU_DEP_2) | instskip(NEXT) | instid1(VALU_DEP_2)
	v_add_f32_e32 v25, v34, v25
	v_sub_f32_e32 v29, v30, v29
	s_delay_alu instid0(VALU_DEP_2) | instskip(NEXT) | instid1(VALU_DEP_1)
	v_mul_f32_e32 v25, v27, v25
	v_add_f32_e32 v25, v29, v25
	s_delay_alu instid0(VALU_DEP_1) | instskip(NEXT) | instid1(VALU_DEP_1)
	v_add_f32_e32 v27, v28, v25
	v_mul_f32_e32 v29, v27, v27
	s_delay_alu instid0(VALU_DEP_1) | instskip(SKIP_1) | instid1(VALU_DEP_2)
	v_fmaak_f32 v30, s54, v29, 0x3ecc95a3
	v_mul_f32_e32 v31, v27, v29
	v_fmaak_f32 v29, v29, v30, 0x3f2aaada
	v_ldexp_f32 v30, v27, 1
	s_delay_alu instid0(VALU_DEP_2) | instskip(SKIP_1) | instid1(VALU_DEP_2)
	v_mul_f32_e32 v29, v31, v29
	v_sub_f32_e32 v27, v27, v28
	v_dual_mul_f32 v31, 0x3f317218, v24 :: v_dual_add_f32 v28, v30, v29
	s_delay_alu instid0(VALU_DEP_2) | instskip(NEXT) | instid1(VALU_DEP_2)
	v_sub_f32_e32 v25, v25, v27
	v_sub_f32_e32 v27, v28, v30
	s_delay_alu instid0(VALU_DEP_3) | instskip(NEXT) | instid1(VALU_DEP_3)
	v_fma_f32 v30, 0x3f317218, v24, -v31
	v_ldexp_f32 v25, v25, 1
	s_delay_alu instid0(VALU_DEP_2) | instskip(NEXT) | instid1(VALU_DEP_1)
	v_dual_sub_f32 v27, v29, v27 :: v_dual_fmac_f32 v30, 0xb102e308, v24
	v_dual_add_f32 v24, v25, v27 :: v_dual_add_f32 v25, v31, v30
	s_delay_alu instid0(VALU_DEP_1) | instskip(NEXT) | instid1(VALU_DEP_1)
	v_add_f32_e32 v27, v28, v24
	v_dual_add_f32 v29, v25, v27 :: v_dual_sub_f32 v28, v27, v28
	s_delay_alu instid0(VALU_DEP_1) | instskip(NEXT) | instid1(VALU_DEP_2)
	v_sub_f32_e32 v32, v29, v25
	v_dual_sub_f32 v31, v25, v31 :: v_dual_sub_f32 v24, v24, v28
	s_delay_alu instid0(VALU_DEP_1) | instskip(SKIP_1) | instid1(VALU_DEP_2)
	v_dual_sub_f32 v33, v29, v32 :: v_dual_sub_f32 v30, v30, v31
	v_sub_f32_e32 v27, v27, v32
	v_dual_sub_f32 v25, v25, v33 :: v_dual_add_f32 v28, v30, v24
	s_delay_alu instid0(VALU_DEP_1) | instskip(NEXT) | instid1(VALU_DEP_2)
	v_add_f32_e32 v25, v27, v25
	v_sub_f32_e32 v27, v28, v30
	s_delay_alu instid0(VALU_DEP_2) | instskip(NEXT) | instid1(VALU_DEP_2)
	v_add_f32_e32 v25, v28, v25
	v_sub_f32_e32 v28, v28, v27
	s_delay_alu instid0(VALU_DEP_2) | instskip(NEXT) | instid1(VALU_DEP_1)
	v_dual_sub_f32 v24, v24, v27 :: v_dual_add_f32 v31, v29, v25
	v_dual_sub_f32 v28, v30, v28 :: v_dual_sub_f32 v27, v31, v29
	s_delay_alu instid0(VALU_DEP_1) | instskip(NEXT) | instid1(VALU_DEP_1)
	v_dual_add_f32 v24, v24, v28 :: v_dual_sub_f32 v25, v25, v27
	v_add_f32_e32 v24, v24, v25
	s_delay_alu instid0(VALU_DEP_1) | instskip(NEXT) | instid1(VALU_DEP_1)
	v_add_f32_e32 v24, v31, v24
	v_cndmask_b32_e32 v83, v24, v26, vcc_lo
.LBB121_38:                             ;   in Loop: Header=BB121_12 Depth=1
	s_or_b32 exec_lo, exec_lo, s16
	v_lshrrev_b32_e32 v24, 16, v8
	s_delay_alu instid0(VALU_DEP_1) | instskip(NEXT) | instid1(VALU_DEP_1)
	v_cvt_f32_f16_e32 v24, v24
	v_add_f32_e32 v84, s57, v24
	s_delay_alu instid0(VALU_DEP_1) | instskip(SKIP_1) | instid1(SALU_CYCLE_1)
	v_cmp_ge_f32_e32 vcc_lo, 0x41a00000, v84
	s_and_b32 s14, s67, vcc_lo
	s_and_saveexec_b32 s16, s14
	s_cbranch_execz .LBB121_40
; %bb.39:                               ;   in Loop: Header=BB121_12 Depth=1
	v_mul_f32_e32 v24, 0x3fb8aa3b, v84
	v_cmp_ngt_f32_e32 vcc_lo, 0xc2ce8ed0, v84
	s_delay_alu instid0(VALU_DEP_2) | instskip(SKIP_1) | instid1(VALU_DEP_2)
	v_rndne_f32_e32 v25, v24
	v_fma_f32 v26, 0x3fb8aa3b, v84, -v24
	v_sub_f32_e32 v24, v24, v25
	s_delay_alu instid0(VALU_DEP_2) | instskip(SKIP_1) | instid1(VALU_DEP_2)
	v_fmac_f32_e32 v26, 0x32a5705f, v84
	v_cvt_i32_f32_e32 v25, v25
	v_add_f32_e32 v24, v24, v26
	s_delay_alu instid0(VALU_DEP_1) | instskip(SKIP_2) | instid1(VALU_DEP_1)
	v_exp_f32_e32 v24, v24
	s_waitcnt_depctr 0xfff
	v_ldexp_f32 v24, v24, v25
	v_cndmask_b32_e32 v24, 0, v24, vcc_lo
	v_cmp_nlt_f32_e32 vcc_lo, 0x42b17218, v84
	s_delay_alu instid0(VALU_DEP_2) | instskip(NEXT) | instid1(VALU_DEP_1)
	v_cndmask_b32_e32 v26, 0x7f800000, v24, vcc_lo
	v_add_f32_e32 v27, 1.0, v26
	s_delay_alu instid0(VALU_DEP_1) | instskip(NEXT) | instid1(VALU_DEP_1)
	v_cvt_f64_f32_e32 v[24:25], v27
	v_frexp_exp_i32_f64_e32 v24, v[24:25]
	v_frexp_mant_f32_e32 v25, v27
	s_delay_alu instid0(VALU_DEP_1) | instskip(SKIP_1) | instid1(VALU_DEP_1)
	v_cmp_gt_f32_e32 vcc_lo, 0x3f2aaaab, v25
	v_add_f32_e32 v25, -1.0, v27
	v_sub_f32_e32 v29, v25, v27
	v_sub_f32_e32 v25, v26, v25
	s_delay_alu instid0(VALU_DEP_2) | instskip(NEXT) | instid1(VALU_DEP_1)
	v_add_f32_e32 v29, 1.0, v29
	v_add_f32_e32 v25, v25, v29
	v_cmp_gt_f32_e64 s14, 0x33800000, v26
	v_subrev_co_ci_u32_e32 v24, vcc_lo, 0, v24, vcc_lo
	v_cmp_eq_f32_e32 vcc_lo, 0x7f800000, v26
	s_delay_alu instid0(VALU_DEP_2) | instskip(SKIP_2) | instid1(VALU_DEP_2)
	v_sub_nc_u32_e32 v28, 0, v24
	v_cvt_f32_i32_e32 v24, v24
	s_or_b32 vcc_lo, s14, vcc_lo
	v_ldexp_f32 v27, v27, v28
	v_ldexp_f32 v25, v25, v28
	s_delay_alu instid0(VALU_DEP_2) | instskip(NEXT) | instid1(VALU_DEP_1)
	v_add_f32_e32 v30, 1.0, v27
	v_dual_add_f32 v28, -1.0, v27 :: v_dual_add_f32 v29, -1.0, v30
	s_delay_alu instid0(VALU_DEP_1) | instskip(NEXT) | instid1(VALU_DEP_2)
	v_add_f32_e32 v31, 1.0, v28
	v_sub_f32_e32 v29, v27, v29
	s_delay_alu instid0(VALU_DEP_2) | instskip(NEXT) | instid1(VALU_DEP_2)
	v_sub_f32_e32 v27, v27, v31
	v_add_f32_e32 v29, v25, v29
	s_delay_alu instid0(VALU_DEP_2) | instskip(NEXT) | instid1(VALU_DEP_1)
	v_add_f32_e32 v25, v25, v27
	v_add_f32_e32 v32, v28, v25
	s_delay_alu instid0(VALU_DEP_1) | instskip(NEXT) | instid1(VALU_DEP_1)
	v_dual_add_f32 v31, v30, v29 :: v_dual_sub_f32 v28, v28, v32
	v_rcp_f32_e32 v27, v31
	v_sub_f32_e32 v30, v30, v31
	s_delay_alu instid0(VALU_DEP_1) | instskip(SKIP_2) | instid1(VALU_DEP_1)
	v_add_f32_e32 v29, v29, v30
	s_waitcnt_depctr 0xfff
	v_mul_f32_e32 v33, v32, v27
	v_mul_f32_e32 v34, v31, v33
	s_delay_alu instid0(VALU_DEP_1) | instskip(NEXT) | instid1(VALU_DEP_1)
	v_fma_f32 v30, v33, v31, -v34
	v_fmac_f32_e32 v30, v33, v29
	s_delay_alu instid0(VALU_DEP_1) | instskip(NEXT) | instid1(VALU_DEP_1)
	v_add_f32_e32 v35, v34, v30
	v_sub_f32_e32 v36, v32, v35
	s_delay_alu instid0(VALU_DEP_1) | instskip(SKIP_1) | instid1(VALU_DEP_2)
	v_sub_f32_e32 v32, v32, v36
	v_dual_add_f32 v25, v25, v28 :: v_dual_sub_f32 v28, v35, v34
	v_sub_f32_e32 v32, v32, v35
	s_delay_alu instid0(VALU_DEP_1) | instskip(NEXT) | instid1(VALU_DEP_1)
	v_dual_sub_f32 v28, v28, v30 :: v_dual_add_f32 v25, v25, v32
	v_add_f32_e32 v25, v28, v25
	s_delay_alu instid0(VALU_DEP_1) | instskip(NEXT) | instid1(VALU_DEP_1)
	v_add_f32_e32 v28, v36, v25
	v_mul_f32_e32 v30, v27, v28
	s_delay_alu instid0(VALU_DEP_1) | instskip(NEXT) | instid1(VALU_DEP_1)
	v_dual_sub_f32 v35, v36, v28 :: v_dual_mul_f32 v32, v31, v30
	v_add_f32_e32 v25, v25, v35
	s_delay_alu instid0(VALU_DEP_2) | instskip(NEXT) | instid1(VALU_DEP_1)
	v_fma_f32 v31, v30, v31, -v32
	v_fmac_f32_e32 v31, v30, v29
	s_delay_alu instid0(VALU_DEP_1) | instskip(NEXT) | instid1(VALU_DEP_1)
	v_add_f32_e32 v29, v32, v31
	v_sub_f32_e32 v34, v28, v29
	s_delay_alu instid0(VALU_DEP_1) | instskip(NEXT) | instid1(VALU_DEP_1)
	v_sub_f32_e32 v28, v28, v34
	v_sub_f32_e32 v28, v28, v29
	s_delay_alu instid0(VALU_DEP_1) | instskip(SKIP_2) | instid1(VALU_DEP_1)
	v_add_f32_e32 v25, v25, v28
	v_add_f32_e32 v28, v33, v30
	v_sub_f32_e32 v32, v29, v32
	v_sub_f32_e32 v29, v32, v31
	s_delay_alu instid0(VALU_DEP_1) | instskip(NEXT) | instid1(VALU_DEP_4)
	v_add_f32_e32 v25, v29, v25
	v_sub_f32_e32 v29, v28, v33
	s_delay_alu instid0(VALU_DEP_2) | instskip(NEXT) | instid1(VALU_DEP_2)
	v_add_f32_e32 v25, v34, v25
	v_sub_f32_e32 v29, v30, v29
	s_delay_alu instid0(VALU_DEP_2) | instskip(NEXT) | instid1(VALU_DEP_1)
	v_mul_f32_e32 v25, v27, v25
	v_add_f32_e32 v25, v29, v25
	s_delay_alu instid0(VALU_DEP_1) | instskip(NEXT) | instid1(VALU_DEP_1)
	v_add_f32_e32 v27, v28, v25
	v_mul_f32_e32 v29, v27, v27
	s_delay_alu instid0(VALU_DEP_1) | instskip(SKIP_1) | instid1(VALU_DEP_2)
	v_fmaak_f32 v30, s54, v29, 0x3ecc95a3
	v_mul_f32_e32 v31, v27, v29
	v_fmaak_f32 v29, v29, v30, 0x3f2aaada
	v_ldexp_f32 v30, v27, 1
	s_delay_alu instid0(VALU_DEP_2) | instskip(SKIP_1) | instid1(VALU_DEP_2)
	v_mul_f32_e32 v29, v31, v29
	v_sub_f32_e32 v27, v27, v28
	v_dual_mul_f32 v31, 0x3f317218, v24 :: v_dual_add_f32 v28, v30, v29
	s_delay_alu instid0(VALU_DEP_2) | instskip(NEXT) | instid1(VALU_DEP_2)
	v_sub_f32_e32 v25, v25, v27
	v_sub_f32_e32 v27, v28, v30
	s_delay_alu instid0(VALU_DEP_3) | instskip(NEXT) | instid1(VALU_DEP_3)
	v_fma_f32 v30, 0x3f317218, v24, -v31
	v_ldexp_f32 v25, v25, 1
	s_delay_alu instid0(VALU_DEP_2) | instskip(NEXT) | instid1(VALU_DEP_1)
	v_dual_sub_f32 v27, v29, v27 :: v_dual_fmac_f32 v30, 0xb102e308, v24
	v_dual_add_f32 v24, v25, v27 :: v_dual_add_f32 v25, v31, v30
	s_delay_alu instid0(VALU_DEP_1) | instskip(NEXT) | instid1(VALU_DEP_1)
	v_add_f32_e32 v27, v28, v24
	v_dual_add_f32 v29, v25, v27 :: v_dual_sub_f32 v28, v27, v28
	s_delay_alu instid0(VALU_DEP_1) | instskip(NEXT) | instid1(VALU_DEP_2)
	v_sub_f32_e32 v32, v29, v25
	v_dual_sub_f32 v31, v25, v31 :: v_dual_sub_f32 v24, v24, v28
	s_delay_alu instid0(VALU_DEP_1) | instskip(SKIP_1) | instid1(VALU_DEP_2)
	v_dual_sub_f32 v33, v29, v32 :: v_dual_sub_f32 v30, v30, v31
	v_sub_f32_e32 v27, v27, v32
	v_dual_sub_f32 v25, v25, v33 :: v_dual_add_f32 v28, v30, v24
	s_delay_alu instid0(VALU_DEP_1) | instskip(NEXT) | instid1(VALU_DEP_2)
	v_add_f32_e32 v25, v27, v25
	v_sub_f32_e32 v27, v28, v30
	s_delay_alu instid0(VALU_DEP_2) | instskip(NEXT) | instid1(VALU_DEP_2)
	v_add_f32_e32 v25, v28, v25
	v_sub_f32_e32 v28, v28, v27
	s_delay_alu instid0(VALU_DEP_2) | instskip(NEXT) | instid1(VALU_DEP_1)
	v_dual_sub_f32 v24, v24, v27 :: v_dual_add_f32 v31, v29, v25
	v_dual_sub_f32 v28, v30, v28 :: v_dual_sub_f32 v27, v31, v29
	s_delay_alu instid0(VALU_DEP_1) | instskip(NEXT) | instid1(VALU_DEP_1)
	v_dual_add_f32 v24, v24, v28 :: v_dual_sub_f32 v25, v25, v27
	v_add_f32_e32 v24, v24, v25
	s_delay_alu instid0(VALU_DEP_1) | instskip(NEXT) | instid1(VALU_DEP_1)
	v_add_f32_e32 v24, v31, v24
	v_cndmask_b32_e32 v84, v24, v26, vcc_lo
.LBB121_40:                             ;   in Loop: Header=BB121_12 Depth=1
	s_or_b32 exec_lo, exec_lo, s16
	v_cvt_f32_f16_e32 v24, v9
	s_delay_alu instid0(VALU_DEP_1) | instskip(NEXT) | instid1(VALU_DEP_1)
	v_add_f32_e32 v97, s57, v24
	v_cmp_ge_f32_e32 vcc_lo, 0x41a00000, v97
	s_and_b32 s14, s67, vcc_lo
	s_delay_alu instid0(SALU_CYCLE_1)
	s_and_saveexec_b32 s16, s14
	s_cbranch_execz .LBB121_42
; %bb.41:                               ;   in Loop: Header=BB121_12 Depth=1
	v_mul_f32_e32 v24, 0x3fb8aa3b, v97
	v_cmp_ngt_f32_e32 vcc_lo, 0xc2ce8ed0, v97
	s_delay_alu instid0(VALU_DEP_2) | instskip(SKIP_1) | instid1(VALU_DEP_2)
	v_rndne_f32_e32 v25, v24
	v_fma_f32 v26, 0x3fb8aa3b, v97, -v24
	v_sub_f32_e32 v24, v24, v25
	s_delay_alu instid0(VALU_DEP_2) | instskip(SKIP_1) | instid1(VALU_DEP_2)
	v_fmac_f32_e32 v26, 0x32a5705f, v97
	v_cvt_i32_f32_e32 v25, v25
	v_add_f32_e32 v24, v24, v26
	s_delay_alu instid0(VALU_DEP_1) | instskip(SKIP_2) | instid1(VALU_DEP_1)
	v_exp_f32_e32 v24, v24
	s_waitcnt_depctr 0xfff
	v_ldexp_f32 v24, v24, v25
	v_cndmask_b32_e32 v24, 0, v24, vcc_lo
	v_cmp_nlt_f32_e32 vcc_lo, 0x42b17218, v97
	s_delay_alu instid0(VALU_DEP_2) | instskip(NEXT) | instid1(VALU_DEP_1)
	v_cndmask_b32_e32 v26, 0x7f800000, v24, vcc_lo
	v_add_f32_e32 v27, 1.0, v26
	s_delay_alu instid0(VALU_DEP_1) | instskip(NEXT) | instid1(VALU_DEP_1)
	v_cvt_f64_f32_e32 v[24:25], v27
	v_frexp_exp_i32_f64_e32 v24, v[24:25]
	v_frexp_mant_f32_e32 v25, v27
	s_delay_alu instid0(VALU_DEP_1) | instskip(SKIP_1) | instid1(VALU_DEP_1)
	v_cmp_gt_f32_e32 vcc_lo, 0x3f2aaaab, v25
	v_add_f32_e32 v25, -1.0, v27
	v_sub_f32_e32 v29, v25, v27
	v_sub_f32_e32 v25, v26, v25
	s_delay_alu instid0(VALU_DEP_2) | instskip(NEXT) | instid1(VALU_DEP_1)
	v_add_f32_e32 v29, 1.0, v29
	v_add_f32_e32 v25, v25, v29
	v_cmp_gt_f32_e64 s14, 0x33800000, v26
	v_subrev_co_ci_u32_e32 v24, vcc_lo, 0, v24, vcc_lo
	v_cmp_eq_f32_e32 vcc_lo, 0x7f800000, v26
	s_delay_alu instid0(VALU_DEP_2) | instskip(SKIP_2) | instid1(VALU_DEP_2)
	v_sub_nc_u32_e32 v28, 0, v24
	v_cvt_f32_i32_e32 v24, v24
	s_or_b32 vcc_lo, s14, vcc_lo
	v_ldexp_f32 v27, v27, v28
	v_ldexp_f32 v25, v25, v28
	s_delay_alu instid0(VALU_DEP_2) | instskip(NEXT) | instid1(VALU_DEP_1)
	v_add_f32_e32 v30, 1.0, v27
	v_dual_add_f32 v28, -1.0, v27 :: v_dual_add_f32 v29, -1.0, v30
	s_delay_alu instid0(VALU_DEP_1) | instskip(NEXT) | instid1(VALU_DEP_2)
	v_add_f32_e32 v31, 1.0, v28
	v_sub_f32_e32 v29, v27, v29
	s_delay_alu instid0(VALU_DEP_2) | instskip(NEXT) | instid1(VALU_DEP_2)
	v_sub_f32_e32 v27, v27, v31
	v_add_f32_e32 v29, v25, v29
	s_delay_alu instid0(VALU_DEP_2) | instskip(NEXT) | instid1(VALU_DEP_1)
	v_add_f32_e32 v25, v25, v27
	v_add_f32_e32 v32, v28, v25
	s_delay_alu instid0(VALU_DEP_1) | instskip(NEXT) | instid1(VALU_DEP_1)
	v_dual_add_f32 v31, v30, v29 :: v_dual_sub_f32 v28, v28, v32
	v_rcp_f32_e32 v27, v31
	v_sub_f32_e32 v30, v30, v31
	s_delay_alu instid0(VALU_DEP_1) | instskip(SKIP_2) | instid1(VALU_DEP_1)
	v_add_f32_e32 v29, v29, v30
	s_waitcnt_depctr 0xfff
	v_mul_f32_e32 v33, v32, v27
	v_mul_f32_e32 v34, v31, v33
	s_delay_alu instid0(VALU_DEP_1) | instskip(NEXT) | instid1(VALU_DEP_1)
	v_fma_f32 v30, v33, v31, -v34
	v_fmac_f32_e32 v30, v33, v29
	s_delay_alu instid0(VALU_DEP_1) | instskip(NEXT) | instid1(VALU_DEP_1)
	v_add_f32_e32 v35, v34, v30
	v_sub_f32_e32 v36, v32, v35
	s_delay_alu instid0(VALU_DEP_1) | instskip(SKIP_1) | instid1(VALU_DEP_2)
	v_sub_f32_e32 v32, v32, v36
	v_dual_add_f32 v25, v25, v28 :: v_dual_sub_f32 v28, v35, v34
	v_sub_f32_e32 v32, v32, v35
	s_delay_alu instid0(VALU_DEP_1) | instskip(NEXT) | instid1(VALU_DEP_1)
	v_dual_sub_f32 v28, v28, v30 :: v_dual_add_f32 v25, v25, v32
	v_add_f32_e32 v25, v28, v25
	s_delay_alu instid0(VALU_DEP_1) | instskip(NEXT) | instid1(VALU_DEP_1)
	v_add_f32_e32 v28, v36, v25
	v_mul_f32_e32 v30, v27, v28
	s_delay_alu instid0(VALU_DEP_1) | instskip(NEXT) | instid1(VALU_DEP_1)
	v_dual_sub_f32 v35, v36, v28 :: v_dual_mul_f32 v32, v31, v30
	v_add_f32_e32 v25, v25, v35
	s_delay_alu instid0(VALU_DEP_2) | instskip(NEXT) | instid1(VALU_DEP_1)
	v_fma_f32 v31, v30, v31, -v32
	v_fmac_f32_e32 v31, v30, v29
	s_delay_alu instid0(VALU_DEP_1) | instskip(NEXT) | instid1(VALU_DEP_1)
	v_add_f32_e32 v29, v32, v31
	v_sub_f32_e32 v34, v28, v29
	s_delay_alu instid0(VALU_DEP_1) | instskip(NEXT) | instid1(VALU_DEP_1)
	v_sub_f32_e32 v28, v28, v34
	v_sub_f32_e32 v28, v28, v29
	s_delay_alu instid0(VALU_DEP_1) | instskip(SKIP_2) | instid1(VALU_DEP_1)
	v_add_f32_e32 v25, v25, v28
	v_add_f32_e32 v28, v33, v30
	v_sub_f32_e32 v32, v29, v32
	v_sub_f32_e32 v29, v32, v31
	s_delay_alu instid0(VALU_DEP_1) | instskip(NEXT) | instid1(VALU_DEP_4)
	v_add_f32_e32 v25, v29, v25
	v_sub_f32_e32 v29, v28, v33
	s_delay_alu instid0(VALU_DEP_2) | instskip(NEXT) | instid1(VALU_DEP_2)
	v_add_f32_e32 v25, v34, v25
	v_sub_f32_e32 v29, v30, v29
	s_delay_alu instid0(VALU_DEP_2) | instskip(NEXT) | instid1(VALU_DEP_1)
	v_mul_f32_e32 v25, v27, v25
	v_add_f32_e32 v25, v29, v25
	s_delay_alu instid0(VALU_DEP_1) | instskip(NEXT) | instid1(VALU_DEP_1)
	v_add_f32_e32 v27, v28, v25
	v_mul_f32_e32 v29, v27, v27
	s_delay_alu instid0(VALU_DEP_1) | instskip(SKIP_1) | instid1(VALU_DEP_2)
	v_fmaak_f32 v30, s54, v29, 0x3ecc95a3
	v_mul_f32_e32 v31, v27, v29
	v_fmaak_f32 v29, v29, v30, 0x3f2aaada
	v_ldexp_f32 v30, v27, 1
	s_delay_alu instid0(VALU_DEP_2) | instskip(SKIP_1) | instid1(VALU_DEP_2)
	v_mul_f32_e32 v29, v31, v29
	v_sub_f32_e32 v27, v27, v28
	v_dual_mul_f32 v31, 0x3f317218, v24 :: v_dual_add_f32 v28, v30, v29
	s_delay_alu instid0(VALU_DEP_2) | instskip(NEXT) | instid1(VALU_DEP_2)
	v_sub_f32_e32 v25, v25, v27
	v_sub_f32_e32 v27, v28, v30
	s_delay_alu instid0(VALU_DEP_3) | instskip(NEXT) | instid1(VALU_DEP_3)
	v_fma_f32 v30, 0x3f317218, v24, -v31
	v_ldexp_f32 v25, v25, 1
	s_delay_alu instid0(VALU_DEP_2) | instskip(NEXT) | instid1(VALU_DEP_1)
	v_dual_sub_f32 v27, v29, v27 :: v_dual_fmac_f32 v30, 0xb102e308, v24
	v_dual_add_f32 v24, v25, v27 :: v_dual_add_f32 v25, v31, v30
	s_delay_alu instid0(VALU_DEP_1) | instskip(NEXT) | instid1(VALU_DEP_1)
	v_add_f32_e32 v27, v28, v24
	v_dual_add_f32 v29, v25, v27 :: v_dual_sub_f32 v28, v27, v28
	s_delay_alu instid0(VALU_DEP_1) | instskip(NEXT) | instid1(VALU_DEP_2)
	v_sub_f32_e32 v32, v29, v25
	v_dual_sub_f32 v31, v25, v31 :: v_dual_sub_f32 v24, v24, v28
	s_delay_alu instid0(VALU_DEP_1) | instskip(SKIP_1) | instid1(VALU_DEP_2)
	v_dual_sub_f32 v33, v29, v32 :: v_dual_sub_f32 v30, v30, v31
	v_sub_f32_e32 v27, v27, v32
	v_dual_sub_f32 v25, v25, v33 :: v_dual_add_f32 v28, v30, v24
	s_delay_alu instid0(VALU_DEP_1) | instskip(NEXT) | instid1(VALU_DEP_2)
	v_add_f32_e32 v25, v27, v25
	v_sub_f32_e32 v27, v28, v30
	s_delay_alu instid0(VALU_DEP_2) | instskip(NEXT) | instid1(VALU_DEP_2)
	v_add_f32_e32 v25, v28, v25
	v_sub_f32_e32 v28, v28, v27
	s_delay_alu instid0(VALU_DEP_2) | instskip(NEXT) | instid1(VALU_DEP_1)
	v_dual_sub_f32 v24, v24, v27 :: v_dual_add_f32 v31, v29, v25
	v_dual_sub_f32 v28, v30, v28 :: v_dual_sub_f32 v27, v31, v29
	s_delay_alu instid0(VALU_DEP_1) | instskip(NEXT) | instid1(VALU_DEP_1)
	v_dual_add_f32 v24, v24, v28 :: v_dual_sub_f32 v25, v25, v27
	v_add_f32_e32 v24, v24, v25
	s_delay_alu instid0(VALU_DEP_1) | instskip(NEXT) | instid1(VALU_DEP_1)
	v_add_f32_e32 v24, v31, v24
	v_cndmask_b32_e32 v97, v24, v26, vcc_lo
.LBB121_42:                             ;   in Loop: Header=BB121_12 Depth=1
	s_or_b32 exec_lo, exec_lo, s16
	v_lshrrev_b32_e32 v24, 16, v9
	s_delay_alu instid0(VALU_DEP_1) | instskip(NEXT) | instid1(VALU_DEP_1)
	v_cvt_f32_f16_e32 v24, v24
	v_add_f32_e32 v99, s57, v24
	s_delay_alu instid0(VALU_DEP_1) | instskip(SKIP_1) | instid1(SALU_CYCLE_1)
	v_cmp_ge_f32_e32 vcc_lo, 0x41a00000, v99
	s_and_b32 s14, s67, vcc_lo
	s_and_saveexec_b32 s16, s14
	s_cbranch_execz .LBB121_44
; %bb.43:                               ;   in Loop: Header=BB121_12 Depth=1
	v_mul_f32_e32 v24, 0x3fb8aa3b, v99
	v_cmp_ngt_f32_e32 vcc_lo, 0xc2ce8ed0, v99
	s_delay_alu instid0(VALU_DEP_2) | instskip(SKIP_1) | instid1(VALU_DEP_2)
	v_rndne_f32_e32 v25, v24
	v_fma_f32 v26, 0x3fb8aa3b, v99, -v24
	v_sub_f32_e32 v24, v24, v25
	s_delay_alu instid0(VALU_DEP_2) | instskip(SKIP_1) | instid1(VALU_DEP_2)
	v_fmac_f32_e32 v26, 0x32a5705f, v99
	v_cvt_i32_f32_e32 v25, v25
	v_add_f32_e32 v24, v24, v26
	s_delay_alu instid0(VALU_DEP_1) | instskip(SKIP_2) | instid1(VALU_DEP_1)
	v_exp_f32_e32 v24, v24
	s_waitcnt_depctr 0xfff
	v_ldexp_f32 v24, v24, v25
	v_cndmask_b32_e32 v24, 0, v24, vcc_lo
	v_cmp_nlt_f32_e32 vcc_lo, 0x42b17218, v99
	s_delay_alu instid0(VALU_DEP_2) | instskip(NEXT) | instid1(VALU_DEP_1)
	v_cndmask_b32_e32 v26, 0x7f800000, v24, vcc_lo
	v_add_f32_e32 v27, 1.0, v26
	s_delay_alu instid0(VALU_DEP_1) | instskip(NEXT) | instid1(VALU_DEP_1)
	v_cvt_f64_f32_e32 v[24:25], v27
	v_frexp_exp_i32_f64_e32 v24, v[24:25]
	v_frexp_mant_f32_e32 v25, v27
	s_delay_alu instid0(VALU_DEP_1) | instskip(SKIP_1) | instid1(VALU_DEP_1)
	v_cmp_gt_f32_e32 vcc_lo, 0x3f2aaaab, v25
	v_add_f32_e32 v25, -1.0, v27
	v_sub_f32_e32 v29, v25, v27
	v_sub_f32_e32 v25, v26, v25
	s_delay_alu instid0(VALU_DEP_2) | instskip(NEXT) | instid1(VALU_DEP_1)
	v_add_f32_e32 v29, 1.0, v29
	v_add_f32_e32 v25, v25, v29
	v_cmp_gt_f32_e64 s14, 0x33800000, v26
	v_subrev_co_ci_u32_e32 v24, vcc_lo, 0, v24, vcc_lo
	v_cmp_eq_f32_e32 vcc_lo, 0x7f800000, v26
	s_delay_alu instid0(VALU_DEP_2) | instskip(SKIP_2) | instid1(VALU_DEP_2)
	v_sub_nc_u32_e32 v28, 0, v24
	v_cvt_f32_i32_e32 v24, v24
	s_or_b32 vcc_lo, s14, vcc_lo
	v_ldexp_f32 v27, v27, v28
	v_ldexp_f32 v25, v25, v28
	s_delay_alu instid0(VALU_DEP_2) | instskip(NEXT) | instid1(VALU_DEP_1)
	v_add_f32_e32 v30, 1.0, v27
	v_dual_add_f32 v28, -1.0, v27 :: v_dual_add_f32 v29, -1.0, v30
	s_delay_alu instid0(VALU_DEP_1) | instskip(NEXT) | instid1(VALU_DEP_2)
	v_add_f32_e32 v31, 1.0, v28
	v_sub_f32_e32 v29, v27, v29
	s_delay_alu instid0(VALU_DEP_2) | instskip(NEXT) | instid1(VALU_DEP_2)
	v_sub_f32_e32 v27, v27, v31
	v_add_f32_e32 v29, v25, v29
	s_delay_alu instid0(VALU_DEP_2) | instskip(NEXT) | instid1(VALU_DEP_1)
	v_add_f32_e32 v25, v25, v27
	v_add_f32_e32 v32, v28, v25
	s_delay_alu instid0(VALU_DEP_1) | instskip(NEXT) | instid1(VALU_DEP_1)
	v_dual_add_f32 v31, v30, v29 :: v_dual_sub_f32 v28, v28, v32
	v_rcp_f32_e32 v27, v31
	v_sub_f32_e32 v30, v30, v31
	s_delay_alu instid0(VALU_DEP_1) | instskip(SKIP_2) | instid1(VALU_DEP_1)
	v_add_f32_e32 v29, v29, v30
	s_waitcnt_depctr 0xfff
	v_mul_f32_e32 v33, v32, v27
	v_mul_f32_e32 v34, v31, v33
	s_delay_alu instid0(VALU_DEP_1) | instskip(NEXT) | instid1(VALU_DEP_1)
	v_fma_f32 v30, v33, v31, -v34
	v_fmac_f32_e32 v30, v33, v29
	s_delay_alu instid0(VALU_DEP_1) | instskip(NEXT) | instid1(VALU_DEP_1)
	v_add_f32_e32 v35, v34, v30
	v_sub_f32_e32 v36, v32, v35
	s_delay_alu instid0(VALU_DEP_1) | instskip(SKIP_1) | instid1(VALU_DEP_2)
	v_sub_f32_e32 v32, v32, v36
	v_dual_add_f32 v25, v25, v28 :: v_dual_sub_f32 v28, v35, v34
	v_sub_f32_e32 v32, v32, v35
	s_delay_alu instid0(VALU_DEP_1) | instskip(NEXT) | instid1(VALU_DEP_1)
	v_dual_sub_f32 v28, v28, v30 :: v_dual_add_f32 v25, v25, v32
	v_add_f32_e32 v25, v28, v25
	s_delay_alu instid0(VALU_DEP_1) | instskip(NEXT) | instid1(VALU_DEP_1)
	v_add_f32_e32 v28, v36, v25
	v_mul_f32_e32 v30, v27, v28
	s_delay_alu instid0(VALU_DEP_1) | instskip(NEXT) | instid1(VALU_DEP_1)
	v_dual_sub_f32 v35, v36, v28 :: v_dual_mul_f32 v32, v31, v30
	v_add_f32_e32 v25, v25, v35
	s_delay_alu instid0(VALU_DEP_2) | instskip(NEXT) | instid1(VALU_DEP_1)
	v_fma_f32 v31, v30, v31, -v32
	v_fmac_f32_e32 v31, v30, v29
	s_delay_alu instid0(VALU_DEP_1) | instskip(NEXT) | instid1(VALU_DEP_1)
	v_add_f32_e32 v29, v32, v31
	v_sub_f32_e32 v34, v28, v29
	s_delay_alu instid0(VALU_DEP_1) | instskip(NEXT) | instid1(VALU_DEP_1)
	v_sub_f32_e32 v28, v28, v34
	v_sub_f32_e32 v28, v28, v29
	s_delay_alu instid0(VALU_DEP_1) | instskip(SKIP_2) | instid1(VALU_DEP_1)
	v_add_f32_e32 v25, v25, v28
	v_add_f32_e32 v28, v33, v30
	v_sub_f32_e32 v32, v29, v32
	v_sub_f32_e32 v29, v32, v31
	s_delay_alu instid0(VALU_DEP_1) | instskip(NEXT) | instid1(VALU_DEP_4)
	v_add_f32_e32 v25, v29, v25
	v_sub_f32_e32 v29, v28, v33
	s_delay_alu instid0(VALU_DEP_2) | instskip(NEXT) | instid1(VALU_DEP_2)
	v_add_f32_e32 v25, v34, v25
	v_sub_f32_e32 v29, v30, v29
	s_delay_alu instid0(VALU_DEP_2) | instskip(NEXT) | instid1(VALU_DEP_1)
	v_mul_f32_e32 v25, v27, v25
	v_add_f32_e32 v25, v29, v25
	s_delay_alu instid0(VALU_DEP_1) | instskip(NEXT) | instid1(VALU_DEP_1)
	v_add_f32_e32 v27, v28, v25
	v_mul_f32_e32 v29, v27, v27
	s_delay_alu instid0(VALU_DEP_1) | instskip(SKIP_1) | instid1(VALU_DEP_2)
	v_fmaak_f32 v30, s54, v29, 0x3ecc95a3
	v_mul_f32_e32 v31, v27, v29
	v_fmaak_f32 v29, v29, v30, 0x3f2aaada
	v_ldexp_f32 v30, v27, 1
	s_delay_alu instid0(VALU_DEP_2) | instskip(SKIP_1) | instid1(VALU_DEP_2)
	v_mul_f32_e32 v29, v31, v29
	v_sub_f32_e32 v27, v27, v28
	v_dual_mul_f32 v31, 0x3f317218, v24 :: v_dual_add_f32 v28, v30, v29
	s_delay_alu instid0(VALU_DEP_2) | instskip(NEXT) | instid1(VALU_DEP_2)
	v_sub_f32_e32 v25, v25, v27
	v_sub_f32_e32 v27, v28, v30
	s_delay_alu instid0(VALU_DEP_3) | instskip(NEXT) | instid1(VALU_DEP_3)
	v_fma_f32 v30, 0x3f317218, v24, -v31
	v_ldexp_f32 v25, v25, 1
	s_delay_alu instid0(VALU_DEP_2) | instskip(NEXT) | instid1(VALU_DEP_1)
	v_dual_sub_f32 v27, v29, v27 :: v_dual_fmac_f32 v30, 0xb102e308, v24
	v_dual_add_f32 v24, v25, v27 :: v_dual_add_f32 v25, v31, v30
	s_delay_alu instid0(VALU_DEP_1) | instskip(NEXT) | instid1(VALU_DEP_1)
	v_add_f32_e32 v27, v28, v24
	v_dual_add_f32 v29, v25, v27 :: v_dual_sub_f32 v28, v27, v28
	s_delay_alu instid0(VALU_DEP_1) | instskip(NEXT) | instid1(VALU_DEP_2)
	v_sub_f32_e32 v32, v29, v25
	v_dual_sub_f32 v31, v25, v31 :: v_dual_sub_f32 v24, v24, v28
	s_delay_alu instid0(VALU_DEP_1) | instskip(SKIP_1) | instid1(VALU_DEP_2)
	v_dual_sub_f32 v33, v29, v32 :: v_dual_sub_f32 v30, v30, v31
	v_sub_f32_e32 v27, v27, v32
	v_dual_sub_f32 v25, v25, v33 :: v_dual_add_f32 v28, v30, v24
	s_delay_alu instid0(VALU_DEP_1) | instskip(NEXT) | instid1(VALU_DEP_2)
	v_add_f32_e32 v25, v27, v25
	v_sub_f32_e32 v27, v28, v30
	s_delay_alu instid0(VALU_DEP_2) | instskip(NEXT) | instid1(VALU_DEP_2)
	v_add_f32_e32 v25, v28, v25
	v_sub_f32_e32 v28, v28, v27
	s_delay_alu instid0(VALU_DEP_2) | instskip(NEXT) | instid1(VALU_DEP_1)
	v_dual_sub_f32 v24, v24, v27 :: v_dual_add_f32 v31, v29, v25
	v_dual_sub_f32 v28, v30, v28 :: v_dual_sub_f32 v27, v31, v29
	s_delay_alu instid0(VALU_DEP_1) | instskip(NEXT) | instid1(VALU_DEP_1)
	v_dual_add_f32 v24, v24, v28 :: v_dual_sub_f32 v25, v25, v27
	v_add_f32_e32 v24, v24, v25
	s_delay_alu instid0(VALU_DEP_1) | instskip(NEXT) | instid1(VALU_DEP_1)
	v_add_f32_e32 v24, v31, v24
	v_cndmask_b32_e32 v99, v24, v26, vcc_lo
.LBB121_44:                             ;   in Loop: Header=BB121_12 Depth=1
	s_or_b32 exec_lo, exec_lo, s16
	v_cvt_f32_f16_e32 v24, v10
	s_delay_alu instid0(VALU_DEP_1) | instskip(NEXT) | instid1(VALU_DEP_1)
	v_add_f32_e32 v102, s57, v24
	v_cmp_ge_f32_e32 vcc_lo, 0x41a00000, v102
	s_and_b32 s14, s67, vcc_lo
	s_delay_alu instid0(SALU_CYCLE_1)
	s_and_saveexec_b32 s16, s14
	s_cbranch_execz .LBB121_46
; %bb.45:                               ;   in Loop: Header=BB121_12 Depth=1
	v_mul_f32_e32 v24, 0x3fb8aa3b, v102
	v_cmp_ngt_f32_e32 vcc_lo, 0xc2ce8ed0, v102
	s_delay_alu instid0(VALU_DEP_2) | instskip(SKIP_1) | instid1(VALU_DEP_2)
	v_rndne_f32_e32 v25, v24
	v_fma_f32 v26, 0x3fb8aa3b, v102, -v24
	v_sub_f32_e32 v24, v24, v25
	s_delay_alu instid0(VALU_DEP_2) | instskip(SKIP_1) | instid1(VALU_DEP_2)
	v_fmac_f32_e32 v26, 0x32a5705f, v102
	v_cvt_i32_f32_e32 v25, v25
	v_add_f32_e32 v24, v24, v26
	s_delay_alu instid0(VALU_DEP_1) | instskip(SKIP_2) | instid1(VALU_DEP_1)
	v_exp_f32_e32 v24, v24
	s_waitcnt_depctr 0xfff
	v_ldexp_f32 v24, v24, v25
	v_cndmask_b32_e32 v24, 0, v24, vcc_lo
	v_cmp_nlt_f32_e32 vcc_lo, 0x42b17218, v102
	s_delay_alu instid0(VALU_DEP_2) | instskip(NEXT) | instid1(VALU_DEP_1)
	v_cndmask_b32_e32 v26, 0x7f800000, v24, vcc_lo
	v_add_f32_e32 v27, 1.0, v26
	s_delay_alu instid0(VALU_DEP_1) | instskip(NEXT) | instid1(VALU_DEP_1)
	v_cvt_f64_f32_e32 v[24:25], v27
	v_frexp_exp_i32_f64_e32 v24, v[24:25]
	v_frexp_mant_f32_e32 v25, v27
	s_delay_alu instid0(VALU_DEP_1) | instskip(SKIP_1) | instid1(VALU_DEP_1)
	v_cmp_gt_f32_e32 vcc_lo, 0x3f2aaaab, v25
	v_add_f32_e32 v25, -1.0, v27
	v_sub_f32_e32 v29, v25, v27
	v_sub_f32_e32 v25, v26, v25
	s_delay_alu instid0(VALU_DEP_2) | instskip(NEXT) | instid1(VALU_DEP_1)
	v_add_f32_e32 v29, 1.0, v29
	v_add_f32_e32 v25, v25, v29
	v_cmp_gt_f32_e64 s14, 0x33800000, v26
	v_subrev_co_ci_u32_e32 v24, vcc_lo, 0, v24, vcc_lo
	v_cmp_eq_f32_e32 vcc_lo, 0x7f800000, v26
	s_delay_alu instid0(VALU_DEP_2) | instskip(SKIP_2) | instid1(VALU_DEP_2)
	v_sub_nc_u32_e32 v28, 0, v24
	v_cvt_f32_i32_e32 v24, v24
	s_or_b32 vcc_lo, s14, vcc_lo
	v_ldexp_f32 v27, v27, v28
	v_ldexp_f32 v25, v25, v28
	s_delay_alu instid0(VALU_DEP_2) | instskip(NEXT) | instid1(VALU_DEP_1)
	v_add_f32_e32 v30, 1.0, v27
	v_dual_add_f32 v28, -1.0, v27 :: v_dual_add_f32 v29, -1.0, v30
	s_delay_alu instid0(VALU_DEP_1) | instskip(NEXT) | instid1(VALU_DEP_2)
	v_add_f32_e32 v31, 1.0, v28
	v_sub_f32_e32 v29, v27, v29
	s_delay_alu instid0(VALU_DEP_2) | instskip(NEXT) | instid1(VALU_DEP_2)
	v_sub_f32_e32 v27, v27, v31
	v_add_f32_e32 v29, v25, v29
	s_delay_alu instid0(VALU_DEP_2) | instskip(NEXT) | instid1(VALU_DEP_1)
	v_add_f32_e32 v25, v25, v27
	v_add_f32_e32 v32, v28, v25
	s_delay_alu instid0(VALU_DEP_1) | instskip(NEXT) | instid1(VALU_DEP_1)
	v_dual_add_f32 v31, v30, v29 :: v_dual_sub_f32 v28, v28, v32
	v_rcp_f32_e32 v27, v31
	v_sub_f32_e32 v30, v30, v31
	s_delay_alu instid0(VALU_DEP_1) | instskip(SKIP_2) | instid1(VALU_DEP_1)
	v_add_f32_e32 v29, v29, v30
	s_waitcnt_depctr 0xfff
	v_mul_f32_e32 v33, v32, v27
	v_mul_f32_e32 v34, v31, v33
	s_delay_alu instid0(VALU_DEP_1) | instskip(NEXT) | instid1(VALU_DEP_1)
	v_fma_f32 v30, v33, v31, -v34
	v_fmac_f32_e32 v30, v33, v29
	s_delay_alu instid0(VALU_DEP_1) | instskip(NEXT) | instid1(VALU_DEP_1)
	v_add_f32_e32 v35, v34, v30
	v_sub_f32_e32 v36, v32, v35
	s_delay_alu instid0(VALU_DEP_1) | instskip(SKIP_1) | instid1(VALU_DEP_2)
	v_sub_f32_e32 v32, v32, v36
	v_dual_add_f32 v25, v25, v28 :: v_dual_sub_f32 v28, v35, v34
	v_sub_f32_e32 v32, v32, v35
	s_delay_alu instid0(VALU_DEP_1) | instskip(NEXT) | instid1(VALU_DEP_1)
	v_dual_sub_f32 v28, v28, v30 :: v_dual_add_f32 v25, v25, v32
	v_add_f32_e32 v25, v28, v25
	s_delay_alu instid0(VALU_DEP_1) | instskip(NEXT) | instid1(VALU_DEP_1)
	v_add_f32_e32 v28, v36, v25
	v_mul_f32_e32 v30, v27, v28
	s_delay_alu instid0(VALU_DEP_1) | instskip(NEXT) | instid1(VALU_DEP_1)
	v_dual_sub_f32 v35, v36, v28 :: v_dual_mul_f32 v32, v31, v30
	v_add_f32_e32 v25, v25, v35
	s_delay_alu instid0(VALU_DEP_2) | instskip(NEXT) | instid1(VALU_DEP_1)
	v_fma_f32 v31, v30, v31, -v32
	v_fmac_f32_e32 v31, v30, v29
	s_delay_alu instid0(VALU_DEP_1) | instskip(NEXT) | instid1(VALU_DEP_1)
	v_add_f32_e32 v29, v32, v31
	v_sub_f32_e32 v34, v28, v29
	s_delay_alu instid0(VALU_DEP_1) | instskip(NEXT) | instid1(VALU_DEP_1)
	v_sub_f32_e32 v28, v28, v34
	v_sub_f32_e32 v28, v28, v29
	s_delay_alu instid0(VALU_DEP_1) | instskip(SKIP_2) | instid1(VALU_DEP_1)
	v_add_f32_e32 v25, v25, v28
	v_add_f32_e32 v28, v33, v30
	v_sub_f32_e32 v32, v29, v32
	v_sub_f32_e32 v29, v32, v31
	s_delay_alu instid0(VALU_DEP_1) | instskip(NEXT) | instid1(VALU_DEP_4)
	v_add_f32_e32 v25, v29, v25
	v_sub_f32_e32 v29, v28, v33
	s_delay_alu instid0(VALU_DEP_2) | instskip(NEXT) | instid1(VALU_DEP_2)
	v_add_f32_e32 v25, v34, v25
	v_sub_f32_e32 v29, v30, v29
	s_delay_alu instid0(VALU_DEP_2) | instskip(NEXT) | instid1(VALU_DEP_1)
	v_mul_f32_e32 v25, v27, v25
	v_add_f32_e32 v25, v29, v25
	s_delay_alu instid0(VALU_DEP_1) | instskip(NEXT) | instid1(VALU_DEP_1)
	v_add_f32_e32 v27, v28, v25
	v_mul_f32_e32 v29, v27, v27
	s_delay_alu instid0(VALU_DEP_1) | instskip(SKIP_1) | instid1(VALU_DEP_2)
	v_fmaak_f32 v30, s54, v29, 0x3ecc95a3
	v_mul_f32_e32 v31, v27, v29
	v_fmaak_f32 v29, v29, v30, 0x3f2aaada
	v_ldexp_f32 v30, v27, 1
	s_delay_alu instid0(VALU_DEP_2) | instskip(SKIP_1) | instid1(VALU_DEP_2)
	v_mul_f32_e32 v29, v31, v29
	v_sub_f32_e32 v27, v27, v28
	v_dual_mul_f32 v31, 0x3f317218, v24 :: v_dual_add_f32 v28, v30, v29
	s_delay_alu instid0(VALU_DEP_2) | instskip(NEXT) | instid1(VALU_DEP_2)
	v_sub_f32_e32 v25, v25, v27
	v_sub_f32_e32 v27, v28, v30
	s_delay_alu instid0(VALU_DEP_3) | instskip(NEXT) | instid1(VALU_DEP_3)
	v_fma_f32 v30, 0x3f317218, v24, -v31
	v_ldexp_f32 v25, v25, 1
	s_delay_alu instid0(VALU_DEP_2) | instskip(NEXT) | instid1(VALU_DEP_1)
	v_dual_sub_f32 v27, v29, v27 :: v_dual_fmac_f32 v30, 0xb102e308, v24
	v_dual_add_f32 v24, v25, v27 :: v_dual_add_f32 v25, v31, v30
	s_delay_alu instid0(VALU_DEP_1) | instskip(NEXT) | instid1(VALU_DEP_1)
	v_add_f32_e32 v27, v28, v24
	v_dual_add_f32 v29, v25, v27 :: v_dual_sub_f32 v28, v27, v28
	s_delay_alu instid0(VALU_DEP_1) | instskip(NEXT) | instid1(VALU_DEP_2)
	v_sub_f32_e32 v32, v29, v25
	v_dual_sub_f32 v31, v25, v31 :: v_dual_sub_f32 v24, v24, v28
	s_delay_alu instid0(VALU_DEP_1) | instskip(SKIP_1) | instid1(VALU_DEP_2)
	v_dual_sub_f32 v33, v29, v32 :: v_dual_sub_f32 v30, v30, v31
	v_sub_f32_e32 v27, v27, v32
	v_dual_sub_f32 v25, v25, v33 :: v_dual_add_f32 v28, v30, v24
	s_delay_alu instid0(VALU_DEP_1) | instskip(NEXT) | instid1(VALU_DEP_2)
	v_add_f32_e32 v25, v27, v25
	v_sub_f32_e32 v27, v28, v30
	s_delay_alu instid0(VALU_DEP_2) | instskip(NEXT) | instid1(VALU_DEP_2)
	v_add_f32_e32 v25, v28, v25
	v_sub_f32_e32 v28, v28, v27
	s_delay_alu instid0(VALU_DEP_2) | instskip(NEXT) | instid1(VALU_DEP_1)
	v_dual_sub_f32 v24, v24, v27 :: v_dual_add_f32 v31, v29, v25
	v_dual_sub_f32 v28, v30, v28 :: v_dual_sub_f32 v27, v31, v29
	s_delay_alu instid0(VALU_DEP_1) | instskip(NEXT) | instid1(VALU_DEP_1)
	v_dual_add_f32 v24, v24, v28 :: v_dual_sub_f32 v25, v25, v27
	v_add_f32_e32 v24, v24, v25
	s_delay_alu instid0(VALU_DEP_1) | instskip(NEXT) | instid1(VALU_DEP_1)
	v_add_f32_e32 v24, v31, v24
	v_cndmask_b32_e32 v102, v24, v26, vcc_lo
.LBB121_46:                             ;   in Loop: Header=BB121_12 Depth=1
	s_or_b32 exec_lo, exec_lo, s16
	v_lshrrev_b32_e32 v24, 16, v10
	s_delay_alu instid0(VALU_DEP_1) | instskip(NEXT) | instid1(VALU_DEP_1)
	v_cvt_f32_f16_e32 v24, v24
	v_add_f32_e32 v104, s57, v24
	s_delay_alu instid0(VALU_DEP_1) | instskip(SKIP_1) | instid1(SALU_CYCLE_1)
	v_cmp_ge_f32_e32 vcc_lo, 0x41a00000, v104
	s_and_b32 s14, s67, vcc_lo
	s_and_saveexec_b32 s16, s14
	s_cbranch_execz .LBB121_48
; %bb.47:                               ;   in Loop: Header=BB121_12 Depth=1
	v_mul_f32_e32 v24, 0x3fb8aa3b, v104
	v_cmp_ngt_f32_e32 vcc_lo, 0xc2ce8ed0, v104
	s_delay_alu instid0(VALU_DEP_2) | instskip(SKIP_1) | instid1(VALU_DEP_2)
	v_rndne_f32_e32 v25, v24
	v_fma_f32 v26, 0x3fb8aa3b, v104, -v24
	v_sub_f32_e32 v24, v24, v25
	s_delay_alu instid0(VALU_DEP_2) | instskip(SKIP_1) | instid1(VALU_DEP_2)
	v_fmac_f32_e32 v26, 0x32a5705f, v104
	v_cvt_i32_f32_e32 v25, v25
	v_add_f32_e32 v24, v24, v26
	s_delay_alu instid0(VALU_DEP_1) | instskip(SKIP_2) | instid1(VALU_DEP_1)
	v_exp_f32_e32 v24, v24
	s_waitcnt_depctr 0xfff
	v_ldexp_f32 v24, v24, v25
	v_cndmask_b32_e32 v24, 0, v24, vcc_lo
	v_cmp_nlt_f32_e32 vcc_lo, 0x42b17218, v104
	s_delay_alu instid0(VALU_DEP_2) | instskip(NEXT) | instid1(VALU_DEP_1)
	v_cndmask_b32_e32 v26, 0x7f800000, v24, vcc_lo
	v_add_f32_e32 v27, 1.0, v26
	s_delay_alu instid0(VALU_DEP_1) | instskip(NEXT) | instid1(VALU_DEP_1)
	v_cvt_f64_f32_e32 v[24:25], v27
	v_frexp_exp_i32_f64_e32 v24, v[24:25]
	v_frexp_mant_f32_e32 v25, v27
	s_delay_alu instid0(VALU_DEP_1) | instskip(SKIP_1) | instid1(VALU_DEP_1)
	v_cmp_gt_f32_e32 vcc_lo, 0x3f2aaaab, v25
	v_add_f32_e32 v25, -1.0, v27
	v_sub_f32_e32 v29, v25, v27
	v_sub_f32_e32 v25, v26, v25
	s_delay_alu instid0(VALU_DEP_2) | instskip(NEXT) | instid1(VALU_DEP_1)
	v_add_f32_e32 v29, 1.0, v29
	v_add_f32_e32 v25, v25, v29
	v_cmp_gt_f32_e64 s14, 0x33800000, v26
	v_subrev_co_ci_u32_e32 v24, vcc_lo, 0, v24, vcc_lo
	v_cmp_eq_f32_e32 vcc_lo, 0x7f800000, v26
	s_delay_alu instid0(VALU_DEP_2) | instskip(SKIP_2) | instid1(VALU_DEP_2)
	v_sub_nc_u32_e32 v28, 0, v24
	v_cvt_f32_i32_e32 v24, v24
	s_or_b32 vcc_lo, s14, vcc_lo
	v_ldexp_f32 v27, v27, v28
	v_ldexp_f32 v25, v25, v28
	s_delay_alu instid0(VALU_DEP_2) | instskip(NEXT) | instid1(VALU_DEP_1)
	v_add_f32_e32 v30, 1.0, v27
	v_dual_add_f32 v28, -1.0, v27 :: v_dual_add_f32 v29, -1.0, v30
	s_delay_alu instid0(VALU_DEP_1) | instskip(NEXT) | instid1(VALU_DEP_2)
	v_add_f32_e32 v31, 1.0, v28
	v_sub_f32_e32 v29, v27, v29
	s_delay_alu instid0(VALU_DEP_2) | instskip(NEXT) | instid1(VALU_DEP_2)
	v_sub_f32_e32 v27, v27, v31
	v_add_f32_e32 v29, v25, v29
	s_delay_alu instid0(VALU_DEP_2) | instskip(NEXT) | instid1(VALU_DEP_1)
	v_add_f32_e32 v25, v25, v27
	v_add_f32_e32 v32, v28, v25
	s_delay_alu instid0(VALU_DEP_1) | instskip(NEXT) | instid1(VALU_DEP_1)
	v_dual_add_f32 v31, v30, v29 :: v_dual_sub_f32 v28, v28, v32
	v_rcp_f32_e32 v27, v31
	v_sub_f32_e32 v30, v30, v31
	s_delay_alu instid0(VALU_DEP_1) | instskip(SKIP_2) | instid1(VALU_DEP_1)
	v_add_f32_e32 v29, v29, v30
	s_waitcnt_depctr 0xfff
	v_mul_f32_e32 v33, v32, v27
	v_mul_f32_e32 v34, v31, v33
	s_delay_alu instid0(VALU_DEP_1) | instskip(NEXT) | instid1(VALU_DEP_1)
	v_fma_f32 v30, v33, v31, -v34
	v_fmac_f32_e32 v30, v33, v29
	s_delay_alu instid0(VALU_DEP_1) | instskip(NEXT) | instid1(VALU_DEP_1)
	v_add_f32_e32 v35, v34, v30
	v_sub_f32_e32 v36, v32, v35
	s_delay_alu instid0(VALU_DEP_1) | instskip(SKIP_1) | instid1(VALU_DEP_2)
	v_sub_f32_e32 v32, v32, v36
	v_dual_add_f32 v25, v25, v28 :: v_dual_sub_f32 v28, v35, v34
	v_sub_f32_e32 v32, v32, v35
	s_delay_alu instid0(VALU_DEP_1) | instskip(NEXT) | instid1(VALU_DEP_1)
	v_dual_sub_f32 v28, v28, v30 :: v_dual_add_f32 v25, v25, v32
	v_add_f32_e32 v25, v28, v25
	s_delay_alu instid0(VALU_DEP_1) | instskip(NEXT) | instid1(VALU_DEP_1)
	v_add_f32_e32 v28, v36, v25
	v_mul_f32_e32 v30, v27, v28
	s_delay_alu instid0(VALU_DEP_1) | instskip(NEXT) | instid1(VALU_DEP_1)
	v_dual_sub_f32 v35, v36, v28 :: v_dual_mul_f32 v32, v31, v30
	v_add_f32_e32 v25, v25, v35
	s_delay_alu instid0(VALU_DEP_2) | instskip(NEXT) | instid1(VALU_DEP_1)
	v_fma_f32 v31, v30, v31, -v32
	v_fmac_f32_e32 v31, v30, v29
	s_delay_alu instid0(VALU_DEP_1) | instskip(NEXT) | instid1(VALU_DEP_1)
	v_add_f32_e32 v29, v32, v31
	v_sub_f32_e32 v34, v28, v29
	s_delay_alu instid0(VALU_DEP_1) | instskip(NEXT) | instid1(VALU_DEP_1)
	v_sub_f32_e32 v28, v28, v34
	v_sub_f32_e32 v28, v28, v29
	s_delay_alu instid0(VALU_DEP_1) | instskip(SKIP_2) | instid1(VALU_DEP_1)
	v_add_f32_e32 v25, v25, v28
	v_add_f32_e32 v28, v33, v30
	v_sub_f32_e32 v32, v29, v32
	v_sub_f32_e32 v29, v32, v31
	s_delay_alu instid0(VALU_DEP_1) | instskip(NEXT) | instid1(VALU_DEP_4)
	v_add_f32_e32 v25, v29, v25
	v_sub_f32_e32 v29, v28, v33
	s_delay_alu instid0(VALU_DEP_2) | instskip(NEXT) | instid1(VALU_DEP_2)
	v_add_f32_e32 v25, v34, v25
	v_sub_f32_e32 v29, v30, v29
	s_delay_alu instid0(VALU_DEP_2) | instskip(NEXT) | instid1(VALU_DEP_1)
	v_mul_f32_e32 v25, v27, v25
	v_add_f32_e32 v25, v29, v25
	s_delay_alu instid0(VALU_DEP_1) | instskip(NEXT) | instid1(VALU_DEP_1)
	v_add_f32_e32 v27, v28, v25
	v_mul_f32_e32 v29, v27, v27
	s_delay_alu instid0(VALU_DEP_1) | instskip(SKIP_1) | instid1(VALU_DEP_2)
	v_fmaak_f32 v30, s54, v29, 0x3ecc95a3
	v_mul_f32_e32 v31, v27, v29
	v_fmaak_f32 v29, v29, v30, 0x3f2aaada
	v_ldexp_f32 v30, v27, 1
	s_delay_alu instid0(VALU_DEP_2) | instskip(SKIP_1) | instid1(VALU_DEP_2)
	v_mul_f32_e32 v29, v31, v29
	v_sub_f32_e32 v27, v27, v28
	v_dual_mul_f32 v31, 0x3f317218, v24 :: v_dual_add_f32 v28, v30, v29
	s_delay_alu instid0(VALU_DEP_2) | instskip(NEXT) | instid1(VALU_DEP_2)
	v_sub_f32_e32 v25, v25, v27
	v_sub_f32_e32 v27, v28, v30
	s_delay_alu instid0(VALU_DEP_3) | instskip(NEXT) | instid1(VALU_DEP_3)
	v_fma_f32 v30, 0x3f317218, v24, -v31
	v_ldexp_f32 v25, v25, 1
	s_delay_alu instid0(VALU_DEP_2) | instskip(NEXT) | instid1(VALU_DEP_1)
	v_dual_sub_f32 v27, v29, v27 :: v_dual_fmac_f32 v30, 0xb102e308, v24
	v_dual_add_f32 v24, v25, v27 :: v_dual_add_f32 v25, v31, v30
	s_delay_alu instid0(VALU_DEP_1) | instskip(NEXT) | instid1(VALU_DEP_1)
	v_add_f32_e32 v27, v28, v24
	v_dual_add_f32 v29, v25, v27 :: v_dual_sub_f32 v28, v27, v28
	s_delay_alu instid0(VALU_DEP_1) | instskip(NEXT) | instid1(VALU_DEP_2)
	v_sub_f32_e32 v32, v29, v25
	v_dual_sub_f32 v31, v25, v31 :: v_dual_sub_f32 v24, v24, v28
	s_delay_alu instid0(VALU_DEP_1) | instskip(SKIP_1) | instid1(VALU_DEP_2)
	v_dual_sub_f32 v33, v29, v32 :: v_dual_sub_f32 v30, v30, v31
	v_sub_f32_e32 v27, v27, v32
	v_dual_sub_f32 v25, v25, v33 :: v_dual_add_f32 v28, v30, v24
	s_delay_alu instid0(VALU_DEP_1) | instskip(NEXT) | instid1(VALU_DEP_2)
	v_add_f32_e32 v25, v27, v25
	v_sub_f32_e32 v27, v28, v30
	s_delay_alu instid0(VALU_DEP_2) | instskip(NEXT) | instid1(VALU_DEP_2)
	v_add_f32_e32 v25, v28, v25
	v_sub_f32_e32 v28, v28, v27
	s_delay_alu instid0(VALU_DEP_2) | instskip(NEXT) | instid1(VALU_DEP_1)
	v_dual_sub_f32 v24, v24, v27 :: v_dual_add_f32 v31, v29, v25
	v_dual_sub_f32 v28, v30, v28 :: v_dual_sub_f32 v27, v31, v29
	s_delay_alu instid0(VALU_DEP_1) | instskip(NEXT) | instid1(VALU_DEP_1)
	v_dual_add_f32 v24, v24, v28 :: v_dual_sub_f32 v25, v25, v27
	v_add_f32_e32 v24, v24, v25
	s_delay_alu instid0(VALU_DEP_1) | instskip(NEXT) | instid1(VALU_DEP_1)
	v_add_f32_e32 v24, v31, v24
	v_cndmask_b32_e32 v104, v24, v26, vcc_lo
.LBB121_48:                             ;   in Loop: Header=BB121_12 Depth=1
	s_or_b32 exec_lo, exec_lo, s16
	v_cvt_f32_f16_e32 v24, v11
	s_delay_alu instid0(VALU_DEP_1) | instskip(NEXT) | instid1(VALU_DEP_1)
	v_add_f32_e32 v105, s57, v24
	v_cmp_ge_f32_e32 vcc_lo, 0x41a00000, v105
	s_and_b32 s14, s67, vcc_lo
	s_delay_alu instid0(SALU_CYCLE_1)
	s_and_saveexec_b32 s16, s14
	s_cbranch_execz .LBB121_50
; %bb.49:                               ;   in Loop: Header=BB121_12 Depth=1
	v_mul_f32_e32 v24, 0x3fb8aa3b, v105
	v_cmp_ngt_f32_e32 vcc_lo, 0xc2ce8ed0, v105
	s_delay_alu instid0(VALU_DEP_2) | instskip(SKIP_1) | instid1(VALU_DEP_2)
	v_rndne_f32_e32 v25, v24
	v_fma_f32 v26, 0x3fb8aa3b, v105, -v24
	v_sub_f32_e32 v24, v24, v25
	s_delay_alu instid0(VALU_DEP_2) | instskip(SKIP_1) | instid1(VALU_DEP_2)
	v_fmac_f32_e32 v26, 0x32a5705f, v105
	v_cvt_i32_f32_e32 v25, v25
	v_add_f32_e32 v24, v24, v26
	s_delay_alu instid0(VALU_DEP_1) | instskip(SKIP_2) | instid1(VALU_DEP_1)
	v_exp_f32_e32 v24, v24
	s_waitcnt_depctr 0xfff
	v_ldexp_f32 v24, v24, v25
	v_cndmask_b32_e32 v24, 0, v24, vcc_lo
	v_cmp_nlt_f32_e32 vcc_lo, 0x42b17218, v105
	s_delay_alu instid0(VALU_DEP_2) | instskip(NEXT) | instid1(VALU_DEP_1)
	v_cndmask_b32_e32 v26, 0x7f800000, v24, vcc_lo
	v_add_f32_e32 v27, 1.0, v26
	s_delay_alu instid0(VALU_DEP_1) | instskip(NEXT) | instid1(VALU_DEP_1)
	v_cvt_f64_f32_e32 v[24:25], v27
	v_frexp_exp_i32_f64_e32 v24, v[24:25]
	v_frexp_mant_f32_e32 v25, v27
	s_delay_alu instid0(VALU_DEP_1) | instskip(SKIP_1) | instid1(VALU_DEP_1)
	v_cmp_gt_f32_e32 vcc_lo, 0x3f2aaaab, v25
	v_add_f32_e32 v25, -1.0, v27
	v_sub_f32_e32 v29, v25, v27
	v_sub_f32_e32 v25, v26, v25
	s_delay_alu instid0(VALU_DEP_2) | instskip(NEXT) | instid1(VALU_DEP_1)
	v_add_f32_e32 v29, 1.0, v29
	v_add_f32_e32 v25, v25, v29
	v_cmp_gt_f32_e64 s14, 0x33800000, v26
	v_subrev_co_ci_u32_e32 v24, vcc_lo, 0, v24, vcc_lo
	v_cmp_eq_f32_e32 vcc_lo, 0x7f800000, v26
	s_delay_alu instid0(VALU_DEP_2) | instskip(SKIP_2) | instid1(VALU_DEP_2)
	v_sub_nc_u32_e32 v28, 0, v24
	v_cvt_f32_i32_e32 v24, v24
	s_or_b32 vcc_lo, s14, vcc_lo
	v_ldexp_f32 v27, v27, v28
	v_ldexp_f32 v25, v25, v28
	s_delay_alu instid0(VALU_DEP_2) | instskip(NEXT) | instid1(VALU_DEP_1)
	v_add_f32_e32 v30, 1.0, v27
	v_dual_add_f32 v28, -1.0, v27 :: v_dual_add_f32 v29, -1.0, v30
	s_delay_alu instid0(VALU_DEP_1) | instskip(NEXT) | instid1(VALU_DEP_2)
	v_add_f32_e32 v31, 1.0, v28
	v_sub_f32_e32 v29, v27, v29
	s_delay_alu instid0(VALU_DEP_2) | instskip(NEXT) | instid1(VALU_DEP_2)
	v_sub_f32_e32 v27, v27, v31
	v_add_f32_e32 v29, v25, v29
	s_delay_alu instid0(VALU_DEP_2) | instskip(NEXT) | instid1(VALU_DEP_1)
	v_add_f32_e32 v25, v25, v27
	v_add_f32_e32 v32, v28, v25
	s_delay_alu instid0(VALU_DEP_1) | instskip(NEXT) | instid1(VALU_DEP_1)
	v_dual_add_f32 v31, v30, v29 :: v_dual_sub_f32 v28, v28, v32
	v_rcp_f32_e32 v27, v31
	v_sub_f32_e32 v30, v30, v31
	s_delay_alu instid0(VALU_DEP_1) | instskip(SKIP_2) | instid1(VALU_DEP_1)
	v_add_f32_e32 v29, v29, v30
	s_waitcnt_depctr 0xfff
	v_mul_f32_e32 v33, v32, v27
	v_mul_f32_e32 v34, v31, v33
	s_delay_alu instid0(VALU_DEP_1) | instskip(NEXT) | instid1(VALU_DEP_1)
	v_fma_f32 v30, v33, v31, -v34
	v_fmac_f32_e32 v30, v33, v29
	s_delay_alu instid0(VALU_DEP_1) | instskip(NEXT) | instid1(VALU_DEP_1)
	v_add_f32_e32 v35, v34, v30
	v_sub_f32_e32 v36, v32, v35
	s_delay_alu instid0(VALU_DEP_1) | instskip(SKIP_1) | instid1(VALU_DEP_2)
	v_sub_f32_e32 v32, v32, v36
	v_dual_add_f32 v25, v25, v28 :: v_dual_sub_f32 v28, v35, v34
	v_sub_f32_e32 v32, v32, v35
	s_delay_alu instid0(VALU_DEP_1) | instskip(NEXT) | instid1(VALU_DEP_1)
	v_dual_sub_f32 v28, v28, v30 :: v_dual_add_f32 v25, v25, v32
	v_add_f32_e32 v25, v28, v25
	s_delay_alu instid0(VALU_DEP_1) | instskip(NEXT) | instid1(VALU_DEP_1)
	v_add_f32_e32 v28, v36, v25
	v_mul_f32_e32 v30, v27, v28
	s_delay_alu instid0(VALU_DEP_1) | instskip(NEXT) | instid1(VALU_DEP_1)
	v_dual_sub_f32 v35, v36, v28 :: v_dual_mul_f32 v32, v31, v30
	v_add_f32_e32 v25, v25, v35
	s_delay_alu instid0(VALU_DEP_2) | instskip(NEXT) | instid1(VALU_DEP_1)
	v_fma_f32 v31, v30, v31, -v32
	v_fmac_f32_e32 v31, v30, v29
	s_delay_alu instid0(VALU_DEP_1) | instskip(NEXT) | instid1(VALU_DEP_1)
	v_add_f32_e32 v29, v32, v31
	v_sub_f32_e32 v34, v28, v29
	s_delay_alu instid0(VALU_DEP_1) | instskip(NEXT) | instid1(VALU_DEP_1)
	v_sub_f32_e32 v28, v28, v34
	v_sub_f32_e32 v28, v28, v29
	s_delay_alu instid0(VALU_DEP_1) | instskip(SKIP_2) | instid1(VALU_DEP_1)
	v_add_f32_e32 v25, v25, v28
	v_add_f32_e32 v28, v33, v30
	v_sub_f32_e32 v32, v29, v32
	v_sub_f32_e32 v29, v32, v31
	s_delay_alu instid0(VALU_DEP_1) | instskip(NEXT) | instid1(VALU_DEP_4)
	v_add_f32_e32 v25, v29, v25
	v_sub_f32_e32 v29, v28, v33
	s_delay_alu instid0(VALU_DEP_2) | instskip(NEXT) | instid1(VALU_DEP_2)
	v_add_f32_e32 v25, v34, v25
	v_sub_f32_e32 v29, v30, v29
	s_delay_alu instid0(VALU_DEP_2) | instskip(NEXT) | instid1(VALU_DEP_1)
	v_mul_f32_e32 v25, v27, v25
	v_add_f32_e32 v25, v29, v25
	s_delay_alu instid0(VALU_DEP_1) | instskip(NEXT) | instid1(VALU_DEP_1)
	v_add_f32_e32 v27, v28, v25
	v_mul_f32_e32 v29, v27, v27
	s_delay_alu instid0(VALU_DEP_1) | instskip(SKIP_1) | instid1(VALU_DEP_2)
	v_fmaak_f32 v30, s54, v29, 0x3ecc95a3
	v_mul_f32_e32 v31, v27, v29
	v_fmaak_f32 v29, v29, v30, 0x3f2aaada
	v_ldexp_f32 v30, v27, 1
	s_delay_alu instid0(VALU_DEP_2) | instskip(SKIP_1) | instid1(VALU_DEP_2)
	v_mul_f32_e32 v29, v31, v29
	v_sub_f32_e32 v27, v27, v28
	v_dual_mul_f32 v31, 0x3f317218, v24 :: v_dual_add_f32 v28, v30, v29
	s_delay_alu instid0(VALU_DEP_2) | instskip(NEXT) | instid1(VALU_DEP_2)
	v_sub_f32_e32 v25, v25, v27
	v_sub_f32_e32 v27, v28, v30
	s_delay_alu instid0(VALU_DEP_3) | instskip(NEXT) | instid1(VALU_DEP_3)
	v_fma_f32 v30, 0x3f317218, v24, -v31
	v_ldexp_f32 v25, v25, 1
	s_delay_alu instid0(VALU_DEP_2) | instskip(NEXT) | instid1(VALU_DEP_1)
	v_dual_sub_f32 v27, v29, v27 :: v_dual_fmac_f32 v30, 0xb102e308, v24
	v_dual_add_f32 v24, v25, v27 :: v_dual_add_f32 v25, v31, v30
	s_delay_alu instid0(VALU_DEP_1) | instskip(NEXT) | instid1(VALU_DEP_1)
	v_add_f32_e32 v27, v28, v24
	v_dual_add_f32 v29, v25, v27 :: v_dual_sub_f32 v28, v27, v28
	s_delay_alu instid0(VALU_DEP_1) | instskip(NEXT) | instid1(VALU_DEP_2)
	v_sub_f32_e32 v32, v29, v25
	v_dual_sub_f32 v31, v25, v31 :: v_dual_sub_f32 v24, v24, v28
	s_delay_alu instid0(VALU_DEP_1) | instskip(SKIP_1) | instid1(VALU_DEP_2)
	v_dual_sub_f32 v33, v29, v32 :: v_dual_sub_f32 v30, v30, v31
	v_sub_f32_e32 v27, v27, v32
	v_dual_sub_f32 v25, v25, v33 :: v_dual_add_f32 v28, v30, v24
	s_delay_alu instid0(VALU_DEP_1) | instskip(NEXT) | instid1(VALU_DEP_2)
	v_add_f32_e32 v25, v27, v25
	v_sub_f32_e32 v27, v28, v30
	s_delay_alu instid0(VALU_DEP_2) | instskip(NEXT) | instid1(VALU_DEP_2)
	v_add_f32_e32 v25, v28, v25
	v_sub_f32_e32 v28, v28, v27
	s_delay_alu instid0(VALU_DEP_2) | instskip(NEXT) | instid1(VALU_DEP_1)
	v_dual_sub_f32 v24, v24, v27 :: v_dual_add_f32 v31, v29, v25
	v_dual_sub_f32 v28, v30, v28 :: v_dual_sub_f32 v27, v31, v29
	s_delay_alu instid0(VALU_DEP_1) | instskip(NEXT) | instid1(VALU_DEP_1)
	v_dual_add_f32 v24, v24, v28 :: v_dual_sub_f32 v25, v25, v27
	v_add_f32_e32 v24, v24, v25
	s_delay_alu instid0(VALU_DEP_1) | instskip(NEXT) | instid1(VALU_DEP_1)
	v_add_f32_e32 v24, v31, v24
	v_cndmask_b32_e32 v105, v24, v26, vcc_lo
.LBB121_50:                             ;   in Loop: Header=BB121_12 Depth=1
	s_or_b32 exec_lo, exec_lo, s16
	v_lshrrev_b32_e32 v24, 16, v11
	s_delay_alu instid0(VALU_DEP_1) | instskip(NEXT) | instid1(VALU_DEP_1)
	v_cvt_f32_f16_e32 v24, v24
	v_add_f32_e32 v106, s57, v24
	s_delay_alu instid0(VALU_DEP_1) | instskip(SKIP_1) | instid1(SALU_CYCLE_1)
	v_cmp_ge_f32_e32 vcc_lo, 0x41a00000, v106
	s_and_b32 s14, s67, vcc_lo
	s_and_saveexec_b32 s16, s14
	s_cbranch_execz .LBB121_52
; %bb.51:                               ;   in Loop: Header=BB121_12 Depth=1
	v_mul_f32_e32 v24, 0x3fb8aa3b, v106
	v_cmp_ngt_f32_e32 vcc_lo, 0xc2ce8ed0, v106
	s_delay_alu instid0(VALU_DEP_2) | instskip(SKIP_1) | instid1(VALU_DEP_2)
	v_rndne_f32_e32 v25, v24
	v_fma_f32 v26, 0x3fb8aa3b, v106, -v24
	v_sub_f32_e32 v24, v24, v25
	s_delay_alu instid0(VALU_DEP_2) | instskip(SKIP_1) | instid1(VALU_DEP_2)
	v_fmac_f32_e32 v26, 0x32a5705f, v106
	v_cvt_i32_f32_e32 v25, v25
	v_add_f32_e32 v24, v24, v26
	s_delay_alu instid0(VALU_DEP_1) | instskip(SKIP_2) | instid1(VALU_DEP_1)
	v_exp_f32_e32 v24, v24
	s_waitcnt_depctr 0xfff
	v_ldexp_f32 v24, v24, v25
	v_cndmask_b32_e32 v24, 0, v24, vcc_lo
	v_cmp_nlt_f32_e32 vcc_lo, 0x42b17218, v106
	s_delay_alu instid0(VALU_DEP_2) | instskip(NEXT) | instid1(VALU_DEP_1)
	v_cndmask_b32_e32 v26, 0x7f800000, v24, vcc_lo
	v_add_f32_e32 v27, 1.0, v26
	s_delay_alu instid0(VALU_DEP_1) | instskip(NEXT) | instid1(VALU_DEP_1)
	v_cvt_f64_f32_e32 v[24:25], v27
	v_frexp_exp_i32_f64_e32 v24, v[24:25]
	v_frexp_mant_f32_e32 v25, v27
	s_delay_alu instid0(VALU_DEP_1) | instskip(SKIP_1) | instid1(VALU_DEP_1)
	v_cmp_gt_f32_e32 vcc_lo, 0x3f2aaaab, v25
	v_add_f32_e32 v25, -1.0, v27
	v_sub_f32_e32 v29, v25, v27
	v_sub_f32_e32 v25, v26, v25
	s_delay_alu instid0(VALU_DEP_2) | instskip(NEXT) | instid1(VALU_DEP_1)
	v_add_f32_e32 v29, 1.0, v29
	v_add_f32_e32 v25, v25, v29
	v_cmp_gt_f32_e64 s14, 0x33800000, v26
	v_subrev_co_ci_u32_e32 v24, vcc_lo, 0, v24, vcc_lo
	v_cmp_eq_f32_e32 vcc_lo, 0x7f800000, v26
	s_delay_alu instid0(VALU_DEP_2) | instskip(SKIP_2) | instid1(VALU_DEP_2)
	v_sub_nc_u32_e32 v28, 0, v24
	v_cvt_f32_i32_e32 v24, v24
	s_or_b32 vcc_lo, s14, vcc_lo
	v_ldexp_f32 v27, v27, v28
	v_ldexp_f32 v25, v25, v28
	s_delay_alu instid0(VALU_DEP_2) | instskip(NEXT) | instid1(VALU_DEP_1)
	v_add_f32_e32 v30, 1.0, v27
	v_dual_add_f32 v28, -1.0, v27 :: v_dual_add_f32 v29, -1.0, v30
	s_delay_alu instid0(VALU_DEP_1) | instskip(NEXT) | instid1(VALU_DEP_2)
	v_add_f32_e32 v31, 1.0, v28
	v_sub_f32_e32 v29, v27, v29
	s_delay_alu instid0(VALU_DEP_2) | instskip(NEXT) | instid1(VALU_DEP_2)
	v_sub_f32_e32 v27, v27, v31
	v_add_f32_e32 v29, v25, v29
	s_delay_alu instid0(VALU_DEP_2) | instskip(NEXT) | instid1(VALU_DEP_1)
	v_add_f32_e32 v25, v25, v27
	v_add_f32_e32 v32, v28, v25
	s_delay_alu instid0(VALU_DEP_1) | instskip(NEXT) | instid1(VALU_DEP_1)
	v_dual_add_f32 v31, v30, v29 :: v_dual_sub_f32 v28, v28, v32
	v_rcp_f32_e32 v27, v31
	v_sub_f32_e32 v30, v30, v31
	s_delay_alu instid0(VALU_DEP_1) | instskip(SKIP_2) | instid1(VALU_DEP_1)
	v_add_f32_e32 v29, v29, v30
	s_waitcnt_depctr 0xfff
	v_mul_f32_e32 v33, v32, v27
	v_mul_f32_e32 v34, v31, v33
	s_delay_alu instid0(VALU_DEP_1) | instskip(NEXT) | instid1(VALU_DEP_1)
	v_fma_f32 v30, v33, v31, -v34
	v_fmac_f32_e32 v30, v33, v29
	s_delay_alu instid0(VALU_DEP_1) | instskip(NEXT) | instid1(VALU_DEP_1)
	v_add_f32_e32 v35, v34, v30
	v_sub_f32_e32 v36, v32, v35
	s_delay_alu instid0(VALU_DEP_1) | instskip(SKIP_1) | instid1(VALU_DEP_2)
	v_sub_f32_e32 v32, v32, v36
	v_dual_add_f32 v25, v25, v28 :: v_dual_sub_f32 v28, v35, v34
	v_sub_f32_e32 v32, v32, v35
	s_delay_alu instid0(VALU_DEP_1) | instskip(NEXT) | instid1(VALU_DEP_1)
	v_dual_sub_f32 v28, v28, v30 :: v_dual_add_f32 v25, v25, v32
	v_add_f32_e32 v25, v28, v25
	s_delay_alu instid0(VALU_DEP_1) | instskip(NEXT) | instid1(VALU_DEP_1)
	v_add_f32_e32 v28, v36, v25
	v_mul_f32_e32 v30, v27, v28
	s_delay_alu instid0(VALU_DEP_1) | instskip(NEXT) | instid1(VALU_DEP_1)
	v_dual_sub_f32 v35, v36, v28 :: v_dual_mul_f32 v32, v31, v30
	v_add_f32_e32 v25, v25, v35
	s_delay_alu instid0(VALU_DEP_2) | instskip(NEXT) | instid1(VALU_DEP_1)
	v_fma_f32 v31, v30, v31, -v32
	v_fmac_f32_e32 v31, v30, v29
	s_delay_alu instid0(VALU_DEP_1) | instskip(NEXT) | instid1(VALU_DEP_1)
	v_add_f32_e32 v29, v32, v31
	v_sub_f32_e32 v34, v28, v29
	s_delay_alu instid0(VALU_DEP_1) | instskip(NEXT) | instid1(VALU_DEP_1)
	v_sub_f32_e32 v28, v28, v34
	v_sub_f32_e32 v28, v28, v29
	s_delay_alu instid0(VALU_DEP_1) | instskip(SKIP_2) | instid1(VALU_DEP_1)
	v_add_f32_e32 v25, v25, v28
	v_add_f32_e32 v28, v33, v30
	v_sub_f32_e32 v32, v29, v32
	v_sub_f32_e32 v29, v32, v31
	s_delay_alu instid0(VALU_DEP_1) | instskip(NEXT) | instid1(VALU_DEP_4)
	v_add_f32_e32 v25, v29, v25
	v_sub_f32_e32 v29, v28, v33
	s_delay_alu instid0(VALU_DEP_2) | instskip(NEXT) | instid1(VALU_DEP_2)
	v_add_f32_e32 v25, v34, v25
	v_sub_f32_e32 v29, v30, v29
	s_delay_alu instid0(VALU_DEP_2) | instskip(NEXT) | instid1(VALU_DEP_1)
	v_mul_f32_e32 v25, v27, v25
	v_add_f32_e32 v25, v29, v25
	s_delay_alu instid0(VALU_DEP_1) | instskip(NEXT) | instid1(VALU_DEP_1)
	v_add_f32_e32 v27, v28, v25
	v_mul_f32_e32 v29, v27, v27
	s_delay_alu instid0(VALU_DEP_1) | instskip(SKIP_1) | instid1(VALU_DEP_2)
	v_fmaak_f32 v30, s54, v29, 0x3ecc95a3
	v_mul_f32_e32 v31, v27, v29
	v_fmaak_f32 v29, v29, v30, 0x3f2aaada
	v_ldexp_f32 v30, v27, 1
	s_delay_alu instid0(VALU_DEP_2) | instskip(SKIP_1) | instid1(VALU_DEP_2)
	v_mul_f32_e32 v29, v31, v29
	v_sub_f32_e32 v27, v27, v28
	v_dual_mul_f32 v31, 0x3f317218, v24 :: v_dual_add_f32 v28, v30, v29
	s_delay_alu instid0(VALU_DEP_2) | instskip(NEXT) | instid1(VALU_DEP_2)
	v_sub_f32_e32 v25, v25, v27
	v_sub_f32_e32 v27, v28, v30
	s_delay_alu instid0(VALU_DEP_3) | instskip(NEXT) | instid1(VALU_DEP_3)
	v_fma_f32 v30, 0x3f317218, v24, -v31
	v_ldexp_f32 v25, v25, 1
	s_delay_alu instid0(VALU_DEP_2) | instskip(NEXT) | instid1(VALU_DEP_1)
	v_dual_sub_f32 v27, v29, v27 :: v_dual_fmac_f32 v30, 0xb102e308, v24
	v_dual_add_f32 v24, v25, v27 :: v_dual_add_f32 v25, v31, v30
	s_delay_alu instid0(VALU_DEP_1) | instskip(NEXT) | instid1(VALU_DEP_1)
	v_add_f32_e32 v27, v28, v24
	v_dual_add_f32 v29, v25, v27 :: v_dual_sub_f32 v28, v27, v28
	s_delay_alu instid0(VALU_DEP_1) | instskip(NEXT) | instid1(VALU_DEP_2)
	v_sub_f32_e32 v32, v29, v25
	v_dual_sub_f32 v31, v25, v31 :: v_dual_sub_f32 v24, v24, v28
	s_delay_alu instid0(VALU_DEP_1) | instskip(SKIP_1) | instid1(VALU_DEP_2)
	v_dual_sub_f32 v33, v29, v32 :: v_dual_sub_f32 v30, v30, v31
	v_sub_f32_e32 v27, v27, v32
	v_dual_sub_f32 v25, v25, v33 :: v_dual_add_f32 v28, v30, v24
	s_delay_alu instid0(VALU_DEP_1) | instskip(NEXT) | instid1(VALU_DEP_2)
	v_add_f32_e32 v25, v27, v25
	v_sub_f32_e32 v27, v28, v30
	s_delay_alu instid0(VALU_DEP_2) | instskip(NEXT) | instid1(VALU_DEP_2)
	v_add_f32_e32 v25, v28, v25
	v_sub_f32_e32 v28, v28, v27
	s_delay_alu instid0(VALU_DEP_2) | instskip(NEXT) | instid1(VALU_DEP_1)
	v_dual_sub_f32 v24, v24, v27 :: v_dual_add_f32 v31, v29, v25
	v_dual_sub_f32 v28, v30, v28 :: v_dual_sub_f32 v27, v31, v29
	s_delay_alu instid0(VALU_DEP_1) | instskip(NEXT) | instid1(VALU_DEP_1)
	v_dual_add_f32 v24, v24, v28 :: v_dual_sub_f32 v25, v25, v27
	v_add_f32_e32 v24, v24, v25
	s_delay_alu instid0(VALU_DEP_1) | instskip(NEXT) | instid1(VALU_DEP_1)
	v_add_f32_e32 v24, v31, v24
	v_cndmask_b32_e32 v106, v24, v26, vcc_lo
.LBB121_52:                             ;   in Loop: Header=BB121_12 Depth=1
	s_or_b32 exec_lo, exec_lo, s16
	v_lshrrev_b32_e32 v26, 16, v18
	v_lshrrev_b32_e32 v28, 16, v19
	;; [unrolled: 1-line block ×8, first 2 shown]
	v_cvt_f32_f16_e32 v24, v19
	v_cvt_f32_f16_e32 v25, v18
	;; [unrolled: 1-line block ×16, first 2 shown]
	v_dual_mul_f32 v87, s58, v24 :: v_dual_mul_f32 v86, s58, v27
	v_dual_mul_f32 v85, s58, v26 :: v_dual_mul_f32 v90, s58, v28
	v_dual_mul_f32 v89, s58, v25 :: v_dual_mul_f32 v92, s58, v34
	v_dual_mul_f32 v88, s58, v29 :: v_dual_mul_f32 v93, s58, v30
	v_dual_mul_f32 v91, s58, v32 :: v_dual_mul_f32 v98, s58, v33
	v_dual_mul_f32 v100, s58, v35 :: v_dual_mul_f32 v101, s58, v37
	v_dual_mul_f32 v96, s58, v36 :: v_dual_mul_f32 v95, s58, v38
	v_mul_f32_e32 v103, s58, v39
	v_mul_f32_e32 v94, s58, v31
	s_lshl_b32 s38, s74, 11
	s_and_b32 vcc_lo, exec_lo, s68
	s_barrier
	buffer_gl0_inv
	s_cbranch_vccz .LBB121_86
; %bb.53:                               ;   in Loop: Header=BB121_12 Depth=1
	v_dual_mul_f32 v107, v106, v31 :: v_dual_mul_f32 v112, v105, v24
	v_add_co_u32 v31, s14, s49, v73
	s_delay_alu instid0(VALU_DEP_1) | instskip(SKIP_1) | instid1(VALU_DEP_1)
	v_add_co_ci_u32_e64 v40, null, s50, 0, s14
	v_add_co_u32 v41, s14, s37, v73
	v_add_co_ci_u32_e64 v111, null, s62, 0, s14
	s_delay_alu instid0(VALU_DEP_4) | instskip(NEXT) | instid1(VALU_DEP_4)
	v_add_co_u32 v108, vcc_lo, v31, v74
	v_add_co_ci_u32_e32 v109, vcc_lo, 0, v40, vcc_lo
	s_delay_alu instid0(VALU_DEP_4)
	v_add_co_u32 v110, vcc_lo, v41, v74
	s_sub_i32 s26, s34, s38
	v_add_co_ci_u32_e32 v111, vcc_lo, 0, v111, vcc_lo
	v_cmp_gt_u32_e32 vcc_lo, s26, v48
	s_cmp_lg_u32 s74, 0
	v_cmp_gt_u32_e64 s17, s26, v59
	s_cselect_b32 s39, -1, 0
	s_cmp_eq_u32 s74, s70
	v_cmp_gt_u32_e64 s18, s26, v60
	s_cselect_b32 s75, -1, 0
	s_or_b32 s14, s69, vcc_lo
	v_cmp_gt_u32_e32 vcc_lo, s26, v58
	v_cmp_gt_u32_e64 s19, s26, v61
	v_cmp_gt_u32_e64 s20, s26, v62
	;; [unrolled: 1-line block ×4, first 2 shown]
	s_or_b32 s16, s69, vcc_lo
	v_cmp_gt_u32_e32 vcc_lo, s26, v63
	v_cmp_gt_u32_e64 s24, s26, v66
	v_cmp_gt_u32_e64 s25, s26, v67
	;; [unrolled: 1-line block ×4, first 2 shown]
	s_or_b32 s21, s69, vcc_lo
	v_cmp_gt_u32_e32 vcc_lo, s26, v68
	v_cmp_gt_u32_e64 s29, s26, v71
	v_cmp_gt_u32_e64 s30, s26, v72
	v_dual_mul_f32 v113, v104, v26 :: v_dual_mul_f32 v114, v102, v25
	v_dual_mul_f32 v115, v99, v27 :: v_dual_mul_f32 v116, v97, v28
	;; [unrolled: 1-line block ×7, first 2 shown]
	s_mov_b32 s52, 0
	s_or_b32 s17, s69, s17
	s_or_b32 s18, s69, s18
	;; [unrolled: 1-line block ×8, first 2 shown]
	s_or_b32 s26, s69, vcc_lo
	s_or_b32 s27, s69, s27
	s_or_b32 s28, s69, s28
	;; [unrolled: 1-line block ×4, first 2 shown]
	s_mov_b32 s40, s52
	s_mov_b32 s42, s52
	;; [unrolled: 1-line block ×5, first 2 shown]
	s_branch .LBB121_55
.LBB121_54:                             ;   in Loop: Header=BB121_55 Depth=2
	s_or_b32 exec_lo, exec_lo, s31
	v_cndmask_b32_e64 v33, v156, v35, s15
	v_cndmask_b32_e64 v34, v155, v34, s15
	s_add_i32 s76, s76, -1
	s_add_i32 s77, s77, 8
	s_add_i32 s46, s46, s63
	v_fma_f32 v33, v33, v127, v39
	v_mul_f32_e32 v34, v34, v127
	s_add_i32 s42, s42, s36
	s_add_i32 s40, s40, s48
	;; [unrolled: 1-line block ×3, first 2 shown]
	v_cndmask_b32_e64 v33, v33, v39, s13
	v_cndmask_b32_e64 v34, v34, v127, s13
	s_cmp_eq_u32 s76, 0
	s_waitcnt lgkmcnt(0)
	s_delay_alu instid0(VALU_DEP_1) | instskip(NEXT) | instid1(VALU_DEP_1)
	v_fmac_f32_e32 v33, v32, v34
	v_fmac_f32_e32 v36, v33, v129
	s_delay_alu instid0(VALU_DEP_1) | instskip(NEXT) | instid1(VALU_DEP_1)
	v_fmac_f32_e32 v37, v36, v131
	v_fmac_f32_e32 v38, v37, v133
	v_fma_mix_f32 v103, v33, v28, v103 op_sel_hi:[0,1,0]
	s_delay_alu instid0(VALU_DEP_2) | instskip(SKIP_1) | instid1(VALU_DEP_2)
	v_fmac_f32_e32 v128, v38, v135
	v_fma_mix_f32 v96, v38, v29, v96 op_sel:[0,1,0] op_sel_hi:[0,1,0]
	v_fmac_f32_e32 v130, v128, v136
	v_fma_mix_f32 v100, v128, v30, v100 op_sel_hi:[0,1,0]
	s_delay_alu instid0(VALU_DEP_2) | instskip(SKIP_1) | instid1(VALU_DEP_2)
	v_fmac_f32_e32 v132, v130, v138
	v_fma_mix_f32 v101, v37, v29, v101 op_sel_hi:[0,1,0]
	v_fmac_f32_e32 v134, v132, v141
	v_fma_mix_f32 v98, v132, v31, v98 op_sel_hi:[0,1,0]
	s_delay_alu instid0(VALU_DEP_2) | instskip(SKIP_1) | instid1(VALU_DEP_2)
	v_fmac_f32_e32 v137, v134, v142
	v_fma_mix_f32 v95, v36, v28, v95 op_sel:[0,1,0] op_sel_hi:[0,1,0]
	v_fmac_f32_e32 v139, v137, v143
	v_fma_mix_f32 v92, v130, v30, v92 op_sel:[0,1,0] op_sel_hi:[0,1,0]
	v_fma_mix_f32 v93, v137, v24, v93 op_sel_hi:[0,1,0]
	s_delay_alu instid0(VALU_DEP_3) | instskip(SKIP_1) | instid1(VALU_DEP_2)
	v_fmac_f32_e32 v140, v139, v144
	v_fma_mix_f32 v88, v139, v24, v88 op_sel:[0,1,0] op_sel_hi:[0,1,0]
	v_fmac_f32_e32 v145, v140, v151
	v_fma_mix_f32 v90, v140, v25, v90 op_sel_hi:[0,1,0]
	s_delay_alu instid0(VALU_DEP_2) | instskip(NEXT) | instid1(VALU_DEP_1)
	v_fmac_f32_e32 v146, v145, v148
	v_fmac_f32_e32 v147, v146, v150
	v_fma_mix_f32 v91, v134, v31, v91 op_sel:[0,1,0] op_sel_hi:[0,1,0]
	v_fma_mix_f32 v89, v146, v26, v89 op_sel_hi:[0,1,0]
	s_delay_alu instid0(VALU_DEP_3) | instskip(SKIP_1) | instid1(VALU_DEP_2)
	v_fmac_f32_e32 v149, v147, v153
	v_fma_mix_f32 v85, v147, v26, v85 op_sel:[0,1,0] op_sel_hi:[0,1,0]
	v_fmac_f32_e32 v152, v149, v154
	v_fma_mix_f32 v86, v145, v25, v86 op_sel:[0,1,0] op_sel_hi:[0,1,0]
	v_fma_mix_f32 v87, v149, v27, v87 op_sel_hi:[0,1,0]
	s_delay_alu instid0(VALU_DEP_3)
	v_fma_mix_f32 v94, v152, v27, v94 op_sel:[0,1,0] op_sel_hi:[0,1,0]
	s_cbranch_scc1 .LBB121_86
.LBB121_55:                             ;   Parent Loop BB121_12 Depth=1
                                        ; =>  This Inner Loop Header: Depth=2
	s_lshl_b64 s[78:79], s[52:53], 2
	s_mov_b32 s41, s53
	s_add_u32 s78, s60, s78
	s_addc_u32 s79, s61, s79
	s_lshl_b64 s[80:81], s[40:41], 1
	s_mov_b32 s43, s53
	v_add_co_u32 v28, vcc_lo, v108, s80
	v_add_co_ci_u32_e32 v29, vcc_lo, s81, v109, vcc_lo
	s_lshl_b64 s[80:81], s[42:43], 1
	s_clause 0x1
	global_load_b128 v[24:27], v[28:29], off
	global_load_b128 v[28:31], v[28:29], off offset:512
	v_add_co_u32 v32, vcc_lo, v110, s80
	v_add_co_ci_u32_e32 v33, vcc_lo, s81, v111, vcc_lo
	global_load_b32 v127, v42, s[78:79]
	s_and_not1_b32 vcc_lo, exec_lo, s39
	s_waitcnt vmcnt(2)
	ds_store_b128 v43, v[24:27]
	s_waitcnt vmcnt(1)
	ds_store_b128 v44, v[28:31] offset:512
	; wave barrier
	s_clause 0x1
	global_load_b128 v[24:27], v[32:33], off
	global_load_b128 v[28:31], v[32:33], off offset:512
	ds_load_b128 v[36:39], v45
	ds_load_b128 v[32:35], v45 offset:16
	s_waitcnt vmcnt(1)
	ds_store_b128 v43, v[24:27] offset:4224
	s_waitcnt vmcnt(0)
	ds_store_b128 v46, v[28:31] offset:512
	; wave barrier
	ds_load_b128 v[28:31], v45 offset:4224
	ds_load_b128 v[24:27], v47 offset:16
	s_cbranch_vccnz .LBB121_57
; %bb.56:                               ;   in Loop: Header=BB121_55 Depth=2
	v_mov_b32_e32 v40, s77
	ds_load_b64 v[40:41], v40
	s_cbranch_execz .LBB121_58
	s_branch .LBB121_61
.LBB121_57:                             ;   in Loop: Header=BB121_55 Depth=2
                                        ; implicit-def: $vgpr40
.LBB121_58:                             ;   in Loop: Header=BB121_55 Depth=2
	s_waitcnt lgkmcnt(0)
	v_mov_b32_e32 v41, 0
	s_and_not1_b32 vcc_lo, exec_lo, s56
	s_cbranch_vccnz .LBB121_60
; %bb.59:                               ;   in Loop: Header=BB121_55 Depth=2
	s_mov_b32 s47, s53
	s_delay_alu instid0(SALU_CYCLE_1) | instskip(NEXT) | instid1(SALU_CYCLE_1)
	s_lshl_b64 s[78:79], s[46:47], 2
	s_add_u32 s78, s64, s78
	s_addc_u32 s79, s65, s79
	global_load_b32 v41, v42, s[78:79]
.LBB121_60:                             ;   in Loop: Header=BB121_55 Depth=2
	v_mov_b32_e32 v40, 1.0
.LBB121_61:                             ;   in Loop: Header=BB121_55 Depth=2
	s_waitcnt lgkmcnt(5)
	v_lshrrev_b32_e32 v128, 16, v36
	v_cvt_f32_f16_e32 v36, v36
	v_mul_f32_e32 v149, 0x3fb8aa3b, v127
	v_lshrrev_b32_e32 v127, 16, v37
	v_lshrrev_b32_e32 v129, 16, v38
	v_cvt_f32_f16_e64 v132, v38
	v_mul_f32_e32 v36, v126, v36
	s_waitcnt lgkmcnt(4)
	v_lshrrev_b32_e32 v38, 16, v32
	v_cvt_f32_f16_e64 v130, v127
	v_lshrrev_b32_e32 v127, 16, v39
	v_cvt_f32_f16_e64 v137, v39
	v_cvt_f32_f16_e64 v134, v129
	;; [unrolled: 1-line block ×3, first 2 shown]
	v_lshrrev_b32_e32 v38, 16, v33
	v_cvt_f32_f16_e64 v138, v127
	v_mul_f32_e32 v127, v149, v76
	v_mul_f32_e32 v129, v149, v77
	v_cvt_f32_f16_e64 v128, v128
	v_cvt_f32_f16_e64 v145, v38
	v_lshrrev_b32_e32 v38, 16, v34
	v_cmp_gt_f32_e64 s31, 0xc2fc0000, v127
	v_cvt_f32_f16_e32 v37, v37
	v_mul_f32_e32 v136, v149, v80
	v_cvt_f32_f16_e32 v33, v33
	v_cvt_f32_f16_e64 v147, v38
	v_cndmask_b32_e64 v127, 0, 0x42800000, s31
	v_lshrrev_b32_e32 v38, 16, v35
	s_delay_alu instid0(VALU_DEP_4) | instskip(SKIP_1) | instid1(VALU_DEP_4)
	v_dual_mul_f32 v140, v149, v82 :: v_dual_mul_f32 v33, v116, v33
	v_cvt_f32_f16_e32 v32, v32
	v_fmac_f32_e32 v127, v149, v76
	s_delay_alu instid0(VALU_DEP_4) | instskip(NEXT) | instid1(VALU_DEP_4)
	v_cvt_f32_f16_e64 v152, v38
	v_cmp_gt_f32_e64 s33, 0xc2fc0000, v140
	v_cvt_f32_f16_e32 v35, v35
	v_mul_f32_e32 v134, v121, v134
	v_exp_f32_e32 v131, v127
	v_mul_f32_e32 v39, v149, v75
	v_mul_f32_e32 v127, v149, v78
	v_cndmask_b32_e64 v140, 0, 0x42800000, s33
	v_mul_f32_e32 v143, v149, v97
	v_cvt_f32_f16_e32 v34, v34
	v_cmp_gt_f32_e32 vcc_lo, 0xc2fc0000, v39
	v_mul_f32_e32 v150, v149, v102
	v_dual_fmac_f32 v140, v149, v82 :: v_dual_mul_f32 v37, v124, v37
	v_mul_f32_e32 v32, v118, v32
	v_cndmask_b32_e64 v39, 0, 0x42800000, vcc_lo
	v_cndmask_b32_e64 v38, 1.0, 0x1f800000, vcc_lo
	v_cmp_gt_f32_e32 vcc_lo, 0xc2fc0000, v129
	v_exp_f32_e32 v140, v140
	v_cndmask_b32_e64 v37, 0, v37, s17
	v_fmac_f32_e32 v39, v149, v75
	v_mul_f32_e32 v35, v112, v35
	v_cndmask_b32_e64 v129, 0, 0x42800000, vcc_lo
	v_mul_f32_e32 v34, v114, v34
	s_delay_alu instid0(VALU_DEP_4)
	v_exp_f32_e32 v39, v39
	s_waitcnt_depctr 0xfff
	v_dual_fmac_f32 v129, v149, v77 :: v_dual_mul_f32 v38, v39, v38
	v_cndmask_b32_e64 v39, 0, v36, s14
	v_cndmask_b32_e64 v36, 1.0, 0x1f800000, s31
	v_cmp_gt_f32_e64 s31, 0xc2fc0000, v127
	s_delay_alu instid0(VALU_DEP_4) | instskip(SKIP_1) | instid1(VALU_DEP_4)
	v_cndmask_b32_e64 v127, 1.0, v38, s14
	v_mul_f32_e32 v38, v125, v128
	v_mul_f32_e32 v128, v131, v36
	v_exp_f32_e32 v131, v129
	v_mul_f32_e32 v129, v149, v79
	v_cndmask_b32_e64 v133, 0, 0x42800000, s31
	v_cndmask_b32_e64 v36, 0, v38, s16
	v_cndmask_b32_e64 v38, 1.0, 0x1f800000, vcc_lo
	s_delay_alu instid0(VALU_DEP_4) | instskip(SKIP_3) | instid1(TRANS32_DEP_1)
	v_cmp_gt_f32_e32 vcc_lo, 0xc2fc0000, v129
	v_cndmask_b32_e64 v129, 1.0, v128, s16
	v_cndmask_b32_e64 v128, 1.0, 0x1f800000, s31
	v_cmp_gt_f32_e64 s31, 0xc2fc0000, v136
	v_mul_f32_e32 v38, v131, v38
	v_cndmask_b32_e64 v135, 0, 0x42800000, vcc_lo
	s_delay_alu instid0(VALU_DEP_3) | instskip(SKIP_1) | instid1(VALU_DEP_3)
	v_cndmask_b32_e64 v141, 1.0, 0x1f800000, s31
	v_fmac_f32_e32 v133, v149, v78
	v_fmac_f32_e32 v135, v149, v79
	v_cndmask_b32_e64 v131, 1.0, v38, s17
	v_mul_f32_e32 v38, v123, v130
	v_mul_f32_e32 v136, v149, v81
	v_exp_f32_e32 v133, v133
	v_exp_f32_e32 v130, v135
	v_cndmask_b32_e64 v135, 0, 0x42800000, s31
	v_cndmask_b32_e64 v38, 0, v38, s18
	s_delay_alu instid0(VALU_DEP_2) | instskip(SKIP_2) | instid1(VALU_DEP_1)
	v_fmac_f32_e32 v135, v149, v80
	s_waitcnt_depctr 0xfff
	v_mul_f32_e32 v128, v133, v128
	v_cndmask_b32_e64 v133, 1.0, v128, s18
	v_cndmask_b32_e64 v128, 1.0, 0x1f800000, vcc_lo
	v_cmp_gt_f32_e32 vcc_lo, 0xc2fc0000, v136
	s_delay_alu instid0(VALU_DEP_2) | instskip(SKIP_3) | instid1(VALU_DEP_3)
	v_mul_f32_e32 v130, v130, v128
	v_cndmask_b32_e64 v136, 0, 0x42800000, vcc_lo
	v_mul_f32_e32 v128, v122, v132
	v_exp_f32_e32 v132, v135
	v_cndmask_b32_e64 v135, 1.0, v130, s19
	s_delay_alu instid0(VALU_DEP_3) | instskip(SKIP_3) | instid1(VALU_DEP_4)
	v_fmac_f32_e32 v136, v149, v81
	v_cndmask_b32_e64 v130, 0, v134, s20
	v_cndmask_b32_e64 v134, 1.0, 0x1f800000, vcc_lo
	v_cndmask_b32_e64 v128, 0, v128, s19
	v_exp_f32_e32 v142, v136
	s_delay_alu instid0(TRANS32_DEP_2) | instskip(NEXT) | instid1(VALU_DEP_1)
	v_dual_mul_f32 v132, v132, v141 :: v_dual_mul_f32 v141, v149, v83
	v_cndmask_b32_e64 v136, 1.0, v132, s20
	v_mul_f32_e32 v132, v120, v137
	v_cndmask_b32_e64 v137, 1.0, 0x1f800000, s33
	s_delay_alu instid0(VALU_DEP_4)
	v_cmp_gt_f32_e32 vcc_lo, 0xc2fc0000, v141
	s_waitcnt_depctr 0xfff
	v_mul_f32_e32 v134, v142, v134
	v_mul_f32_e32 v141, v119, v138
	v_cmp_gt_f32_e64 s33, 0xc2fc0000, v143
	v_mul_f32_e32 v137, v140, v137
	v_cndmask_b32_e64 v142, 0, 0x42800000, vcc_lo
	v_mul_f32_e32 v140, v149, v84
	v_mul_f32_e32 v143, v149, v99
	v_cndmask_b32_e64 v138, 1.0, v134, s21
	v_cndmask_b32_e64 v134, 0, v141, s22
	v_fmac_f32_e32 v142, v149, v83
	v_cmp_gt_f32_e64 s31, 0xc2fc0000, v140
	v_cndmask_b32_e64 v141, 1.0, v137, s22
	v_cndmask_b32_e64 v144, 1.0, 0x1f800000, vcc_lo
	v_cmp_gt_f32_e32 vcc_lo, 0xc2fc0000, v143
	v_exp_f32_e32 v137, v142
	v_cndmask_b32_e64 v140, 0, 0x42800000, s31
	v_cndmask_b32_e64 v142, 0, 0x42800000, s33
	v_cndmask_b32_e64 v146, 1.0, 0x1f800000, s31
	v_cndmask_b32_e64 v143, 0, 0x42800000, vcc_lo
	v_mul_f32_e32 v151, v149, v104
	v_fmac_f32_e32 v140, v149, v84
	v_fmac_f32_e32 v142, v149, v97
	v_cndmask_b32_e64 v132, 0, v132, s21
	v_fmac_f32_e32 v143, v149, v99
	v_mul_f32_e32 v144, v137, v144
	v_exp_f32_e32 v140, v140
	v_cndmask_b32_e64 v137, 0, v32, s23
	v_exp_f32_e32 v32, v142
	v_exp_f32_e32 v148, v143
	v_cndmask_b32_e64 v142, 1.0, v144, s23
	v_cndmask_b32_e64 v144, 1.0, 0x1f800000, s33
	v_cmp_gt_f32_e64 s31, 0xc2fc0000, v151
	s_delay_alu instid0(TRANS32_DEP_3)
	v_mul_f32_e32 v140, v140, v146
	v_cndmask_b32_e64 v146, 1.0, 0x1f800000, vcc_lo
	s_delay_alu instid0(TRANS32_DEP_2) | instid1(VALU_DEP_4)
	v_mul_f32_e32 v32, v32, v144
	v_cmp_gt_f32_e32 vcc_lo, 0xc2fc0000, v150
	v_fma_f32 v150, v129, v39, v36
	v_cndmask_b32_e64 v143, 1.0, v140, s24
	v_cndmask_b32_e64 v140, 0, v33, s25
	v_cndmask_b32_e64 v144, 1.0, v32, s25
	v_dual_mul_f32 v32, v148, v146 :: v_dual_mul_f32 v33, v115, v145
	v_cndmask_b32_e64 v146, 0, 0x42800000, vcc_lo
	v_mul_f32_e32 v148, v129, v127
	s_delay_alu instid0(VALU_DEP_3) | instskip(NEXT) | instid1(VALU_DEP_4)
	v_cndmask_b32_e64 v151, 1.0, v32, s26
	v_cndmask_b32_e64 v145, 0, v33, s26
	s_delay_alu instid0(VALU_DEP_3) | instskip(SKIP_3) | instid1(VALU_DEP_4)
	v_dual_fmac_f32 v146, v149, v102 :: v_dual_mul_f32 v33, v148, v131
	v_fma_f32 v148, v150, v131, v37
	v_cndmask_b32_e64 v32, 1.0, 0x1f800000, vcc_lo
	v_cndmask_b32_e64 v150, 0, 0x42800000, s31
	v_exp_f32_e32 v146, v146
	v_mul_f32_e32 v33, v33, v133
	v_fma_f32 v148, v148, v133, v38
	s_delay_alu instid0(VALU_DEP_3) | instskip(NEXT) | instid1(VALU_DEP_3)
	v_fmac_f32_e32 v150, v149, v104
	v_mul_f32_e32 v33, v33, v135
	s_delay_alu instid0(VALU_DEP_3) | instskip(NEXT) | instid1(VALU_DEP_3)
	v_fma_f32 v148, v148, v135, v128
	v_exp_f32_e32 v150, v150
	s_delay_alu instid0(TRANS32_DEP_2) | instskip(NEXT) | instid1(VALU_DEP_3)
	v_mul_f32_e32 v32, v146, v32
	v_mul_f32_e32 v33, v33, v136
	s_delay_alu instid0(VALU_DEP_3)
	v_fma_f32 v153, v148, v136, v130
	v_cndmask_b32_e64 v146, 0, v34, s27
	v_cndmask_b32_e64 v34, 1.0, 0x1f800000, s31
	v_cndmask_b32_e64 v148, 1.0, v32, s27
	v_mul_f32_e32 v32, v33, v138
	v_fma_f32 v33, v153, v138, v132
	s_delay_alu instid0(TRANS32_DEP_1) | instid1(VALU_DEP_4)
	v_dual_mul_f32 v139, v117, v139 :: v_dual_mul_f32 v34, v150, v34
	s_delay_alu instid0(VALU_DEP_3) | instskip(NEXT) | instid1(VALU_DEP_3)
	v_mul_f32_e32 v32, v32, v141
	v_fma_f32 v33, v33, v141, v134
	s_delay_alu instid0(VALU_DEP_3) | instskip(NEXT) | instid1(VALU_DEP_3)
	v_cndmask_b32_e64 v139, 0, v139, s24
	v_mul_f32_e32 v32, v32, v142
	s_delay_alu instid0(VALU_DEP_3) | instskip(NEXT) | instid1(VALU_DEP_2)
	v_fma_f32 v33, v33, v142, v137
	v_mul_f32_e32 v32, v32, v143
	s_delay_alu instid0(VALU_DEP_2) | instskip(NEXT) | instid1(VALU_DEP_2)
	v_fma_f32 v33, v33, v143, v139
	v_dual_mul_f32 v32, v32, v144 :: v_dual_mul_f32 v153, v149, v105
	s_delay_alu instid0(VALU_DEP_2) | instskip(NEXT) | instid1(VALU_DEP_2)
	v_fma_f32 v33, v33, v144, v140
	v_mul_f32_e32 v32, v32, v151
	s_delay_alu instid0(VALU_DEP_3) | instskip(SKIP_1) | instid1(VALU_DEP_4)
	v_cmp_gt_f32_e32 vcc_lo, 0xc2fc0000, v153
	v_mul_f32_e32 v153, v149, v106
	v_fma_f32 v33, v33, v151, v145
	s_delay_alu instid0(VALU_DEP_4) | instskip(SKIP_1) | instid1(VALU_DEP_4)
	v_mul_f32_e32 v32, v32, v148
	v_cndmask_b32_e64 v150, 0, 0x42800000, vcc_lo
	v_cmp_gt_f32_e64 s31, 0xc2fc0000, v153
	s_delay_alu instid0(VALU_DEP_4) | instskip(NEXT) | instid1(VALU_DEP_3)
	v_fma_f32 v33, v33, v148, v146
	v_fmac_f32_e32 v150, v149, v105
	s_delay_alu instid0(VALU_DEP_3) | instskip(NEXT) | instid1(VALU_DEP_2)
	v_cndmask_b32_e64 v153, 0, 0x42800000, s31
	v_exp_f32_e32 v154, v150
	s_delay_alu instid0(VALU_DEP_1)
	v_fmac_f32_e32 v153, v149, v106
	v_cndmask_b32_e64 v150, 1.0, v34, s28
	v_cndmask_b32_e64 v34, 1.0, 0x1f800000, vcc_lo
	v_mul_f32_e32 v147, v113, v147
	v_cndmask_b32_e64 v149, 0, v35, s29
	v_exp_f32_e32 v155, v153
	v_cndmask_b32_e64 v35, 1.0, 0x1f800000, s31
	v_mul_f32_e32 v32, v32, v150
	s_delay_alu instid0(TRANS32_DEP_2) | instskip(SKIP_1) | instid1(VALU_DEP_2)
	v_mul_f32_e32 v34, v154, v34
	v_cndmask_b32_e64 v147, 0, v147, s28
	v_cndmask_b32_e64 v153, 1.0, v34, s29
	v_mul_f32_e32 v34, v107, v152
	s_delay_alu instid0(TRANS32_DEP_1) | instskip(NEXT) | instid1(VALU_DEP_4)
	v_mul_f32_e32 v35, v155, v35
	v_fma_f32 v33, v33, v150, v147
	s_delay_alu instid0(VALU_DEP_4) | instskip(NEXT) | instid1(VALU_DEP_4)
	v_mul_f32_e32 v32, v32, v153
	v_cndmask_b32_e64 v152, 0, v34, s30
	s_delay_alu instid0(VALU_DEP_4) | instskip(NEXT) | instid1(VALU_DEP_4)
	v_cndmask_b32_e64 v154, 1.0, v35, s30
	v_fma_f32 v33, v33, v153, v149
	s_delay_alu instid0(VALU_DEP_2) | instskip(NEXT) | instid1(VALU_DEP_2)
	v_mul_f32_e32 v32, v32, v154
	v_fma_f32 v33, v33, v154, v152
	s_delay_alu instid0(VALU_DEP_2) | instskip(NEXT) | instid1(VALU_DEP_2)
	v_mov_b32_dpp v35, v32 row_shr:1 row_mask:0xf bank_mask:0xf
	v_mov_b32_dpp v34, v33 row_shr:1 row_mask:0xf bank_mask:0xf
	s_and_saveexec_b32 s31, s2
; %bb.62:                               ;   in Loop: Header=BB121_55 Depth=2
	s_delay_alu instid0(VALU_DEP_2) | instskip(NEXT) | instid1(VALU_DEP_1)
	v_mul_f32_e32 v35, v32, v35
	v_dual_fmac_f32 v33, v32, v34 :: v_dual_mov_b32 v32, v35
; %bb.63:                               ;   in Loop: Header=BB121_55 Depth=2
	s_or_b32 exec_lo, exec_lo, s31
	s_delay_alu instid0(VALU_DEP_1) | instskip(NEXT) | instid1(VALU_DEP_2)
	v_mov_b32_dpp v34, v32 row_shr:2 row_mask:0xf bank_mask:0xf
	v_mov_b32_dpp v35, v33 row_shr:2 row_mask:0xf bank_mask:0xf
	s_and_saveexec_b32 s31, s3
; %bb.64:                               ;   in Loop: Header=BB121_55 Depth=2
	s_delay_alu instid0(VALU_DEP_1) | instskip(NEXT) | instid1(VALU_DEP_3)
	v_fmac_f32_e32 v33, v32, v35
	v_mul_f32_e32 v32, v32, v34
; %bb.65:                               ;   in Loop: Header=BB121_55 Depth=2
	s_or_b32 exec_lo, exec_lo, s31
	s_delay_alu instid0(VALU_DEP_1) | instskip(NEXT) | instid1(VALU_DEP_3)
	v_mov_b32_dpp v34, v32 row_shr:4 row_mask:0xf bank_mask:0xf
	v_mov_b32_dpp v35, v33 row_shr:4 row_mask:0xf bank_mask:0xf
	s_and_saveexec_b32 s31, s4
; %bb.66:                               ;   in Loop: Header=BB121_55 Depth=2
	s_delay_alu instid0(VALU_DEP_1) | instskip(NEXT) | instid1(VALU_DEP_3)
	v_fmac_f32_e32 v33, v32, v35
	v_mul_f32_e32 v32, v32, v34
; %bb.67:                               ;   in Loop: Header=BB121_55 Depth=2
	s_or_b32 exec_lo, exec_lo, s31
	s_delay_alu instid0(VALU_DEP_1) | instskip(NEXT) | instid1(VALU_DEP_3)
	v_mov_b32_dpp v34, v32 row_shr:8 row_mask:0xf bank_mask:0xf
	v_mov_b32_dpp v35, v33 row_shr:8 row_mask:0xf bank_mask:0xf
	s_and_saveexec_b32 s31, s5
; %bb.68:                               ;   in Loop: Header=BB121_55 Depth=2
	s_delay_alu instid0(VALU_DEP_1) | instskip(NEXT) | instid1(VALU_DEP_3)
	v_fmac_f32_e32 v33, v32, v35
	v_mul_f32_e32 v32, v32, v34
; %bb.69:                               ;   in Loop: Header=BB121_55 Depth=2
	s_or_b32 exec_lo, exec_lo, s31
	ds_swizzle_b32 v35, v32 offset:swizzle(BROADCAST,32,15)
	ds_swizzle_b32 v34, v33 offset:swizzle(BROADCAST,32,15)
	s_and_saveexec_b32 s31, s6
	s_cbranch_execz .LBB121_71
; %bb.70:                               ;   in Loop: Header=BB121_55 Depth=2
	s_waitcnt lgkmcnt(1)
	v_mul_f32_e32 v35, v32, v35
	s_waitcnt lgkmcnt(0)
	s_delay_alu instid0(VALU_DEP_1)
	v_dual_fmac_f32 v33, v32, v34 :: v_dual_mov_b32 v32, v35
.LBB121_71:                             ;   in Loop: Header=BB121_55 Depth=2
	s_or_b32 exec_lo, exec_lo, s31
	s_and_saveexec_b32 s31, s7
	s_cbranch_execz .LBB121_73
; %bb.72:                               ;   in Loop: Header=BB121_55 Depth=2
	ds_store_b64 v49, v[32:33] offset:8448
.LBB121_73:                             ;   in Loop: Header=BB121_55 Depth=2
	s_or_b32 exec_lo, exec_lo, s31
	s_waitcnt vmcnt(0) lgkmcnt(0)
	s_waitcnt_vscnt null, 0x0
	s_barrier
	buffer_gl0_inv
	s_and_saveexec_b32 s31, s8
	s_cbranch_execz .LBB121_77
; %bb.74:                               ;   in Loop: Header=BB121_55 Depth=2
	ds_load_b64 v[34:35], v50 offset:8448
	s_waitcnt lgkmcnt(0)
	v_mov_b32_dpp v157, v34 row_shr:1 row_mask:0xf bank_mask:0xf
	v_mov_b32_dpp v156, v35 row_shr:1 row_mask:0xf bank_mask:0xf
	v_mov_b32_e32 v155, v34
	s_and_saveexec_b32 s33, s9
; %bb.75:                               ;   in Loop: Header=BB121_55 Depth=2
	s_delay_alu instid0(VALU_DEP_3) | instskip(NEXT) | instid1(VALU_DEP_1)
	v_mul_f32_e32 v155, v34, v157
	v_dual_fmac_f32 v35, v34, v156 :: v_dual_mov_b32 v34, v155
; %bb.76:                               ;   in Loop: Header=BB121_55 Depth=2
	s_or_b32 exec_lo, exec_lo, s33
	v_mov_b32_dpp v155, v155 row_shr:2 row_mask:0xf bank_mask:0xf
	s_delay_alu instid0(VALU_DEP_2) | instskip(NEXT) | instid1(VALU_DEP_2)
	v_mov_b32_dpp v156, v35 row_shr:2 row_mask:0xf bank_mask:0xf
	v_mul_f32_e32 v155, v34, v155
	s_delay_alu instid0(VALU_DEP_2) | instskip(NEXT) | instid1(VALU_DEP_2)
	v_fma_f32 v156, v34, v156, v35
	v_cndmask_b32_e64 v34, v34, v155, s10
	s_delay_alu instid0(VALU_DEP_2)
	v_cndmask_b32_e64 v35, v35, v156, s10
	ds_store_b64 v50, v[34:35] offset:8448
.LBB121_77:                             ;   in Loop: Header=BB121_55 Depth=2
	s_or_b32 exec_lo, exec_lo, s31
	s_waitcnt lgkmcnt(0)
	s_barrier
	buffer_gl0_inv
                                        ; implicit-def: $vgpr35
	s_and_saveexec_b32 s31, s12
	s_cbranch_execz .LBB121_79
; %bb.78:                               ;   in Loop: Header=BB121_55 Depth=2
	ds_load_b64 v[34:35], v49 offset:8440
	s_waitcnt lgkmcnt(0)
	v_mul_f32_e32 v155, v32, v34
	s_delay_alu instid0(VALU_DEP_1)
	v_dual_fmac_f32 v33, v32, v35 :: v_dual_mov_b32 v32, v155
.LBB121_79:                             ;   in Loop: Header=BB121_55 Depth=2
	s_or_b32 exec_lo, exec_lo, s31
	ds_bpermute_b32 v155, v51, v32
	ds_bpermute_b32 v156, v51, v33
	s_and_saveexec_b32 s31, s11
	s_cbranch_execz .LBB121_83
; %bb.80:                               ;   in Loop: Header=BB121_55 Depth=2
	ds_load_b64 v[32:33], v42 offset:8472
	s_and_saveexec_b32 s33, s13
	s_cbranch_execz .LBB121_82
; %bb.81:                               ;   in Loop: Header=BB121_55 Depth=2
	ds_store_b64 v42, v[40:41] offset:8472
.LBB121_82:                             ;   in Loop: Header=BB121_55 Depth=2
	s_or_b32 exec_lo, exec_lo, s33
	s_waitcnt lgkmcnt(0)
	v_fmac_f32_e32 v33, v41, v32
	s_delay_alu instid0(VALU_DEP_1)
	v_dual_mul_f32 v40, v40, v32 :: v_dual_mov_b32 v41, v33
.LBB121_83:                             ;   in Loop: Header=BB121_55 Depth=2
	s_or_b32 exec_lo, exec_lo, s31
	s_waitcnt lgkmcnt(0)
	s_barrier
	buffer_gl0_inv
	ds_load_b32 v32, v42 offset:8476
	s_and_saveexec_b32 s31, s13
	s_cbranch_execz .LBB121_54
; %bb.84:                               ;   in Loop: Header=BB121_55 Depth=2
	v_mov_b32_e32 v33, s77
	s_and_not1_b32 vcc_lo, exec_lo, s75
	ds_store_b64 v33, v[40:41]
	s_cbranch_vccnz .LBB121_54
; %bb.85:                               ;   in Loop: Header=BB121_55 Depth=2
	s_mov_b32 s47, s53
	s_delay_alu instid0(SALU_CYCLE_1) | instskip(NEXT) | instid1(SALU_CYCLE_1)
	s_lshl_b64 s[78:79], s[46:47], 2
	s_add_u32 s78, s64, s78
	s_addc_u32 s79, s65, s79
	global_store_b32 v42, v41, s[78:79]
	s_branch .LBB121_54
.LBB121_86:                             ;   in Loop: Header=BB121_12 Depth=1
	v_cvt_f16_f32_e32 v24, v103
	v_cvt_f16_f32_e32 v28, v95
	;; [unrolled: 1-line block ×16, first 2 shown]
	v_pack_b32_f16 v27, v27, v31
	v_pack_b32_f16 v26, v26, v30
	;; [unrolled: 1-line block ×8, first 2 shown]
	s_waitcnt_vscnt null, 0x0
	s_barrier
	buffer_gl0_inv
	ds_store_b128 v45, v[24:27]
	ds_store_b128 v45, v[28:31] offset:16
	; wave barrier
	ds_load_b128 v[24:27], v43
	ds_load_b128 v[28:31], v44 offset:512
	s_mov_b32 s39, s53
	s_delay_alu instid0(SALU_CYCLE_1) | instskip(NEXT) | instid1(SALU_CYCLE_1)
	s_lshl_b64 s[20:21], s[38:39], 1
	v_add_co_u32 v32, vcc_lo, v52, s20
	v_add_co_ci_u32_e32 v33, vcc_lo, s21, v53, vcc_lo
	s_waitcnt lgkmcnt(1)
	v_lshrrev_b32_e32 v36, 16, v27
	v_alignbit_b32 v35, v26, v25, 16
	v_alignbit_b32 v26, v27, v26, 16
	v_alignbit_b32 v34, v25, v24, 16
	s_clause 0x3
	global_store_b16 v[32:33], v24, off
	global_store_b16 v[32:33], v36, off offset:14
	global_store_b32 v[32:33], v26, off offset:10
	global_store_b64 v[32:33], v[34:35], off offset:2
	v_add_co_u32 v24, vcc_lo, v54, s20
	v_add_co_ci_u32_e32 v25, vcc_lo, s21, v55, vcc_lo
	s_waitcnt lgkmcnt(0)
	global_store_b128 v[32:33], v[28:31], off offset:512
	s_waitcnt_vscnt null, 0x0
	s_barrier
	buffer_gl0_inv
	s_and_saveexec_b32 s14, s0
	s_cbranch_execz .LBB121_88
; %bb.87:                               ;   in Loop: Header=BB121_12 Depth=1
	global_load_b128 v[0:3], v[24:25], off
.LBB121_88:                             ;   in Loop: Header=BB121_12 Depth=1
	s_or_b32 exec_lo, exec_lo, s14
	s_and_saveexec_b32 s14, s1
	s_cbranch_execz .LBB121_11
; %bb.89:                               ;   in Loop: Header=BB121_12 Depth=1
	global_load_b128 v[4:7], v[24:25], off offset:512
	s_branch .LBB121_11
.LBB121_90:
	s_nop 0
	s_sendmsg sendmsg(MSG_DEALLOC_VGPRS)
	s_endpgm
	.section	.rodata,"a",@progbits
	.p2align	6, 0x0
	.amdhsa_kernel _Z25selective_scan_fwd_kernelI32Selective_Scan_fwd_kernel_traitsILi128ELi16ELi1ELb1ELb1ELb1ELb1ELb0EN3c104HalfEffEEv13SSMParamsBase
		.amdhsa_group_segment_fixed_size 0
		.amdhsa_private_segment_fixed_size 0
		.amdhsa_kernarg_size 248
		.amdhsa_user_sgpr_count 14
		.amdhsa_user_sgpr_dispatch_ptr 0
		.amdhsa_user_sgpr_queue_ptr 0
		.amdhsa_user_sgpr_kernarg_segment_ptr 1
		.amdhsa_user_sgpr_dispatch_id 0
		.amdhsa_user_sgpr_private_segment_size 0
		.amdhsa_wavefront_size32 1
		.amdhsa_uses_dynamic_stack 0
		.amdhsa_enable_private_segment 0
		.amdhsa_system_sgpr_workgroup_id_x 1
		.amdhsa_system_sgpr_workgroup_id_y 1
		.amdhsa_system_sgpr_workgroup_id_z 0
		.amdhsa_system_sgpr_workgroup_info 0
		.amdhsa_system_vgpr_workitem_id 0
		.amdhsa_next_free_vgpr 158
		.amdhsa_next_free_sgpr 82
		.amdhsa_reserve_vcc 1
		.amdhsa_float_round_mode_32 0
		.amdhsa_float_round_mode_16_64 0
		.amdhsa_float_denorm_mode_32 3
		.amdhsa_float_denorm_mode_16_64 3
		.amdhsa_dx10_clamp 1
		.amdhsa_ieee_mode 1
		.amdhsa_fp16_overflow 0
		.amdhsa_workgroup_processor_mode 1
		.amdhsa_memory_ordered 1
		.amdhsa_forward_progress 0
		.amdhsa_shared_vgpr_count 0
		.amdhsa_exception_fp_ieee_invalid_op 0
		.amdhsa_exception_fp_denorm_src 0
		.amdhsa_exception_fp_ieee_div_zero 0
		.amdhsa_exception_fp_ieee_overflow 0
		.amdhsa_exception_fp_ieee_underflow 0
		.amdhsa_exception_fp_ieee_inexact 0
		.amdhsa_exception_int_div_zero 0
	.end_amdhsa_kernel
	.section	.text._Z25selective_scan_fwd_kernelI32Selective_Scan_fwd_kernel_traitsILi128ELi16ELi1ELb1ELb1ELb1ELb1ELb0EN3c104HalfEffEEv13SSMParamsBase,"axG",@progbits,_Z25selective_scan_fwd_kernelI32Selective_Scan_fwd_kernel_traitsILi128ELi16ELi1ELb1ELb1ELb1ELb1ELb0EN3c104HalfEffEEv13SSMParamsBase,comdat
.Lfunc_end121:
	.size	_Z25selective_scan_fwd_kernelI32Selective_Scan_fwd_kernel_traitsILi128ELi16ELi1ELb1ELb1ELb1ELb1ELb0EN3c104HalfEffEEv13SSMParamsBase, .Lfunc_end121-_Z25selective_scan_fwd_kernelI32Selective_Scan_fwd_kernel_traitsILi128ELi16ELi1ELb1ELb1ELb1ELb1ELb0EN3c104HalfEffEEv13SSMParamsBase
                                        ; -- End function
	.section	.AMDGPU.csdata,"",@progbits
; Kernel info:
; codeLenInByte = 21284
; NumSgprs: 84
; NumVgprs: 158
; ScratchSize: 0
; MemoryBound: 1
; FloatMode: 240
; IeeeMode: 1
; LDSByteSize: 0 bytes/workgroup (compile time only)
; SGPRBlocks: 10
; VGPRBlocks: 19
; NumSGPRsForWavesPerEU: 84
; NumVGPRsForWavesPerEU: 158
; Occupancy: 9
; WaveLimiterHint : 1
; COMPUTE_PGM_RSRC2:SCRATCH_EN: 0
; COMPUTE_PGM_RSRC2:USER_SGPR: 14
; COMPUTE_PGM_RSRC2:TRAP_HANDLER: 0
; COMPUTE_PGM_RSRC2:TGID_X_EN: 1
; COMPUTE_PGM_RSRC2:TGID_Y_EN: 1
; COMPUTE_PGM_RSRC2:TGID_Z_EN: 0
; COMPUTE_PGM_RSRC2:TIDIG_COMP_CNT: 0
	.section	.text._Z25selective_scan_fwd_kernelI32Selective_Scan_fwd_kernel_traitsILi128ELi16ELi1ELb1ELb1ELb1ELb0ELb1EN3c104HalfEffEEv13SSMParamsBase,"axG",@progbits,_Z25selective_scan_fwd_kernelI32Selective_Scan_fwd_kernel_traitsILi128ELi16ELi1ELb1ELb1ELb1ELb0ELb1EN3c104HalfEffEEv13SSMParamsBase,comdat
	.protected	_Z25selective_scan_fwd_kernelI32Selective_Scan_fwd_kernel_traitsILi128ELi16ELi1ELb1ELb1ELb1ELb0ELb1EN3c104HalfEffEEv13SSMParamsBase ; -- Begin function _Z25selective_scan_fwd_kernelI32Selective_Scan_fwd_kernel_traitsILi128ELi16ELi1ELb1ELb1ELb1ELb0ELb1EN3c104HalfEffEEv13SSMParamsBase
	.globl	_Z25selective_scan_fwd_kernelI32Selective_Scan_fwd_kernel_traitsILi128ELi16ELi1ELb1ELb1ELb1ELb0ELb1EN3c104HalfEffEEv13SSMParamsBase
	.p2align	8
	.type	_Z25selective_scan_fwd_kernelI32Selective_Scan_fwd_kernel_traitsILi128ELi16ELi1ELb1ELb1ELb1ELb0ELb1EN3c104HalfEffEEv13SSMParamsBase,@function
_Z25selective_scan_fwd_kernelI32Selective_Scan_fwd_kernel_traitsILi128ELi16ELi1ELb1ELb1ELb1ELb0ELb1EN3c104HalfEffEEv13SSMParamsBase: ; @_Z25selective_scan_fwd_kernelI32Selective_Scan_fwd_kernel_traitsILi128ELi16ELi1ELb1ELb1ELb1ELb0ELb1EN3c104HalfEffEEv13SSMParamsBase
; %bb.0:
	s_clause 0x2
	s_load_b32 s36, s[0:1], 0x18
	s_load_b128 s[4:7], s[0:1], 0xe0
	s_load_b64 s[10:11], s[0:1], 0xf0
	s_mov_b32 s12, s15
	s_ashr_i32 s15, s14, 31
	s_mov_b32 s66, 0
	s_lshl_b64 s[8:9], s[14:15], 2
	s_waitcnt lgkmcnt(0)
	s_abs_i32 s33, s36
	s_add_u32 s2, s4, s8
	v_cvt_f32_u32_e32 v1, s33
	s_addc_u32 s3, s5, s9
	s_cmp_eq_u64 s[10:11], 0
	s_delay_alu instid0(VALU_DEP_1) | instskip(SKIP_2) | instid1(VALU_DEP_1)
	v_rcp_iflag_f32_e32 v1, v1
	s_waitcnt_depctr 0xfff
	v_mul_f32_e32 v1, 0x4f7ffffe, v1
	v_cvt_u32_f32_e32 v1, v1
	s_delay_alu instid0(VALU_DEP_1)
	v_readfirstlane_b32 s37, v1
	s_cbranch_scc1 .LBB122_2
; %bb.1:
	v_mov_b32_e32 v1, 0
	s_add_u32 s4, s10, s14
	s_addc_u32 s5, s11, s15
	global_load_u8 v1, v1, s[4:5]
	s_waitcnt vmcnt(0)
	v_and_b32_e32 v1, 1, v1
	s_delay_alu instid0(VALU_DEP_1)
	v_cmp_eq_u32_e64 s66, 1, v1
.LBB122_2:
	s_load_b64 s[4:5], s[0:1], 0x20
	s_cmp_eq_u64 s[6:7], 0
	s_cbranch_scc1 .LBB122_4
; %bb.3:
	s_add_u32 s6, s6, s8
	s_addc_u32 s7, s7, s9
	s_load_b32 s14, s[6:7], 0x0
	s_waitcnt lgkmcnt(0)
	s_ashr_i32 s15, s14, 31
.LBB122_4:
	s_waitcnt lgkmcnt(0)
	s_cmp_eq_u64 s[4:5], s[14:15]
	s_cbranch_scc1 .LBB122_238
; %bb.5:
	s_load_b512 s[16:31], s[0:1], 0x88
	s_load_b64 s[34:35], s[2:3], 0x0
	s_mov_b32 s67, 0
	s_mov_b32 s68, 0
	s_waitcnt lgkmcnt(0)
	s_cmp_eq_u64 s[22:23], 0
	s_cbranch_scc1 .LBB122_7
; %bb.6:
	s_ashr_i32 s13, s12, 31
	s_delay_alu instid0(SALU_CYCLE_1) | instskip(NEXT) | instid1(SALU_CYCLE_1)
	s_lshl_b64 s[2:3], s[12:13], 2
	s_add_u32 s2, s22, s2
	s_addc_u32 s3, s23, s3
	s_load_b32 s68, s[2:3], 0x0
.LBB122_7:
	s_cmp_eq_u64 s[28:29], 0
	s_cbranch_scc1 .LBB122_9
; %bb.8:
	s_ashr_i32 s13, s12, 31
	s_delay_alu instid0(SALU_CYCLE_1) | instskip(NEXT) | instid1(SALU_CYCLE_1)
	s_lshl_b64 s[2:3], s[12:13], 2
	s_add_u32 s2, s28, s2
	s_addc_u32 s3, s29, s3
	s_load_b32 s67, s[2:3], 0x0
.LBB122_9:
	s_sub_i32 s69, s35, s34
	s_delay_alu instid0(SALU_CYCLE_1)
	s_cmp_lt_i32 s69, 1
	s_cbranch_scc1 .LBB122_238
; %bb.10:
	s_sub_i32 s2, 0, s33
	s_abs_i32 s5, s12
	s_mul_i32 s4, s2, s37
	s_clause 0x1
	s_load_b64 s[2:3], s[0:1], 0x5c
	s_load_b128 s[56:59], s[0:1], 0x4c
	s_mul_hi_u32 s4, s37, s4
	s_ashr_i32 s7, s36, 31
	s_add_i32 s37, s37, s4
	s_ashr_i32 s4, s12, 31
	s_mul_hi_u32 s6, s5, s37
	s_xor_b32 s7, s4, s7
	s_mul_i32 s8, s6, s33
	s_load_b256 s[48:55], s[0:1], 0x2c
	s_sub_i32 s4, s5, s8
	s_add_i32 s5, s6, 1
	s_sub_i32 s8, s4, s33
	s_cmp_ge_u32 s4, s33
	s_mov_b32 s65, 0
	s_cselect_b32 s5, s5, s6
	s_cselect_b32 s4, s8, s4
	s_add_i32 s6, s5, 1
	s_cmp_ge_u32 s4, s33
	s_load_b128 s[60:63], s[0:1], 0x7c
	s_cselect_b32 s4, s6, s5
	s_waitcnt lgkmcnt(0)
	s_mul_i32 s64, s34, s58
	s_xor_b32 s6, s4, s7
	s_lshl_b64 s[4:5], s[64:65], 1
	s_sub_i32 s6, s6, s7
	s_mul_i32 s64, s59, s12
	s_add_u32 s7, s24, s4
	s_addc_u32 s8, s25, s5
	s_lshl_b64 s[4:5], s[64:65], 1
	s_mul_i32 s64, s34, s2
	s_add_u32 s70, s7, s4
	s_addc_u32 s71, s8, s5
	s_lshl_b64 s[4:5], s[64:65], 1
	;; [unrolled: 4-line block ×3, first 2 shown]
	v_dual_mov_b32 v21, 0 :: v_dual_lshlrev_b32 v18, 4, v0
	s_add_u32 s72, s4, s2
	s_mul_i32 s64, s48, s12
	s_addc_u32 s48, s5, s3
	s_load_b64 s[4:5], s[0:1], 0xc8
	s_lshl_b64 s[2:3], s[64:65], 2
	v_mbcnt_lo_u32_b32 v19, -1, 0
	v_and_b32_e32 v1, 0x600, v18
	s_mul_i32 s64, s34, s50
	s_add_u32 s73, s16, s2
	s_addc_u32 s63, s17, s3
	s_lshl_b64 s[2:3], s[64:65], 1
	s_mul_i32 s64, s6, s53
	s_clause 0x2
	s_load_b64 s[16:17], s[0:1], 0x6c
	s_load_b32 s78, s[0:1], 0xc
	s_load_b32 s0, s[0:1], 0x28
	s_add_u32 s7, s18, s2
	v_or_b32_e32 v20, v19, v1
	s_addc_u32 s8, s19, s3
	s_lshl_b64 s[2:3], s[64:65], 1
	s_mul_i32 s64, s34, s54
	s_add_u32 s53, s7, s2
	s_addc_u32 s74, s8, s3
	s_lshl_b64 s[2:3], s[64:65], 1
	s_mul_i32 s64, s6, s57
	v_or_b32_e32 v24, 0x60, v20
	v_and_b32_e32 v14, 0x60, v0
	s_add_u32 s7, s20, s2
	s_addc_u32 s6, s21, s3
	s_lshl_b64 s[2:3], s[64:65], 1
	s_mul_i32 s64, s14, s60
	s_add_u32 s57, s7, s2
	s_addc_u32 s75, s6, s3
	s_lshl_b64 s[2:3], s[64:65], 2
	v_or_b32_e32 v26, 0xa0, v20
	v_or_b32_e32 v28, 0xe0, v20
	v_or_b32_e32 v30, 0x120, v20
	v_or_b32_e32 v32, 0x160, v20
	v_or_b32_e32 v34, 0x1a0, v20
	v_lshrrev_b32_e32 v2, 5, v24
	v_or_b32_e32 v36, 0x1e0, v20
	v_or_b32_e32 v16, v19, v14
	s_mul_i32 s64, s61, s12
	s_waitcnt lgkmcnt(0)
	s_add_u32 s4, s4, s2
	s_addc_u32 s5, s5, s3
	s_lshl_b64 s[2:3], s[64:65], 2
	v_or_b32_e32 v23, 64, v20
	s_add_u32 s76, s4, s2
	v_or_b32_e32 v25, 0x80, v20
	v_or_b32_e32 v27, 0xc0, v20
	;; [unrolled: 1-line block ×6, first 2 shown]
	v_and_b32_e32 v2, 50, v2
	v_lshrrev_b32_e32 v5, 5, v26
	v_lshrrev_b32_e32 v8, 5, v28
	;; [unrolled: 1-line block ×6, first 2 shown]
	v_lshrrev_b16 v50, 1, v16
	s_addc_u32 s77, s5, s3
	s_add_i32 s2, s69, 0x7ff
	v_lshrrev_b32_e32 v3, 5, v1
	s_lshr_b32 s79, s2, 11
	s_bitcmp1_b32 s0, 0
	v_lshrrev_b32_e32 v4, 5, v23
	v_lshrrev_b32_e32 v6, 5, v25
	v_add_lshl_u32 v2, v2, v20, 1
	v_and_b32_e32 v5, 52, v5
	v_lshrrev_b32_e32 v7, 5, v27
	v_and_b32_e32 v8, 54, v8
	v_lshrrev_b32_e32 v10, 5, v29
	;; [unrolled: 2-line block ×5, first 2 shown]
	v_and_b32_e32 v51, 62, v49
	v_lshlrev_b32_e32 v16, 4, v16
	v_and_b32_e32 v52, 62, v50
	s_cselect_b32 s80, -1, 0
	s_cmp_gt_i32 s78, 0
	v_add_lshl_u32 v3, v3, v20, 1
	s_cselect_b32 s81, -1, 0
	s_add_i32 s0, 0, 0x1080
	v_add_lshl_u32 v4, v4, v20, 1
	v_add_lshl_u32 v6, v6, v20, 1
	v_add_nc_u32_e32 v39, 0, v2
	v_add_lshl_u32 v5, v5, v20, 1
	v_add_lshl_u32 v7, v7, v20, 1
	;; [unrolled: 1-line block ×12, first 2 shown]
	v_add_nc_u32_e32 v55, s0, v2
	v_and_b32_e32 v2, 15, v19
	s_and_b32 s1, s69, 0x7ff
	v_add_nc_u32_e32 v51, 0, v67
	v_add_nc_u32_e32 v53, s0, v3
	;; [unrolled: 1-line block ×15, first 2 shown]
	s_cmp_eq_u32 s1, 0
	v_add_nc_u32_e32 v68, s0, v16
	v_cmp_ne_u32_e64 s0, 0, v2
	v_cmp_lt_u32_e64 s1, 1, v2
	v_cmp_lt_u32_e64 s2, 3, v2
	;; [unrolled: 1-line block ×3, first 2 shown]
	v_add_nc_u32_e32 v2, -1, v19
	v_add_nc_u32_e32 v37, 0, v3
	v_lshrrev_b32_e32 v3, 2, v0
	v_add_nc_u32_e32 v41, 0, v5
	v_or_b32_e32 v5, 31, v14
	v_cmp_gt_i32_e32 vcc_lo, 0, v2
	s_mul_i32 s64, s34, s16
	v_and_b32_e32 v3, 24, v3
	s_cselect_b32 s82, -1, 0
	s_lshl_b64 s[14:15], s[64:65], 1
	v_cndmask_b32_e32 v2, v2, v19, vcc_lo
	s_add_i32 s83, s79, -1
	s_mul_i32 s64, s17, s12
	v_cmp_eq_u32_e64 s5, v5, v0
	v_cmp_gt_u32_e64 s6, 4, v0
	v_lshl_add_u32 v70, v0, 3, 0
	v_cmp_gt_u32_e64 s9, 32, v0
	v_cmp_lt_u32_e64 s10, 31, v0
	v_cmp_eq_u32_e64 s11, 0, v0
	s_add_u32 s14, s30, s14
	v_lshlrev_b32_e32 v0, 1, v19
	s_addc_u32 s15, s31, s15
	s_lshl_b64 s[12:13], s[64:65], 1
	v_add_nc_u32_e32 v69, 0, v3
	v_and_b32_e32 v3, 3, v19
	s_add_u32 s12, s14, s12
	v_lshlrev_b32_e32 v71, 2, v2
	s_addc_u32 s13, s15, s13
	v_lshlrev_b32_e32 v2, 1, v1
	v_add_co_u32 v0, s12, s12, v0
	v_add_nc_u32_e32 v38, 0, v4
	v_and_b32_e32 v4, 16, v19
	v_cmp_ne_u32_e64 s7, 0, v3
	v_cmp_lt_u32_e64 s8, 1, v3
	v_add_co_ci_u32_e64 v3, null, s13, 0, s12
	v_add_co_u32 v72, vcc_lo, v0, v2
	v_or_b32_e32 v22, 32, v20
	v_add_nc_u32_e32 v40, 0, v6
	v_add_nc_u32_e32 v42, 0, v7
	;; [unrolled: 1-line block ×11, first 2 shown]
	v_cmp_ne_u32_e64 s4, 0, v4
	v_cmp_eq_u32_e64 s12, 0, v19
	v_add_co_ci_u32_e32 v73, vcc_lo, 0, v3, vcc_lo
	v_or_b32_e32 v74, 1, v18
	v_or_b32_e32 v75, 2, v18
	;; [unrolled: 1-line block ×15, first 2 shown]
	v_lshlrev_b32_e32 v89, 1, v1
	s_mov_b32 s84, 0x3e9b6dac
	s_add_i32 s85, 0, 0x2120
	s_mov_b32 s86, 0
	s_branch .LBB122_12
.LBB122_11:                             ;   in Loop: Header=BB122_12 Depth=1
	s_or_b32 exec_lo, exec_lo, s13
	s_add_u32 s72, s72, 0x1000
	s_addc_u32 s48, s48, 0
	s_add_u32 s70, s70, 0x1000
	s_addc_u32 s71, s71, 0
	;; [unrolled: 2-line block ×4, first 2 shown]
	s_add_i32 s86, s86, 1
	s_delay_alu instid0(SALU_CYCLE_1)
	s_cmp_eq_u32 s86, s79
	s_cbranch_scc1 .LBB122_238
.LBB122_12:                             ; =>This Loop Header: Depth=1
                                        ;     Child Loop BB122_109 Depth 2
	s_waitcnt lgkmcnt(14)
	v_lshlrev_b32_e32 v16, 1, v19
	s_lshl_b32 s50, s86, 11
	s_waitcnt lgkmcnt(0)
	v_mov_b32_e32 v2, 0
	s_sub_i32 s41, s69, s50
	v_add_co_u32 v0, s13, s70, v16
	s_delay_alu instid0(VALU_DEP_1) | instskip(SKIP_1) | instid1(VALU_DEP_3)
	v_add_co_ci_u32_e64 v1, null, s71, 0, s13
	v_cmp_gt_u32_e64 s13, s41, v20
	v_add_co_u32 v0, vcc_lo, v0, v89
	s_delay_alu instid0(VALU_DEP_3)
	v_add_co_ci_u32_e32 v1, vcc_lo, 0, v1, vcc_lo
	s_waitcnt_vscnt null, 0x0
	s_barrier
	buffer_gl0_inv
	s_and_saveexec_b32 s14, s13
	s_cbranch_execz .LBB122_14
; %bb.13:                               ;   in Loop: Header=BB122_12 Depth=1
	global_load_u16 v2, v[0:1], off
.LBB122_14:                             ;   in Loop: Header=BB122_12 Depth=1
	s_or_b32 exec_lo, exec_lo, s14
	v_cmp_gt_u32_e64 s14, s41, v22
	v_dual_mov_b32 v3, 0 :: v_dual_mov_b32 v4, 0
	s_delay_alu instid0(VALU_DEP_2)
	s_and_saveexec_b32 s15, s14
	s_cbranch_execz .LBB122_16
; %bb.15:                               ;   in Loop: Header=BB122_12 Depth=1
	global_load_u16 v4, v[0:1], off offset:64
.LBB122_16:                             ;   in Loop: Header=BB122_12 Depth=1
	s_or_b32 exec_lo, exec_lo, s15
	v_cmp_gt_u32_e64 s15, s41, v23
	s_delay_alu instid0(VALU_DEP_1)
	s_and_saveexec_b32 s16, s15
	s_cbranch_execz .LBB122_18
; %bb.17:                               ;   in Loop: Header=BB122_12 Depth=1
	global_load_u16 v3, v[0:1], off offset:128
.LBB122_18:                             ;   in Loop: Header=BB122_12 Depth=1
	s_or_b32 exec_lo, exec_lo, s16
	v_cmp_gt_u32_e64 s16, s41, v24
	v_dual_mov_b32 v5, 0 :: v_dual_mov_b32 v6, 0
	s_delay_alu instid0(VALU_DEP_2)
	s_and_saveexec_b32 s17, s16
	s_cbranch_execz .LBB122_20
; %bb.19:                               ;   in Loop: Header=BB122_12 Depth=1
	global_load_u16 v6, v[0:1], off offset:192
.LBB122_20:                             ;   in Loop: Header=BB122_12 Depth=1
	s_or_b32 exec_lo, exec_lo, s17
	v_cmp_gt_u32_e64 s17, s41, v25
	s_delay_alu instid0(VALU_DEP_1)
	s_and_saveexec_b32 s18, s17
	s_cbranch_execz .LBB122_22
; %bb.21:                               ;   in Loop: Header=BB122_12 Depth=1
	global_load_u16 v5, v[0:1], off offset:256
.LBB122_22:                             ;   in Loop: Header=BB122_12 Depth=1
	;; [unrolled: 17-line block ×3, first 2 shown]
	s_or_b32 exec_lo, exec_lo, s20
	v_cmp_gt_u32_e64 s20, s41, v28
	v_mov_b32_e32 v9, 0
	v_mov_b32_e32 v11, 0
	s_delay_alu instid0(VALU_DEP_3)
	s_and_saveexec_b32 s21, s20
	s_cbranch_execz .LBB122_28
; %bb.27:                               ;   in Loop: Header=BB122_12 Depth=1
	global_load_u16 v11, v[0:1], off offset:448
.LBB122_28:                             ;   in Loop: Header=BB122_12 Depth=1
	s_or_b32 exec_lo, exec_lo, s21
	v_cmp_gt_u32_e64 s21, s41, v29
	s_delay_alu instid0(VALU_DEP_1)
	s_and_saveexec_b32 s22, s21
	s_cbranch_execz .LBB122_30
; %bb.29:                               ;   in Loop: Header=BB122_12 Depth=1
	global_load_u16 v9, v[0:1], off offset:512
.LBB122_30:                             ;   in Loop: Header=BB122_12 Depth=1
	s_or_b32 exec_lo, exec_lo, s22
	v_cmp_gt_u32_e64 s22, s41, v30
	v_dual_mov_b32 v12, 0 :: v_dual_mov_b32 v13, 0
	s_delay_alu instid0(VALU_DEP_2)
	s_and_saveexec_b32 s23, s22
	s_cbranch_execz .LBB122_32
; %bb.31:                               ;   in Loop: Header=BB122_12 Depth=1
	global_load_u16 v13, v[0:1], off offset:576
.LBB122_32:                             ;   in Loop: Header=BB122_12 Depth=1
	s_or_b32 exec_lo, exec_lo, s23
	v_cmp_gt_u32_e64 s23, s41, v31
	s_delay_alu instid0(VALU_DEP_1)
	s_and_saveexec_b32 s24, s23
	s_cbranch_execz .LBB122_34
; %bb.33:                               ;   in Loop: Header=BB122_12 Depth=1
	global_load_u16 v12, v[0:1], off offset:640
.LBB122_34:                             ;   in Loop: Header=BB122_12 Depth=1
	s_or_b32 exec_lo, exec_lo, s24
	v_cmp_gt_u32_e64 s24, s41, v32
	v_dual_mov_b32 v14, 0 :: v_dual_mov_b32 v15, 0
	s_delay_alu instid0(VALU_DEP_2)
	s_and_saveexec_b32 s25, s24
	s_cbranch_execz .LBB122_36
; %bb.35:                               ;   in Loop: Header=BB122_12 Depth=1
	global_load_u16 v15, v[0:1], off offset:704
.LBB122_36:                             ;   in Loop: Header=BB122_12 Depth=1
	s_or_b32 exec_lo, exec_lo, s25
	v_cmp_gt_u32_e64 s25, s41, v33
	s_delay_alu instid0(VALU_DEP_1)
	s_and_saveexec_b32 s26, s25
	s_cbranch_execz .LBB122_38
; %bb.37:                               ;   in Loop: Header=BB122_12 Depth=1
	global_load_u16 v14, v[0:1], off offset:768
.LBB122_38:                             ;   in Loop: Header=BB122_12 Depth=1
	s_or_b32 exec_lo, exec_lo, s26
	v_cmp_gt_u32_e64 s26, s41, v34
	v_dual_mov_b32 v17, 0 :: v_dual_mov_b32 v90, 0
	s_delay_alu instid0(VALU_DEP_2)
	s_and_saveexec_b32 s27, s26
	s_cbranch_execz .LBB122_40
; %bb.39:                               ;   in Loop: Header=BB122_12 Depth=1
	global_load_u16 v90, v[0:1], off offset:832
.LBB122_40:                             ;   in Loop: Header=BB122_12 Depth=1
	s_or_b32 exec_lo, exec_lo, s27
	v_cmp_gt_u32_e64 s27, s41, v35
	s_delay_alu instid0(VALU_DEP_1)
	s_and_saveexec_b32 s28, s27
	s_cbranch_execz .LBB122_42
; %bb.41:                               ;   in Loop: Header=BB122_12 Depth=1
	global_load_u16 v17, v[0:1], off offset:896
.LBB122_42:                             ;   in Loop: Header=BB122_12 Depth=1
	s_or_b32 exec_lo, exec_lo, s28
	v_cmp_gt_u32_e64 s28, s41, v36
	v_dual_mov_b32 v10, 0 :: v_dual_mov_b32 v91, 0
	s_delay_alu instid0(VALU_DEP_2)
	s_and_saveexec_b32 s29, s28
	s_cbranch_execz .LBB122_44
; %bb.43:                               ;   in Loop: Header=BB122_12 Depth=1
	global_load_u16 v91, v[0:1], off offset:960
.LBB122_44:                             ;   in Loop: Header=BB122_12 Depth=1
	s_or_b32 exec_lo, exec_lo, s29
	s_waitcnt vmcnt(0)
	ds_store_b16 v37, v2
	ds_store_b16 v37, v4 offset:64
	ds_store_b16 v38, v3 offset:128
	;; [unrolled: 1-line block ×15, first 2 shown]
	; wave barrier
	ds_load_b128 v[0:3], v52
	ds_load_b128 v[4:7], v52 offset:16
	v_add_co_u32 v8, s29, s72, v16
	s_delay_alu instid0(VALU_DEP_1) | instskip(SKIP_1) | instid1(VALU_DEP_2)
	v_add_co_ci_u32_e64 v9, null, s48, 0, s29
	s_waitcnt lgkmcnt(0)
	v_add_co_u32 v8, vcc_lo, v8, v89
	s_delay_alu instid0(VALU_DEP_2)
	v_add_co_ci_u32_e32 v9, vcc_lo, 0, v9, vcc_lo
	s_barrier
	buffer_gl0_inv
	s_and_saveexec_b32 s29, s13
	s_cbranch_execz .LBB122_46
; %bb.45:                               ;   in Loop: Header=BB122_12 Depth=1
	global_load_u16 v10, v[8:9], off
.LBB122_46:                             ;   in Loop: Header=BB122_12 Depth=1
	s_or_b32 exec_lo, exec_lo, s29
	v_dual_mov_b32 v11, 0 :: v_dual_mov_b32 v12, 0
	s_and_saveexec_b32 s29, s14
	s_cbranch_execz .LBB122_48
; %bb.47:                               ;   in Loop: Header=BB122_12 Depth=1
	global_load_u16 v12, v[8:9], off offset:64
.LBB122_48:                             ;   in Loop: Header=BB122_12 Depth=1
	s_or_b32 exec_lo, exec_lo, s29
	s_and_saveexec_b32 s29, s15
	s_cbranch_execz .LBB122_50
; %bb.49:                               ;   in Loop: Header=BB122_12 Depth=1
	global_load_u16 v11, v[8:9], off offset:128
.LBB122_50:                             ;   in Loop: Header=BB122_12 Depth=1
	s_or_b32 exec_lo, exec_lo, s29
	v_dual_mov_b32 v13, 0 :: v_dual_mov_b32 v14, 0
	s_and_saveexec_b32 s29, s16
	s_cbranch_execz .LBB122_52
; %bb.51:                               ;   in Loop: Header=BB122_12 Depth=1
	global_load_u16 v14, v[8:9], off offset:192
.LBB122_52:                             ;   in Loop: Header=BB122_12 Depth=1
	s_or_b32 exec_lo, exec_lo, s29
	s_and_saveexec_b32 s29, s17
	s_cbranch_execz .LBB122_54
; %bb.53:                               ;   in Loop: Header=BB122_12 Depth=1
	global_load_u16 v13, v[8:9], off offset:256
.LBB122_54:                             ;   in Loop: Header=BB122_12 Depth=1
	s_or_b32 exec_lo, exec_lo, s29
	v_mov_b32_e32 v15, 0
	v_mov_b32_e32 v17, 0
	s_and_saveexec_b32 s29, s18
	s_cbranch_execz .LBB122_56
; %bb.55:                               ;   in Loop: Header=BB122_12 Depth=1
	global_load_u16 v17, v[8:9], off offset:320
.LBB122_56:                             ;   in Loop: Header=BB122_12 Depth=1
	s_or_b32 exec_lo, exec_lo, s29
	s_and_saveexec_b32 s29, s19
	s_cbranch_execz .LBB122_58
; %bb.57:                               ;   in Loop: Header=BB122_12 Depth=1
	global_load_u16 v15, v[8:9], off offset:384
.LBB122_58:                             ;   in Loop: Header=BB122_12 Depth=1
	s_or_b32 exec_lo, exec_lo, s29
	v_dual_mov_b32 v90, 0 :: v_dual_mov_b32 v91, 0
	s_and_saveexec_b32 s29, s20
	s_cbranch_execz .LBB122_60
; %bb.59:                               ;   in Loop: Header=BB122_12 Depth=1
	global_load_u16 v91, v[8:9], off offset:448
.LBB122_60:                             ;   in Loop: Header=BB122_12 Depth=1
	s_or_b32 exec_lo, exec_lo, s29
	s_and_saveexec_b32 s29, s21
	s_cbranch_execz .LBB122_62
; %bb.61:                               ;   in Loop: Header=BB122_12 Depth=1
	global_load_u16 v90, v[8:9], off offset:512
.LBB122_62:                             ;   in Loop: Header=BB122_12 Depth=1
	s_or_b32 exec_lo, exec_lo, s29
	v_dual_mov_b32 v92, 0 :: v_dual_mov_b32 v93, 0
	;; [unrolled: 13-line block ×4, first 2 shown]
	s_and_saveexec_b32 s29, s26
	s_cbranch_execnz .LBB122_220
; %bb.71:                               ;   in Loop: Header=BB122_12 Depth=1
	s_or_b32 exec_lo, exec_lo, s29
	s_and_saveexec_b32 s29, s27
	s_cbranch_execnz .LBB122_221
.LBB122_72:                             ;   in Loop: Header=BB122_12 Depth=1
	s_or_b32 exec_lo, exec_lo, s29
	v_mov_b32_e32 v98, 0
	s_and_saveexec_b32 s29, s28
	s_cbranch_execz .LBB122_74
.LBB122_73:                             ;   in Loop: Header=BB122_12 Depth=1
	global_load_u16 v98, v[8:9], off offset:960
.LBB122_74:                             ;   in Loop: Header=BB122_12 Depth=1
	s_or_b32 exec_lo, exec_lo, s29
	s_waitcnt vmcnt(0)
	ds_store_b16 v37, v10
	ds_store_b16 v37, v12 offset:64
	ds_store_b16 v38, v11 offset:128
	;; [unrolled: 1-line block ×15, first 2 shown]
	; wave barrier
	ds_load_b128 v[12:15], v52
	ds_load_b128 v[8:11], v52 offset:16
	s_waitcnt lgkmcnt(1)
	v_cvt_f32_f16_e32 v17, v12
	s_delay_alu instid0(VALU_DEP_1) | instskip(NEXT) | instid1(VALU_DEP_1)
	v_add_f32_e32 v90, s67, v17
	v_cmp_ge_f32_e32 vcc_lo, 0x41a00000, v90
	s_and_b32 s29, s80, vcc_lo
	s_delay_alu instid0(SALU_CYCLE_1)
	s_and_saveexec_b32 s30, s29
	s_cbranch_execz .LBB122_76
; %bb.75:                               ;   in Loop: Header=BB122_12 Depth=1
	v_mul_f32_e32 v17, 0x3fb8aa3b, v90
	v_cmp_ngt_f32_e32 vcc_lo, 0xc2ce8ed0, v90
	s_delay_alu instid0(VALU_DEP_2) | instskip(SKIP_1) | instid1(VALU_DEP_1)
	v_rndne_f32_e32 v91, v17
	v_fma_f32 v92, 0x3fb8aa3b, v90, -v17
	v_dual_sub_f32 v17, v17, v91 :: v_dual_fmac_f32 v92, 0x32a5705f, v90
	v_cvt_i32_f32_e32 v91, v91
	s_delay_alu instid0(VALU_DEP_2) | instskip(NEXT) | instid1(VALU_DEP_1)
	v_add_f32_e32 v17, v17, v92
	v_exp_f32_e32 v17, v17
	s_waitcnt_depctr 0xfff
	v_ldexp_f32 v17, v17, v91
	s_delay_alu instid0(VALU_DEP_1) | instskip(SKIP_1) | instid1(VALU_DEP_2)
	v_cndmask_b32_e32 v17, 0, v17, vcc_lo
	v_cmp_nlt_f32_e32 vcc_lo, 0x42b17218, v90
	v_cndmask_b32_e32 v17, 0x7f800000, v17, vcc_lo
	s_delay_alu instid0(VALU_DEP_1) | instskip(NEXT) | instid1(VALU_DEP_1)
	v_add_f32_e32 v92, 1.0, v17
	v_cvt_f64_f32_e32 v[90:91], v92
	s_delay_alu instid0(VALU_DEP_1) | instskip(SKIP_1) | instid1(VALU_DEP_1)
	v_frexp_exp_i32_f64_e32 v90, v[90:91]
	v_frexp_mant_f32_e32 v91, v92
	v_cmp_gt_f32_e32 vcc_lo, 0x3f2aaaab, v91
	v_add_f32_e32 v91, -1.0, v92
	s_delay_alu instid0(VALU_DEP_1) | instskip(NEXT) | instid1(VALU_DEP_1)
	v_dual_sub_f32 v94, v91, v92 :: v_dual_sub_f32 v91, v17, v91
	v_add_f32_e32 v94, 1.0, v94
	v_subrev_co_ci_u32_e32 v90, vcc_lo, 0, v90, vcc_lo
	s_delay_alu instid0(VALU_DEP_1) | instskip(SKIP_1) | instid1(VALU_DEP_2)
	v_sub_nc_u32_e32 v93, 0, v90
	v_cvt_f32_i32_e32 v90, v90
	v_ldexp_f32 v92, v92, v93
	v_add_f32_e32 v91, v91, v94
	s_delay_alu instid0(VALU_DEP_1) | instskip(NEXT) | instid1(VALU_DEP_3)
	v_ldexp_f32 v91, v91, v93
	v_add_f32_e32 v95, 1.0, v92
	s_delay_alu instid0(VALU_DEP_1) | instskip(NEXT) | instid1(VALU_DEP_1)
	v_add_f32_e32 v94, -1.0, v95
	v_sub_f32_e32 v94, v92, v94
	v_cmp_eq_f32_e32 vcc_lo, 0x7f800000, v17
	v_cmp_gt_f32_e64 s29, 0x33800000, v17
	s_delay_alu instid0(VALU_DEP_3) | instskip(NEXT) | instid1(VALU_DEP_2)
	v_dual_add_f32 v94, v91, v94 :: v_dual_add_f32 v93, -1.0, v92
	s_or_b32 vcc_lo, s29, vcc_lo
	s_delay_alu instid0(VALU_DEP_1) | instskip(NEXT) | instid1(VALU_DEP_1)
	v_add_f32_e32 v96, 1.0, v93
	v_sub_f32_e32 v92, v92, v96
	s_delay_alu instid0(VALU_DEP_3) | instskip(NEXT) | instid1(VALU_DEP_1)
	v_add_f32_e32 v96, v95, v94
	v_sub_f32_e32 v95, v95, v96
	s_delay_alu instid0(VALU_DEP_3) | instskip(SKIP_1) | instid1(VALU_DEP_2)
	v_add_f32_e32 v91, v91, v92
	v_rcp_f32_e32 v92, v96
	v_add_f32_e32 v94, v94, v95
	s_delay_alu instid0(VALU_DEP_2) | instskip(NEXT) | instid1(VALU_DEP_1)
	v_add_f32_e32 v97, v93, v91
	v_sub_f32_e32 v93, v93, v97
	s_waitcnt_depctr 0xfff
	v_dual_mul_f32 v98, v97, v92 :: v_dual_add_f32 v91, v91, v93
	s_delay_alu instid0(VALU_DEP_1) | instskip(NEXT) | instid1(VALU_DEP_1)
	v_mul_f32_e32 v99, v96, v98
	v_fma_f32 v95, v98, v96, -v99
	s_delay_alu instid0(VALU_DEP_1) | instskip(NEXT) | instid1(VALU_DEP_1)
	v_fmac_f32_e32 v95, v98, v94
	v_add_f32_e32 v100, v99, v95
	s_delay_alu instid0(VALU_DEP_1) | instskip(NEXT) | instid1(VALU_DEP_1)
	v_sub_f32_e32 v101, v97, v100
	v_sub_f32_e32 v97, v97, v101
	;; [unrolled: 1-line block ×3, first 2 shown]
	s_delay_alu instid0(VALU_DEP_2) | instskip(NEXT) | instid1(VALU_DEP_2)
	v_sub_f32_e32 v97, v97, v100
	v_sub_f32_e32 v93, v93, v95
	s_delay_alu instid0(VALU_DEP_2) | instskip(NEXT) | instid1(VALU_DEP_1)
	v_add_f32_e32 v91, v91, v97
	v_add_f32_e32 v91, v93, v91
	s_delay_alu instid0(VALU_DEP_1) | instskip(NEXT) | instid1(VALU_DEP_1)
	v_add_f32_e32 v93, v101, v91
	v_mul_f32_e32 v95, v92, v93
	s_delay_alu instid0(VALU_DEP_1) | instskip(NEXT) | instid1(VALU_DEP_1)
	v_dual_sub_f32 v100, v101, v93 :: v_dual_mul_f32 v97, v96, v95
	v_add_f32_e32 v91, v91, v100
	s_delay_alu instid0(VALU_DEP_2) | instskip(NEXT) | instid1(VALU_DEP_1)
	v_fma_f32 v96, v95, v96, -v97
	v_fmac_f32_e32 v96, v95, v94
	s_delay_alu instid0(VALU_DEP_1) | instskip(NEXT) | instid1(VALU_DEP_1)
	v_add_f32_e32 v94, v97, v96
	v_sub_f32_e32 v99, v93, v94
	v_sub_f32_e32 v97, v94, v97
	s_delay_alu instid0(VALU_DEP_2) | instskip(NEXT) | instid1(VALU_DEP_1)
	v_sub_f32_e32 v93, v93, v99
	v_sub_f32_e32 v93, v93, v94
	s_delay_alu instid0(VALU_DEP_1) | instskip(SKIP_1) | instid1(VALU_DEP_1)
	v_dual_sub_f32 v94, v97, v96 :: v_dual_add_f32 v91, v91, v93
	v_add_f32_e32 v93, v98, v95
	v_dual_add_f32 v91, v94, v91 :: v_dual_sub_f32 v94, v93, v98
	s_delay_alu instid0(VALU_DEP_1) | instskip(NEXT) | instid1(VALU_DEP_1)
	v_add_f32_e32 v91, v99, v91
	v_dual_sub_f32 v94, v95, v94 :: v_dual_mul_f32 v91, v92, v91
	s_delay_alu instid0(VALU_DEP_1) | instskip(NEXT) | instid1(VALU_DEP_1)
	v_add_f32_e32 v91, v94, v91
	v_add_f32_e32 v92, v93, v91
	s_delay_alu instid0(VALU_DEP_1) | instskip(NEXT) | instid1(VALU_DEP_1)
	v_mul_f32_e32 v94, v92, v92
	v_fmaak_f32 v95, s84, v94, 0x3ecc95a3
	v_mul_f32_e32 v96, v92, v94
	s_delay_alu instid0(VALU_DEP_2) | instskip(SKIP_2) | instid1(VALU_DEP_3)
	v_fmaak_f32 v94, v94, v95, 0x3f2aaada
	v_ldexp_f32 v95, v92, 1
	v_sub_f32_e32 v92, v92, v93
	v_mul_f32_e32 v94, v96, v94
	s_delay_alu instid0(VALU_DEP_2) | instskip(NEXT) | instid1(VALU_DEP_2)
	v_dual_mul_f32 v96, 0x3f317218, v90 :: v_dual_sub_f32 v91, v91, v92
	v_add_f32_e32 v93, v95, v94
	s_delay_alu instid0(VALU_DEP_2) | instskip(NEXT) | instid1(VALU_DEP_2)
	v_ldexp_f32 v91, v91, 1
	v_sub_f32_e32 v92, v93, v95
	s_delay_alu instid0(VALU_DEP_4) | instskip(NEXT) | instid1(VALU_DEP_1)
	v_fma_f32 v95, 0x3f317218, v90, -v96
	v_dual_sub_f32 v92, v94, v92 :: v_dual_fmac_f32 v95, 0xb102e308, v90
	s_delay_alu instid0(VALU_DEP_1) | instskip(NEXT) | instid1(VALU_DEP_1)
	v_dual_add_f32 v90, v91, v92 :: v_dual_add_f32 v91, v96, v95
	v_add_f32_e32 v92, v93, v90
	s_delay_alu instid0(VALU_DEP_2) | instskip(NEXT) | instid1(VALU_DEP_2)
	v_sub_f32_e32 v96, v91, v96
	v_dual_add_f32 v94, v91, v92 :: v_dual_sub_f32 v93, v92, v93
	s_delay_alu instid0(VALU_DEP_2) | instskip(NEXT) | instid1(VALU_DEP_2)
	v_sub_f32_e32 v95, v95, v96
	v_sub_f32_e32 v97, v94, v91
	s_delay_alu instid0(VALU_DEP_3) | instskip(NEXT) | instid1(VALU_DEP_2)
	v_sub_f32_e32 v90, v90, v93
	v_sub_f32_e32 v98, v94, v97
	s_delay_alu instid0(VALU_DEP_2) | instskip(NEXT) | instid1(VALU_DEP_2)
	v_dual_sub_f32 v92, v92, v97 :: v_dual_add_f32 v93, v95, v90
	v_sub_f32_e32 v91, v91, v98
	s_delay_alu instid0(VALU_DEP_1) | instskip(NEXT) | instid1(VALU_DEP_3)
	v_add_f32_e32 v91, v92, v91
	v_sub_f32_e32 v92, v93, v95
	s_delay_alu instid0(VALU_DEP_2) | instskip(NEXT) | instid1(VALU_DEP_2)
	v_add_f32_e32 v91, v93, v91
	v_sub_f32_e32 v93, v93, v92
	v_sub_f32_e32 v90, v90, v92
	s_delay_alu instid0(VALU_DEP_2) | instskip(NEXT) | instid1(VALU_DEP_1)
	v_dual_add_f32 v96, v94, v91 :: v_dual_sub_f32 v93, v95, v93
	v_sub_f32_e32 v92, v96, v94
	s_delay_alu instid0(VALU_DEP_1) | instskip(NEXT) | instid1(VALU_DEP_1)
	v_dual_add_f32 v90, v90, v93 :: v_dual_sub_f32 v91, v91, v92
	v_add_f32_e32 v90, v90, v91
	s_delay_alu instid0(VALU_DEP_1) | instskip(NEXT) | instid1(VALU_DEP_1)
	v_add_f32_e32 v90, v96, v90
	v_cndmask_b32_e32 v90, v90, v17, vcc_lo
.LBB122_76:                             ;   in Loop: Header=BB122_12 Depth=1
	s_or_b32 exec_lo, exec_lo, s30
	v_lshrrev_b32_e32 v12, 16, v12
	s_delay_alu instid0(VALU_DEP_1) | instskip(NEXT) | instid1(VALU_DEP_1)
	v_cvt_f32_f16_e32 v12, v12
	v_add_f32_e32 v91, s67, v12
	s_delay_alu instid0(VALU_DEP_1) | instskip(SKIP_1) | instid1(SALU_CYCLE_1)
	v_cmp_ge_f32_e32 vcc_lo, 0x41a00000, v91
	s_and_b32 s29, s80, vcc_lo
	s_and_saveexec_b32 s30, s29
	s_cbranch_execz .LBB122_78
; %bb.77:                               ;   in Loop: Header=BB122_12 Depth=1
	v_mul_f32_e32 v12, 0x3fb8aa3b, v91
	v_cmp_ngt_f32_e32 vcc_lo, 0xc2ce8ed0, v91
	s_delay_alu instid0(VALU_DEP_2) | instskip(SKIP_1) | instid1(VALU_DEP_2)
	v_rndne_f32_e32 v17, v12
	v_fma_f32 v92, 0x3fb8aa3b, v91, -v12
	v_sub_f32_e32 v12, v12, v17
	s_delay_alu instid0(VALU_DEP_2) | instskip(SKIP_1) | instid1(VALU_DEP_2)
	v_fmac_f32_e32 v92, 0x32a5705f, v91
	v_cvt_i32_f32_e32 v17, v17
	v_add_f32_e32 v12, v12, v92
	s_delay_alu instid0(VALU_DEP_1) | instskip(SKIP_2) | instid1(VALU_DEP_1)
	v_exp_f32_e32 v12, v12
	s_waitcnt_depctr 0xfff
	v_ldexp_f32 v12, v12, v17
	v_cndmask_b32_e32 v12, 0, v12, vcc_lo
	v_cmp_nlt_f32_e32 vcc_lo, 0x42b17218, v91
	s_delay_alu instid0(VALU_DEP_2) | instskip(NEXT) | instid1(VALU_DEP_1)
	v_cndmask_b32_e32 v12, 0x7f800000, v12, vcc_lo
	v_add_f32_e32 v17, 1.0, v12
	s_delay_alu instid0(VALU_DEP_1) | instskip(NEXT) | instid1(VALU_DEP_1)
	v_cvt_f64_f32_e32 v[91:92], v17
	v_frexp_exp_i32_f64_e32 v91, v[91:92]
	v_frexp_mant_f32_e32 v92, v17
	s_delay_alu instid0(VALU_DEP_1) | instskip(SKIP_1) | instid1(VALU_DEP_1)
	v_cmp_gt_f32_e32 vcc_lo, 0x3f2aaaab, v92
	v_add_f32_e32 v92, -1.0, v17
	v_sub_f32_e32 v94, v92, v17
	v_sub_f32_e32 v92, v12, v92
	s_delay_alu instid0(VALU_DEP_2) | instskip(NEXT) | instid1(VALU_DEP_1)
	v_add_f32_e32 v94, 1.0, v94
	v_add_f32_e32 v92, v92, v94
	v_subrev_co_ci_u32_e32 v91, vcc_lo, 0, v91, vcc_lo
	s_delay_alu instid0(VALU_DEP_1) | instskip(SKIP_1) | instid1(VALU_DEP_2)
	v_sub_nc_u32_e32 v93, 0, v91
	v_cvt_f32_i32_e32 v91, v91
	v_ldexp_f32 v17, v17, v93
	v_ldexp_f32 v92, v92, v93
	s_delay_alu instid0(VALU_DEP_2) | instskip(NEXT) | instid1(VALU_DEP_1)
	v_add_f32_e32 v95, 1.0, v17
	v_dual_add_f32 v93, -1.0, v17 :: v_dual_add_f32 v94, -1.0, v95
	s_delay_alu instid0(VALU_DEP_1) | instskip(NEXT) | instid1(VALU_DEP_2)
	v_add_f32_e32 v96, 1.0, v93
	v_sub_f32_e32 v94, v17, v94
	s_delay_alu instid0(VALU_DEP_2) | instskip(NEXT) | instid1(VALU_DEP_1)
	v_sub_f32_e32 v17, v17, v96
	v_add_f32_e32 v17, v92, v17
	s_delay_alu instid0(VALU_DEP_1) | instskip(SKIP_2) | instid1(VALU_DEP_3)
	v_add_f32_e32 v97, v93, v17
	v_cmp_eq_f32_e32 vcc_lo, 0x7f800000, v12
	v_cmp_gt_f32_e64 s29, 0x33800000, v12
	v_dual_sub_f32 v93, v93, v97 :: v_dual_add_f32 v94, v92, v94
	s_delay_alu instid0(VALU_DEP_2) | instskip(NEXT) | instid1(VALU_DEP_1)
	s_or_b32 vcc_lo, s29, vcc_lo
	v_dual_add_f32 v17, v17, v93 :: v_dual_add_f32 v96, v95, v94
	s_delay_alu instid0(VALU_DEP_1) | instskip(SKIP_1) | instid1(VALU_DEP_1)
	v_rcp_f32_e32 v92, v96
	v_sub_f32_e32 v95, v95, v96
	v_add_f32_e32 v94, v94, v95
	s_waitcnt_depctr 0xfff
	v_mul_f32_e32 v98, v97, v92
	s_delay_alu instid0(VALU_DEP_1) | instskip(NEXT) | instid1(VALU_DEP_1)
	v_mul_f32_e32 v99, v96, v98
	v_fma_f32 v95, v98, v96, -v99
	s_delay_alu instid0(VALU_DEP_1) | instskip(NEXT) | instid1(VALU_DEP_1)
	v_fmac_f32_e32 v95, v98, v94
	v_add_f32_e32 v100, v99, v95
	s_delay_alu instid0(VALU_DEP_1) | instskip(SKIP_1) | instid1(VALU_DEP_2)
	v_sub_f32_e32 v101, v97, v100
	v_sub_f32_e32 v93, v100, v99
	;; [unrolled: 1-line block ×3, first 2 shown]
	s_delay_alu instid0(VALU_DEP_2) | instskip(NEXT) | instid1(VALU_DEP_2)
	v_sub_f32_e32 v93, v93, v95
	v_sub_f32_e32 v97, v97, v100
	s_delay_alu instid0(VALU_DEP_1) | instskip(NEXT) | instid1(VALU_DEP_1)
	v_add_f32_e32 v17, v17, v97
	v_add_f32_e32 v17, v93, v17
	s_delay_alu instid0(VALU_DEP_1) | instskip(NEXT) | instid1(VALU_DEP_1)
	v_add_f32_e32 v93, v101, v17
	v_mul_f32_e32 v95, v92, v93
	s_delay_alu instid0(VALU_DEP_1) | instskip(NEXT) | instid1(VALU_DEP_1)
	v_mul_f32_e32 v97, v96, v95
	v_fma_f32 v96, v95, v96, -v97
	s_delay_alu instid0(VALU_DEP_1) | instskip(SKIP_1) | instid1(VALU_DEP_2)
	v_fmac_f32_e32 v96, v95, v94
	v_sub_f32_e32 v100, v101, v93
	v_add_f32_e32 v94, v97, v96
	s_delay_alu instid0(VALU_DEP_2) | instskip(NEXT) | instid1(VALU_DEP_2)
	v_add_f32_e32 v17, v17, v100
	v_sub_f32_e32 v99, v93, v94
	s_delay_alu instid0(VALU_DEP_1) | instskip(NEXT) | instid1(VALU_DEP_1)
	v_sub_f32_e32 v93, v93, v99
	v_sub_f32_e32 v93, v93, v94
	s_delay_alu instid0(VALU_DEP_1) | instskip(SKIP_2) | instid1(VALU_DEP_1)
	v_add_f32_e32 v17, v17, v93
	v_add_f32_e32 v93, v98, v95
	v_sub_f32_e32 v97, v94, v97
	v_sub_f32_e32 v94, v97, v96
	s_delay_alu instid0(VALU_DEP_1) | instskip(NEXT) | instid1(VALU_DEP_1)
	v_dual_add_f32 v17, v94, v17 :: v_dual_sub_f32 v94, v93, v98
	v_add_f32_e32 v17, v99, v17
	s_delay_alu instid0(VALU_DEP_1) | instskip(NEXT) | instid1(VALU_DEP_1)
	v_dual_sub_f32 v94, v95, v94 :: v_dual_mul_f32 v17, v92, v17
	v_add_f32_e32 v17, v94, v17
	s_delay_alu instid0(VALU_DEP_1) | instskip(NEXT) | instid1(VALU_DEP_1)
	v_add_f32_e32 v92, v93, v17
	v_mul_f32_e32 v94, v92, v92
	s_delay_alu instid0(VALU_DEP_1) | instskip(SKIP_1) | instid1(VALU_DEP_2)
	v_fmaak_f32 v95, s84, v94, 0x3ecc95a3
	v_mul_f32_e32 v96, v92, v94
	v_fmaak_f32 v94, v94, v95, 0x3f2aaada
	v_ldexp_f32 v95, v92, 1
	s_delay_alu instid0(VALU_DEP_2) | instskip(SKIP_1) | instid1(VALU_DEP_2)
	v_mul_f32_e32 v94, v96, v94
	v_sub_f32_e32 v92, v92, v93
	v_dual_mul_f32 v96, 0x3f317218, v91 :: v_dual_add_f32 v93, v95, v94
	s_delay_alu instid0(VALU_DEP_2) | instskip(NEXT) | instid1(VALU_DEP_2)
	v_sub_f32_e32 v17, v17, v92
	v_sub_f32_e32 v92, v93, v95
	s_delay_alu instid0(VALU_DEP_3) | instskip(NEXT) | instid1(VALU_DEP_3)
	v_fma_f32 v95, 0x3f317218, v91, -v96
	v_ldexp_f32 v17, v17, 1
	s_delay_alu instid0(VALU_DEP_2) | instskip(NEXT) | instid1(VALU_DEP_1)
	v_dual_sub_f32 v92, v94, v92 :: v_dual_fmac_f32 v95, 0xb102e308, v91
	v_add_f32_e32 v17, v17, v92
	s_delay_alu instid0(VALU_DEP_1) | instskip(NEXT) | instid1(VALU_DEP_1)
	v_dual_add_f32 v91, v96, v95 :: v_dual_add_f32 v92, v93, v17
	v_sub_f32_e32 v96, v91, v96
	s_delay_alu instid0(VALU_DEP_2) | instskip(NEXT) | instid1(VALU_DEP_2)
	v_dual_add_f32 v94, v91, v92 :: v_dual_sub_f32 v93, v92, v93
	v_sub_f32_e32 v95, v95, v96
	s_delay_alu instid0(VALU_DEP_2) | instskip(NEXT) | instid1(VALU_DEP_1)
	v_sub_f32_e32 v97, v94, v91
	v_sub_f32_e32 v98, v94, v97
	;; [unrolled: 1-line block ×4, first 2 shown]
	s_delay_alu instid0(VALU_DEP_1) | instskip(NEXT) | instid1(VALU_DEP_4)
	v_add_f32_e32 v93, v95, v17
	v_sub_f32_e32 v91, v91, v98
	s_delay_alu instid0(VALU_DEP_1) | instskip(NEXT) | instid1(VALU_DEP_3)
	v_add_f32_e32 v91, v92, v91
	v_sub_f32_e32 v92, v93, v95
	s_delay_alu instid0(VALU_DEP_2) | instskip(NEXT) | instid1(VALU_DEP_2)
	v_add_f32_e32 v91, v93, v91
	v_sub_f32_e32 v93, v93, v92
	s_delay_alu instid0(VALU_DEP_2) | instskip(NEXT) | instid1(VALU_DEP_1)
	v_dual_sub_f32 v17, v17, v92 :: v_dual_add_f32 v96, v94, v91
	v_dual_sub_f32 v92, v96, v94 :: v_dual_sub_f32 v93, v95, v93
	s_delay_alu instid0(VALU_DEP_1) | instskip(NEXT) | instid1(VALU_DEP_2)
	v_sub_f32_e32 v91, v91, v92
	v_add_f32_e32 v17, v17, v93
	s_delay_alu instid0(VALU_DEP_1) | instskip(NEXT) | instid1(VALU_DEP_1)
	v_add_f32_e32 v17, v17, v91
	v_add_f32_e32 v17, v96, v17
	s_delay_alu instid0(VALU_DEP_1)
	v_cndmask_b32_e32 v91, v17, v12, vcc_lo
.LBB122_78:                             ;   in Loop: Header=BB122_12 Depth=1
	s_or_b32 exec_lo, exec_lo, s30
	v_cvt_f32_f16_e32 v12, v13
	s_delay_alu instid0(VALU_DEP_1) | instskip(NEXT) | instid1(VALU_DEP_1)
	v_add_f32_e32 v92, s67, v12
	v_cmp_ge_f32_e32 vcc_lo, 0x41a00000, v92
	s_and_b32 s29, s80, vcc_lo
	s_delay_alu instid0(SALU_CYCLE_1)
	s_and_saveexec_b32 s30, s29
	s_cbranch_execz .LBB122_80
; %bb.79:                               ;   in Loop: Header=BB122_12 Depth=1
	v_mul_f32_e32 v12, 0x3fb8aa3b, v92
	v_cmp_ngt_f32_e32 vcc_lo, 0xc2ce8ed0, v92
	s_delay_alu instid0(VALU_DEP_2) | instskip(SKIP_1) | instid1(VALU_DEP_1)
	v_rndne_f32_e32 v17, v12
	v_fma_f32 v93, 0x3fb8aa3b, v92, -v12
	v_dual_sub_f32 v12, v12, v17 :: v_dual_fmac_f32 v93, 0x32a5705f, v92
	v_cvt_i32_f32_e32 v17, v17
	s_delay_alu instid0(VALU_DEP_2) | instskip(NEXT) | instid1(VALU_DEP_1)
	v_add_f32_e32 v12, v12, v93
	v_exp_f32_e32 v12, v12
	s_waitcnt_depctr 0xfff
	v_ldexp_f32 v12, v12, v17
	s_delay_alu instid0(VALU_DEP_1) | instskip(SKIP_1) | instid1(VALU_DEP_2)
	v_cndmask_b32_e32 v12, 0, v12, vcc_lo
	v_cmp_nlt_f32_e32 vcc_lo, 0x42b17218, v92
	v_cndmask_b32_e32 v12, 0x7f800000, v12, vcc_lo
	s_delay_alu instid0(VALU_DEP_1) | instskip(NEXT) | instid1(VALU_DEP_1)
	v_add_f32_e32 v17, 1.0, v12
	v_cvt_f64_f32_e32 v[92:93], v17
	s_delay_alu instid0(VALU_DEP_1) | instskip(SKIP_1) | instid1(VALU_DEP_1)
	v_frexp_exp_i32_f64_e32 v92, v[92:93]
	v_frexp_mant_f32_e32 v93, v17
	v_cmp_gt_f32_e32 vcc_lo, 0x3f2aaaab, v93
	v_add_f32_e32 v93, -1.0, v17
	s_delay_alu instid0(VALU_DEP_1) | instskip(SKIP_1) | instid1(VALU_DEP_2)
	v_sub_f32_e32 v95, v93, v17
	v_sub_f32_e32 v93, v12, v93
	v_add_f32_e32 v95, 1.0, v95
	s_delay_alu instid0(VALU_DEP_1) | instskip(SKIP_3) | instid1(VALU_DEP_2)
	v_add_f32_e32 v93, v93, v95
	v_cmp_gt_f32_e64 s29, 0x33800000, v12
	v_subrev_co_ci_u32_e32 v92, vcc_lo, 0, v92, vcc_lo
	v_cmp_eq_f32_e32 vcc_lo, 0x7f800000, v12
	v_sub_nc_u32_e32 v94, 0, v92
	v_cvt_f32_i32_e32 v92, v92
	s_or_b32 vcc_lo, s29, vcc_lo
	s_delay_alu instid0(VALU_DEP_2) | instskip(SKIP_1) | instid1(VALU_DEP_2)
	v_ldexp_f32 v17, v17, v94
	v_ldexp_f32 v93, v93, v94
	v_add_f32_e32 v96, 1.0, v17
	s_delay_alu instid0(VALU_DEP_1) | instskip(NEXT) | instid1(VALU_DEP_1)
	v_dual_add_f32 v94, -1.0, v17 :: v_dual_add_f32 v95, -1.0, v96
	v_add_f32_e32 v97, 1.0, v94
	s_delay_alu instid0(VALU_DEP_2) | instskip(NEXT) | instid1(VALU_DEP_2)
	v_sub_f32_e32 v95, v17, v95
	v_sub_f32_e32 v17, v17, v97
	s_delay_alu instid0(VALU_DEP_1) | instskip(NEXT) | instid1(VALU_DEP_1)
	v_add_f32_e32 v17, v93, v17
	v_dual_add_f32 v98, v94, v17 :: v_dual_add_f32 v95, v93, v95
	s_delay_alu instid0(VALU_DEP_1) | instskip(NEXT) | instid1(VALU_DEP_1)
	v_dual_sub_f32 v94, v94, v98 :: v_dual_add_f32 v97, v96, v95
	v_rcp_f32_e32 v93, v97
	v_sub_f32_e32 v96, v96, v97
	s_delay_alu instid0(VALU_DEP_1) | instskip(SKIP_2) | instid1(VALU_DEP_1)
	v_add_f32_e32 v95, v95, v96
	s_waitcnt_depctr 0xfff
	v_mul_f32_e32 v99, v98, v93
	v_mul_f32_e32 v100, v97, v99
	s_delay_alu instid0(VALU_DEP_1) | instskip(NEXT) | instid1(VALU_DEP_1)
	v_fma_f32 v96, v99, v97, -v100
	v_fmac_f32_e32 v96, v99, v95
	s_delay_alu instid0(VALU_DEP_1) | instskip(NEXT) | instid1(VALU_DEP_1)
	v_add_f32_e32 v101, v100, v96
	v_sub_f32_e32 v102, v98, v101
	s_delay_alu instid0(VALU_DEP_1) | instskip(SKIP_2) | instid1(VALU_DEP_3)
	v_sub_f32_e32 v98, v98, v102
	v_add_f32_e32 v17, v17, v94
	v_sub_f32_e32 v94, v101, v100
	v_sub_f32_e32 v98, v98, v101
	s_delay_alu instid0(VALU_DEP_1) | instskip(NEXT) | instid1(VALU_DEP_1)
	v_dual_sub_f32 v94, v94, v96 :: v_dual_add_f32 v17, v17, v98
	v_add_f32_e32 v17, v94, v17
	s_delay_alu instid0(VALU_DEP_1) | instskip(NEXT) | instid1(VALU_DEP_1)
	v_add_f32_e32 v94, v102, v17
	v_mul_f32_e32 v96, v93, v94
	s_delay_alu instid0(VALU_DEP_1) | instskip(NEXT) | instid1(VALU_DEP_1)
	v_dual_sub_f32 v101, v102, v94 :: v_dual_mul_f32 v98, v97, v96
	v_add_f32_e32 v17, v17, v101
	s_delay_alu instid0(VALU_DEP_2) | instskip(NEXT) | instid1(VALU_DEP_1)
	v_fma_f32 v97, v96, v97, -v98
	v_fmac_f32_e32 v97, v96, v95
	s_delay_alu instid0(VALU_DEP_1) | instskip(NEXT) | instid1(VALU_DEP_1)
	v_add_f32_e32 v95, v98, v97
	v_sub_f32_e32 v100, v94, v95
	s_delay_alu instid0(VALU_DEP_1) | instskip(NEXT) | instid1(VALU_DEP_1)
	v_sub_f32_e32 v94, v94, v100
	v_sub_f32_e32 v94, v94, v95
	s_delay_alu instid0(VALU_DEP_1) | instskip(SKIP_1) | instid1(VALU_DEP_1)
	v_dual_add_f32 v17, v17, v94 :: v_dual_add_f32 v94, v99, v96
	v_sub_f32_e32 v98, v95, v98
	v_sub_f32_e32 v95, v98, v97
	s_delay_alu instid0(VALU_DEP_1) | instskip(NEXT) | instid1(VALU_DEP_4)
	v_add_f32_e32 v17, v95, v17
	v_sub_f32_e32 v95, v94, v99
	s_delay_alu instid0(VALU_DEP_2) | instskip(NEXT) | instid1(VALU_DEP_2)
	v_add_f32_e32 v17, v100, v17
	v_sub_f32_e32 v95, v96, v95
	s_delay_alu instid0(VALU_DEP_2) | instskip(NEXT) | instid1(VALU_DEP_1)
	v_mul_f32_e32 v17, v93, v17
	v_add_f32_e32 v17, v95, v17
	s_delay_alu instid0(VALU_DEP_1) | instskip(NEXT) | instid1(VALU_DEP_1)
	v_add_f32_e32 v93, v94, v17
	v_mul_f32_e32 v95, v93, v93
	s_delay_alu instid0(VALU_DEP_1) | instskip(SKIP_1) | instid1(VALU_DEP_2)
	v_fmaak_f32 v96, s84, v95, 0x3ecc95a3
	v_mul_f32_e32 v97, v93, v95
	v_fmaak_f32 v95, v95, v96, 0x3f2aaada
	v_ldexp_f32 v96, v93, 1
	v_sub_f32_e32 v93, v93, v94
	s_delay_alu instid0(VALU_DEP_3) | instskip(SKIP_1) | instid1(VALU_DEP_2)
	v_mul_f32_e32 v95, v97, v95
	v_mul_f32_e32 v97, 0x3f317218, v92
	v_dual_sub_f32 v17, v17, v93 :: v_dual_add_f32 v94, v96, v95
	s_delay_alu instid0(VALU_DEP_1) | instskip(NEXT) | instid1(VALU_DEP_2)
	v_ldexp_f32 v17, v17, 1
	v_sub_f32_e32 v93, v94, v96
	s_delay_alu instid0(VALU_DEP_4) | instskip(NEXT) | instid1(VALU_DEP_1)
	v_fma_f32 v96, 0x3f317218, v92, -v97
	v_dual_sub_f32 v93, v95, v93 :: v_dual_fmac_f32 v96, 0xb102e308, v92
	s_delay_alu instid0(VALU_DEP_1) | instskip(NEXT) | instid1(VALU_DEP_1)
	v_add_f32_e32 v17, v17, v93
	v_dual_add_f32 v92, v97, v96 :: v_dual_add_f32 v93, v94, v17
	s_delay_alu instid0(VALU_DEP_1) | instskip(NEXT) | instid1(VALU_DEP_2)
	v_sub_f32_e32 v97, v92, v97
	v_dual_add_f32 v95, v92, v93 :: v_dual_sub_f32 v94, v93, v94
	s_delay_alu instid0(VALU_DEP_2) | instskip(NEXT) | instid1(VALU_DEP_2)
	v_sub_f32_e32 v96, v96, v97
	v_dual_sub_f32 v98, v95, v92 :: v_dual_sub_f32 v17, v17, v94
	s_delay_alu instid0(VALU_DEP_1) | instskip(NEXT) | instid1(VALU_DEP_2)
	v_sub_f32_e32 v99, v95, v98
	v_dual_sub_f32 v93, v93, v98 :: v_dual_add_f32 v94, v96, v17
	s_delay_alu instid0(VALU_DEP_2) | instskip(NEXT) | instid1(VALU_DEP_1)
	v_sub_f32_e32 v92, v92, v99
	v_add_f32_e32 v92, v93, v92
	s_delay_alu instid0(VALU_DEP_3) | instskip(NEXT) | instid1(VALU_DEP_2)
	v_sub_f32_e32 v93, v94, v96
	v_add_f32_e32 v92, v94, v92
	s_delay_alu instid0(VALU_DEP_2) | instskip(SKIP_1) | instid1(VALU_DEP_2)
	v_sub_f32_e32 v94, v94, v93
	v_sub_f32_e32 v17, v17, v93
	v_dual_add_f32 v97, v95, v92 :: v_dual_sub_f32 v94, v96, v94
	s_delay_alu instid0(VALU_DEP_1) | instskip(NEXT) | instid1(VALU_DEP_1)
	v_sub_f32_e32 v93, v97, v95
	v_dual_add_f32 v17, v17, v94 :: v_dual_sub_f32 v92, v92, v93
	s_delay_alu instid0(VALU_DEP_1) | instskip(NEXT) | instid1(VALU_DEP_1)
	v_add_f32_e32 v17, v17, v92
	v_add_f32_e32 v17, v97, v17
	s_delay_alu instid0(VALU_DEP_1)
	v_cndmask_b32_e32 v92, v17, v12, vcc_lo
.LBB122_80:                             ;   in Loop: Header=BB122_12 Depth=1
	s_or_b32 exec_lo, exec_lo, s30
	v_lshrrev_b32_e32 v12, 16, v13
	s_delay_alu instid0(VALU_DEP_1) | instskip(NEXT) | instid1(VALU_DEP_1)
	v_cvt_f32_f16_e32 v12, v12
	v_add_f32_e32 v93, s67, v12
	s_delay_alu instid0(VALU_DEP_1) | instskip(SKIP_1) | instid1(SALU_CYCLE_1)
	v_cmp_ge_f32_e32 vcc_lo, 0x41a00000, v93
	s_and_b32 s29, s80, vcc_lo
	s_and_saveexec_b32 s30, s29
	s_cbranch_execz .LBB122_82
; %bb.81:                               ;   in Loop: Header=BB122_12 Depth=1
	v_mul_f32_e32 v12, 0x3fb8aa3b, v93
	v_cmp_ngt_f32_e32 vcc_lo, 0xc2ce8ed0, v93
	s_delay_alu instid0(VALU_DEP_2) | instskip(SKIP_1) | instid1(VALU_DEP_2)
	v_rndne_f32_e32 v13, v12
	v_fma_f32 v17, 0x3fb8aa3b, v93, -v12
	v_sub_f32_e32 v12, v12, v13
	s_delay_alu instid0(VALU_DEP_2) | instskip(SKIP_1) | instid1(VALU_DEP_2)
	v_fmac_f32_e32 v17, 0x32a5705f, v93
	v_cvt_i32_f32_e32 v13, v13
	v_add_f32_e32 v12, v12, v17
	s_delay_alu instid0(VALU_DEP_1) | instskip(SKIP_2) | instid1(VALU_DEP_1)
	v_exp_f32_e32 v12, v12
	s_waitcnt_depctr 0xfff
	v_ldexp_f32 v12, v12, v13
	v_cndmask_b32_e32 v12, 0, v12, vcc_lo
	v_cmp_nlt_f32_e32 vcc_lo, 0x42b17218, v93
	s_delay_alu instid0(VALU_DEP_2) | instskip(NEXT) | instid1(VALU_DEP_1)
	v_cndmask_b32_e32 v17, 0x7f800000, v12, vcc_lo
	v_add_f32_e32 v93, 1.0, v17
	s_delay_alu instid0(VALU_DEP_1) | instskip(NEXT) | instid1(VALU_DEP_1)
	v_cvt_f64_f32_e32 v[12:13], v93
	v_frexp_exp_i32_f64_e32 v12, v[12:13]
	v_frexp_mant_f32_e32 v13, v93
	s_delay_alu instid0(VALU_DEP_1) | instskip(SKIP_1) | instid1(VALU_DEP_1)
	v_cmp_gt_f32_e32 vcc_lo, 0x3f2aaaab, v13
	v_add_f32_e32 v13, -1.0, v93
	v_sub_f32_e32 v95, v13, v93
	s_delay_alu instid0(VALU_DEP_1) | instskip(SKIP_1) | instid1(VALU_DEP_1)
	v_add_f32_e32 v95, 1.0, v95
	v_subrev_co_ci_u32_e32 v12, vcc_lo, 0, v12, vcc_lo
	v_sub_nc_u32_e32 v94, 0, v12
	v_cvt_f32_i32_e32 v12, v12
	s_delay_alu instid0(VALU_DEP_2) | instskip(NEXT) | instid1(VALU_DEP_1)
	v_ldexp_f32 v93, v93, v94
	v_add_f32_e32 v96, 1.0, v93
	v_sub_f32_e32 v13, v17, v13
	v_cmp_eq_f32_e32 vcc_lo, 0x7f800000, v17
	v_cmp_gt_f32_e64 s29, 0x33800000, v17
	s_delay_alu instid0(VALU_DEP_3) | instskip(SKIP_1) | instid1(VALU_DEP_3)
	v_add_f32_e32 v13, v13, v95
	v_add_f32_e32 v95, -1.0, v96
	s_or_b32 vcc_lo, s29, vcc_lo
	s_delay_alu instid0(VALU_DEP_2) | instskip(NEXT) | instid1(VALU_DEP_2)
	v_ldexp_f32 v13, v13, v94
	v_dual_add_f32 v94, -1.0, v93 :: v_dual_sub_f32 v95, v93, v95
	s_delay_alu instid0(VALU_DEP_1) | instskip(NEXT) | instid1(VALU_DEP_2)
	v_add_f32_e32 v97, 1.0, v94
	v_add_f32_e32 v95, v13, v95
	s_delay_alu instid0(VALU_DEP_2) | instskip(NEXT) | instid1(VALU_DEP_1)
	v_sub_f32_e32 v93, v93, v97
	v_add_f32_e32 v13, v13, v93
	s_delay_alu instid0(VALU_DEP_1) | instskip(NEXT) | instid1(VALU_DEP_1)
	v_dual_add_f32 v98, v94, v13 :: v_dual_add_f32 v97, v96, v95
	v_sub_f32_e32 v94, v94, v98
	s_delay_alu instid0(VALU_DEP_2) | instskip(NEXT) | instid1(VALU_DEP_1)
	v_rcp_f32_e32 v93, v97
	v_dual_sub_f32 v96, v96, v97 :: v_dual_add_f32 v13, v13, v94
	s_delay_alu instid0(VALU_DEP_1) | instskip(SKIP_2) | instid1(VALU_DEP_1)
	v_add_f32_e32 v95, v95, v96
	s_waitcnt_depctr 0xfff
	v_mul_f32_e32 v99, v98, v93
	v_mul_f32_e32 v100, v97, v99
	s_delay_alu instid0(VALU_DEP_1) | instskip(NEXT) | instid1(VALU_DEP_1)
	v_fma_f32 v96, v99, v97, -v100
	v_fmac_f32_e32 v96, v99, v95
	s_delay_alu instid0(VALU_DEP_1) | instskip(NEXT) | instid1(VALU_DEP_1)
	v_add_f32_e32 v101, v100, v96
	v_sub_f32_e32 v102, v98, v101
	v_sub_f32_e32 v94, v101, v100
	s_delay_alu instid0(VALU_DEP_2) | instskip(NEXT) | instid1(VALU_DEP_2)
	v_sub_f32_e32 v98, v98, v102
	v_sub_f32_e32 v94, v94, v96
	s_delay_alu instid0(VALU_DEP_2) | instskip(NEXT) | instid1(VALU_DEP_1)
	v_sub_f32_e32 v98, v98, v101
	v_add_f32_e32 v13, v13, v98
	s_delay_alu instid0(VALU_DEP_1) | instskip(NEXT) | instid1(VALU_DEP_1)
	v_add_f32_e32 v13, v94, v13
	v_add_f32_e32 v94, v102, v13
	s_delay_alu instid0(VALU_DEP_1) | instskip(NEXT) | instid1(VALU_DEP_1)
	v_mul_f32_e32 v96, v93, v94
	v_dual_sub_f32 v101, v102, v94 :: v_dual_mul_f32 v98, v97, v96
	s_delay_alu instid0(VALU_DEP_1) | instskip(NEXT) | instid1(VALU_DEP_1)
	v_fma_f32 v97, v96, v97, -v98
	v_fmac_f32_e32 v97, v96, v95
	s_delay_alu instid0(VALU_DEP_1) | instskip(NEXT) | instid1(VALU_DEP_1)
	v_add_f32_e32 v95, v98, v97
	v_dual_add_f32 v13, v13, v101 :: v_dual_sub_f32 v100, v94, v95
	s_delay_alu instid0(VALU_DEP_1) | instskip(NEXT) | instid1(VALU_DEP_1)
	v_sub_f32_e32 v94, v94, v100
	v_sub_f32_e32 v94, v94, v95
	s_delay_alu instid0(VALU_DEP_1) | instskip(SKIP_1) | instid1(VALU_DEP_1)
	v_dual_add_f32 v13, v13, v94 :: v_dual_add_f32 v94, v99, v96
	v_sub_f32_e32 v98, v95, v98
	v_sub_f32_e32 v95, v98, v97
	s_delay_alu instid0(VALU_DEP_1) | instskip(NEXT) | instid1(VALU_DEP_4)
	v_add_f32_e32 v13, v95, v13
	v_sub_f32_e32 v95, v94, v99
	s_delay_alu instid0(VALU_DEP_2) | instskip(NEXT) | instid1(VALU_DEP_2)
	v_add_f32_e32 v13, v100, v13
	v_sub_f32_e32 v95, v96, v95
	s_delay_alu instid0(VALU_DEP_2) | instskip(NEXT) | instid1(VALU_DEP_1)
	v_mul_f32_e32 v13, v93, v13
	v_add_f32_e32 v13, v95, v13
	s_delay_alu instid0(VALU_DEP_1) | instskip(NEXT) | instid1(VALU_DEP_1)
	v_add_f32_e32 v93, v94, v13
	v_mul_f32_e32 v95, v93, v93
	s_delay_alu instid0(VALU_DEP_1) | instskip(SKIP_1) | instid1(VALU_DEP_2)
	v_fmaak_f32 v96, s84, v95, 0x3ecc95a3
	v_mul_f32_e32 v97, v93, v95
	v_fmaak_f32 v95, v95, v96, 0x3f2aaada
	v_ldexp_f32 v96, v93, 1
	v_sub_f32_e32 v93, v93, v94
	s_delay_alu instid0(VALU_DEP_3) | instskip(SKIP_1) | instid1(VALU_DEP_2)
	v_mul_f32_e32 v95, v97, v95
	v_mul_f32_e32 v97, 0x3f317218, v12
	v_dual_sub_f32 v13, v13, v93 :: v_dual_add_f32 v94, v96, v95
	s_delay_alu instid0(VALU_DEP_1) | instskip(NEXT) | instid1(VALU_DEP_2)
	v_ldexp_f32 v13, v13, 1
	v_sub_f32_e32 v93, v94, v96
	s_delay_alu instid0(VALU_DEP_4) | instskip(NEXT) | instid1(VALU_DEP_1)
	v_fma_f32 v96, 0x3f317218, v12, -v97
	v_dual_sub_f32 v93, v95, v93 :: v_dual_fmac_f32 v96, 0xb102e308, v12
	s_delay_alu instid0(VALU_DEP_1) | instskip(NEXT) | instid1(VALU_DEP_2)
	v_add_f32_e32 v12, v13, v93
	v_add_f32_e32 v13, v97, v96
	s_delay_alu instid0(VALU_DEP_2) | instskip(NEXT) | instid1(VALU_DEP_2)
	v_add_f32_e32 v93, v94, v12
	v_sub_f32_e32 v97, v13, v97
	s_delay_alu instid0(VALU_DEP_2) | instskip(SKIP_1) | instid1(VALU_DEP_3)
	v_add_f32_e32 v95, v13, v93
	v_sub_f32_e32 v94, v93, v94
	v_sub_f32_e32 v96, v96, v97
	s_delay_alu instid0(VALU_DEP_3) | instskip(NEXT) | instid1(VALU_DEP_3)
	v_sub_f32_e32 v98, v95, v13
	v_sub_f32_e32 v12, v12, v94
	s_delay_alu instid0(VALU_DEP_2) | instskip(NEXT) | instid1(VALU_DEP_2)
	v_sub_f32_e32 v99, v95, v98
	v_dual_sub_f32 v93, v93, v98 :: v_dual_add_f32 v94, v96, v12
	s_delay_alu instid0(VALU_DEP_2) | instskip(NEXT) | instid1(VALU_DEP_1)
	v_sub_f32_e32 v13, v13, v99
	v_add_f32_e32 v13, v93, v13
	s_delay_alu instid0(VALU_DEP_3) | instskip(NEXT) | instid1(VALU_DEP_2)
	v_sub_f32_e32 v93, v94, v96
	v_add_f32_e32 v13, v94, v13
	s_delay_alu instid0(VALU_DEP_2) | instskip(SKIP_1) | instid1(VALU_DEP_1)
	v_sub_f32_e32 v12, v12, v93
	v_sub_f32_e32 v94, v94, v93
	v_dual_add_f32 v97, v95, v13 :: v_dual_sub_f32 v94, v96, v94
	s_delay_alu instid0(VALU_DEP_1) | instskip(NEXT) | instid1(VALU_DEP_1)
	v_dual_sub_f32 v93, v97, v95 :: v_dual_add_f32 v12, v12, v94
	v_sub_f32_e32 v13, v13, v93
	s_delay_alu instid0(VALU_DEP_1) | instskip(NEXT) | instid1(VALU_DEP_1)
	v_add_f32_e32 v12, v12, v13
	v_add_f32_e32 v12, v97, v12
	s_delay_alu instid0(VALU_DEP_1)
	v_cndmask_b32_e32 v93, v12, v17, vcc_lo
.LBB122_82:                             ;   in Loop: Header=BB122_12 Depth=1
	s_or_b32 exec_lo, exec_lo, s30
	v_cvt_f32_f16_e32 v12, v14
	s_delay_alu instid0(VALU_DEP_1) | instskip(NEXT) | instid1(VALU_DEP_1)
	v_add_f32_e32 v94, s67, v12
	v_cmp_ge_f32_e32 vcc_lo, 0x41a00000, v94
	s_and_b32 s29, s80, vcc_lo
	s_delay_alu instid0(SALU_CYCLE_1)
	s_and_saveexec_b32 s30, s29
	s_cbranch_execz .LBB122_84
; %bb.83:                               ;   in Loop: Header=BB122_12 Depth=1
	v_mul_f32_e32 v12, 0x3fb8aa3b, v94
	v_cmp_ngt_f32_e32 vcc_lo, 0xc2ce8ed0, v94
	s_delay_alu instid0(VALU_DEP_2) | instskip(SKIP_1) | instid1(VALU_DEP_1)
	v_rndne_f32_e32 v13, v12
	v_fma_f32 v17, 0x3fb8aa3b, v94, -v12
	v_dual_sub_f32 v12, v12, v13 :: v_dual_fmac_f32 v17, 0x32a5705f, v94
	v_cvt_i32_f32_e32 v13, v13
	s_delay_alu instid0(VALU_DEP_2) | instskip(NEXT) | instid1(VALU_DEP_1)
	v_add_f32_e32 v12, v12, v17
	v_exp_f32_e32 v12, v12
	s_waitcnt_depctr 0xfff
	v_ldexp_f32 v12, v12, v13
	s_delay_alu instid0(VALU_DEP_1) | instskip(SKIP_1) | instid1(VALU_DEP_2)
	v_cndmask_b32_e32 v12, 0, v12, vcc_lo
	v_cmp_nlt_f32_e32 vcc_lo, 0x42b17218, v94
	v_cndmask_b32_e32 v17, 0x7f800000, v12, vcc_lo
	s_delay_alu instid0(VALU_DEP_1) | instskip(NEXT) | instid1(VALU_DEP_1)
	v_add_f32_e32 v94, 1.0, v17
	v_cvt_f64_f32_e32 v[12:13], v94
	s_delay_alu instid0(VALU_DEP_1) | instskip(SKIP_1) | instid1(VALU_DEP_1)
	v_frexp_exp_i32_f64_e32 v12, v[12:13]
	v_frexp_mant_f32_e32 v13, v94
	v_cmp_gt_f32_e32 vcc_lo, 0x3f2aaaab, v13
	v_add_f32_e32 v13, -1.0, v94
	s_delay_alu instid0(VALU_DEP_1) | instskip(SKIP_2) | instid1(VALU_DEP_3)
	v_sub_f32_e32 v96, v13, v94
	v_sub_f32_e32 v13, v17, v13
	v_cmp_gt_f32_e64 s29, 0x33800000, v17
	v_add_f32_e32 v96, 1.0, v96
	s_delay_alu instid0(VALU_DEP_1) | instskip(SKIP_2) | instid1(VALU_DEP_2)
	v_add_f32_e32 v13, v13, v96
	v_subrev_co_ci_u32_e32 v12, vcc_lo, 0, v12, vcc_lo
	v_cmp_eq_f32_e32 vcc_lo, 0x7f800000, v17
	v_sub_nc_u32_e32 v95, 0, v12
	v_cvt_f32_i32_e32 v12, v12
	s_or_b32 vcc_lo, s29, vcc_lo
	s_delay_alu instid0(VALU_DEP_2) | instskip(SKIP_1) | instid1(VALU_DEP_2)
	v_ldexp_f32 v94, v94, v95
	v_ldexp_f32 v13, v13, v95
	v_add_f32_e32 v95, -1.0, v94
	s_delay_alu instid0(VALU_DEP_1) | instskip(NEXT) | instid1(VALU_DEP_1)
	v_dual_add_f32 v97, 1.0, v94 :: v_dual_add_f32 v98, 1.0, v95
	v_add_f32_e32 v96, -1.0, v97
	s_delay_alu instid0(VALU_DEP_1) | instskip(NEXT) | instid1(VALU_DEP_3)
	v_sub_f32_e32 v96, v94, v96
	v_sub_f32_e32 v94, v94, v98
	s_delay_alu instid0(VALU_DEP_2) | instskip(NEXT) | instid1(VALU_DEP_2)
	v_add_f32_e32 v96, v13, v96
	v_add_f32_e32 v13, v13, v94
	s_delay_alu instid0(VALU_DEP_1) | instskip(NEXT) | instid1(VALU_DEP_1)
	v_dual_add_f32 v99, v95, v13 :: v_dual_add_f32 v98, v97, v96
	v_sub_f32_e32 v95, v95, v99
	s_delay_alu instid0(VALU_DEP_2) | instskip(SKIP_1) | instid1(VALU_DEP_1)
	v_rcp_f32_e32 v94, v98
	v_sub_f32_e32 v97, v97, v98
	v_dual_add_f32 v13, v13, v95 :: v_dual_add_f32 v96, v96, v97
	s_waitcnt_depctr 0xfff
	v_mul_f32_e32 v100, v99, v94
	s_delay_alu instid0(VALU_DEP_1) | instskip(NEXT) | instid1(VALU_DEP_1)
	v_mul_f32_e32 v101, v98, v100
	v_fma_f32 v97, v100, v98, -v101
	s_delay_alu instid0(VALU_DEP_1) | instskip(NEXT) | instid1(VALU_DEP_1)
	v_fmac_f32_e32 v97, v100, v96
	v_add_f32_e32 v102, v101, v97
	s_delay_alu instid0(VALU_DEP_1) | instskip(SKIP_1) | instid1(VALU_DEP_2)
	v_sub_f32_e32 v103, v99, v102
	v_sub_f32_e32 v95, v102, v101
	;; [unrolled: 1-line block ×3, first 2 shown]
	s_delay_alu instid0(VALU_DEP_2) | instskip(NEXT) | instid1(VALU_DEP_2)
	v_sub_f32_e32 v95, v95, v97
	v_sub_f32_e32 v99, v99, v102
	s_delay_alu instid0(VALU_DEP_1) | instskip(NEXT) | instid1(VALU_DEP_1)
	v_add_f32_e32 v13, v13, v99
	v_add_f32_e32 v13, v95, v13
	s_delay_alu instid0(VALU_DEP_1) | instskip(NEXT) | instid1(VALU_DEP_1)
	v_add_f32_e32 v95, v103, v13
	v_mul_f32_e32 v97, v94, v95
	s_delay_alu instid0(VALU_DEP_1) | instskip(NEXT) | instid1(VALU_DEP_1)
	v_dual_sub_f32 v102, v103, v95 :: v_dual_mul_f32 v99, v98, v97
	v_add_f32_e32 v13, v13, v102
	s_delay_alu instid0(VALU_DEP_2) | instskip(NEXT) | instid1(VALU_DEP_1)
	v_fma_f32 v98, v97, v98, -v99
	v_fmac_f32_e32 v98, v97, v96
	s_delay_alu instid0(VALU_DEP_1) | instskip(NEXT) | instid1(VALU_DEP_1)
	v_add_f32_e32 v96, v99, v98
	v_sub_f32_e32 v101, v95, v96
	s_delay_alu instid0(VALU_DEP_1) | instskip(NEXT) | instid1(VALU_DEP_1)
	v_sub_f32_e32 v95, v95, v101
	v_sub_f32_e32 v95, v95, v96
	s_delay_alu instid0(VALU_DEP_1) | instskip(SKIP_2) | instid1(VALU_DEP_1)
	v_add_f32_e32 v13, v13, v95
	v_add_f32_e32 v95, v100, v97
	v_sub_f32_e32 v99, v96, v99
	v_sub_f32_e32 v96, v99, v98
	s_delay_alu instid0(VALU_DEP_1) | instskip(NEXT) | instid1(VALU_DEP_1)
	v_dual_add_f32 v13, v96, v13 :: v_dual_sub_f32 v96, v95, v100
	v_add_f32_e32 v13, v101, v13
	s_delay_alu instid0(VALU_DEP_1) | instskip(NEXT) | instid1(VALU_DEP_1)
	v_dual_sub_f32 v96, v97, v96 :: v_dual_mul_f32 v13, v94, v13
	v_add_f32_e32 v13, v96, v13
	s_delay_alu instid0(VALU_DEP_1) | instskip(NEXT) | instid1(VALU_DEP_1)
	v_add_f32_e32 v94, v95, v13
	v_mul_f32_e32 v96, v94, v94
	s_delay_alu instid0(VALU_DEP_1) | instskip(SKIP_1) | instid1(VALU_DEP_2)
	v_fmaak_f32 v97, s84, v96, 0x3ecc95a3
	v_mul_f32_e32 v98, v94, v96
	v_fmaak_f32 v96, v96, v97, 0x3f2aaada
	v_ldexp_f32 v97, v94, 1
	v_sub_f32_e32 v94, v94, v95
	s_delay_alu instid0(VALU_DEP_3) | instskip(NEXT) | instid1(VALU_DEP_2)
	v_mul_f32_e32 v96, v98, v96
	v_dual_mul_f32 v98, 0x3f317218, v12 :: v_dual_sub_f32 v13, v13, v94
	s_delay_alu instid0(VALU_DEP_2) | instskip(NEXT) | instid1(VALU_DEP_2)
	v_add_f32_e32 v95, v97, v96
	v_ldexp_f32 v13, v13, 1
	s_delay_alu instid0(VALU_DEP_2) | instskip(NEXT) | instid1(VALU_DEP_4)
	v_sub_f32_e32 v94, v95, v97
	v_fma_f32 v97, 0x3f317218, v12, -v98
	s_delay_alu instid0(VALU_DEP_1) | instskip(NEXT) | instid1(VALU_DEP_1)
	v_dual_sub_f32 v94, v96, v94 :: v_dual_fmac_f32 v97, 0xb102e308, v12
	v_add_f32_e32 v12, v13, v94
	s_delay_alu instid0(VALU_DEP_1) | instskip(NEXT) | instid1(VALU_DEP_1)
	v_add_f32_e32 v94, v95, v12
	v_sub_f32_e32 v95, v94, v95
	s_delay_alu instid0(VALU_DEP_1) | instskip(NEXT) | instid1(VALU_DEP_1)
	v_dual_sub_f32 v12, v12, v95 :: v_dual_add_f32 v13, v98, v97
	v_add_f32_e32 v96, v13, v94
	s_delay_alu instid0(VALU_DEP_1) | instskip(NEXT) | instid1(VALU_DEP_1)
	v_dual_sub_f32 v98, v13, v98 :: v_dual_sub_f32 v99, v96, v13
	v_dual_sub_f32 v97, v97, v98 :: v_dual_sub_f32 v100, v96, v99
	s_delay_alu instid0(VALU_DEP_1) | instskip(NEXT) | instid1(VALU_DEP_2)
	v_dual_sub_f32 v94, v94, v99 :: v_dual_add_f32 v95, v97, v12
	v_sub_f32_e32 v13, v13, v100
	s_delay_alu instid0(VALU_DEP_1) | instskip(NEXT) | instid1(VALU_DEP_3)
	v_add_f32_e32 v13, v94, v13
	v_sub_f32_e32 v94, v95, v97
	s_delay_alu instid0(VALU_DEP_2) | instskip(NEXT) | instid1(VALU_DEP_2)
	v_add_f32_e32 v13, v95, v13
	v_sub_f32_e32 v95, v95, v94
	v_sub_f32_e32 v12, v12, v94
	s_delay_alu instid0(VALU_DEP_2) | instskip(NEXT) | instid1(VALU_DEP_1)
	v_dual_add_f32 v98, v96, v13 :: v_dual_sub_f32 v95, v97, v95
	v_sub_f32_e32 v94, v98, v96
	s_delay_alu instid0(VALU_DEP_1) | instskip(NEXT) | instid1(VALU_DEP_1)
	v_dual_add_f32 v12, v12, v95 :: v_dual_sub_f32 v13, v13, v94
	v_add_f32_e32 v12, v12, v13
	s_delay_alu instid0(VALU_DEP_1) | instskip(NEXT) | instid1(VALU_DEP_1)
	v_add_f32_e32 v12, v98, v12
	v_cndmask_b32_e32 v94, v12, v17, vcc_lo
.LBB122_84:                             ;   in Loop: Header=BB122_12 Depth=1
	s_or_b32 exec_lo, exec_lo, s30
	v_lshrrev_b32_e32 v12, 16, v14
	s_delay_alu instid0(VALU_DEP_1) | instskip(NEXT) | instid1(VALU_DEP_1)
	v_cvt_f32_f16_e32 v12, v12
	v_add_f32_e32 v95, s67, v12
	s_delay_alu instid0(VALU_DEP_1) | instskip(SKIP_1) | instid1(SALU_CYCLE_1)
	v_cmp_ge_f32_e32 vcc_lo, 0x41a00000, v95
	s_and_b32 s29, s80, vcc_lo
	s_and_saveexec_b32 s30, s29
	s_cbranch_execz .LBB122_86
; %bb.85:                               ;   in Loop: Header=BB122_12 Depth=1
	v_mul_f32_e32 v12, 0x3fb8aa3b, v95
	v_cmp_ngt_f32_e32 vcc_lo, 0xc2ce8ed0, v95
	s_delay_alu instid0(VALU_DEP_2) | instskip(SKIP_1) | instid1(VALU_DEP_2)
	v_rndne_f32_e32 v13, v12
	v_fma_f32 v14, 0x3fb8aa3b, v95, -v12
	v_sub_f32_e32 v12, v12, v13
	s_delay_alu instid0(VALU_DEP_2) | instskip(SKIP_1) | instid1(VALU_DEP_2)
	v_fmac_f32_e32 v14, 0x32a5705f, v95
	v_cvt_i32_f32_e32 v13, v13
	v_add_f32_e32 v12, v12, v14
	s_delay_alu instid0(VALU_DEP_1) | instskip(SKIP_2) | instid1(VALU_DEP_1)
	v_exp_f32_e32 v12, v12
	s_waitcnt_depctr 0xfff
	v_ldexp_f32 v12, v12, v13
	v_cndmask_b32_e32 v12, 0, v12, vcc_lo
	v_cmp_nlt_f32_e32 vcc_lo, 0x42b17218, v95
	s_delay_alu instid0(VALU_DEP_2) | instskip(NEXT) | instid1(VALU_DEP_1)
	v_cndmask_b32_e32 v14, 0x7f800000, v12, vcc_lo
	v_add_f32_e32 v17, 1.0, v14
	s_delay_alu instid0(VALU_DEP_1) | instskip(NEXT) | instid1(VALU_DEP_1)
	v_cvt_f64_f32_e32 v[12:13], v17
	v_frexp_exp_i32_f64_e32 v12, v[12:13]
	v_frexp_mant_f32_e32 v13, v17
	s_delay_alu instid0(VALU_DEP_1) | instskip(SKIP_1) | instid1(VALU_DEP_1)
	v_cmp_gt_f32_e32 vcc_lo, 0x3f2aaaab, v13
	v_add_f32_e32 v13, -1.0, v17
	v_sub_f32_e32 v96, v13, v17
	v_sub_f32_e32 v13, v14, v13
	v_subrev_co_ci_u32_e32 v12, vcc_lo, 0, v12, vcc_lo
	s_delay_alu instid0(VALU_DEP_1) | instskip(SKIP_1) | instid1(VALU_DEP_2)
	v_sub_nc_u32_e32 v95, 0, v12
	v_cvt_f32_i32_e32 v12, v12
	v_ldexp_f32 v17, v17, v95
	s_delay_alu instid0(VALU_DEP_1) | instskip(NEXT) | instid1(VALU_DEP_1)
	v_dual_add_f32 v96, 1.0, v96 :: v_dual_add_f32 v97, 1.0, v17
	v_dual_add_f32 v13, v13, v96 :: v_dual_add_f32 v96, -1.0, v97
	s_delay_alu instid0(VALU_DEP_1) | instskip(SKIP_4) | instid1(VALU_DEP_4)
	v_ldexp_f32 v13, v13, v95
	v_add_f32_e32 v95, -1.0, v17
	v_cmp_eq_f32_e32 vcc_lo, 0x7f800000, v14
	v_cmp_gt_f32_e64 s29, 0x33800000, v14
	v_sub_f32_e32 v96, v17, v96
	v_add_f32_e32 v98, 1.0, v95
	s_delay_alu instid0(VALU_DEP_3) | instskip(NEXT) | instid1(VALU_DEP_2)
	s_or_b32 vcc_lo, s29, vcc_lo
	v_add_f32_e32 v96, v13, v96
	s_delay_alu instid0(VALU_DEP_2) | instskip(NEXT) | instid1(VALU_DEP_1)
	v_sub_f32_e32 v17, v17, v98
	v_add_f32_e32 v13, v13, v17
	s_delay_alu instid0(VALU_DEP_1) | instskip(NEXT) | instid1(VALU_DEP_1)
	v_dual_add_f32 v99, v95, v13 :: v_dual_add_f32 v98, v97, v96
	v_sub_f32_e32 v95, v95, v99
	s_delay_alu instid0(VALU_DEP_2) | instskip(SKIP_1) | instid1(VALU_DEP_1)
	v_rcp_f32_e32 v17, v98
	v_sub_f32_e32 v97, v97, v98
	v_dual_add_f32 v13, v13, v95 :: v_dual_add_f32 v96, v96, v97
	s_waitcnt_depctr 0xfff
	v_mul_f32_e32 v100, v99, v17
	s_delay_alu instid0(VALU_DEP_1) | instskip(NEXT) | instid1(VALU_DEP_1)
	v_mul_f32_e32 v101, v98, v100
	v_fma_f32 v97, v100, v98, -v101
	s_delay_alu instid0(VALU_DEP_1) | instskip(NEXT) | instid1(VALU_DEP_1)
	v_fmac_f32_e32 v97, v100, v96
	v_add_f32_e32 v102, v101, v97
	s_delay_alu instid0(VALU_DEP_1) | instskip(NEXT) | instid1(VALU_DEP_1)
	v_sub_f32_e32 v103, v99, v102
	v_sub_f32_e32 v99, v99, v103
	;; [unrolled: 1-line block ×3, first 2 shown]
	s_delay_alu instid0(VALU_DEP_2) | instskip(NEXT) | instid1(VALU_DEP_2)
	v_sub_f32_e32 v99, v99, v102
	v_sub_f32_e32 v95, v95, v97
	s_delay_alu instid0(VALU_DEP_2) | instskip(NEXT) | instid1(VALU_DEP_1)
	v_add_f32_e32 v13, v13, v99
	v_add_f32_e32 v13, v95, v13
	s_delay_alu instid0(VALU_DEP_1) | instskip(NEXT) | instid1(VALU_DEP_1)
	v_add_f32_e32 v95, v103, v13
	v_mul_f32_e32 v97, v17, v95
	s_delay_alu instid0(VALU_DEP_1) | instskip(NEXT) | instid1(VALU_DEP_1)
	v_dual_sub_f32 v102, v103, v95 :: v_dual_mul_f32 v99, v98, v97
	v_add_f32_e32 v13, v13, v102
	s_delay_alu instid0(VALU_DEP_2) | instskip(NEXT) | instid1(VALU_DEP_1)
	v_fma_f32 v98, v97, v98, -v99
	v_fmac_f32_e32 v98, v97, v96
	s_delay_alu instid0(VALU_DEP_1) | instskip(NEXT) | instid1(VALU_DEP_1)
	v_add_f32_e32 v96, v99, v98
	v_sub_f32_e32 v101, v95, v96
	v_sub_f32_e32 v99, v96, v99
	s_delay_alu instid0(VALU_DEP_2) | instskip(NEXT) | instid1(VALU_DEP_1)
	v_sub_f32_e32 v95, v95, v101
	v_sub_f32_e32 v95, v95, v96
	s_delay_alu instid0(VALU_DEP_1) | instskip(SKIP_1) | instid1(VALU_DEP_1)
	v_dual_sub_f32 v96, v99, v98 :: v_dual_add_f32 v13, v13, v95
	v_add_f32_e32 v95, v100, v97
	v_dual_add_f32 v13, v96, v13 :: v_dual_sub_f32 v96, v95, v100
	s_delay_alu instid0(VALU_DEP_1) | instskip(NEXT) | instid1(VALU_DEP_2)
	v_add_f32_e32 v13, v101, v13
	v_sub_f32_e32 v96, v97, v96
	s_delay_alu instid0(VALU_DEP_2) | instskip(NEXT) | instid1(VALU_DEP_1)
	v_mul_f32_e32 v13, v17, v13
	v_add_f32_e32 v13, v96, v13
	s_delay_alu instid0(VALU_DEP_1) | instskip(NEXT) | instid1(VALU_DEP_1)
	v_add_f32_e32 v17, v95, v13
	v_mul_f32_e32 v96, v17, v17
	s_delay_alu instid0(VALU_DEP_1) | instskip(SKIP_1) | instid1(VALU_DEP_2)
	v_fmaak_f32 v97, s84, v96, 0x3ecc95a3
	v_mul_f32_e32 v98, v17, v96
	v_fmaak_f32 v96, v96, v97, 0x3f2aaada
	v_ldexp_f32 v97, v17, 1
	s_delay_alu instid0(VALU_DEP_2) | instskip(NEXT) | instid1(VALU_DEP_1)
	v_dual_sub_f32 v17, v17, v95 :: v_dual_mul_f32 v96, v98, v96
	v_dual_mul_f32 v98, 0x3f317218, v12 :: v_dual_sub_f32 v13, v13, v17
	s_delay_alu instid0(VALU_DEP_2) | instskip(NEXT) | instid1(VALU_DEP_2)
	v_add_f32_e32 v95, v97, v96
	v_ldexp_f32 v13, v13, 1
	s_delay_alu instid0(VALU_DEP_2) | instskip(NEXT) | instid1(VALU_DEP_4)
	v_sub_f32_e32 v17, v95, v97
	v_fma_f32 v97, 0x3f317218, v12, -v98
	s_delay_alu instid0(VALU_DEP_2) | instskip(NEXT) | instid1(VALU_DEP_1)
	v_sub_f32_e32 v17, v96, v17
	v_dual_fmac_f32 v97, 0xb102e308, v12 :: v_dual_add_f32 v12, v13, v17
	s_delay_alu instid0(VALU_DEP_1) | instskip(NEXT) | instid1(VALU_DEP_1)
	v_add_f32_e32 v13, v98, v97
	v_dual_add_f32 v17, v95, v12 :: v_dual_sub_f32 v98, v13, v98
	s_delay_alu instid0(VALU_DEP_1) | instskip(SKIP_1) | instid1(VALU_DEP_3)
	v_add_f32_e32 v96, v13, v17
	v_sub_f32_e32 v95, v17, v95
	v_sub_f32_e32 v97, v97, v98
	s_delay_alu instid0(VALU_DEP_3) | instskip(NEXT) | instid1(VALU_DEP_3)
	v_sub_f32_e32 v99, v96, v13
	v_sub_f32_e32 v12, v12, v95
	s_delay_alu instid0(VALU_DEP_2) | instskip(SKIP_1) | instid1(VALU_DEP_3)
	v_sub_f32_e32 v100, v96, v99
	v_sub_f32_e32 v17, v17, v99
	v_add_f32_e32 v95, v97, v12
	s_delay_alu instid0(VALU_DEP_3) | instskip(NEXT) | instid1(VALU_DEP_1)
	v_sub_f32_e32 v13, v13, v100
	v_add_f32_e32 v13, v17, v13
	s_delay_alu instid0(VALU_DEP_3) | instskip(NEXT) | instid1(VALU_DEP_2)
	v_sub_f32_e32 v17, v95, v97
	v_add_f32_e32 v13, v95, v13
	s_delay_alu instid0(VALU_DEP_2) | instskip(SKIP_1) | instid1(VALU_DEP_2)
	v_sub_f32_e32 v95, v95, v17
	v_sub_f32_e32 v12, v12, v17
	v_dual_add_f32 v98, v96, v13 :: v_dual_sub_f32 v95, v97, v95
	s_delay_alu instid0(VALU_DEP_1) | instskip(NEXT) | instid1(VALU_DEP_1)
	v_dual_sub_f32 v17, v98, v96 :: v_dual_add_f32 v12, v12, v95
	v_sub_f32_e32 v13, v13, v17
	s_delay_alu instid0(VALU_DEP_1) | instskip(NEXT) | instid1(VALU_DEP_1)
	v_add_f32_e32 v12, v12, v13
	v_add_f32_e32 v12, v98, v12
	s_delay_alu instid0(VALU_DEP_1)
	v_cndmask_b32_e32 v95, v12, v14, vcc_lo
.LBB122_86:                             ;   in Loop: Header=BB122_12 Depth=1
	s_or_b32 exec_lo, exec_lo, s30
	v_cvt_f32_f16_e32 v12, v15
	s_delay_alu instid0(VALU_DEP_1) | instskip(NEXT) | instid1(VALU_DEP_1)
	v_add_f32_e32 v96, s67, v12
	v_cmp_ge_f32_e32 vcc_lo, 0x41a00000, v96
	s_and_b32 s29, s80, vcc_lo
	s_delay_alu instid0(SALU_CYCLE_1)
	s_and_saveexec_b32 s30, s29
	s_cbranch_execz .LBB122_88
; %bb.87:                               ;   in Loop: Header=BB122_12 Depth=1
	v_mul_f32_e32 v12, 0x3fb8aa3b, v96
	v_cmp_ngt_f32_e32 vcc_lo, 0xc2ce8ed0, v96
	s_delay_alu instid0(VALU_DEP_2) | instskip(SKIP_1) | instid1(VALU_DEP_2)
	v_rndne_f32_e32 v13, v12
	v_fma_f32 v14, 0x3fb8aa3b, v96, -v12
	v_sub_f32_e32 v12, v12, v13
	s_delay_alu instid0(VALU_DEP_2) | instskip(SKIP_1) | instid1(VALU_DEP_2)
	v_fmac_f32_e32 v14, 0x32a5705f, v96
	v_cvt_i32_f32_e32 v13, v13
	v_add_f32_e32 v12, v12, v14
	s_delay_alu instid0(VALU_DEP_1) | instskip(SKIP_2) | instid1(VALU_DEP_1)
	v_exp_f32_e32 v12, v12
	s_waitcnt_depctr 0xfff
	v_ldexp_f32 v12, v12, v13
	v_cndmask_b32_e32 v12, 0, v12, vcc_lo
	v_cmp_nlt_f32_e32 vcc_lo, 0x42b17218, v96
	s_delay_alu instid0(VALU_DEP_2) | instskip(NEXT) | instid1(VALU_DEP_1)
	v_cndmask_b32_e32 v14, 0x7f800000, v12, vcc_lo
	v_add_f32_e32 v17, 1.0, v14
	s_delay_alu instid0(VALU_DEP_1) | instskip(NEXT) | instid1(VALU_DEP_1)
	v_cvt_f64_f32_e32 v[12:13], v17
	v_frexp_exp_i32_f64_e32 v12, v[12:13]
	v_frexp_mant_f32_e32 v13, v17
	s_delay_alu instid0(VALU_DEP_1) | instskip(SKIP_1) | instid1(VALU_DEP_1)
	v_cmp_gt_f32_e32 vcc_lo, 0x3f2aaaab, v13
	v_add_f32_e32 v13, -1.0, v17
	v_sub_f32_e32 v97, v13, v17
	s_delay_alu instid0(VALU_DEP_1) | instskip(SKIP_2) | instid1(VALU_DEP_2)
	v_add_f32_e32 v97, 1.0, v97
	v_sub_f32_e32 v13, v14, v13
	v_cmp_gt_f32_e64 s29, 0x33800000, v14
	v_add_f32_e32 v13, v13, v97
	v_subrev_co_ci_u32_e32 v12, vcc_lo, 0, v12, vcc_lo
	v_cmp_eq_f32_e32 vcc_lo, 0x7f800000, v14
	s_delay_alu instid0(VALU_DEP_2) | instskip(SKIP_2) | instid1(VALU_DEP_2)
	v_sub_nc_u32_e32 v96, 0, v12
	v_cvt_f32_i32_e32 v12, v12
	s_or_b32 vcc_lo, s29, vcc_lo
	v_ldexp_f32 v17, v17, v96
	v_ldexp_f32 v13, v13, v96
	s_delay_alu instid0(VALU_DEP_2) | instskip(NEXT) | instid1(VALU_DEP_1)
	v_add_f32_e32 v96, -1.0, v17
	v_dual_add_f32 v98, 1.0, v17 :: v_dual_add_f32 v99, 1.0, v96
	s_delay_alu instid0(VALU_DEP_1) | instskip(NEXT) | instid1(VALU_DEP_1)
	v_add_f32_e32 v97, -1.0, v98
	v_sub_f32_e32 v97, v17, v97
	s_delay_alu instid0(VALU_DEP_3) | instskip(NEXT) | instid1(VALU_DEP_2)
	v_sub_f32_e32 v17, v17, v99
	v_add_f32_e32 v97, v13, v97
	s_delay_alu instid0(VALU_DEP_2) | instskip(NEXT) | instid1(VALU_DEP_1)
	v_add_f32_e32 v13, v13, v17
	v_add_f32_e32 v100, v96, v13
	s_delay_alu instid0(VALU_DEP_1) | instskip(NEXT) | instid1(VALU_DEP_1)
	v_dual_sub_f32 v96, v96, v100 :: v_dual_add_f32 v99, v98, v97
	v_add_f32_e32 v13, v13, v96
	s_delay_alu instid0(VALU_DEP_2) | instskip(SKIP_1) | instid1(VALU_DEP_1)
	v_rcp_f32_e32 v17, v99
	v_sub_f32_e32 v98, v98, v99
	v_add_f32_e32 v97, v97, v98
	s_waitcnt_depctr 0xfff
	v_mul_f32_e32 v101, v100, v17
	s_delay_alu instid0(VALU_DEP_1) | instskip(NEXT) | instid1(VALU_DEP_1)
	v_mul_f32_e32 v102, v99, v101
	v_fma_f32 v98, v101, v99, -v102
	s_delay_alu instid0(VALU_DEP_1) | instskip(NEXT) | instid1(VALU_DEP_1)
	v_fmac_f32_e32 v98, v101, v97
	v_add_f32_e32 v103, v102, v98
	s_delay_alu instid0(VALU_DEP_1) | instskip(SKIP_1) | instid1(VALU_DEP_2)
	v_sub_f32_e32 v104, v100, v103
	v_sub_f32_e32 v96, v103, v102
	;; [unrolled: 1-line block ×3, first 2 shown]
	s_delay_alu instid0(VALU_DEP_1) | instskip(NEXT) | instid1(VALU_DEP_1)
	v_sub_f32_e32 v100, v100, v103
	v_dual_sub_f32 v96, v96, v98 :: v_dual_add_f32 v13, v13, v100
	s_delay_alu instid0(VALU_DEP_1) | instskip(NEXT) | instid1(VALU_DEP_1)
	v_add_f32_e32 v13, v96, v13
	v_add_f32_e32 v96, v104, v13
	s_delay_alu instid0(VALU_DEP_1) | instskip(NEXT) | instid1(VALU_DEP_1)
	v_mul_f32_e32 v98, v17, v96
	v_dual_sub_f32 v103, v104, v96 :: v_dual_mul_f32 v100, v99, v98
	s_delay_alu instid0(VALU_DEP_1) | instskip(NEXT) | instid1(VALU_DEP_2)
	v_add_f32_e32 v13, v13, v103
	v_fma_f32 v99, v98, v99, -v100
	s_delay_alu instid0(VALU_DEP_1) | instskip(NEXT) | instid1(VALU_DEP_1)
	v_fmac_f32_e32 v99, v98, v97
	v_add_f32_e32 v97, v100, v99
	s_delay_alu instid0(VALU_DEP_1) | instskip(NEXT) | instid1(VALU_DEP_1)
	v_sub_f32_e32 v102, v96, v97
	v_sub_f32_e32 v96, v96, v102
	s_delay_alu instid0(VALU_DEP_1) | instskip(NEXT) | instid1(VALU_DEP_1)
	v_sub_f32_e32 v96, v96, v97
	v_add_f32_e32 v13, v13, v96
	v_add_f32_e32 v96, v101, v98
	v_sub_f32_e32 v100, v97, v100
	s_delay_alu instid0(VALU_DEP_1) | instskip(NEXT) | instid1(VALU_DEP_1)
	v_sub_f32_e32 v97, v100, v99
	v_add_f32_e32 v13, v97, v13
	s_delay_alu instid0(VALU_DEP_4) | instskip(NEXT) | instid1(VALU_DEP_2)
	v_sub_f32_e32 v97, v96, v101
	v_add_f32_e32 v13, v102, v13
	s_delay_alu instid0(VALU_DEP_2) | instskip(NEXT) | instid1(VALU_DEP_2)
	v_sub_f32_e32 v97, v98, v97
	v_mul_f32_e32 v13, v17, v13
	s_delay_alu instid0(VALU_DEP_1) | instskip(NEXT) | instid1(VALU_DEP_1)
	v_add_f32_e32 v13, v97, v13
	v_add_f32_e32 v17, v96, v13
	s_delay_alu instid0(VALU_DEP_1) | instskip(NEXT) | instid1(VALU_DEP_1)
	v_mul_f32_e32 v97, v17, v17
	v_fmaak_f32 v98, s84, v97, 0x3ecc95a3
	v_mul_f32_e32 v99, v17, v97
	s_delay_alu instid0(VALU_DEP_2) | instskip(SKIP_1) | instid1(VALU_DEP_2)
	v_fmaak_f32 v97, v97, v98, 0x3f2aaada
	v_ldexp_f32 v98, v17, 1
	v_mul_f32_e32 v97, v99, v97
	s_delay_alu instid0(VALU_DEP_1) | instskip(NEXT) | instid1(VALU_DEP_1)
	v_dual_sub_f32 v17, v17, v96 :: v_dual_add_f32 v96, v98, v97
	v_sub_f32_e32 v13, v13, v17
	s_delay_alu instid0(VALU_DEP_2) | instskip(NEXT) | instid1(VALU_DEP_2)
	v_sub_f32_e32 v17, v96, v98
	v_ldexp_f32 v13, v13, 1
	s_delay_alu instid0(VALU_DEP_2) | instskip(SKIP_1) | instid1(VALU_DEP_1)
	v_sub_f32_e32 v17, v97, v17
	v_mul_f32_e32 v99, 0x3f317218, v12
	v_fma_f32 v98, 0x3f317218, v12, -v99
	s_delay_alu instid0(VALU_DEP_1) | instskip(NEXT) | instid1(VALU_DEP_1)
	v_fmac_f32_e32 v98, 0xb102e308, v12
	v_dual_add_f32 v12, v13, v17 :: v_dual_add_f32 v13, v99, v98
	s_delay_alu instid0(VALU_DEP_1) | instskip(NEXT) | instid1(VALU_DEP_1)
	v_add_f32_e32 v17, v96, v12
	v_add_f32_e32 v97, v13, v17
	v_sub_f32_e32 v96, v17, v96
	s_delay_alu instid0(VALU_DEP_2) | instskip(NEXT) | instid1(VALU_DEP_2)
	v_sub_f32_e32 v100, v97, v13
	v_dual_sub_f32 v12, v12, v96 :: v_dual_sub_f32 v99, v13, v99
	s_delay_alu instid0(VALU_DEP_2) | instskip(NEXT) | instid1(VALU_DEP_2)
	v_sub_f32_e32 v101, v97, v100
	v_dual_sub_f32 v17, v17, v100 :: v_dual_sub_f32 v98, v98, v99
	s_delay_alu instid0(VALU_DEP_1) | instskip(NEXT) | instid1(VALU_DEP_1)
	v_dual_sub_f32 v13, v13, v101 :: v_dual_add_f32 v96, v98, v12
	v_add_f32_e32 v13, v17, v13
	s_delay_alu instid0(VALU_DEP_2) | instskip(NEXT) | instid1(VALU_DEP_2)
	v_sub_f32_e32 v17, v96, v98
	v_add_f32_e32 v13, v96, v13
	s_delay_alu instid0(VALU_DEP_2) | instskip(SKIP_1) | instid1(VALU_DEP_2)
	v_sub_f32_e32 v96, v96, v17
	v_sub_f32_e32 v12, v12, v17
	v_dual_add_f32 v99, v97, v13 :: v_dual_sub_f32 v96, v98, v96
	s_delay_alu instid0(VALU_DEP_1) | instskip(NEXT) | instid1(VALU_DEP_1)
	v_dual_sub_f32 v17, v99, v97 :: v_dual_add_f32 v12, v12, v96
	v_sub_f32_e32 v13, v13, v17
	s_delay_alu instid0(VALU_DEP_1) | instskip(NEXT) | instid1(VALU_DEP_1)
	v_add_f32_e32 v12, v12, v13
	v_add_f32_e32 v12, v99, v12
	s_delay_alu instid0(VALU_DEP_1)
	v_cndmask_b32_e32 v96, v12, v14, vcc_lo
.LBB122_88:                             ;   in Loop: Header=BB122_12 Depth=1
	s_or_b32 exec_lo, exec_lo, s30
	v_lshrrev_b32_e32 v12, 16, v15
	s_delay_alu instid0(VALU_DEP_1) | instskip(NEXT) | instid1(VALU_DEP_1)
	v_cvt_f32_f16_e32 v12, v12
	v_add_f32_e32 v97, s67, v12
	s_delay_alu instid0(VALU_DEP_1) | instskip(SKIP_1) | instid1(SALU_CYCLE_1)
	v_cmp_ge_f32_e32 vcc_lo, 0x41a00000, v97
	s_and_b32 s29, s80, vcc_lo
	s_and_saveexec_b32 s30, s29
	s_cbranch_execz .LBB122_90
; %bb.89:                               ;   in Loop: Header=BB122_12 Depth=1
	v_mul_f32_e32 v12, 0x3fb8aa3b, v97
	v_cmp_ngt_f32_e32 vcc_lo, 0xc2ce8ed0, v97
	s_delay_alu instid0(VALU_DEP_2) | instskip(SKIP_1) | instid1(VALU_DEP_2)
	v_rndne_f32_e32 v13, v12
	v_fma_f32 v14, 0x3fb8aa3b, v97, -v12
	v_sub_f32_e32 v12, v12, v13
	s_delay_alu instid0(VALU_DEP_2) | instskip(SKIP_1) | instid1(VALU_DEP_2)
	v_fmac_f32_e32 v14, 0x32a5705f, v97
	v_cvt_i32_f32_e32 v13, v13
	v_add_f32_e32 v12, v12, v14
	s_delay_alu instid0(VALU_DEP_1) | instskip(SKIP_2) | instid1(VALU_DEP_1)
	v_exp_f32_e32 v12, v12
	s_waitcnt_depctr 0xfff
	v_ldexp_f32 v12, v12, v13
	v_cndmask_b32_e32 v12, 0, v12, vcc_lo
	v_cmp_nlt_f32_e32 vcc_lo, 0x42b17218, v97
	s_delay_alu instid0(VALU_DEP_2) | instskip(NEXT) | instid1(VALU_DEP_1)
	v_cndmask_b32_e32 v14, 0x7f800000, v12, vcc_lo
	v_add_f32_e32 v15, 1.0, v14
	s_delay_alu instid0(VALU_DEP_1) | instskip(NEXT) | instid1(VALU_DEP_1)
	v_cvt_f64_f32_e32 v[12:13], v15
	v_frexp_exp_i32_f64_e32 v12, v[12:13]
	v_frexp_mant_f32_e32 v13, v15
	s_delay_alu instid0(VALU_DEP_1) | instskip(SKIP_1) | instid1(VALU_DEP_1)
	v_cmp_gt_f32_e32 vcc_lo, 0x3f2aaaab, v13
	v_add_f32_e32 v13, -1.0, v15
	v_sub_f32_e32 v97, v13, v15
	v_sub_f32_e32 v13, v14, v13
	s_delay_alu instid0(VALU_DEP_2) | instskip(NEXT) | instid1(VALU_DEP_1)
	v_add_f32_e32 v97, 1.0, v97
	v_add_f32_e32 v13, v13, v97
	v_cmp_gt_f32_e64 s29, 0x33800000, v14
	v_subrev_co_ci_u32_e32 v12, vcc_lo, 0, v12, vcc_lo
	v_cmp_eq_f32_e32 vcc_lo, 0x7f800000, v14
	s_delay_alu instid0(VALU_DEP_2) | instskip(SKIP_2) | instid1(VALU_DEP_2)
	v_sub_nc_u32_e32 v17, 0, v12
	v_cvt_f32_i32_e32 v12, v12
	s_or_b32 vcc_lo, s29, vcc_lo
	v_ldexp_f32 v15, v15, v17
	v_ldexp_f32 v13, v13, v17
	s_delay_alu instid0(VALU_DEP_2) | instskip(SKIP_1) | instid1(VALU_DEP_2)
	v_add_f32_e32 v98, 1.0, v15
	v_add_f32_e32 v17, -1.0, v15
	v_add_f32_e32 v97, -1.0, v98
	s_delay_alu instid0(VALU_DEP_2) | instskip(NEXT) | instid1(VALU_DEP_2)
	v_add_f32_e32 v99, 1.0, v17
	v_sub_f32_e32 v97, v15, v97
	s_delay_alu instid0(VALU_DEP_2) | instskip(NEXT) | instid1(VALU_DEP_2)
	v_sub_f32_e32 v15, v15, v99
	v_add_f32_e32 v97, v13, v97
	s_delay_alu instid0(VALU_DEP_2) | instskip(NEXT) | instid1(VALU_DEP_1)
	v_add_f32_e32 v13, v13, v15
	v_add_f32_e32 v100, v17, v13
	s_delay_alu instid0(VALU_DEP_3) | instskip(NEXT) | instid1(VALU_DEP_1)
	v_add_f32_e32 v99, v98, v97
	v_rcp_f32_e32 v15, v99
	v_sub_f32_e32 v98, v98, v99
	s_delay_alu instid0(VALU_DEP_1) | instskip(SKIP_2) | instid1(VALU_DEP_1)
	v_add_f32_e32 v97, v97, v98
	s_waitcnt_depctr 0xfff
	v_mul_f32_e32 v101, v100, v15
	v_dual_mul_f32 v102, v99, v101 :: v_dual_sub_f32 v17, v17, v100
	s_delay_alu instid0(VALU_DEP_1) | instskip(NEXT) | instid1(VALU_DEP_2)
	v_fma_f32 v98, v101, v99, -v102
	v_add_f32_e32 v13, v13, v17
	s_delay_alu instid0(VALU_DEP_2) | instskip(NEXT) | instid1(VALU_DEP_1)
	v_fmac_f32_e32 v98, v101, v97
	v_add_f32_e32 v103, v102, v98
	s_delay_alu instid0(VALU_DEP_1) | instskip(NEXT) | instid1(VALU_DEP_1)
	v_dual_sub_f32 v104, v100, v103 :: v_dual_sub_f32 v17, v103, v102
	v_dual_sub_f32 v100, v100, v104 :: v_dual_sub_f32 v17, v17, v98
	s_delay_alu instid0(VALU_DEP_1) | instskip(NEXT) | instid1(VALU_DEP_1)
	v_sub_f32_e32 v100, v100, v103
	v_add_f32_e32 v13, v13, v100
	s_delay_alu instid0(VALU_DEP_1) | instskip(NEXT) | instid1(VALU_DEP_1)
	v_add_f32_e32 v13, v17, v13
	v_add_f32_e32 v17, v104, v13
	s_delay_alu instid0(VALU_DEP_1) | instskip(NEXT) | instid1(VALU_DEP_1)
	v_mul_f32_e32 v98, v15, v17
	v_dual_sub_f32 v103, v104, v17 :: v_dual_mul_f32 v100, v99, v98
	s_delay_alu instid0(VALU_DEP_1) | instskip(NEXT) | instid1(VALU_DEP_2)
	v_add_f32_e32 v13, v13, v103
	v_fma_f32 v99, v98, v99, -v100
	s_delay_alu instid0(VALU_DEP_1) | instskip(NEXT) | instid1(VALU_DEP_1)
	v_fmac_f32_e32 v99, v98, v97
	v_add_f32_e32 v97, v100, v99
	s_delay_alu instid0(VALU_DEP_1) | instskip(SKIP_1) | instid1(VALU_DEP_2)
	v_sub_f32_e32 v102, v17, v97
	v_sub_f32_e32 v100, v97, v100
	;; [unrolled: 1-line block ×3, first 2 shown]
	s_delay_alu instid0(VALU_DEP_1) | instskip(NEXT) | instid1(VALU_DEP_3)
	v_sub_f32_e32 v17, v17, v97
	v_sub_f32_e32 v97, v100, v99
	s_delay_alu instid0(VALU_DEP_2) | instskip(SKIP_1) | instid1(VALU_DEP_2)
	v_add_f32_e32 v13, v13, v17
	v_add_f32_e32 v17, v101, v98
	;; [unrolled: 1-line block ×3, first 2 shown]
	s_delay_alu instid0(VALU_DEP_2) | instskip(NEXT) | instid1(VALU_DEP_2)
	v_sub_f32_e32 v97, v17, v101
	v_add_f32_e32 v13, v102, v13
	s_delay_alu instid0(VALU_DEP_2) | instskip(NEXT) | instid1(VALU_DEP_2)
	v_sub_f32_e32 v97, v98, v97
	v_mul_f32_e32 v13, v15, v13
	s_delay_alu instid0(VALU_DEP_1) | instskip(NEXT) | instid1(VALU_DEP_1)
	v_add_f32_e32 v13, v97, v13
	v_add_f32_e32 v15, v17, v13
	s_delay_alu instid0(VALU_DEP_1) | instskip(NEXT) | instid1(VALU_DEP_1)
	v_mul_f32_e32 v97, v15, v15
	v_fmaak_f32 v98, s84, v97, 0x3ecc95a3
	v_mul_f32_e32 v99, v15, v97
	s_delay_alu instid0(VALU_DEP_2) | instskip(SKIP_2) | instid1(VALU_DEP_3)
	v_fmaak_f32 v97, v97, v98, 0x3f2aaada
	v_ldexp_f32 v98, v15, 1
	v_sub_f32_e32 v15, v15, v17
	v_mul_f32_e32 v97, v99, v97
	v_mul_f32_e32 v99, 0x3f317218, v12
	s_delay_alu instid0(VALU_DEP_3) | instskip(NEXT) | instid1(VALU_DEP_3)
	v_sub_f32_e32 v13, v13, v15
	v_add_f32_e32 v17, v98, v97
	s_delay_alu instid0(VALU_DEP_2) | instskip(NEXT) | instid1(VALU_DEP_2)
	v_ldexp_f32 v13, v13, 1
	v_sub_f32_e32 v15, v17, v98
	v_fma_f32 v98, 0x3f317218, v12, -v99
	s_delay_alu instid0(VALU_DEP_1) | instskip(NEXT) | instid1(VALU_DEP_1)
	v_dual_sub_f32 v15, v97, v15 :: v_dual_fmac_f32 v98, 0xb102e308, v12
	v_dual_add_f32 v12, v13, v15 :: v_dual_add_f32 v13, v99, v98
	s_delay_alu instid0(VALU_DEP_1) | instskip(NEXT) | instid1(VALU_DEP_1)
	v_add_f32_e32 v15, v17, v12
	v_add_f32_e32 v97, v13, v15
	v_sub_f32_e32 v17, v15, v17
	s_delay_alu instid0(VALU_DEP_2) | instskip(NEXT) | instid1(VALU_DEP_2)
	v_sub_f32_e32 v100, v97, v13
	v_dual_sub_f32 v99, v13, v99 :: v_dual_sub_f32 v12, v12, v17
	s_delay_alu instid0(VALU_DEP_1) | instskip(SKIP_1) | instid1(VALU_DEP_2)
	v_dual_sub_f32 v101, v97, v100 :: v_dual_sub_f32 v98, v98, v99
	v_sub_f32_e32 v15, v15, v100
	v_sub_f32_e32 v13, v13, v101
	s_delay_alu instid0(VALU_DEP_3) | instskip(NEXT) | instid1(VALU_DEP_2)
	v_add_f32_e32 v17, v98, v12
	v_add_f32_e32 v13, v15, v13
	s_delay_alu instid0(VALU_DEP_2) | instskip(NEXT) | instid1(VALU_DEP_2)
	v_sub_f32_e32 v15, v17, v98
	v_add_f32_e32 v13, v17, v13
	s_delay_alu instid0(VALU_DEP_2) | instskip(NEXT) | instid1(VALU_DEP_2)
	v_sub_f32_e32 v17, v17, v15
	v_dual_sub_f32 v12, v12, v15 :: v_dual_add_f32 v99, v97, v13
	s_delay_alu instid0(VALU_DEP_2) | instskip(NEXT) | instid1(VALU_DEP_2)
	v_sub_f32_e32 v17, v98, v17
	v_sub_f32_e32 v15, v99, v97
	s_delay_alu instid0(VALU_DEP_1) | instskip(NEXT) | instid1(VALU_DEP_1)
	v_dual_add_f32 v12, v12, v17 :: v_dual_sub_f32 v13, v13, v15
	v_add_f32_e32 v12, v12, v13
	s_delay_alu instid0(VALU_DEP_1) | instskip(NEXT) | instid1(VALU_DEP_1)
	v_add_f32_e32 v12, v99, v12
	v_cndmask_b32_e32 v97, v12, v14, vcc_lo
.LBB122_90:                             ;   in Loop: Header=BB122_12 Depth=1
	s_or_b32 exec_lo, exec_lo, s30
	s_waitcnt lgkmcnt(0)
	v_cvt_f32_f16_e32 v12, v8
	s_delay_alu instid0(VALU_DEP_1) | instskip(NEXT) | instid1(VALU_DEP_1)
	v_add_f32_e32 v98, s67, v12
	v_cmp_ge_f32_e32 vcc_lo, 0x41a00000, v98
	s_and_b32 s29, s80, vcc_lo
	s_delay_alu instid0(SALU_CYCLE_1)
	s_and_saveexec_b32 s30, s29
	s_cbranch_execz .LBB122_92
; %bb.91:                               ;   in Loop: Header=BB122_12 Depth=1
	v_mul_f32_e32 v12, 0x3fb8aa3b, v98
	v_cmp_ngt_f32_e32 vcc_lo, 0xc2ce8ed0, v98
	s_delay_alu instid0(VALU_DEP_2) | instskip(SKIP_1) | instid1(VALU_DEP_2)
	v_rndne_f32_e32 v13, v12
	v_fma_f32 v14, 0x3fb8aa3b, v98, -v12
	v_sub_f32_e32 v12, v12, v13
	s_delay_alu instid0(VALU_DEP_2) | instskip(SKIP_1) | instid1(VALU_DEP_2)
	v_fmac_f32_e32 v14, 0x32a5705f, v98
	v_cvt_i32_f32_e32 v13, v13
	v_add_f32_e32 v12, v12, v14
	s_delay_alu instid0(VALU_DEP_1) | instskip(SKIP_2) | instid1(VALU_DEP_1)
	v_exp_f32_e32 v12, v12
	s_waitcnt_depctr 0xfff
	v_ldexp_f32 v12, v12, v13
	v_cndmask_b32_e32 v12, 0, v12, vcc_lo
	v_cmp_nlt_f32_e32 vcc_lo, 0x42b17218, v98
	s_delay_alu instid0(VALU_DEP_2) | instskip(NEXT) | instid1(VALU_DEP_1)
	v_cndmask_b32_e32 v14, 0x7f800000, v12, vcc_lo
	v_add_f32_e32 v15, 1.0, v14
	s_delay_alu instid0(VALU_DEP_1) | instskip(NEXT) | instid1(VALU_DEP_1)
	v_cvt_f64_f32_e32 v[12:13], v15
	v_frexp_exp_i32_f64_e32 v12, v[12:13]
	v_frexp_mant_f32_e32 v13, v15
	s_delay_alu instid0(VALU_DEP_1) | instskip(SKIP_1) | instid1(VALU_DEP_1)
	v_cmp_gt_f32_e32 vcc_lo, 0x3f2aaaab, v13
	v_add_f32_e32 v13, -1.0, v15
	v_dual_sub_f32 v98, v13, v15 :: v_dual_sub_f32 v13, v14, v13
	s_delay_alu instid0(VALU_DEP_1) | instskip(NEXT) | instid1(VALU_DEP_1)
	v_add_f32_e32 v98, 1.0, v98
	v_add_f32_e32 v13, v13, v98
	v_subrev_co_ci_u32_e32 v12, vcc_lo, 0, v12, vcc_lo
	s_delay_alu instid0(VALU_DEP_1) | instskip(SKIP_1) | instid1(VALU_DEP_2)
	v_sub_nc_u32_e32 v17, 0, v12
	v_cvt_f32_i32_e32 v12, v12
	v_ldexp_f32 v15, v15, v17
	v_ldexp_f32 v13, v13, v17
	s_delay_alu instid0(VALU_DEP_2) | instskip(SKIP_3) | instid1(VALU_DEP_4)
	v_add_f32_e32 v99, 1.0, v15
	v_add_f32_e32 v17, -1.0, v15
	v_cmp_eq_f32_e32 vcc_lo, 0x7f800000, v14
	v_cmp_gt_f32_e64 s29, 0x33800000, v14
	v_add_f32_e32 v98, -1.0, v99
	s_delay_alu instid0(VALU_DEP_4) | instskip(NEXT) | instid1(VALU_DEP_3)
	v_add_f32_e32 v100, 1.0, v17
	s_or_b32 vcc_lo, s29, vcc_lo
	s_delay_alu instid0(VALU_DEP_2) | instskip(NEXT) | instid1(VALU_DEP_1)
	v_sub_f32_e32 v98, v15, v98
	v_dual_sub_f32 v15, v15, v100 :: v_dual_add_f32 v98, v13, v98
	s_delay_alu instid0(VALU_DEP_1) | instskip(NEXT) | instid1(VALU_DEP_1)
	v_add_f32_e32 v13, v13, v15
	v_dual_add_f32 v101, v17, v13 :: v_dual_add_f32 v100, v99, v98
	s_delay_alu instid0(VALU_DEP_1) | instskip(NEXT) | instid1(VALU_DEP_2)
	v_sub_f32_e32 v17, v17, v101
	v_rcp_f32_e32 v15, v100
	v_sub_f32_e32 v99, v99, v100
	s_delay_alu instid0(VALU_DEP_1) | instskip(SKIP_2) | instid1(VALU_DEP_1)
	v_dual_add_f32 v98, v98, v99 :: v_dual_add_f32 v13, v13, v17
	s_waitcnt_depctr 0xfff
	v_mul_f32_e32 v102, v101, v15
	v_mul_f32_e32 v103, v100, v102
	s_delay_alu instid0(VALU_DEP_1) | instskip(NEXT) | instid1(VALU_DEP_1)
	v_fma_f32 v99, v102, v100, -v103
	v_fmac_f32_e32 v99, v102, v98
	s_delay_alu instid0(VALU_DEP_1) | instskip(NEXT) | instid1(VALU_DEP_1)
	v_add_f32_e32 v104, v103, v99
	v_sub_f32_e32 v105, v101, v104
	s_delay_alu instid0(VALU_DEP_1) | instskip(SKIP_1) | instid1(VALU_DEP_2)
	v_sub_f32_e32 v101, v101, v105
	v_sub_f32_e32 v17, v104, v103
	;; [unrolled: 1-line block ×3, first 2 shown]
	s_delay_alu instid0(VALU_DEP_2) | instskip(NEXT) | instid1(VALU_DEP_2)
	v_sub_f32_e32 v17, v17, v99
	v_add_f32_e32 v13, v13, v101
	s_delay_alu instid0(VALU_DEP_1) | instskip(NEXT) | instid1(VALU_DEP_1)
	v_add_f32_e32 v13, v17, v13
	v_add_f32_e32 v17, v105, v13
	s_delay_alu instid0(VALU_DEP_1) | instskip(NEXT) | instid1(VALU_DEP_1)
	v_mul_f32_e32 v99, v15, v17
	v_dual_sub_f32 v104, v105, v17 :: v_dual_mul_f32 v101, v100, v99
	s_delay_alu instid0(VALU_DEP_1) | instskip(NEXT) | instid1(VALU_DEP_2)
	v_add_f32_e32 v13, v13, v104
	v_fma_f32 v100, v99, v100, -v101
	s_delay_alu instid0(VALU_DEP_1) | instskip(NEXT) | instid1(VALU_DEP_1)
	v_fmac_f32_e32 v100, v99, v98
	v_add_f32_e32 v98, v101, v100
	s_delay_alu instid0(VALU_DEP_1) | instskip(NEXT) | instid1(VALU_DEP_1)
	v_sub_f32_e32 v103, v17, v98
	v_sub_f32_e32 v17, v17, v103
	s_delay_alu instid0(VALU_DEP_1) | instskip(NEXT) | instid1(VALU_DEP_1)
	v_sub_f32_e32 v17, v17, v98
	v_add_f32_e32 v13, v13, v17
	v_add_f32_e32 v17, v102, v99
	v_sub_f32_e32 v101, v98, v101
	s_delay_alu instid0(VALU_DEP_1) | instskip(NEXT) | instid1(VALU_DEP_1)
	v_sub_f32_e32 v98, v101, v100
	v_dual_add_f32 v13, v98, v13 :: v_dual_sub_f32 v98, v17, v102
	s_delay_alu instid0(VALU_DEP_1) | instskip(NEXT) | instid1(VALU_DEP_2)
	v_add_f32_e32 v13, v103, v13
	v_sub_f32_e32 v98, v99, v98
	s_delay_alu instid0(VALU_DEP_2) | instskip(NEXT) | instid1(VALU_DEP_1)
	v_mul_f32_e32 v13, v15, v13
	v_add_f32_e32 v13, v98, v13
	s_delay_alu instid0(VALU_DEP_1) | instskip(NEXT) | instid1(VALU_DEP_1)
	v_add_f32_e32 v15, v17, v13
	v_mul_f32_e32 v98, v15, v15
	s_delay_alu instid0(VALU_DEP_1) | instskip(SKIP_1) | instid1(VALU_DEP_2)
	v_fmaak_f32 v99, s84, v98, 0x3ecc95a3
	v_mul_f32_e32 v100, v15, v98
	v_fmaak_f32 v98, v98, v99, 0x3f2aaada
	v_ldexp_f32 v99, v15, 1
	s_delay_alu instid0(VALU_DEP_2) | instskip(NEXT) | instid1(VALU_DEP_1)
	v_dual_sub_f32 v15, v15, v17 :: v_dual_mul_f32 v98, v100, v98
	v_dual_mul_f32 v100, 0x3f317218, v12 :: v_dual_sub_f32 v13, v13, v15
	s_delay_alu instid0(VALU_DEP_2) | instskip(NEXT) | instid1(VALU_DEP_2)
	v_add_f32_e32 v17, v99, v98
	v_ldexp_f32 v13, v13, 1
	s_delay_alu instid0(VALU_DEP_2) | instskip(NEXT) | instid1(VALU_DEP_4)
	v_sub_f32_e32 v15, v17, v99
	v_fma_f32 v99, 0x3f317218, v12, -v100
	s_delay_alu instid0(VALU_DEP_2) | instskip(NEXT) | instid1(VALU_DEP_1)
	v_sub_f32_e32 v15, v98, v15
	v_dual_fmac_f32 v99, 0xb102e308, v12 :: v_dual_add_f32 v12, v13, v15
	s_delay_alu instid0(VALU_DEP_1) | instskip(NEXT) | instid1(VALU_DEP_2)
	v_add_f32_e32 v13, v100, v99
	v_add_f32_e32 v15, v17, v12
	s_delay_alu instid0(VALU_DEP_2) | instskip(NEXT) | instid1(VALU_DEP_2)
	v_sub_f32_e32 v100, v13, v100
	v_dual_add_f32 v98, v13, v15 :: v_dual_sub_f32 v17, v15, v17
	s_delay_alu instid0(VALU_DEP_2) | instskip(NEXT) | instid1(VALU_DEP_2)
	v_sub_f32_e32 v99, v99, v100
	v_sub_f32_e32 v101, v98, v13
	s_delay_alu instid0(VALU_DEP_3) | instskip(NEXT) | instid1(VALU_DEP_2)
	v_sub_f32_e32 v12, v12, v17
	v_sub_f32_e32 v102, v98, v101
	;; [unrolled: 1-line block ×3, first 2 shown]
	s_delay_alu instid0(VALU_DEP_3) | instskip(NEXT) | instid1(VALU_DEP_3)
	v_add_f32_e32 v17, v99, v12
	v_sub_f32_e32 v13, v13, v102
	s_delay_alu instid0(VALU_DEP_1) | instskip(NEXT) | instid1(VALU_DEP_3)
	v_add_f32_e32 v13, v15, v13
	v_sub_f32_e32 v15, v17, v99
	s_delay_alu instid0(VALU_DEP_2) | instskip(NEXT) | instid1(VALU_DEP_2)
	v_add_f32_e32 v13, v17, v13
	v_sub_f32_e32 v17, v17, v15
	v_sub_f32_e32 v12, v12, v15
	s_delay_alu instid0(VALU_DEP_3) | instskip(NEXT) | instid1(VALU_DEP_3)
	v_add_f32_e32 v100, v98, v13
	v_sub_f32_e32 v17, v99, v17
	s_delay_alu instid0(VALU_DEP_2) | instskip(NEXT) | instid1(VALU_DEP_1)
	v_sub_f32_e32 v15, v100, v98
	v_dual_add_f32 v12, v12, v17 :: v_dual_sub_f32 v13, v13, v15
	s_delay_alu instid0(VALU_DEP_1) | instskip(NEXT) | instid1(VALU_DEP_1)
	v_add_f32_e32 v12, v12, v13
	v_add_f32_e32 v12, v100, v12
	s_delay_alu instid0(VALU_DEP_1)
	v_cndmask_b32_e32 v98, v12, v14, vcc_lo
.LBB122_92:                             ;   in Loop: Header=BB122_12 Depth=1
	s_or_b32 exec_lo, exec_lo, s30
	v_lshrrev_b32_e32 v8, 16, v8
	s_delay_alu instid0(VALU_DEP_1) | instskip(NEXT) | instid1(VALU_DEP_1)
	v_cvt_f32_f16_e32 v8, v8
	v_add_f32_e32 v99, s67, v8
	s_delay_alu instid0(VALU_DEP_1) | instskip(SKIP_1) | instid1(SALU_CYCLE_1)
	v_cmp_ge_f32_e32 vcc_lo, 0x41a00000, v99
	s_and_b32 s29, s80, vcc_lo
	s_and_saveexec_b32 s30, s29
	s_cbranch_execz .LBB122_94
; %bb.93:                               ;   in Loop: Header=BB122_12 Depth=1
	v_mul_f32_e32 v8, 0x3fb8aa3b, v99
	v_cmp_ngt_f32_e32 vcc_lo, 0xc2ce8ed0, v99
	s_delay_alu instid0(VALU_DEP_2) | instskip(SKIP_1) | instid1(VALU_DEP_1)
	v_rndne_f32_e32 v12, v8
	v_fma_f32 v13, 0x3fb8aa3b, v99, -v8
	v_dual_sub_f32 v8, v8, v12 :: v_dual_fmac_f32 v13, 0x32a5705f, v99
	v_cvt_i32_f32_e32 v12, v12
	s_delay_alu instid0(VALU_DEP_2) | instskip(NEXT) | instid1(VALU_DEP_1)
	v_add_f32_e32 v8, v8, v13
	v_exp_f32_e32 v8, v8
	s_waitcnt_depctr 0xfff
	v_ldexp_f32 v8, v8, v12
	s_delay_alu instid0(VALU_DEP_1) | instskip(SKIP_1) | instid1(VALU_DEP_2)
	v_cndmask_b32_e32 v8, 0, v8, vcc_lo
	v_cmp_nlt_f32_e32 vcc_lo, 0x42b17218, v99
	v_cndmask_b32_e32 v8, 0x7f800000, v8, vcc_lo
	s_delay_alu instid0(VALU_DEP_1) | instskip(NEXT) | instid1(VALU_DEP_1)
	v_add_f32_e32 v14, 1.0, v8
	v_cvt_f64_f32_e32 v[12:13], v14
	s_delay_alu instid0(VALU_DEP_1) | instskip(SKIP_1) | instid1(VALU_DEP_1)
	v_frexp_exp_i32_f64_e32 v12, v[12:13]
	v_frexp_mant_f32_e32 v13, v14
	v_cmp_gt_f32_e32 vcc_lo, 0x3f2aaaab, v13
	v_add_f32_e32 v13, -1.0, v14
	s_delay_alu instid0(VALU_DEP_1) | instskip(NEXT) | instid1(VALU_DEP_1)
	v_sub_f32_e32 v17, v13, v14
	v_add_f32_e32 v17, 1.0, v17
	v_subrev_co_ci_u32_e32 v12, vcc_lo, 0, v12, vcc_lo
	s_delay_alu instid0(VALU_DEP_1) | instskip(SKIP_1) | instid1(VALU_DEP_2)
	v_sub_nc_u32_e32 v15, 0, v12
	v_cvt_f32_i32_e32 v12, v12
	v_ldexp_f32 v14, v14, v15
	s_delay_alu instid0(VALU_DEP_1) | instskip(SKIP_3) | instid1(VALU_DEP_3)
	v_add_f32_e32 v99, 1.0, v14
	v_sub_f32_e32 v13, v8, v13
	v_cmp_eq_f32_e32 vcc_lo, 0x7f800000, v8
	v_cmp_gt_f32_e64 s29, 0x33800000, v8
	v_add_f32_e32 v13, v13, v17
	s_delay_alu instid0(VALU_DEP_2) | instskip(NEXT) | instid1(VALU_DEP_1)
	s_or_b32 vcc_lo, s29, vcc_lo
	v_ldexp_f32 v13, v13, v15
	v_add_f32_e32 v15, -1.0, v14
	s_delay_alu instid0(VALU_DEP_1) | instskip(SKIP_1) | instid1(VALU_DEP_1)
	v_add_f32_e32 v100, 1.0, v15
	v_add_f32_e32 v17, -1.0, v99
	v_sub_f32_e32 v17, v14, v17
	s_delay_alu instid0(VALU_DEP_1) | instskip(NEXT) | instid1(VALU_DEP_1)
	v_dual_sub_f32 v14, v14, v100 :: v_dual_add_f32 v17, v13, v17
	v_add_f32_e32 v100, v99, v17
	s_delay_alu instid0(VALU_DEP_1) | instskip(NEXT) | instid1(VALU_DEP_1)
	v_sub_f32_e32 v99, v99, v100
	v_add_f32_e32 v17, v17, v99
	s_delay_alu instid0(VALU_DEP_4) | instskip(SKIP_1) | instid1(VALU_DEP_1)
	v_add_f32_e32 v13, v13, v14
	v_rcp_f32_e32 v14, v100
	v_add_f32_e32 v101, v15, v13
	s_waitcnt_depctr 0xfff
	v_dual_sub_f32 v15, v15, v101 :: v_dual_mul_f32 v102, v101, v14
	s_delay_alu instid0(VALU_DEP_1) | instskip(NEXT) | instid1(VALU_DEP_2)
	v_add_f32_e32 v13, v13, v15
	v_mul_f32_e32 v103, v100, v102
	s_delay_alu instid0(VALU_DEP_1) | instskip(NEXT) | instid1(VALU_DEP_1)
	v_fma_f32 v99, v102, v100, -v103
	v_fmac_f32_e32 v99, v102, v17
	s_delay_alu instid0(VALU_DEP_1) | instskip(NEXT) | instid1(VALU_DEP_1)
	v_add_f32_e32 v104, v103, v99
	v_sub_f32_e32 v105, v101, v104
	v_sub_f32_e32 v15, v104, v103
	s_delay_alu instid0(VALU_DEP_2) | instskip(NEXT) | instid1(VALU_DEP_2)
	v_sub_f32_e32 v101, v101, v105
	v_sub_f32_e32 v15, v15, v99
	s_delay_alu instid0(VALU_DEP_2) | instskip(NEXT) | instid1(VALU_DEP_1)
	v_sub_f32_e32 v101, v101, v104
	v_add_f32_e32 v13, v13, v101
	s_delay_alu instid0(VALU_DEP_1) | instskip(NEXT) | instid1(VALU_DEP_1)
	v_add_f32_e32 v13, v15, v13
	v_add_f32_e32 v15, v105, v13
	s_delay_alu instid0(VALU_DEP_1) | instskip(SKIP_1) | instid1(VALU_DEP_2)
	v_mul_f32_e32 v99, v14, v15
	v_sub_f32_e32 v104, v105, v15
	v_mul_f32_e32 v101, v100, v99
	s_delay_alu instid0(VALU_DEP_2) | instskip(NEXT) | instid1(VALU_DEP_2)
	v_add_f32_e32 v13, v13, v104
	v_fma_f32 v100, v99, v100, -v101
	s_delay_alu instid0(VALU_DEP_1) | instskip(NEXT) | instid1(VALU_DEP_1)
	v_fmac_f32_e32 v100, v99, v17
	v_add_f32_e32 v17, v101, v100
	s_delay_alu instid0(VALU_DEP_1) | instskip(SKIP_1) | instid1(VALU_DEP_2)
	v_sub_f32_e32 v103, v15, v17
	v_sub_f32_e32 v101, v17, v101
	;; [unrolled: 1-line block ×3, first 2 shown]
	s_delay_alu instid0(VALU_DEP_1) | instskip(NEXT) | instid1(VALU_DEP_3)
	v_sub_f32_e32 v15, v15, v17
	v_sub_f32_e32 v17, v101, v100
	s_delay_alu instid0(VALU_DEP_2) | instskip(SKIP_1) | instid1(VALU_DEP_2)
	v_add_f32_e32 v13, v13, v15
	v_add_f32_e32 v15, v102, v99
	;; [unrolled: 1-line block ×3, first 2 shown]
	s_delay_alu instid0(VALU_DEP_2) | instskip(NEXT) | instid1(VALU_DEP_2)
	v_sub_f32_e32 v17, v15, v102
	v_add_f32_e32 v13, v103, v13
	s_delay_alu instid0(VALU_DEP_2) | instskip(NEXT) | instid1(VALU_DEP_2)
	v_sub_f32_e32 v17, v99, v17
	v_mul_f32_e32 v13, v14, v13
	s_delay_alu instid0(VALU_DEP_1) | instskip(NEXT) | instid1(VALU_DEP_1)
	v_add_f32_e32 v13, v17, v13
	v_add_f32_e32 v14, v15, v13
	s_delay_alu instid0(VALU_DEP_1) | instskip(NEXT) | instid1(VALU_DEP_1)
	v_mul_f32_e32 v17, v14, v14
	v_fmaak_f32 v99, s84, v17, 0x3ecc95a3
	s_delay_alu instid0(VALU_DEP_1) | instskip(SKIP_1) | instid1(VALU_DEP_2)
	v_dual_mul_f32 v100, v14, v17 :: v_dual_fmaak_f32 v17, v17, v99, 0x3f2aaada
	v_ldexp_f32 v99, v14, 1
	v_dual_sub_f32 v14, v14, v15 :: v_dual_mul_f32 v17, v100, v17
	s_delay_alu instid0(VALU_DEP_1) | instskip(NEXT) | instid1(VALU_DEP_2)
	v_dual_mul_f32 v100, 0x3f317218, v12 :: v_dual_sub_f32 v13, v13, v14
	v_add_f32_e32 v15, v99, v17
	s_delay_alu instid0(VALU_DEP_2) | instskip(NEXT) | instid1(VALU_DEP_2)
	v_ldexp_f32 v13, v13, 1
	v_sub_f32_e32 v14, v15, v99
	s_delay_alu instid0(VALU_DEP_4) | instskip(NEXT) | instid1(VALU_DEP_1)
	v_fma_f32 v99, 0x3f317218, v12, -v100
	v_dual_sub_f32 v14, v17, v14 :: v_dual_fmac_f32 v99, 0xb102e308, v12
	s_delay_alu instid0(VALU_DEP_1) | instskip(NEXT) | instid1(VALU_DEP_1)
	v_dual_add_f32 v12, v13, v14 :: v_dual_add_f32 v13, v100, v99
	v_add_f32_e32 v14, v15, v12
	s_delay_alu instid0(VALU_DEP_2) | instskip(NEXT) | instid1(VALU_DEP_2)
	v_sub_f32_e32 v100, v13, v100
	v_add_f32_e32 v17, v13, v14
	v_sub_f32_e32 v15, v14, v15
	s_delay_alu instid0(VALU_DEP_3) | instskip(NEXT) | instid1(VALU_DEP_2)
	v_sub_f32_e32 v99, v99, v100
	v_dual_sub_f32 v101, v17, v13 :: v_dual_sub_f32 v12, v12, v15
	s_delay_alu instid0(VALU_DEP_1) | instskip(NEXT) | instid1(VALU_DEP_2)
	v_sub_f32_e32 v102, v17, v101
	v_dual_sub_f32 v14, v14, v101 :: v_dual_add_f32 v15, v99, v12
	s_delay_alu instid0(VALU_DEP_2) | instskip(NEXT) | instid1(VALU_DEP_1)
	v_sub_f32_e32 v13, v13, v102
	v_dual_add_f32 v13, v14, v13 :: v_dual_sub_f32 v14, v15, v99
	s_delay_alu instid0(VALU_DEP_1) | instskip(NEXT) | instid1(VALU_DEP_2)
	v_add_f32_e32 v13, v15, v13
	v_sub_f32_e32 v15, v15, v14
	v_sub_f32_e32 v12, v12, v14
	s_delay_alu instid0(VALU_DEP_2) | instskip(NEXT) | instid1(VALU_DEP_1)
	v_dual_add_f32 v100, v17, v13 :: v_dual_sub_f32 v15, v99, v15
	v_sub_f32_e32 v14, v100, v17
	s_delay_alu instid0(VALU_DEP_1) | instskip(NEXT) | instid1(VALU_DEP_1)
	v_dual_add_f32 v12, v12, v15 :: v_dual_sub_f32 v13, v13, v14
	v_add_f32_e32 v12, v12, v13
	s_delay_alu instid0(VALU_DEP_1) | instskip(NEXT) | instid1(VALU_DEP_1)
	v_add_f32_e32 v12, v100, v12
	v_cndmask_b32_e32 v99, v12, v8, vcc_lo
.LBB122_94:                             ;   in Loop: Header=BB122_12 Depth=1
	s_or_b32 exec_lo, exec_lo, s30
	v_cvt_f32_f16_e32 v8, v9
	s_delay_alu instid0(VALU_DEP_1) | instskip(NEXT) | instid1(VALU_DEP_1)
	v_add_f32_e32 v100, s67, v8
	v_cmp_ge_f32_e32 vcc_lo, 0x41a00000, v100
	s_and_b32 s29, s80, vcc_lo
	s_delay_alu instid0(SALU_CYCLE_1)
	s_and_saveexec_b32 s30, s29
	s_cbranch_execz .LBB122_96
; %bb.95:                               ;   in Loop: Header=BB122_12 Depth=1
	v_mul_f32_e32 v8, 0x3fb8aa3b, v100
	v_cmp_ngt_f32_e32 vcc_lo, 0xc2ce8ed0, v100
	s_delay_alu instid0(VALU_DEP_2) | instskip(SKIP_1) | instid1(VALU_DEP_2)
	v_rndne_f32_e32 v12, v8
	v_fma_f32 v13, 0x3fb8aa3b, v100, -v8
	v_sub_f32_e32 v8, v8, v12
	s_delay_alu instid0(VALU_DEP_2) | instskip(SKIP_1) | instid1(VALU_DEP_2)
	v_fmac_f32_e32 v13, 0x32a5705f, v100
	v_cvt_i32_f32_e32 v12, v12
	v_add_f32_e32 v8, v8, v13
	s_delay_alu instid0(VALU_DEP_1) | instskip(SKIP_2) | instid1(VALU_DEP_1)
	v_exp_f32_e32 v8, v8
	s_waitcnt_depctr 0xfff
	v_ldexp_f32 v8, v8, v12
	v_cndmask_b32_e32 v8, 0, v8, vcc_lo
	v_cmp_nlt_f32_e32 vcc_lo, 0x42b17218, v100
	s_delay_alu instid0(VALU_DEP_2) | instskip(NEXT) | instid1(VALU_DEP_1)
	v_cndmask_b32_e32 v8, 0x7f800000, v8, vcc_lo
	v_add_f32_e32 v14, 1.0, v8
	s_delay_alu instid0(VALU_DEP_1) | instskip(NEXT) | instid1(VALU_DEP_1)
	v_cvt_f64_f32_e32 v[12:13], v14
	v_frexp_exp_i32_f64_e32 v12, v[12:13]
	v_frexp_mant_f32_e32 v13, v14
	s_delay_alu instid0(VALU_DEP_1) | instskip(SKIP_1) | instid1(VALU_DEP_1)
	v_cmp_gt_f32_e32 vcc_lo, 0x3f2aaaab, v13
	v_add_f32_e32 v13, -1.0, v14
	v_sub_f32_e32 v17, v13, v14
	v_sub_f32_e32 v13, v8, v13
	s_delay_alu instid0(VALU_DEP_2) | instskip(NEXT) | instid1(VALU_DEP_1)
	v_add_f32_e32 v17, 1.0, v17
	v_add_f32_e32 v13, v13, v17
	v_cmp_gt_f32_e64 s29, 0x33800000, v8
	v_subrev_co_ci_u32_e32 v12, vcc_lo, 0, v12, vcc_lo
	v_cmp_eq_f32_e32 vcc_lo, 0x7f800000, v8
	s_delay_alu instid0(VALU_DEP_2) | instskip(SKIP_2) | instid1(VALU_DEP_2)
	v_sub_nc_u32_e32 v15, 0, v12
	v_cvt_f32_i32_e32 v12, v12
	s_or_b32 vcc_lo, s29, vcc_lo
	v_ldexp_f32 v14, v14, v15
	v_ldexp_f32 v13, v13, v15
	s_delay_alu instid0(VALU_DEP_2) | instskip(SKIP_1) | instid1(VALU_DEP_2)
	v_add_f32_e32 v100, 1.0, v14
	v_add_f32_e32 v15, -1.0, v14
	v_add_f32_e32 v17, -1.0, v100
	s_delay_alu instid0(VALU_DEP_2) | instskip(NEXT) | instid1(VALU_DEP_2)
	v_add_f32_e32 v101, 1.0, v15
	v_sub_f32_e32 v17, v14, v17
	s_delay_alu instid0(VALU_DEP_2) | instskip(NEXT) | instid1(VALU_DEP_2)
	v_sub_f32_e32 v14, v14, v101
	v_add_f32_e32 v17, v13, v17
	s_delay_alu instid0(VALU_DEP_1) | instskip(NEXT) | instid1(VALU_DEP_1)
	v_add_f32_e32 v101, v100, v17
	v_dual_add_f32 v13, v13, v14 :: v_dual_sub_f32 v100, v100, v101
	v_rcp_f32_e32 v14, v101
	s_delay_alu instid0(VALU_DEP_1) | instskip(NEXT) | instid1(VALU_DEP_1)
	v_dual_add_f32 v102, v15, v13 :: v_dual_add_f32 v17, v17, v100
	v_sub_f32_e32 v15, v15, v102
	s_waitcnt_depctr 0xfff
	v_mul_f32_e32 v103, v102, v14
	v_add_f32_e32 v13, v13, v15
	s_delay_alu instid0(VALU_DEP_2) | instskip(NEXT) | instid1(VALU_DEP_1)
	v_mul_f32_e32 v104, v101, v103
	v_fma_f32 v100, v103, v101, -v104
	s_delay_alu instid0(VALU_DEP_1) | instskip(NEXT) | instid1(VALU_DEP_1)
	v_fmac_f32_e32 v100, v103, v17
	v_add_f32_e32 v105, v104, v100
	s_delay_alu instid0(VALU_DEP_1) | instskip(NEXT) | instid1(VALU_DEP_1)
	v_dual_sub_f32 v106, v102, v105 :: v_dual_sub_f32 v15, v105, v104
	v_dual_sub_f32 v102, v102, v106 :: v_dual_sub_f32 v15, v15, v100
	s_delay_alu instid0(VALU_DEP_1) | instskip(NEXT) | instid1(VALU_DEP_1)
	v_sub_f32_e32 v102, v102, v105
	v_add_f32_e32 v13, v13, v102
	s_delay_alu instid0(VALU_DEP_1) | instskip(NEXT) | instid1(VALU_DEP_1)
	v_add_f32_e32 v13, v15, v13
	v_add_f32_e32 v15, v106, v13
	s_delay_alu instid0(VALU_DEP_1) | instskip(NEXT) | instid1(VALU_DEP_1)
	v_mul_f32_e32 v100, v14, v15
	v_dual_sub_f32 v105, v106, v15 :: v_dual_mul_f32 v102, v101, v100
	s_delay_alu instid0(VALU_DEP_1) | instskip(NEXT) | instid1(VALU_DEP_2)
	v_add_f32_e32 v13, v13, v105
	v_fma_f32 v101, v100, v101, -v102
	s_delay_alu instid0(VALU_DEP_1) | instskip(NEXT) | instid1(VALU_DEP_1)
	v_fmac_f32_e32 v101, v100, v17
	v_add_f32_e32 v17, v102, v101
	s_delay_alu instid0(VALU_DEP_1) | instskip(NEXT) | instid1(VALU_DEP_1)
	v_sub_f32_e32 v104, v15, v17
	v_dual_sub_f32 v102, v17, v102 :: v_dual_sub_f32 v15, v15, v104
	s_delay_alu instid0(VALU_DEP_1) | instskip(NEXT) | instid1(VALU_DEP_2)
	v_sub_f32_e32 v15, v15, v17
	v_sub_f32_e32 v17, v102, v101
	s_delay_alu instid0(VALU_DEP_2) | instskip(SKIP_1) | instid1(VALU_DEP_2)
	v_add_f32_e32 v13, v13, v15
	v_add_f32_e32 v15, v103, v100
	v_add_f32_e32 v13, v17, v13
	s_delay_alu instid0(VALU_DEP_2) | instskip(NEXT) | instid1(VALU_DEP_2)
	v_sub_f32_e32 v17, v15, v103
	v_add_f32_e32 v13, v104, v13
	s_delay_alu instid0(VALU_DEP_2) | instskip(NEXT) | instid1(VALU_DEP_2)
	v_sub_f32_e32 v17, v100, v17
	v_mul_f32_e32 v13, v14, v13
	s_delay_alu instid0(VALU_DEP_1) | instskip(NEXT) | instid1(VALU_DEP_1)
	v_add_f32_e32 v13, v17, v13
	v_add_f32_e32 v14, v15, v13
	s_delay_alu instid0(VALU_DEP_1) | instskip(NEXT) | instid1(VALU_DEP_1)
	v_mul_f32_e32 v17, v14, v14
	v_fmaak_f32 v100, s84, v17, 0x3ecc95a3
	v_mul_f32_e32 v101, v14, v17
	s_delay_alu instid0(VALU_DEP_2) | instskip(SKIP_1) | instid1(VALU_DEP_2)
	v_fmaak_f32 v17, v17, v100, 0x3f2aaada
	v_ldexp_f32 v100, v14, 1
	v_dual_sub_f32 v14, v14, v15 :: v_dual_mul_f32 v17, v101, v17
	v_mul_f32_e32 v101, 0x3f317218, v12
	s_delay_alu instid0(VALU_DEP_2) | instskip(NEXT) | instid1(VALU_DEP_3)
	v_sub_f32_e32 v13, v13, v14
	v_add_f32_e32 v15, v100, v17
	s_delay_alu instid0(VALU_DEP_2) | instskip(NEXT) | instid1(VALU_DEP_2)
	v_ldexp_f32 v13, v13, 1
	v_sub_f32_e32 v14, v15, v100
	v_fma_f32 v100, 0x3f317218, v12, -v101
	s_delay_alu instid0(VALU_DEP_2) | instskip(NEXT) | instid1(VALU_DEP_2)
	v_sub_f32_e32 v14, v17, v14
	v_fmac_f32_e32 v100, 0xb102e308, v12
	s_delay_alu instid0(VALU_DEP_2) | instskip(NEXT) | instid1(VALU_DEP_2)
	v_add_f32_e32 v12, v13, v14
	v_add_f32_e32 v13, v101, v100
	s_delay_alu instid0(VALU_DEP_1) | instskip(NEXT) | instid1(VALU_DEP_1)
	v_dual_add_f32 v14, v15, v12 :: v_dual_sub_f32 v101, v13, v101
	v_add_f32_e32 v17, v13, v14
	s_delay_alu instid0(VALU_DEP_2) | instskip(NEXT) | instid1(VALU_DEP_2)
	v_dual_sub_f32 v15, v14, v15 :: v_dual_sub_f32 v100, v100, v101
	v_sub_f32_e32 v102, v17, v13
	s_delay_alu instid0(VALU_DEP_1) | instskip(NEXT) | instid1(VALU_DEP_1)
	v_dual_sub_f32 v12, v12, v15 :: v_dual_sub_f32 v103, v17, v102
	v_dual_sub_f32 v14, v14, v102 :: v_dual_add_f32 v15, v100, v12
	s_delay_alu instid0(VALU_DEP_2) | instskip(NEXT) | instid1(VALU_DEP_1)
	v_sub_f32_e32 v13, v13, v103
	v_dual_add_f32 v13, v14, v13 :: v_dual_sub_f32 v14, v15, v100
	s_delay_alu instid0(VALU_DEP_1) | instskip(NEXT) | instid1(VALU_DEP_2)
	v_add_f32_e32 v13, v15, v13
	v_sub_f32_e32 v15, v15, v14
	s_delay_alu instid0(VALU_DEP_2) | instskip(NEXT) | instid1(VALU_DEP_1)
	v_dual_sub_f32 v12, v12, v14 :: v_dual_add_f32 v101, v17, v13
	v_dual_sub_f32 v15, v100, v15 :: v_dual_sub_f32 v14, v101, v17
	s_delay_alu instid0(VALU_DEP_1) | instskip(NEXT) | instid1(VALU_DEP_1)
	v_dual_add_f32 v12, v12, v15 :: v_dual_sub_f32 v13, v13, v14
	v_add_f32_e32 v12, v12, v13
	s_delay_alu instid0(VALU_DEP_1) | instskip(NEXT) | instid1(VALU_DEP_1)
	v_add_f32_e32 v12, v101, v12
	v_cndmask_b32_e32 v100, v12, v8, vcc_lo
.LBB122_96:                             ;   in Loop: Header=BB122_12 Depth=1
	s_or_b32 exec_lo, exec_lo, s30
	v_lshrrev_b32_e32 v8, 16, v9
	s_delay_alu instid0(VALU_DEP_1) | instskip(NEXT) | instid1(VALU_DEP_1)
	v_cvt_f32_f16_e32 v8, v8
	v_add_f32_e32 v101, s67, v8
	s_delay_alu instid0(VALU_DEP_1) | instskip(SKIP_1) | instid1(SALU_CYCLE_1)
	v_cmp_ge_f32_e32 vcc_lo, 0x41a00000, v101
	s_and_b32 s29, s80, vcc_lo
	s_and_saveexec_b32 s30, s29
	s_cbranch_execz .LBB122_98
; %bb.97:                               ;   in Loop: Header=BB122_12 Depth=1
	v_mul_f32_e32 v8, 0x3fb8aa3b, v101
	v_cmp_ngt_f32_e32 vcc_lo, 0xc2ce8ed0, v101
	s_delay_alu instid0(VALU_DEP_2) | instskip(SKIP_1) | instid1(VALU_DEP_2)
	v_rndne_f32_e32 v9, v8
	v_fma_f32 v12, 0x3fb8aa3b, v101, -v8
	v_sub_f32_e32 v8, v8, v9
	s_delay_alu instid0(VALU_DEP_2) | instskip(SKIP_1) | instid1(VALU_DEP_2)
	v_fmac_f32_e32 v12, 0x32a5705f, v101
	v_cvt_i32_f32_e32 v9, v9
	v_add_f32_e32 v8, v8, v12
	s_delay_alu instid0(VALU_DEP_1) | instskip(SKIP_2) | instid1(VALU_DEP_1)
	v_exp_f32_e32 v8, v8
	s_waitcnt_depctr 0xfff
	v_ldexp_f32 v8, v8, v9
	v_cndmask_b32_e32 v8, 0, v8, vcc_lo
	v_cmp_nlt_f32_e32 vcc_lo, 0x42b17218, v101
	s_delay_alu instid0(VALU_DEP_2) | instskip(NEXT) | instid1(VALU_DEP_1)
	v_cndmask_b32_e32 v12, 0x7f800000, v8, vcc_lo
	v_add_f32_e32 v13, 1.0, v12
	s_delay_alu instid0(VALU_DEP_1) | instskip(NEXT) | instid1(VALU_DEP_1)
	v_cvt_f64_f32_e32 v[8:9], v13
	v_frexp_exp_i32_f64_e32 v8, v[8:9]
	v_frexp_mant_f32_e32 v9, v13
	s_delay_alu instid0(VALU_DEP_1) | instskip(SKIP_1) | instid1(VALU_DEP_1)
	v_cmp_gt_f32_e32 vcc_lo, 0x3f2aaaab, v9
	v_add_f32_e32 v9, -1.0, v13
	v_sub_f32_e32 v15, v9, v13
	s_delay_alu instid0(VALU_DEP_1) | instskip(SKIP_1) | instid1(VALU_DEP_1)
	v_add_f32_e32 v15, 1.0, v15
	v_subrev_co_ci_u32_e32 v8, vcc_lo, 0, v8, vcc_lo
	v_sub_nc_u32_e32 v14, 0, v8
	v_cvt_f32_i32_e32 v8, v8
	s_delay_alu instid0(VALU_DEP_2) | instskip(NEXT) | instid1(VALU_DEP_1)
	v_ldexp_f32 v13, v13, v14
	v_add_f32_e32 v17, 1.0, v13
	v_sub_f32_e32 v9, v12, v9
	v_cmp_eq_f32_e32 vcc_lo, 0x7f800000, v12
	v_cmp_gt_f32_e64 s29, 0x33800000, v12
	s_delay_alu instid0(VALU_DEP_3) | instskip(NEXT) | instid1(VALU_DEP_2)
	v_add_f32_e32 v9, v9, v15
	s_or_b32 vcc_lo, s29, vcc_lo
	s_delay_alu instid0(VALU_DEP_1) | instskip(SKIP_2) | instid1(VALU_DEP_1)
	v_ldexp_f32 v9, v9, v14
	v_add_f32_e32 v14, -1.0, v13
	v_add_f32_e32 v15, -1.0, v17
	v_sub_f32_e32 v15, v13, v15
	s_delay_alu instid0(VALU_DEP_3) | instskip(NEXT) | instid1(VALU_DEP_2)
	v_add_f32_e32 v101, 1.0, v14
	v_add_f32_e32 v15, v9, v15
	s_delay_alu instid0(VALU_DEP_2) | instskip(NEXT) | instid1(VALU_DEP_2)
	v_sub_f32_e32 v13, v13, v101
	v_add_f32_e32 v101, v17, v15
	s_delay_alu instid0(VALU_DEP_2) | instskip(NEXT) | instid1(VALU_DEP_2)
	v_add_f32_e32 v9, v9, v13
	v_rcp_f32_e32 v13, v101
	s_delay_alu instid0(VALU_DEP_1) | instskip(NEXT) | instid1(VALU_DEP_1)
	v_add_f32_e32 v102, v14, v9
	v_dual_sub_f32 v17, v17, v101 :: v_dual_sub_f32 v14, v14, v102
	s_delay_alu instid0(VALU_DEP_1) | instskip(SKIP_2) | instid1(VALU_DEP_1)
	v_add_f32_e32 v15, v15, v17
	s_waitcnt_depctr 0xfff
	v_mul_f32_e32 v103, v102, v13
	v_mul_f32_e32 v104, v101, v103
	s_delay_alu instid0(VALU_DEP_1) | instskip(NEXT) | instid1(VALU_DEP_1)
	v_fma_f32 v17, v103, v101, -v104
	v_fmac_f32_e32 v17, v103, v15
	v_add_f32_e32 v9, v9, v14
	s_delay_alu instid0(VALU_DEP_2) | instskip(NEXT) | instid1(VALU_DEP_1)
	v_add_f32_e32 v105, v104, v17
	v_sub_f32_e32 v106, v102, v105
	v_sub_f32_e32 v14, v105, v104
	s_delay_alu instid0(VALU_DEP_2) | instskip(NEXT) | instid1(VALU_DEP_2)
	v_sub_f32_e32 v102, v102, v106
	v_sub_f32_e32 v14, v14, v17
	s_delay_alu instid0(VALU_DEP_2) | instskip(NEXT) | instid1(VALU_DEP_1)
	v_sub_f32_e32 v102, v102, v105
	v_add_f32_e32 v9, v9, v102
	s_delay_alu instid0(VALU_DEP_1) | instskip(NEXT) | instid1(VALU_DEP_1)
	v_add_f32_e32 v9, v14, v9
	v_add_f32_e32 v14, v106, v9
	s_delay_alu instid0(VALU_DEP_1) | instskip(NEXT) | instid1(VALU_DEP_1)
	v_mul_f32_e32 v17, v13, v14
	v_dual_sub_f32 v105, v106, v14 :: v_dual_mul_f32 v102, v101, v17
	s_delay_alu instid0(VALU_DEP_1) | instskip(NEXT) | instid1(VALU_DEP_2)
	v_add_f32_e32 v9, v9, v105
	v_fma_f32 v101, v17, v101, -v102
	s_delay_alu instid0(VALU_DEP_1) | instskip(NEXT) | instid1(VALU_DEP_1)
	v_fmac_f32_e32 v101, v17, v15
	v_add_f32_e32 v15, v102, v101
	s_delay_alu instid0(VALU_DEP_1) | instskip(SKIP_1) | instid1(VALU_DEP_2)
	v_sub_f32_e32 v104, v14, v15
	v_sub_f32_e32 v102, v15, v102
	;; [unrolled: 1-line block ×3, first 2 shown]
	s_delay_alu instid0(VALU_DEP_1) | instskip(NEXT) | instid1(VALU_DEP_1)
	v_sub_f32_e32 v14, v14, v15
	v_dual_add_f32 v9, v9, v14 :: v_dual_add_f32 v14, v103, v17
	s_delay_alu instid0(VALU_DEP_4) | instskip(NEXT) | instid1(VALU_DEP_1)
	v_sub_f32_e32 v15, v102, v101
	v_add_f32_e32 v9, v15, v9
	s_delay_alu instid0(VALU_DEP_3) | instskip(NEXT) | instid1(VALU_DEP_2)
	v_sub_f32_e32 v15, v14, v103
	v_add_f32_e32 v9, v104, v9
	s_delay_alu instid0(VALU_DEP_2) | instskip(NEXT) | instid1(VALU_DEP_2)
	v_sub_f32_e32 v15, v17, v15
	v_mul_f32_e32 v9, v13, v9
	s_delay_alu instid0(VALU_DEP_1) | instskip(NEXT) | instid1(VALU_DEP_1)
	v_add_f32_e32 v9, v15, v9
	v_add_f32_e32 v13, v14, v9
	s_delay_alu instid0(VALU_DEP_1) | instskip(NEXT) | instid1(VALU_DEP_1)
	v_mul_f32_e32 v15, v13, v13
	v_fmaak_f32 v17, s84, v15, 0x3ecc95a3
	v_mul_f32_e32 v101, v13, v15
	s_delay_alu instid0(VALU_DEP_2) | instskip(SKIP_2) | instid1(VALU_DEP_3)
	v_fmaak_f32 v15, v15, v17, 0x3f2aaada
	v_ldexp_f32 v17, v13, 1
	v_sub_f32_e32 v13, v13, v14
	v_mul_f32_e32 v15, v101, v15
	v_mul_f32_e32 v101, 0x3f317218, v8
	s_delay_alu instid0(VALU_DEP_3) | instskip(NEXT) | instid1(VALU_DEP_3)
	v_sub_f32_e32 v9, v9, v13
	v_add_f32_e32 v14, v17, v15
	s_delay_alu instid0(VALU_DEP_2) | instskip(NEXT) | instid1(VALU_DEP_2)
	v_ldexp_f32 v9, v9, 1
	v_sub_f32_e32 v13, v14, v17
	v_fma_f32 v17, 0x3f317218, v8, -v101
	s_delay_alu instid0(VALU_DEP_2) | instskip(NEXT) | instid1(VALU_DEP_1)
	v_sub_f32_e32 v13, v15, v13
	v_dual_fmac_f32 v17, 0xb102e308, v8 :: v_dual_add_f32 v8, v9, v13
	s_delay_alu instid0(VALU_DEP_1) | instskip(NEXT) | instid1(VALU_DEP_2)
	v_add_f32_e32 v9, v101, v17
	v_add_f32_e32 v13, v14, v8
	s_delay_alu instid0(VALU_DEP_2) | instskip(NEXT) | instid1(VALU_DEP_2)
	v_sub_f32_e32 v101, v9, v101
	v_add_f32_e32 v15, v9, v13
	v_sub_f32_e32 v14, v13, v14
	s_delay_alu instid0(VALU_DEP_3) | instskip(NEXT) | instid1(VALU_DEP_3)
	v_sub_f32_e32 v17, v17, v101
	v_sub_f32_e32 v102, v15, v9
	s_delay_alu instid0(VALU_DEP_3) | instskip(NEXT) | instid1(VALU_DEP_2)
	v_sub_f32_e32 v8, v8, v14
	v_sub_f32_e32 v103, v15, v102
	;; [unrolled: 1-line block ×3, first 2 shown]
	s_delay_alu instid0(VALU_DEP_3) | instskip(NEXT) | instid1(VALU_DEP_3)
	v_add_f32_e32 v14, v17, v8
	v_sub_f32_e32 v9, v9, v103
	s_delay_alu instid0(VALU_DEP_1) | instskip(NEXT) | instid1(VALU_DEP_3)
	v_add_f32_e32 v9, v13, v9
	v_sub_f32_e32 v13, v14, v17
	s_delay_alu instid0(VALU_DEP_2) | instskip(NEXT) | instid1(VALU_DEP_2)
	v_add_f32_e32 v9, v14, v9
	v_sub_f32_e32 v14, v14, v13
	v_sub_f32_e32 v8, v8, v13
	s_delay_alu instid0(VALU_DEP_2) | instskip(NEXT) | instid1(VALU_DEP_1)
	v_dual_add_f32 v101, v15, v9 :: v_dual_sub_f32 v14, v17, v14
	v_dual_sub_f32 v13, v101, v15 :: v_dual_add_f32 v8, v8, v14
	s_delay_alu instid0(VALU_DEP_1) | instskip(NEXT) | instid1(VALU_DEP_1)
	v_sub_f32_e32 v9, v9, v13
	v_add_f32_e32 v8, v8, v9
	s_delay_alu instid0(VALU_DEP_1) | instskip(NEXT) | instid1(VALU_DEP_1)
	v_add_f32_e32 v8, v101, v8
	v_cndmask_b32_e32 v101, v8, v12, vcc_lo
.LBB122_98:                             ;   in Loop: Header=BB122_12 Depth=1
	s_or_b32 exec_lo, exec_lo, s30
	v_cvt_f32_f16_e32 v8, v10
	s_delay_alu instid0(VALU_DEP_1) | instskip(NEXT) | instid1(VALU_DEP_1)
	v_add_f32_e32 v102, s67, v8
	v_cmp_ge_f32_e32 vcc_lo, 0x41a00000, v102
	s_and_b32 s29, s80, vcc_lo
	s_delay_alu instid0(SALU_CYCLE_1)
	s_and_saveexec_b32 s30, s29
	s_cbranch_execz .LBB122_100
; %bb.99:                               ;   in Loop: Header=BB122_12 Depth=1
	v_mul_f32_e32 v8, 0x3fb8aa3b, v102
	v_cmp_ngt_f32_e32 vcc_lo, 0xc2ce8ed0, v102
	s_delay_alu instid0(VALU_DEP_2) | instskip(SKIP_1) | instid1(VALU_DEP_2)
	v_rndne_f32_e32 v9, v8
	v_fma_f32 v12, 0x3fb8aa3b, v102, -v8
	v_sub_f32_e32 v8, v8, v9
	s_delay_alu instid0(VALU_DEP_2) | instskip(SKIP_1) | instid1(VALU_DEP_2)
	v_fmac_f32_e32 v12, 0x32a5705f, v102
	v_cvt_i32_f32_e32 v9, v9
	v_add_f32_e32 v8, v8, v12
	s_delay_alu instid0(VALU_DEP_1) | instskip(SKIP_2) | instid1(VALU_DEP_1)
	v_exp_f32_e32 v8, v8
	s_waitcnt_depctr 0xfff
	v_ldexp_f32 v8, v8, v9
	v_cndmask_b32_e32 v8, 0, v8, vcc_lo
	v_cmp_nlt_f32_e32 vcc_lo, 0x42b17218, v102
	s_delay_alu instid0(VALU_DEP_2) | instskip(NEXT) | instid1(VALU_DEP_1)
	v_cndmask_b32_e32 v12, 0x7f800000, v8, vcc_lo
	v_add_f32_e32 v13, 1.0, v12
	s_delay_alu instid0(VALU_DEP_1) | instskip(NEXT) | instid1(VALU_DEP_1)
	v_cvt_f64_f32_e32 v[8:9], v13
	v_frexp_exp_i32_f64_e32 v8, v[8:9]
	v_frexp_mant_f32_e32 v9, v13
	s_delay_alu instid0(VALU_DEP_1) | instskip(SKIP_1) | instid1(VALU_DEP_1)
	v_cmp_gt_f32_e32 vcc_lo, 0x3f2aaaab, v9
	v_add_f32_e32 v9, -1.0, v13
	v_sub_f32_e32 v15, v9, v13
	s_delay_alu instid0(VALU_DEP_1) | instskip(SKIP_1) | instid1(VALU_DEP_1)
	v_add_f32_e32 v15, 1.0, v15
	v_subrev_co_ci_u32_e32 v8, vcc_lo, 0, v8, vcc_lo
	v_sub_nc_u32_e32 v14, 0, v8
	v_cvt_f32_i32_e32 v8, v8
	s_delay_alu instid0(VALU_DEP_2) | instskip(NEXT) | instid1(VALU_DEP_1)
	v_ldexp_f32 v13, v13, v14
	v_add_f32_e32 v17, 1.0, v13
	v_sub_f32_e32 v9, v12, v9
	v_cmp_eq_f32_e32 vcc_lo, 0x7f800000, v12
	v_cmp_gt_f32_e64 s29, 0x33800000, v12
	s_delay_alu instid0(VALU_DEP_3) | instskip(NEXT) | instid1(VALU_DEP_2)
	v_add_f32_e32 v9, v9, v15
	s_or_b32 vcc_lo, s29, vcc_lo
	s_delay_alu instid0(VALU_DEP_1) | instskip(SKIP_1) | instid1(VALU_DEP_1)
	v_ldexp_f32 v9, v9, v14
	v_add_f32_e32 v14, -1.0, v13
	v_dual_add_f32 v15, -1.0, v17 :: v_dual_add_f32 v102, 1.0, v14
	s_delay_alu instid0(VALU_DEP_1) | instskip(NEXT) | instid1(VALU_DEP_2)
	v_sub_f32_e32 v15, v13, v15
	v_sub_f32_e32 v13, v13, v102
	s_delay_alu instid0(VALU_DEP_2) | instskip(NEXT) | instid1(VALU_DEP_2)
	v_add_f32_e32 v15, v9, v15
	v_add_f32_e32 v9, v9, v13
	s_delay_alu instid0(VALU_DEP_1) | instskip(NEXT) | instid1(VALU_DEP_1)
	v_dual_add_f32 v102, v17, v15 :: v_dual_add_f32 v103, v14, v9
	v_rcp_f32_e32 v13, v102
	s_delay_alu instid0(VALU_DEP_1) | instskip(NEXT) | instid1(VALU_DEP_1)
	v_dual_sub_f32 v17, v17, v102 :: v_dual_sub_f32 v14, v14, v103
	v_add_f32_e32 v15, v15, v17
	s_waitcnt_depctr 0xfff
	v_dual_add_f32 v9, v9, v14 :: v_dual_mul_f32 v104, v103, v13
	s_delay_alu instid0(VALU_DEP_1) | instskip(NEXT) | instid1(VALU_DEP_1)
	v_mul_f32_e32 v105, v102, v104
	v_fma_f32 v17, v104, v102, -v105
	s_delay_alu instid0(VALU_DEP_1) | instskip(NEXT) | instid1(VALU_DEP_1)
	v_fmac_f32_e32 v17, v104, v15
	v_add_f32_e32 v106, v105, v17
	s_delay_alu instid0(VALU_DEP_1) | instskip(NEXT) | instid1(VALU_DEP_1)
	v_sub_f32_e32 v107, v103, v106
	v_dual_sub_f32 v103, v103, v107 :: v_dual_sub_f32 v14, v106, v105
	s_delay_alu instid0(VALU_DEP_1) | instskip(NEXT) | instid1(VALU_DEP_1)
	v_dual_sub_f32 v103, v103, v106 :: v_dual_sub_f32 v14, v14, v17
	v_add_f32_e32 v9, v9, v103
	s_delay_alu instid0(VALU_DEP_1) | instskip(NEXT) | instid1(VALU_DEP_1)
	v_add_f32_e32 v9, v14, v9
	v_add_f32_e32 v14, v107, v9
	s_delay_alu instid0(VALU_DEP_1) | instskip(NEXT) | instid1(VALU_DEP_1)
	v_mul_f32_e32 v17, v13, v14
	v_dual_sub_f32 v106, v107, v14 :: v_dual_mul_f32 v103, v102, v17
	s_delay_alu instid0(VALU_DEP_1) | instskip(NEXT) | instid1(VALU_DEP_2)
	v_add_f32_e32 v9, v9, v106
	v_fma_f32 v102, v17, v102, -v103
	s_delay_alu instid0(VALU_DEP_1) | instskip(NEXT) | instid1(VALU_DEP_1)
	v_fmac_f32_e32 v102, v17, v15
	v_add_f32_e32 v15, v103, v102
	s_delay_alu instid0(VALU_DEP_1) | instskip(NEXT) | instid1(VALU_DEP_1)
	v_sub_f32_e32 v105, v14, v15
	v_dual_sub_f32 v103, v15, v103 :: v_dual_sub_f32 v14, v14, v105
	s_delay_alu instid0(VALU_DEP_1) | instskip(NEXT) | instid1(VALU_DEP_1)
	v_dual_sub_f32 v14, v14, v15 :: v_dual_sub_f32 v15, v103, v102
	v_dual_add_f32 v9, v9, v14 :: v_dual_add_f32 v14, v104, v17
	s_delay_alu instid0(VALU_DEP_1) | instskip(NEXT) | instid1(VALU_DEP_2)
	v_add_f32_e32 v9, v15, v9
	v_sub_f32_e32 v15, v14, v104
	s_delay_alu instid0(VALU_DEP_2) | instskip(NEXT) | instid1(VALU_DEP_2)
	v_add_f32_e32 v9, v105, v9
	v_sub_f32_e32 v15, v17, v15
	s_delay_alu instid0(VALU_DEP_2) | instskip(NEXT) | instid1(VALU_DEP_1)
	v_mul_f32_e32 v9, v13, v9
	v_add_f32_e32 v9, v15, v9
	s_delay_alu instid0(VALU_DEP_1) | instskip(NEXT) | instid1(VALU_DEP_1)
	v_add_f32_e32 v13, v14, v9
	v_mul_f32_e32 v15, v13, v13
	s_delay_alu instid0(VALU_DEP_1) | instskip(NEXT) | instid1(VALU_DEP_1)
	v_fmaak_f32 v17, s84, v15, 0x3ecc95a3
	v_dual_mul_f32 v102, v13, v15 :: v_dual_fmaak_f32 v15, v15, v17, 0x3f2aaada
	v_ldexp_f32 v17, v13, 1
	v_sub_f32_e32 v13, v13, v14
	s_delay_alu instid0(VALU_DEP_3) | instskip(NEXT) | instid1(VALU_DEP_2)
	v_dual_mul_f32 v15, v102, v15 :: v_dual_mul_f32 v102, 0x3f317218, v8
	v_sub_f32_e32 v9, v9, v13
	s_delay_alu instid0(VALU_DEP_2) | instskip(NEXT) | instid1(VALU_DEP_2)
	v_add_f32_e32 v14, v17, v15
	v_ldexp_f32 v9, v9, 1
	s_delay_alu instid0(VALU_DEP_2) | instskip(SKIP_1) | instid1(VALU_DEP_2)
	v_sub_f32_e32 v13, v14, v17
	v_fma_f32 v17, 0x3f317218, v8, -v102
	v_sub_f32_e32 v13, v15, v13
	s_delay_alu instid0(VALU_DEP_1) | instskip(NEXT) | instid1(VALU_DEP_1)
	v_dual_fmac_f32 v17, 0xb102e308, v8 :: v_dual_add_f32 v8, v9, v13
	v_add_f32_e32 v9, v102, v17
	s_delay_alu instid0(VALU_DEP_1) | instskip(NEXT) | instid1(VALU_DEP_1)
	v_dual_add_f32 v13, v14, v8 :: v_dual_sub_f32 v102, v9, v102
	v_add_f32_e32 v15, v9, v13
	v_sub_f32_e32 v14, v13, v14
	s_delay_alu instid0(VALU_DEP_3) | instskip(NEXT) | instid1(VALU_DEP_2)
	v_sub_f32_e32 v17, v17, v102
	v_dual_sub_f32 v103, v15, v9 :: v_dual_sub_f32 v8, v8, v14
	s_delay_alu instid0(VALU_DEP_1) | instskip(SKIP_1) | instid1(VALU_DEP_3)
	v_sub_f32_e32 v104, v15, v103
	v_sub_f32_e32 v13, v13, v103
	v_add_f32_e32 v14, v17, v8
	s_delay_alu instid0(VALU_DEP_3) | instskip(NEXT) | instid1(VALU_DEP_1)
	v_sub_f32_e32 v9, v9, v104
	v_add_f32_e32 v9, v13, v9
	s_delay_alu instid0(VALU_DEP_3) | instskip(NEXT) | instid1(VALU_DEP_2)
	v_sub_f32_e32 v13, v14, v17
	v_add_f32_e32 v9, v14, v9
	s_delay_alu instid0(VALU_DEP_2) | instskip(SKIP_1) | instid1(VALU_DEP_3)
	v_sub_f32_e32 v14, v14, v13
	v_sub_f32_e32 v8, v8, v13
	v_add_f32_e32 v102, v15, v9
	s_delay_alu instid0(VALU_DEP_1) | instskip(NEXT) | instid1(VALU_DEP_1)
	v_dual_sub_f32 v14, v17, v14 :: v_dual_sub_f32 v13, v102, v15
	v_dual_add_f32 v8, v8, v14 :: v_dual_sub_f32 v9, v9, v13
	s_delay_alu instid0(VALU_DEP_1) | instskip(NEXT) | instid1(VALU_DEP_1)
	v_add_f32_e32 v8, v8, v9
	v_add_f32_e32 v8, v102, v8
	s_delay_alu instid0(VALU_DEP_1)
	v_cndmask_b32_e32 v102, v8, v12, vcc_lo
.LBB122_100:                            ;   in Loop: Header=BB122_12 Depth=1
	s_or_b32 exec_lo, exec_lo, s30
	v_lshrrev_b32_e32 v8, 16, v10
	s_delay_alu instid0(VALU_DEP_1) | instskip(NEXT) | instid1(VALU_DEP_1)
	v_cvt_f32_f16_e32 v8, v8
	v_add_f32_e32 v103, s67, v8
	s_delay_alu instid0(VALU_DEP_1) | instskip(SKIP_1) | instid1(SALU_CYCLE_1)
	v_cmp_ge_f32_e32 vcc_lo, 0x41a00000, v103
	s_and_b32 s29, s80, vcc_lo
	s_and_saveexec_b32 s30, s29
	s_cbranch_execz .LBB122_102
; %bb.101:                              ;   in Loop: Header=BB122_12 Depth=1
	v_mul_f32_e32 v8, 0x3fb8aa3b, v103
	v_cmp_ngt_f32_e32 vcc_lo, 0xc2ce8ed0, v103
	s_delay_alu instid0(VALU_DEP_2) | instskip(SKIP_1) | instid1(VALU_DEP_2)
	v_rndne_f32_e32 v9, v8
	v_fma_f32 v10, 0x3fb8aa3b, v103, -v8
	v_sub_f32_e32 v8, v8, v9
	s_delay_alu instid0(VALU_DEP_2) | instskip(SKIP_1) | instid1(VALU_DEP_2)
	v_fmac_f32_e32 v10, 0x32a5705f, v103
	v_cvt_i32_f32_e32 v9, v9
	v_add_f32_e32 v8, v8, v10
	s_delay_alu instid0(VALU_DEP_1) | instskip(SKIP_2) | instid1(VALU_DEP_1)
	v_exp_f32_e32 v8, v8
	s_waitcnt_depctr 0xfff
	v_ldexp_f32 v8, v8, v9
	v_cndmask_b32_e32 v8, 0, v8, vcc_lo
	v_cmp_nlt_f32_e32 vcc_lo, 0x42b17218, v103
	s_delay_alu instid0(VALU_DEP_2) | instskip(NEXT) | instid1(VALU_DEP_1)
	v_cndmask_b32_e32 v10, 0x7f800000, v8, vcc_lo
	v_add_f32_e32 v12, 1.0, v10
	s_delay_alu instid0(VALU_DEP_1) | instskip(NEXT) | instid1(VALU_DEP_1)
	v_cvt_f64_f32_e32 v[8:9], v12
	v_frexp_exp_i32_f64_e32 v8, v[8:9]
	v_frexp_mant_f32_e32 v9, v12
	s_delay_alu instid0(VALU_DEP_1) | instskip(SKIP_1) | instid1(VALU_DEP_1)
	v_cmp_gt_f32_e32 vcc_lo, 0x3f2aaaab, v9
	v_add_f32_e32 v9, -1.0, v12
	v_dual_sub_f32 v14, v9, v12 :: v_dual_sub_f32 v9, v10, v9
	v_subrev_co_ci_u32_e32 v8, vcc_lo, 0, v8, vcc_lo
	s_delay_alu instid0(VALU_DEP_1) | instskip(SKIP_1) | instid1(VALU_DEP_2)
	v_sub_nc_u32_e32 v13, 0, v8
	v_cvt_f32_i32_e32 v8, v8
	v_ldexp_f32 v12, v12, v13
	s_delay_alu instid0(VALU_DEP_1) | instskip(NEXT) | instid1(VALU_DEP_1)
	v_dual_add_f32 v14, 1.0, v14 :: v_dual_add_f32 v15, 1.0, v12
	v_add_f32_e32 v9, v9, v14
	s_delay_alu instid0(VALU_DEP_1) | instskip(NEXT) | instid1(VALU_DEP_3)
	v_ldexp_f32 v9, v9, v13
	v_dual_add_f32 v13, -1.0, v12 :: v_dual_add_f32 v14, -1.0, v15
	s_delay_alu instid0(VALU_DEP_1) | instskip(NEXT) | instid1(VALU_DEP_1)
	v_dual_add_f32 v17, 1.0, v13 :: v_dual_sub_f32 v14, v12, v14
	v_sub_f32_e32 v12, v12, v17
	s_delay_alu instid0(VALU_DEP_2) | instskip(NEXT) | instid1(VALU_DEP_2)
	v_add_f32_e32 v14, v9, v14
	v_add_f32_e32 v9, v9, v12
	s_delay_alu instid0(VALU_DEP_2) | instskip(SKIP_2) | instid1(VALU_DEP_4)
	v_add_f32_e32 v17, v15, v14
	v_cmp_eq_f32_e32 vcc_lo, 0x7f800000, v10
	v_cmp_gt_f32_e64 s29, 0x33800000, v10
	v_add_f32_e32 v103, v13, v9
	s_delay_alu instid0(VALU_DEP_4) | instskip(SKIP_1) | instid1(VALU_DEP_3)
	v_rcp_f32_e32 v12, v17
	v_sub_f32_e32 v15, v15, v17
	s_or_b32 vcc_lo, s29, vcc_lo
	s_delay_alu instid0(VALU_DEP_2) | instskip(NEXT) | instid1(VALU_DEP_1)
	v_sub_f32_e32 v13, v13, v103
	v_dual_add_f32 v14, v14, v15 :: v_dual_add_f32 v9, v9, v13
	s_waitcnt_depctr 0xfff
	v_mul_f32_e32 v104, v103, v12
	s_delay_alu instid0(VALU_DEP_1) | instskip(NEXT) | instid1(VALU_DEP_1)
	v_mul_f32_e32 v105, v17, v104
	v_fma_f32 v15, v104, v17, -v105
	s_delay_alu instid0(VALU_DEP_1) | instskip(NEXT) | instid1(VALU_DEP_1)
	v_fmac_f32_e32 v15, v104, v14
	v_add_f32_e32 v106, v105, v15
	s_delay_alu instid0(VALU_DEP_1) | instskip(SKIP_1) | instid1(VALU_DEP_2)
	v_sub_f32_e32 v107, v103, v106
	v_sub_f32_e32 v13, v106, v105
	;; [unrolled: 1-line block ×3, first 2 shown]
	s_delay_alu instid0(VALU_DEP_2) | instskip(NEXT) | instid1(VALU_DEP_2)
	v_sub_f32_e32 v13, v13, v15
	v_sub_f32_e32 v103, v103, v106
	s_delay_alu instid0(VALU_DEP_1) | instskip(NEXT) | instid1(VALU_DEP_1)
	v_add_f32_e32 v9, v9, v103
	v_add_f32_e32 v9, v13, v9
	s_delay_alu instid0(VALU_DEP_1) | instskip(NEXT) | instid1(VALU_DEP_1)
	v_add_f32_e32 v13, v107, v9
	v_mul_f32_e32 v15, v12, v13
	s_delay_alu instid0(VALU_DEP_1) | instskip(NEXT) | instid1(VALU_DEP_1)
	v_dual_sub_f32 v106, v107, v13 :: v_dual_mul_f32 v103, v17, v15
	v_add_f32_e32 v9, v9, v106
	s_delay_alu instid0(VALU_DEP_2) | instskip(NEXT) | instid1(VALU_DEP_1)
	v_fma_f32 v17, v15, v17, -v103
	v_fmac_f32_e32 v17, v15, v14
	s_delay_alu instid0(VALU_DEP_1) | instskip(NEXT) | instid1(VALU_DEP_1)
	v_add_f32_e32 v14, v103, v17
	v_sub_f32_e32 v105, v13, v14
	v_sub_f32_e32 v103, v14, v103
	s_delay_alu instid0(VALU_DEP_2) | instskip(NEXT) | instid1(VALU_DEP_1)
	v_sub_f32_e32 v13, v13, v105
	v_dual_sub_f32 v13, v13, v14 :: v_dual_sub_f32 v14, v103, v17
	s_delay_alu instid0(VALU_DEP_1) | instskip(SKIP_1) | instid1(VALU_DEP_1)
	v_add_f32_e32 v9, v9, v13
	v_add_f32_e32 v13, v104, v15
	v_dual_add_f32 v9, v14, v9 :: v_dual_sub_f32 v14, v13, v104
	s_delay_alu instid0(VALU_DEP_1) | instskip(NEXT) | instid1(VALU_DEP_1)
	v_dual_add_f32 v9, v105, v9 :: v_dual_sub_f32 v14, v15, v14
	v_mul_f32_e32 v9, v12, v9
	s_delay_alu instid0(VALU_DEP_1) | instskip(NEXT) | instid1(VALU_DEP_1)
	v_add_f32_e32 v9, v14, v9
	v_add_f32_e32 v12, v13, v9
	s_delay_alu instid0(VALU_DEP_1) | instskip(NEXT) | instid1(VALU_DEP_1)
	v_mul_f32_e32 v14, v12, v12
	v_fmaak_f32 v15, s84, v14, 0x3ecc95a3
	s_delay_alu instid0(VALU_DEP_1) | instskip(SKIP_2) | instid1(VALU_DEP_3)
	v_dual_mul_f32 v17, v12, v14 :: v_dual_fmaak_f32 v14, v14, v15, 0x3f2aaada
	v_ldexp_f32 v15, v12, 1
	v_sub_f32_e32 v12, v12, v13
	v_dual_mul_f32 v14, v17, v14 :: v_dual_mul_f32 v17, 0x3f317218, v8
	s_delay_alu instid0(VALU_DEP_2) | instskip(NEXT) | instid1(VALU_DEP_2)
	v_sub_f32_e32 v9, v9, v12
	v_add_f32_e32 v13, v15, v14
	s_delay_alu instid0(VALU_DEP_2) | instskip(NEXT) | instid1(VALU_DEP_2)
	v_ldexp_f32 v9, v9, 1
	v_sub_f32_e32 v12, v13, v15
	v_fma_f32 v15, 0x3f317218, v8, -v17
	s_delay_alu instid0(VALU_DEP_2) | instskip(NEXT) | instid1(VALU_DEP_2)
	v_sub_f32_e32 v12, v14, v12
	v_fmac_f32_e32 v15, 0xb102e308, v8
	s_delay_alu instid0(VALU_DEP_2) | instskip(NEXT) | instid1(VALU_DEP_2)
	v_add_f32_e32 v8, v9, v12
	v_add_f32_e32 v9, v17, v15
	s_delay_alu instid0(VALU_DEP_2) | instskip(NEXT) | instid1(VALU_DEP_2)
	v_add_f32_e32 v12, v13, v8
	v_sub_f32_e32 v17, v9, v17
	s_delay_alu instid0(VALU_DEP_2) | instskip(NEXT) | instid1(VALU_DEP_2)
	v_dual_add_f32 v14, v9, v12 :: v_dual_sub_f32 v13, v12, v13
	v_sub_f32_e32 v15, v15, v17
	s_delay_alu instid0(VALU_DEP_2) | instskip(NEXT) | instid1(VALU_DEP_3)
	v_sub_f32_e32 v103, v14, v9
	v_sub_f32_e32 v8, v8, v13
	s_delay_alu instid0(VALU_DEP_2) | instskip(NEXT) | instid1(VALU_DEP_2)
	v_sub_f32_e32 v104, v14, v103
	v_dual_sub_f32 v12, v12, v103 :: v_dual_add_f32 v13, v15, v8
	s_delay_alu instid0(VALU_DEP_2) | instskip(NEXT) | instid1(VALU_DEP_1)
	v_sub_f32_e32 v9, v9, v104
	v_dual_add_f32 v9, v12, v9 :: v_dual_sub_f32 v12, v13, v15
	s_delay_alu instid0(VALU_DEP_1) | instskip(NEXT) | instid1(VALU_DEP_2)
	v_add_f32_e32 v9, v13, v9
	v_sub_f32_e32 v13, v13, v12
	s_delay_alu instid0(VALU_DEP_2) | instskip(NEXT) | instid1(VALU_DEP_1)
	v_dual_sub_f32 v8, v8, v12 :: v_dual_add_f32 v17, v14, v9
	v_dual_sub_f32 v13, v15, v13 :: v_dual_sub_f32 v12, v17, v14
	s_delay_alu instid0(VALU_DEP_1) | instskip(NEXT) | instid1(VALU_DEP_1)
	v_dual_add_f32 v8, v8, v13 :: v_dual_sub_f32 v9, v9, v12
	v_add_f32_e32 v8, v8, v9
	s_delay_alu instid0(VALU_DEP_1) | instskip(NEXT) | instid1(VALU_DEP_1)
	v_add_f32_e32 v8, v17, v8
	v_cndmask_b32_e32 v103, v8, v10, vcc_lo
.LBB122_102:                            ;   in Loop: Header=BB122_12 Depth=1
	s_or_b32 exec_lo, exec_lo, s30
	v_cvt_f32_f16_e32 v8, v11
	s_delay_alu instid0(VALU_DEP_1) | instskip(NEXT) | instid1(VALU_DEP_1)
	v_add_f32_e32 v104, s67, v8
	v_cmp_ge_f32_e32 vcc_lo, 0x41a00000, v104
	s_and_b32 s29, s80, vcc_lo
	s_delay_alu instid0(SALU_CYCLE_1)
	s_and_saveexec_b32 s30, s29
	s_cbranch_execz .LBB122_104
; %bb.103:                              ;   in Loop: Header=BB122_12 Depth=1
	v_mul_f32_e32 v8, 0x3fb8aa3b, v104
	v_cmp_ngt_f32_e32 vcc_lo, 0xc2ce8ed0, v104
	s_delay_alu instid0(VALU_DEP_2) | instskip(SKIP_1) | instid1(VALU_DEP_2)
	v_rndne_f32_e32 v9, v8
	v_fma_f32 v10, 0x3fb8aa3b, v104, -v8
	v_sub_f32_e32 v8, v8, v9
	s_delay_alu instid0(VALU_DEP_2) | instskip(SKIP_1) | instid1(VALU_DEP_2)
	v_fmac_f32_e32 v10, 0x32a5705f, v104
	v_cvt_i32_f32_e32 v9, v9
	v_add_f32_e32 v8, v8, v10
	s_delay_alu instid0(VALU_DEP_1) | instskip(SKIP_2) | instid1(VALU_DEP_1)
	v_exp_f32_e32 v8, v8
	s_waitcnt_depctr 0xfff
	v_ldexp_f32 v8, v8, v9
	v_cndmask_b32_e32 v8, 0, v8, vcc_lo
	v_cmp_nlt_f32_e32 vcc_lo, 0x42b17218, v104
	s_delay_alu instid0(VALU_DEP_2) | instskip(NEXT) | instid1(VALU_DEP_1)
	v_cndmask_b32_e32 v10, 0x7f800000, v8, vcc_lo
	v_add_f32_e32 v12, 1.0, v10
	s_delay_alu instid0(VALU_DEP_1) | instskip(NEXT) | instid1(VALU_DEP_1)
	v_cvt_f64_f32_e32 v[8:9], v12
	v_frexp_exp_i32_f64_e32 v8, v[8:9]
	v_frexp_mant_f32_e32 v9, v12
	s_delay_alu instid0(VALU_DEP_1) | instskip(SKIP_1) | instid1(VALU_DEP_1)
	v_cmp_gt_f32_e32 vcc_lo, 0x3f2aaaab, v9
	v_add_f32_e32 v9, -1.0, v12
	v_dual_sub_f32 v14, v9, v12 :: v_dual_sub_f32 v9, v10, v9
	v_subrev_co_ci_u32_e32 v8, vcc_lo, 0, v8, vcc_lo
	s_delay_alu instid0(VALU_DEP_1) | instskip(SKIP_1) | instid1(VALU_DEP_2)
	v_sub_nc_u32_e32 v13, 0, v8
	v_cvt_f32_i32_e32 v8, v8
	v_ldexp_f32 v12, v12, v13
	s_delay_alu instid0(VALU_DEP_1) | instskip(NEXT) | instid1(VALU_DEP_1)
	v_dual_add_f32 v14, 1.0, v14 :: v_dual_add_f32 v15, 1.0, v12
	v_add_f32_e32 v9, v9, v14
	s_delay_alu instid0(VALU_DEP_1) | instskip(NEXT) | instid1(VALU_DEP_3)
	v_ldexp_f32 v9, v9, v13
	v_dual_add_f32 v13, -1.0, v12 :: v_dual_add_f32 v14, -1.0, v15
	s_delay_alu instid0(VALU_DEP_1) | instskip(NEXT) | instid1(VALU_DEP_1)
	v_dual_add_f32 v17, 1.0, v13 :: v_dual_sub_f32 v14, v12, v14
	v_sub_f32_e32 v12, v12, v17
	s_delay_alu instid0(VALU_DEP_2) | instskip(NEXT) | instid1(VALU_DEP_2)
	v_add_f32_e32 v14, v9, v14
	v_add_f32_e32 v9, v9, v12
	s_delay_alu instid0(VALU_DEP_2) | instskip(SKIP_2) | instid1(VALU_DEP_4)
	v_add_f32_e32 v17, v15, v14
	v_cmp_eq_f32_e32 vcc_lo, 0x7f800000, v10
	v_cmp_gt_f32_e64 s29, 0x33800000, v10
	v_add_f32_e32 v104, v13, v9
	s_delay_alu instid0(VALU_DEP_4) | instskip(SKIP_1) | instid1(VALU_DEP_3)
	v_rcp_f32_e32 v12, v17
	v_sub_f32_e32 v15, v15, v17
	s_or_b32 vcc_lo, s29, vcc_lo
	s_delay_alu instid0(VALU_DEP_2) | instskip(NEXT) | instid1(VALU_DEP_1)
	v_sub_f32_e32 v13, v13, v104
	v_add_f32_e32 v9, v9, v13
	s_waitcnt_depctr 0xfff
	v_dual_mul_f32 v105, v104, v12 :: v_dual_add_f32 v14, v14, v15
	s_delay_alu instid0(VALU_DEP_1) | instskip(NEXT) | instid1(VALU_DEP_1)
	v_mul_f32_e32 v106, v17, v105
	v_fma_f32 v15, v105, v17, -v106
	s_delay_alu instid0(VALU_DEP_1) | instskip(NEXT) | instid1(VALU_DEP_1)
	v_fmac_f32_e32 v15, v105, v14
	v_add_f32_e32 v107, v106, v15
	s_delay_alu instid0(VALU_DEP_1) | instskip(NEXT) | instid1(VALU_DEP_1)
	v_dual_sub_f32 v13, v107, v106 :: v_dual_sub_f32 v108, v104, v107
	v_dual_sub_f32 v13, v13, v15 :: v_dual_sub_f32 v104, v104, v108
	s_delay_alu instid0(VALU_DEP_1) | instskip(NEXT) | instid1(VALU_DEP_1)
	v_sub_f32_e32 v104, v104, v107
	v_add_f32_e32 v9, v9, v104
	s_delay_alu instid0(VALU_DEP_1) | instskip(NEXT) | instid1(VALU_DEP_1)
	v_add_f32_e32 v9, v13, v9
	v_add_f32_e32 v13, v108, v9
	s_delay_alu instid0(VALU_DEP_1) | instskip(NEXT) | instid1(VALU_DEP_1)
	v_mul_f32_e32 v15, v12, v13
	v_mul_f32_e32 v104, v17, v15
	s_delay_alu instid0(VALU_DEP_1) | instskip(NEXT) | instid1(VALU_DEP_1)
	v_fma_f32 v17, v15, v17, -v104
	v_fmac_f32_e32 v17, v15, v14
	s_delay_alu instid0(VALU_DEP_1) | instskip(NEXT) | instid1(VALU_DEP_1)
	v_add_f32_e32 v14, v104, v17
	v_dual_sub_f32 v107, v108, v13 :: v_dual_sub_f32 v106, v13, v14
	s_delay_alu instid0(VALU_DEP_1) | instskip(NEXT) | instid1(VALU_DEP_2)
	v_dual_sub_f32 v13, v13, v106 :: v_dual_sub_f32 v104, v14, v104
	v_add_f32_e32 v9, v9, v107
	s_delay_alu instid0(VALU_DEP_2) | instskip(NEXT) | instid1(VALU_DEP_1)
	v_dual_sub_f32 v13, v13, v14 :: v_dual_sub_f32 v14, v104, v17
	v_add_f32_e32 v9, v9, v13
	v_add_f32_e32 v13, v105, v15
	s_delay_alu instid0(VALU_DEP_2) | instskip(NEXT) | instid1(VALU_DEP_2)
	v_add_f32_e32 v9, v14, v9
	v_sub_f32_e32 v14, v13, v105
	s_delay_alu instid0(VALU_DEP_1) | instskip(NEXT) | instid1(VALU_DEP_1)
	v_dual_add_f32 v9, v106, v9 :: v_dual_sub_f32 v14, v15, v14
	v_mul_f32_e32 v9, v12, v9
	s_delay_alu instid0(VALU_DEP_1) | instskip(NEXT) | instid1(VALU_DEP_1)
	v_add_f32_e32 v9, v14, v9
	v_add_f32_e32 v12, v13, v9
	s_delay_alu instid0(VALU_DEP_1) | instskip(NEXT) | instid1(VALU_DEP_1)
	v_mul_f32_e32 v14, v12, v12
	v_fmaak_f32 v15, s84, v14, 0x3ecc95a3
	s_delay_alu instid0(VALU_DEP_1) | instskip(SKIP_1) | instid1(VALU_DEP_2)
	v_dual_mul_f32 v17, v12, v14 :: v_dual_fmaak_f32 v14, v14, v15, 0x3f2aaada
	v_ldexp_f32 v15, v12, 1
	v_mul_f32_e32 v14, v17, v14
	v_dual_sub_f32 v12, v12, v13 :: v_dual_mul_f32 v17, 0x3f317218, v8
	s_delay_alu instid0(VALU_DEP_2) | instskip(NEXT) | instid1(VALU_DEP_2)
	v_add_f32_e32 v13, v15, v14
	v_sub_f32_e32 v9, v9, v12
	s_delay_alu instid0(VALU_DEP_2) | instskip(NEXT) | instid1(VALU_DEP_4)
	v_sub_f32_e32 v12, v13, v15
	v_fma_f32 v15, 0x3f317218, v8, -v17
	s_delay_alu instid0(VALU_DEP_3) | instskip(NEXT) | instid1(VALU_DEP_3)
	v_ldexp_f32 v9, v9, 1
	v_sub_f32_e32 v12, v14, v12
	s_delay_alu instid0(VALU_DEP_3) | instskip(NEXT) | instid1(VALU_DEP_2)
	v_fmac_f32_e32 v15, 0xb102e308, v8
	v_add_f32_e32 v8, v9, v12
	s_delay_alu instid0(VALU_DEP_1) | instskip(NEXT) | instid1(VALU_DEP_3)
	v_add_f32_e32 v12, v13, v8
	v_add_f32_e32 v9, v17, v15
	s_delay_alu instid0(VALU_DEP_1) | instskip(NEXT) | instid1(VALU_DEP_1)
	v_dual_sub_f32 v13, v12, v13 :: v_dual_add_f32 v14, v9, v12
	v_sub_f32_e32 v8, v8, v13
	s_delay_alu instid0(VALU_DEP_2) | instskip(NEXT) | instid1(VALU_DEP_1)
	v_sub_f32_e32 v104, v14, v9
	v_dual_sub_f32 v12, v12, v104 :: v_dual_sub_f32 v17, v9, v17
	s_delay_alu instid0(VALU_DEP_1) | instskip(NEXT) | instid1(VALU_DEP_1)
	v_sub_f32_e32 v15, v15, v17
	v_add_f32_e32 v13, v15, v8
	v_sub_f32_e32 v105, v14, v104
	s_delay_alu instid0(VALU_DEP_1) | instskip(NEXT) | instid1(VALU_DEP_1)
	v_sub_f32_e32 v9, v9, v105
	v_dual_add_f32 v9, v12, v9 :: v_dual_sub_f32 v12, v13, v15
	s_delay_alu instid0(VALU_DEP_1) | instskip(NEXT) | instid1(VALU_DEP_2)
	v_add_f32_e32 v9, v13, v9
	v_sub_f32_e32 v13, v13, v12
	s_delay_alu instid0(VALU_DEP_2) | instskip(NEXT) | instid1(VALU_DEP_1)
	v_dual_sub_f32 v8, v8, v12 :: v_dual_add_f32 v17, v14, v9
	v_dual_sub_f32 v12, v17, v14 :: v_dual_sub_f32 v13, v15, v13
	s_delay_alu instid0(VALU_DEP_1) | instskip(NEXT) | instid1(VALU_DEP_1)
	v_dual_sub_f32 v9, v9, v12 :: v_dual_add_f32 v8, v8, v13
	v_add_f32_e32 v8, v8, v9
	s_delay_alu instid0(VALU_DEP_1) | instskip(NEXT) | instid1(VALU_DEP_1)
	v_add_f32_e32 v8, v17, v8
	v_cndmask_b32_e32 v104, v8, v10, vcc_lo
.LBB122_104:                            ;   in Loop: Header=BB122_12 Depth=1
	s_or_b32 exec_lo, exec_lo, s30
	v_lshrrev_b32_e32 v8, 16, v11
	s_delay_alu instid0(VALU_DEP_1) | instskip(NEXT) | instid1(VALU_DEP_1)
	v_cvt_f32_f16_e32 v8, v8
	v_add_f32_e32 v111, s67, v8
	s_delay_alu instid0(VALU_DEP_1) | instskip(SKIP_1) | instid1(SALU_CYCLE_1)
	v_cmp_ge_f32_e32 vcc_lo, 0x41a00000, v111
	s_and_b32 s29, s80, vcc_lo
	s_and_saveexec_b32 s30, s29
	s_cbranch_execz .LBB122_106
; %bb.105:                              ;   in Loop: Header=BB122_12 Depth=1
	v_mul_f32_e32 v8, 0x3fb8aa3b, v111
	v_cmp_ngt_f32_e32 vcc_lo, 0xc2ce8ed0, v111
	s_delay_alu instid0(VALU_DEP_2) | instskip(SKIP_1) | instid1(VALU_DEP_2)
	v_rndne_f32_e32 v9, v8
	v_fma_f32 v10, 0x3fb8aa3b, v111, -v8
	v_sub_f32_e32 v8, v8, v9
	s_delay_alu instid0(VALU_DEP_2) | instskip(SKIP_1) | instid1(VALU_DEP_2)
	v_fmac_f32_e32 v10, 0x32a5705f, v111
	v_cvt_i32_f32_e32 v9, v9
	v_add_f32_e32 v8, v8, v10
	s_delay_alu instid0(VALU_DEP_1) | instskip(SKIP_2) | instid1(VALU_DEP_1)
	v_exp_f32_e32 v8, v8
	s_waitcnt_depctr 0xfff
	v_ldexp_f32 v8, v8, v9
	v_cndmask_b32_e32 v8, 0, v8, vcc_lo
	v_cmp_nlt_f32_e32 vcc_lo, 0x42b17218, v111
	s_delay_alu instid0(VALU_DEP_2) | instskip(NEXT) | instid1(VALU_DEP_1)
	v_cndmask_b32_e32 v10, 0x7f800000, v8, vcc_lo
	v_add_f32_e32 v11, 1.0, v10
	s_delay_alu instid0(VALU_DEP_1) | instskip(NEXT) | instid1(VALU_DEP_1)
	v_cvt_f64_f32_e32 v[8:9], v11
	v_frexp_exp_i32_f64_e32 v8, v[8:9]
	v_frexp_mant_f32_e32 v9, v11
	s_delay_alu instid0(VALU_DEP_1) | instskip(SKIP_1) | instid1(VALU_DEP_1)
	v_cmp_gt_f32_e32 vcc_lo, 0x3f2aaaab, v9
	v_add_f32_e32 v9, -1.0, v11
	v_sub_f32_e32 v13, v9, v11
	v_sub_f32_e32 v9, v10, v9
	s_delay_alu instid0(VALU_DEP_2) | instskip(NEXT) | instid1(VALU_DEP_1)
	v_add_f32_e32 v13, 1.0, v13
	v_add_f32_e32 v9, v9, v13
	v_cmp_gt_f32_e64 s29, 0x33800000, v10
	v_subrev_co_ci_u32_e32 v8, vcc_lo, 0, v8, vcc_lo
	v_cmp_eq_f32_e32 vcc_lo, 0x7f800000, v10
	s_delay_alu instid0(VALU_DEP_2) | instskip(SKIP_2) | instid1(VALU_DEP_2)
	v_sub_nc_u32_e32 v12, 0, v8
	v_cvt_f32_i32_e32 v8, v8
	s_or_b32 vcc_lo, s29, vcc_lo
	v_ldexp_f32 v11, v11, v12
	v_ldexp_f32 v9, v9, v12
	s_delay_alu instid0(VALU_DEP_2) | instskip(NEXT) | instid1(VALU_DEP_1)
	v_add_f32_e32 v14, 1.0, v11
	v_dual_add_f32 v12, -1.0, v11 :: v_dual_add_f32 v13, -1.0, v14
	s_delay_alu instid0(VALU_DEP_1) | instskip(NEXT) | instid1(VALU_DEP_2)
	v_add_f32_e32 v15, 1.0, v12
	v_sub_f32_e32 v13, v11, v13
	s_delay_alu instid0(VALU_DEP_2) | instskip(NEXT) | instid1(VALU_DEP_2)
	v_sub_f32_e32 v11, v11, v15
	v_add_f32_e32 v13, v9, v13
	s_delay_alu instid0(VALU_DEP_2) | instskip(NEXT) | instid1(VALU_DEP_1)
	v_add_f32_e32 v9, v9, v11
	v_add_f32_e32 v17, v12, v9
	s_delay_alu instid0(VALU_DEP_3) | instskip(NEXT) | instid1(VALU_DEP_2)
	v_add_f32_e32 v15, v14, v13
	v_sub_f32_e32 v12, v12, v17
	s_delay_alu instid0(VALU_DEP_2) | instskip(SKIP_1) | instid1(VALU_DEP_1)
	v_rcp_f32_e32 v11, v15
	v_sub_f32_e32 v14, v14, v15
	v_add_f32_e32 v13, v13, v14
	s_waitcnt_depctr 0xfff
	v_mul_f32_e32 v105, v17, v11
	s_delay_alu instid0(VALU_DEP_1) | instskip(NEXT) | instid1(VALU_DEP_1)
	v_dual_mul_f32 v106, v15, v105 :: v_dual_add_f32 v9, v9, v12
	v_fma_f32 v14, v105, v15, -v106
	s_delay_alu instid0(VALU_DEP_1) | instskip(NEXT) | instid1(VALU_DEP_1)
	v_fmac_f32_e32 v14, v105, v13
	v_add_f32_e32 v107, v106, v14
	s_delay_alu instid0(VALU_DEP_1) | instskip(SKIP_1) | instid1(VALU_DEP_1)
	v_sub_f32_e32 v12, v107, v106
	v_sub_f32_e32 v108, v17, v107
	v_dual_sub_f32 v12, v12, v14 :: v_dual_sub_f32 v17, v17, v108
	s_delay_alu instid0(VALU_DEP_1) | instskip(NEXT) | instid1(VALU_DEP_1)
	v_sub_f32_e32 v17, v17, v107
	v_add_f32_e32 v9, v9, v17
	s_delay_alu instid0(VALU_DEP_1) | instskip(NEXT) | instid1(VALU_DEP_1)
	v_add_f32_e32 v9, v12, v9
	v_add_f32_e32 v12, v108, v9
	s_delay_alu instid0(VALU_DEP_1) | instskip(SKIP_1) | instid1(VALU_DEP_2)
	v_mul_f32_e32 v14, v11, v12
	v_sub_f32_e32 v107, v108, v12
	v_mul_f32_e32 v17, v15, v14
	s_delay_alu instid0(VALU_DEP_2) | instskip(NEXT) | instid1(VALU_DEP_2)
	v_add_f32_e32 v9, v9, v107
	v_fma_f32 v15, v14, v15, -v17
	s_delay_alu instid0(VALU_DEP_1) | instskip(NEXT) | instid1(VALU_DEP_1)
	v_fmac_f32_e32 v15, v14, v13
	v_add_f32_e32 v13, v17, v15
	s_delay_alu instid0(VALU_DEP_1) | instskip(NEXT) | instid1(VALU_DEP_1)
	v_sub_f32_e32 v106, v12, v13
	v_dual_sub_f32 v17, v13, v17 :: v_dual_sub_f32 v12, v12, v106
	s_delay_alu instid0(VALU_DEP_1) | instskip(NEXT) | instid1(VALU_DEP_1)
	v_dual_sub_f32 v12, v12, v13 :: v_dual_sub_f32 v13, v17, v15
	v_add_f32_e32 v9, v9, v12
	v_add_f32_e32 v12, v105, v14
	s_delay_alu instid0(VALU_DEP_2) | instskip(NEXT) | instid1(VALU_DEP_2)
	v_add_f32_e32 v9, v13, v9
	v_sub_f32_e32 v13, v12, v105
	s_delay_alu instid0(VALU_DEP_2) | instskip(NEXT) | instid1(VALU_DEP_2)
	v_add_f32_e32 v9, v106, v9
	v_sub_f32_e32 v13, v14, v13
	s_delay_alu instid0(VALU_DEP_2) | instskip(NEXT) | instid1(VALU_DEP_1)
	v_mul_f32_e32 v9, v11, v9
	v_add_f32_e32 v9, v13, v9
	s_delay_alu instid0(VALU_DEP_1) | instskip(NEXT) | instid1(VALU_DEP_1)
	v_add_f32_e32 v11, v12, v9
	v_mul_f32_e32 v13, v11, v11
	s_delay_alu instid0(VALU_DEP_1) | instskip(SKIP_1) | instid1(VALU_DEP_2)
	v_fmaak_f32 v14, s84, v13, 0x3ecc95a3
	v_mul_f32_e32 v15, v11, v13
	v_fmaak_f32 v13, v13, v14, 0x3f2aaada
	v_ldexp_f32 v14, v11, 1
	v_sub_f32_e32 v11, v11, v12
	s_delay_alu instid0(VALU_DEP_3) | instskip(SKIP_1) | instid1(VALU_DEP_2)
	v_mul_f32_e32 v13, v15, v13
	v_mul_f32_e32 v15, 0x3f317218, v8
	v_dual_sub_f32 v9, v9, v11 :: v_dual_add_f32 v12, v14, v13
	s_delay_alu instid0(VALU_DEP_1) | instskip(NEXT) | instid1(VALU_DEP_2)
	v_ldexp_f32 v9, v9, 1
	v_sub_f32_e32 v11, v12, v14
	s_delay_alu instid0(VALU_DEP_4) | instskip(NEXT) | instid1(VALU_DEP_1)
	v_fma_f32 v14, 0x3f317218, v8, -v15
	v_dual_sub_f32 v11, v13, v11 :: v_dual_fmac_f32 v14, 0xb102e308, v8
	s_delay_alu instid0(VALU_DEP_1) | instskip(NEXT) | instid1(VALU_DEP_1)
	v_dual_add_f32 v8, v9, v11 :: v_dual_add_f32 v9, v15, v14
	v_add_f32_e32 v11, v12, v8
	s_delay_alu instid0(VALU_DEP_2) | instskip(NEXT) | instid1(VALU_DEP_2)
	v_sub_f32_e32 v15, v9, v15
	v_dual_add_f32 v13, v9, v11 :: v_dual_sub_f32 v12, v11, v12
	s_delay_alu instid0(VALU_DEP_1) | instskip(NEXT) | instid1(VALU_DEP_1)
	v_dual_sub_f32 v14, v14, v15 :: v_dual_sub_f32 v17, v13, v9
	v_dual_sub_f32 v8, v8, v12 :: v_dual_sub_f32 v105, v13, v17
	s_delay_alu instid0(VALU_DEP_1) | instskip(NEXT) | instid1(VALU_DEP_2)
	v_dual_sub_f32 v11, v11, v17 :: v_dual_add_f32 v12, v14, v8
	v_sub_f32_e32 v9, v9, v105
	s_delay_alu instid0(VALU_DEP_1) | instskip(NEXT) | instid1(VALU_DEP_3)
	v_add_f32_e32 v9, v11, v9
	v_sub_f32_e32 v11, v12, v14
	s_delay_alu instid0(VALU_DEP_2) | instskip(NEXT) | instid1(VALU_DEP_2)
	v_add_f32_e32 v9, v12, v9
	v_sub_f32_e32 v12, v12, v11
	s_delay_alu instid0(VALU_DEP_2) | instskip(NEXT) | instid1(VALU_DEP_1)
	v_dual_sub_f32 v8, v8, v11 :: v_dual_add_f32 v15, v13, v9
	v_dual_sub_f32 v12, v14, v12 :: v_dual_sub_f32 v11, v15, v13
	s_delay_alu instid0(VALU_DEP_1) | instskip(NEXT) | instid1(VALU_DEP_1)
	v_dual_add_f32 v8, v8, v12 :: v_dual_sub_f32 v9, v9, v11
	v_add_f32_e32 v8, v8, v9
	s_delay_alu instid0(VALU_DEP_1) | instskip(NEXT) | instid1(VALU_DEP_1)
	v_add_f32_e32 v8, v15, v8
	v_cndmask_b32_e32 v111, v8, v10, vcc_lo
.LBB122_106:                            ;   in Loop: Header=BB122_12 Depth=1
	s_or_b32 exec_lo, exec_lo, s30
	v_lshrrev_b32_e32 v9, 16, v6
	v_lshrrev_b32_e32 v10, 16, v7
	;; [unrolled: 1-line block ×6, first 2 shown]
	v_cvt_f32_f16_e32 v8, v7
	v_cvt_f32_f16_e32 v7, v9
	;; [unrolled: 1-line block ×7, first 2 shown]
	v_lshrrev_b32_e32 v14, 16, v1
	v_lshrrev_b32_e32 v15, 16, v0
	v_cvt_f32_f16_e32 v6, v6
	v_cvt_f32_f16_e32 v5, v5
	;; [unrolled: 1-line block ×9, first 2 shown]
	v_dual_mul_f32 v105, s68, v8 :: v_dual_mul_f32 v106, s68, v7
	v_dual_mul_f32 v107, s68, v6 :: v_dual_mul_f32 v108, s68, v9
	;; [unrolled: 1-line block ×8, first 2 shown]
	s_and_b32 vcc_lo, exec_lo, s81
	s_barrier
	buffer_gl0_inv
	s_cbranch_vccz .LBB122_204
; %bb.107:                              ;   in Loop: Header=BB122_12 Depth=1
	v_dual_mul_f32 v122, v111, v11 :: v_dual_mul_f32 v127, v104, v8
	v_add_co_u32 v11, s29, s53, v16
	s_delay_alu instid0(VALU_DEP_1) | instskip(SKIP_1) | instid1(VALU_DEP_1)
	v_add_co_ci_u32_e64 v17, null, s74, 0, s29
	v_add_co_u32 v16, s29, s57, v16
	v_add_co_ci_u32_e64 v126, null, s75, 0, s29
	s_delay_alu instid0(VALU_DEP_4) | instskip(NEXT) | instid1(VALU_DEP_4)
	v_add_co_u32 v123, vcc_lo, v11, v89
	v_add_co_ci_u32_e32 v124, vcc_lo, 0, v17, vcc_lo
	s_delay_alu instid0(VALU_DEP_4) | instskip(NEXT) | instid1(VALU_DEP_4)
	v_add_co_u32 v125, vcc_lo, v16, v89
	v_add_co_ci_u32_e32 v126, vcc_lo, 0, v126, vcc_lo
	v_cmp_gt_u32_e32 vcc_lo, s41, v18
	s_cmp_lg_u32 s86, 0
	v_cmp_gt_u32_e64 s31, s41, v75
	s_cselect_b32 s51, -1, 0
	s_cmp_eq_u32 s86, s83
	v_cmp_gt_u32_e64 s33, s41, v76
	s_cselect_b32 s87, -1, 0
	s_or_b32 s29, s82, vcc_lo
	v_cmp_gt_u32_e32 vcc_lo, s41, v74
	v_cmp_gt_u32_e64 s34, s41, v77
	v_cmp_gt_u32_e64 s35, s41, v78
	;; [unrolled: 1-line block ×4, first 2 shown]
	s_or_b32 s30, s82, vcc_lo
	v_cmp_gt_u32_e32 vcc_lo, s41, v79
	v_cmp_gt_u32_e64 s39, s41, v82
	v_cmp_gt_u32_e64 s40, s41, v83
	v_cmp_gt_u32_e64 s42, s41, v85
	v_cmp_gt_u32_e64 s43, s41, v86
	s_or_b32 s36, s82, vcc_lo
	v_cmp_gt_u32_e32 vcc_lo, s41, v84
	v_cmp_gt_u32_e64 s44, s41, v87
	v_cmp_gt_u32_e64 s45, s41, v88
	v_dual_mul_f32 v128, v103, v7 :: v_dual_mul_f32 v129, v102, v6
	v_dual_mul_f32 v130, v101, v9 :: v_dual_mul_f32 v133, v98, v4
	;; [unrolled: 1-line block ×7, first 2 shown]
	s_mov_b32 s64, 0
	s_or_b32 s31, s82, s31
	s_or_b32 s33, s82, s33
	;; [unrolled: 1-line block ×8, first 2 shown]
	s_or_b32 s41, s82, vcc_lo
	s_or_b32 s42, s82, s42
	s_or_b32 s43, s82, s43
	;; [unrolled: 1-line block ×4, first 2 shown]
	s_mov_b32 s54, s64
	s_mov_b32 s58, s64
	;; [unrolled: 1-line block ×5, first 2 shown]
	s_branch .LBB122_109
.LBB122_108:                            ;   in Loop: Header=BB122_109 Depth=2
	s_or_b32 exec_lo, exec_lo, s46
	v_cndmask_b32_e64 v9, v171, v11, s12
	v_cndmask_b32_e64 v10, v170, v10, s12
	s_add_i32 s88, s88, -1
	s_add_i32 s89, s89, 8
	s_add_i32 s60, s60, s62
	v_fma_f32 v9, v9, v142, v15
	v_mul_f32_e32 v10, v10, v142
	s_add_i32 s58, s58, s56
	s_add_i32 s54, s54, s52
	;; [unrolled: 1-line block ×3, first 2 shown]
	v_cndmask_b32_e64 v9, v9, v15, s11
	v_cndmask_b32_e64 v10, v10, v142, s11
	s_cmp_eq_u32 s88, 0
	s_waitcnt lgkmcnt(0)
	s_delay_alu instid0(VALU_DEP_1) | instskip(NEXT) | instid1(VALU_DEP_1)
	v_fmac_f32_e32 v9, v8, v10
	v_fmac_f32_e32 v12, v9, v144
	s_delay_alu instid0(VALU_DEP_1) | instskip(NEXT) | instid1(VALU_DEP_1)
	v_fmac_f32_e32 v13, v12, v146
	v_fmac_f32_e32 v14, v13, v148
	v_fma_mix_f32 v121, v9, v4, v121 op_sel_hi:[0,1,0]
	s_delay_alu instid0(VALU_DEP_2) | instskip(SKIP_2) | instid1(VALU_DEP_3)
	v_fmac_f32_e32 v143, v14, v150
	v_fma_mix_f32 v120, v12, v4, v120 op_sel:[0,1,0] op_sel_hi:[0,1,0]
	v_fma_mix_f32 v118, v14, v5, v118 op_sel:[0,1,0] op_sel_hi:[0,1,0]
	v_fmac_f32_e32 v145, v143, v151
	v_fma_mix_f32 v117, v143, v6, v117 op_sel_hi:[0,1,0]
	s_delay_alu instid0(VALU_DEP_2) | instskip(SKIP_1) | instid1(VALU_DEP_2)
	v_fmac_f32_e32 v147, v145, v153
	v_fma_mix_f32 v115, v145, v6, v115 op_sel:[0,1,0] op_sel_hi:[0,1,0]
	v_fmac_f32_e32 v149, v147, v156
	s_delay_alu instid0(VALU_DEP_1) | instskip(SKIP_1) | instid1(VALU_DEP_2)
	v_fmac_f32_e32 v152, v149, v157
	v_fma_mix_f32 v119, v13, v5, v119 op_sel_hi:[0,1,0]
	v_fmac_f32_e32 v154, v152, v158
	v_fma_mix_f32 v114, v147, v7, v114 op_sel_hi:[0,1,0]
	v_fma_mix_f32 v112, v152, v0, v112 op_sel_hi:[0,1,0]
	s_delay_alu instid0(VALU_DEP_3) | instskip(SKIP_1) | instid1(VALU_DEP_2)
	v_fmac_f32_e32 v155, v154, v159
	v_fma_mix_f32 v110, v154, v0, v110 op_sel:[0,1,0] op_sel_hi:[0,1,0]
	v_fmac_f32_e32 v160, v155, v166
	v_fma_mix_f32 v109, v155, v1, v109 op_sel_hi:[0,1,0]
	s_delay_alu instid0(VALU_DEP_2) | instskip(NEXT) | instid1(VALU_DEP_1)
	v_fmac_f32_e32 v161, v160, v163
	v_fmac_f32_e32 v162, v161, v165
	v_fma_mix_f32 v113, v149, v7, v113 op_sel:[0,1,0] op_sel_hi:[0,1,0]
	s_delay_alu instid0(VALU_DEP_2) | instskip(SKIP_2) | instid1(VALU_DEP_3)
	v_fmac_f32_e32 v164, v162, v168
	v_fma_mix_f32 v107, v161, v2, v107 op_sel_hi:[0,1,0]
	v_fma_mix_f32 v106, v162, v2, v106 op_sel:[0,1,0] op_sel_hi:[0,1,0]
	v_fmac_f32_e32 v167, v164, v169
	v_fma_mix_f32 v108, v160, v1, v108 op_sel:[0,1,0] op_sel_hi:[0,1,0]
	v_fma_mix_f32 v105, v164, v3, v105 op_sel_hi:[0,1,0]
	s_delay_alu instid0(VALU_DEP_3)
	v_fma_mix_f32 v116, v167, v3, v116 op_sel:[0,1,0] op_sel_hi:[0,1,0]
	s_cbranch_scc1 .LBB122_204
.LBB122_109:                            ;   Parent Loop BB122_12 Depth=1
                                        ; =>  This Inner Loop Header: Depth=2
	s_lshl_b64 s[46:47], s[64:65], 2
	s_mov_b32 s55, s65
	s_add_u32 s46, s73, s46
	s_addc_u32 s47, s63, s47
	v_dual_mov_b32 v2, 0 :: v_dual_mov_b32 v3, 0
	global_load_b32 v142, v21, s[46:47]
	s_lshl_b64 s[46:47], s[54:55], 1
	s_delay_alu instid0(SALU_CYCLE_1)
	v_add_co_u32 v0, vcc_lo, v123, s46
	v_add_co_ci_u32_e32 v1, vcc_lo, s47, v124, vcc_lo
	s_and_saveexec_b32 s46, s13
	s_cbranch_execnz .LBB122_145
; %bb.110:                              ;   in Loop: Header=BB122_109 Depth=2
	s_or_b32 exec_lo, exec_lo, s46
	s_and_saveexec_b32 s46, s14
	s_cbranch_execnz .LBB122_146
.LBB122_111:                            ;   in Loop: Header=BB122_109 Depth=2
	s_or_b32 exec_lo, exec_lo, s46
	v_mov_b32_e32 v4, 0
	s_and_saveexec_b32 s46, s15
	s_cbranch_execnz .LBB122_147
.LBB122_112:                            ;   in Loop: Header=BB122_109 Depth=2
	s_or_b32 exec_lo, exec_lo, s46
	s_and_saveexec_b32 s46, s16
	s_cbranch_execnz .LBB122_148
.LBB122_113:                            ;   in Loop: Header=BB122_109 Depth=2
	s_or_b32 exec_lo, exec_lo, s46
	v_mov_b32_e32 v5, 0
	s_and_saveexec_b32 s46, s17
	s_cbranch_execnz .LBB122_149
.LBB122_114:                            ;   in Loop: Header=BB122_109 Depth=2
	s_or_b32 exec_lo, exec_lo, s46
	s_and_saveexec_b32 s46, s18
	s_cbranch_execnz .LBB122_150
.LBB122_115:                            ;   in Loop: Header=BB122_109 Depth=2
	s_or_b32 exec_lo, exec_lo, s46
	v_mov_b32_e32 v6, 0
	s_and_saveexec_b32 s46, s19
	s_cbranch_execnz .LBB122_151
.LBB122_116:                            ;   in Loop: Header=BB122_109 Depth=2
	s_or_b32 exec_lo, exec_lo, s46
	s_and_saveexec_b32 s46, s20
	s_cbranch_execnz .LBB122_152
.LBB122_117:                            ;   in Loop: Header=BB122_109 Depth=2
	s_or_b32 exec_lo, exec_lo, s46
	v_mov_b32_e32 v7, 0
	s_and_saveexec_b32 s46, s21
	s_cbranch_execnz .LBB122_153
.LBB122_118:                            ;   in Loop: Header=BB122_109 Depth=2
	s_or_b32 exec_lo, exec_lo, s46
	s_and_saveexec_b32 s46, s22
	s_cbranch_execnz .LBB122_154
.LBB122_119:                            ;   in Loop: Header=BB122_109 Depth=2
	s_or_b32 exec_lo, exec_lo, s46
	v_mov_b32_e32 v8, 0
	s_and_saveexec_b32 s46, s23
	s_cbranch_execnz .LBB122_155
.LBB122_120:                            ;   in Loop: Header=BB122_109 Depth=2
	s_or_b32 exec_lo, exec_lo, s46
	s_and_saveexec_b32 s46, s24
	s_cbranch_execnz .LBB122_156
.LBB122_121:                            ;   in Loop: Header=BB122_109 Depth=2
	s_or_b32 exec_lo, exec_lo, s46
	v_mov_b32_e32 v9, 0
	s_and_saveexec_b32 s46, s25
	s_cbranch_execnz .LBB122_157
.LBB122_122:                            ;   in Loop: Header=BB122_109 Depth=2
	s_or_b32 exec_lo, exec_lo, s46
	s_and_saveexec_b32 s46, s26
	s_cbranch_execnz .LBB122_158
.LBB122_123:                            ;   in Loop: Header=BB122_109 Depth=2
	s_or_b32 exec_lo, exec_lo, s46
	v_mov_b32_e32 v10, 0
	s_and_saveexec_b32 s46, s27
	s_cbranch_execnz .LBB122_159
.LBB122_124:                            ;   in Loop: Header=BB122_109 Depth=2
	s_or_b32 exec_lo, exec_lo, s46
	s_and_saveexec_b32 s46, s28
	s_cbranch_execz .LBB122_126
.LBB122_125:                            ;   in Loop: Header=BB122_109 Depth=2
	global_load_u16 v0, v[0:1], off offset:960
	s_waitcnt vmcnt(0)
	v_lshl_or_b32 v10, v0, 16, v10
.LBB122_126:                            ;   in Loop: Header=BB122_109 Depth=2
	s_or_b32 exec_lo, exec_lo, s46
	s_waitcnt vmcnt(0)
	ds_store_b16 v37, v3
	ds_store_b16 v37, v2 offset:64
	ds_store_b16 v38, v4 offset:128
	ds_store_b16_d16_hi v39, v4 offset:192
	ds_store_b16 v40, v5 offset:256
	ds_store_b16_d16_hi v41, v5 offset:320
	;; [unrolled: 2-line block ×7, first 2 shown]
	; wave barrier
	ds_load_b128 v[12:15], v52
	ds_load_b128 v[8:11], v52 offset:16
	s_mov_b32 s59, s65
	v_dual_mov_b32 v2, 0 :: v_dual_mov_b32 v3, 0
	s_lshl_b64 s[46:47], s[58:59], 1
	s_delay_alu instid0(SALU_CYCLE_1)
	v_add_co_u32 v0, vcc_lo, v125, s46
	v_add_co_ci_u32_e32 v1, vcc_lo, s47, v126, vcc_lo
	s_and_saveexec_b32 s46, s13
	s_cbranch_execnz .LBB122_160
; %bb.127:                              ;   in Loop: Header=BB122_109 Depth=2
	s_or_b32 exec_lo, exec_lo, s46
	s_and_saveexec_b32 s46, s14
	s_cbranch_execnz .LBB122_161
.LBB122_128:                            ;   in Loop: Header=BB122_109 Depth=2
	s_or_b32 exec_lo, exec_lo, s46
	v_mov_b32_e32 v4, 0
	s_and_saveexec_b32 s46, s15
	s_cbranch_execnz .LBB122_162
.LBB122_129:                            ;   in Loop: Header=BB122_109 Depth=2
	s_or_b32 exec_lo, exec_lo, s46
	s_and_saveexec_b32 s46, s16
	s_cbranch_execnz .LBB122_163
.LBB122_130:                            ;   in Loop: Header=BB122_109 Depth=2
	s_or_b32 exec_lo, exec_lo, s46
	v_mov_b32_e32 v5, 0
	s_and_saveexec_b32 s46, s17
	s_cbranch_execnz .LBB122_164
.LBB122_131:                            ;   in Loop: Header=BB122_109 Depth=2
	s_or_b32 exec_lo, exec_lo, s46
	s_and_saveexec_b32 s46, s18
	s_cbranch_execnz .LBB122_165
.LBB122_132:                            ;   in Loop: Header=BB122_109 Depth=2
	s_or_b32 exec_lo, exec_lo, s46
	v_mov_b32_e32 v6, 0
	s_and_saveexec_b32 s46, s19
	s_cbranch_execnz .LBB122_166
.LBB122_133:                            ;   in Loop: Header=BB122_109 Depth=2
	s_or_b32 exec_lo, exec_lo, s46
	s_and_saveexec_b32 s46, s20
	s_cbranch_execnz .LBB122_167
.LBB122_134:                            ;   in Loop: Header=BB122_109 Depth=2
	s_or_b32 exec_lo, exec_lo, s46
	v_mov_b32_e32 v7, 0
	s_and_saveexec_b32 s46, s21
	s_cbranch_execnz .LBB122_168
.LBB122_135:                            ;   in Loop: Header=BB122_109 Depth=2
	s_or_b32 exec_lo, exec_lo, s46
	s_and_saveexec_b32 s46, s22
	s_cbranch_execnz .LBB122_169
.LBB122_136:                            ;   in Loop: Header=BB122_109 Depth=2
	s_or_b32 exec_lo, exec_lo, s46
	v_mov_b32_e32 v16, 0
	s_and_saveexec_b32 s46, s23
	s_cbranch_execnz .LBB122_170
.LBB122_137:                            ;   in Loop: Header=BB122_109 Depth=2
	s_or_b32 exec_lo, exec_lo, s46
	s_and_saveexec_b32 s46, s24
	s_cbranch_execnz .LBB122_171
.LBB122_138:                            ;   in Loop: Header=BB122_109 Depth=2
	s_or_b32 exec_lo, exec_lo, s46
	v_mov_b32_e32 v17, 0
	s_and_saveexec_b32 s46, s25
	s_cbranch_execnz .LBB122_172
.LBB122_139:                            ;   in Loop: Header=BB122_109 Depth=2
	s_or_b32 exec_lo, exec_lo, s46
	s_and_saveexec_b32 s46, s26
	s_cbranch_execnz .LBB122_173
.LBB122_140:                            ;   in Loop: Header=BB122_109 Depth=2
	s_or_b32 exec_lo, exec_lo, s46
	v_mov_b32_e32 v143, 0
	s_and_saveexec_b32 s46, s27
	s_cbranch_execnz .LBB122_174
.LBB122_141:                            ;   in Loop: Header=BB122_109 Depth=2
	s_or_b32 exec_lo, exec_lo, s46
	s_and_saveexec_b32 s46, s28
	s_cbranch_execz .LBB122_143
.LBB122_142:                            ;   in Loop: Header=BB122_109 Depth=2
	global_load_u16 v0, v[0:1], off offset:960
	s_waitcnt vmcnt(0)
	v_lshl_or_b32 v143, v0, 16, v143
.LBB122_143:                            ;   in Loop: Header=BB122_109 Depth=2
	s_or_b32 exec_lo, exec_lo, s46
	s_waitcnt vmcnt(0)
	ds_store_b16 v37, v3 offset:4224
	ds_store_b16 v53, v2 offset:64
	ds_store_b16 v54, v4 offset:128
	ds_store_b16_d16_hi v55, v4 offset:192
	ds_store_b16 v56, v5 offset:256
	ds_store_b16_d16_hi v57, v5 offset:320
	ds_store_b16 v58, v6 offset:384
	;; [unrolled: 2-line block ×6, first 2 shown]
	ds_store_b16_d16_hi v67, v143 offset:960
	; wave barrier
	ds_load_b128 v[4:7], v52 offset:4224
	ds_load_b128 v[0:3], v68 offset:16
	s_and_not1_b32 vcc_lo, exec_lo, s51
	s_cbranch_vccnz .LBB122_175
; %bb.144:                              ;   in Loop: Header=BB122_109 Depth=2
	v_mov_b32_e32 v16, s89
	ds_load_b64 v[16:17], v16
	s_cbranch_execz .LBB122_176
	s_branch .LBB122_179
.LBB122_145:                            ;   in Loop: Header=BB122_109 Depth=2
	global_load_u16 v3, v[0:1], off
	s_or_b32 exec_lo, exec_lo, s46
	s_and_saveexec_b32 s46, s14
	s_cbranch_execz .LBB122_111
.LBB122_146:                            ;   in Loop: Header=BB122_109 Depth=2
	global_load_u16 v2, v[0:1], off offset:64
	s_or_b32 exec_lo, exec_lo, s46
	v_mov_b32_e32 v4, 0
	s_and_saveexec_b32 s46, s15
	s_cbranch_execz .LBB122_112
.LBB122_147:                            ;   in Loop: Header=BB122_109 Depth=2
	global_load_u16 v4, v[0:1], off offset:128
	s_or_b32 exec_lo, exec_lo, s46
	s_and_saveexec_b32 s46, s16
	s_cbranch_execz .LBB122_113
.LBB122_148:                            ;   in Loop: Header=BB122_109 Depth=2
	global_load_u16 v5, v[0:1], off offset:192
	s_waitcnt vmcnt(0)
	v_lshl_or_b32 v4, v5, 16, v4
	s_or_b32 exec_lo, exec_lo, s46
	v_mov_b32_e32 v5, 0
	s_and_saveexec_b32 s46, s17
	s_cbranch_execz .LBB122_114
.LBB122_149:                            ;   in Loop: Header=BB122_109 Depth=2
	global_load_u16 v5, v[0:1], off offset:256
	s_or_b32 exec_lo, exec_lo, s46
	s_and_saveexec_b32 s46, s18
	s_cbranch_execz .LBB122_115
.LBB122_150:                            ;   in Loop: Header=BB122_109 Depth=2
	global_load_u16 v6, v[0:1], off offset:320
	s_waitcnt vmcnt(0)
	v_lshl_or_b32 v5, v6, 16, v5
	s_or_b32 exec_lo, exec_lo, s46
	v_mov_b32_e32 v6, 0
	s_and_saveexec_b32 s46, s19
	s_cbranch_execz .LBB122_116
.LBB122_151:                            ;   in Loop: Header=BB122_109 Depth=2
	global_load_u16 v6, v[0:1], off offset:384
	s_or_b32 exec_lo, exec_lo, s46
	s_and_saveexec_b32 s46, s20
	s_cbranch_execz .LBB122_117
.LBB122_152:                            ;   in Loop: Header=BB122_109 Depth=2
	global_load_u16 v7, v[0:1], off offset:448
	s_waitcnt vmcnt(0)
	v_lshl_or_b32 v6, v7, 16, v6
	s_or_b32 exec_lo, exec_lo, s46
	v_mov_b32_e32 v7, 0
	s_and_saveexec_b32 s46, s21
	s_cbranch_execz .LBB122_118
.LBB122_153:                            ;   in Loop: Header=BB122_109 Depth=2
	global_load_u16 v7, v[0:1], off offset:512
	s_or_b32 exec_lo, exec_lo, s46
	s_and_saveexec_b32 s46, s22
	s_cbranch_execz .LBB122_119
.LBB122_154:                            ;   in Loop: Header=BB122_109 Depth=2
	global_load_u16 v8, v[0:1], off offset:576
	s_waitcnt vmcnt(0)
	v_lshl_or_b32 v7, v8, 16, v7
	s_or_b32 exec_lo, exec_lo, s46
	v_mov_b32_e32 v8, 0
	s_and_saveexec_b32 s46, s23
	s_cbranch_execz .LBB122_120
.LBB122_155:                            ;   in Loop: Header=BB122_109 Depth=2
	global_load_u16 v8, v[0:1], off offset:640
	s_or_b32 exec_lo, exec_lo, s46
	s_and_saveexec_b32 s46, s24
	s_cbranch_execz .LBB122_121
.LBB122_156:                            ;   in Loop: Header=BB122_109 Depth=2
	global_load_u16 v9, v[0:1], off offset:704
	s_waitcnt vmcnt(0)
	v_lshl_or_b32 v8, v9, 16, v8
	s_or_b32 exec_lo, exec_lo, s46
	v_mov_b32_e32 v9, 0
	s_and_saveexec_b32 s46, s25
	s_cbranch_execz .LBB122_122
.LBB122_157:                            ;   in Loop: Header=BB122_109 Depth=2
	global_load_u16 v9, v[0:1], off offset:768
	s_or_b32 exec_lo, exec_lo, s46
	s_and_saveexec_b32 s46, s26
	s_cbranch_execz .LBB122_123
.LBB122_158:                            ;   in Loop: Header=BB122_109 Depth=2
	global_load_u16 v10, v[0:1], off offset:832
	s_waitcnt vmcnt(0)
	v_lshl_or_b32 v9, v10, 16, v9
	s_or_b32 exec_lo, exec_lo, s46
	v_mov_b32_e32 v10, 0
	s_and_saveexec_b32 s46, s27
	s_cbranch_execz .LBB122_124
.LBB122_159:                            ;   in Loop: Header=BB122_109 Depth=2
	global_load_u16 v10, v[0:1], off offset:896
	s_or_b32 exec_lo, exec_lo, s46
	s_and_saveexec_b32 s46, s28
	s_cbranch_execnz .LBB122_125
	s_branch .LBB122_126
.LBB122_160:                            ;   in Loop: Header=BB122_109 Depth=2
	global_load_u16 v3, v[0:1], off
	s_or_b32 exec_lo, exec_lo, s46
	s_and_saveexec_b32 s46, s14
	s_cbranch_execz .LBB122_128
.LBB122_161:                            ;   in Loop: Header=BB122_109 Depth=2
	global_load_u16 v2, v[0:1], off offset:64
	s_or_b32 exec_lo, exec_lo, s46
	v_mov_b32_e32 v4, 0
	s_and_saveexec_b32 s46, s15
	s_cbranch_execz .LBB122_129
.LBB122_162:                            ;   in Loop: Header=BB122_109 Depth=2
	global_load_u16 v4, v[0:1], off offset:128
	s_or_b32 exec_lo, exec_lo, s46
	s_and_saveexec_b32 s46, s16
	s_cbranch_execz .LBB122_130
.LBB122_163:                            ;   in Loop: Header=BB122_109 Depth=2
	global_load_u16 v5, v[0:1], off offset:192
	s_waitcnt vmcnt(0)
	v_lshl_or_b32 v4, v5, 16, v4
	s_or_b32 exec_lo, exec_lo, s46
	v_mov_b32_e32 v5, 0
	s_and_saveexec_b32 s46, s17
	s_cbranch_execz .LBB122_131
.LBB122_164:                            ;   in Loop: Header=BB122_109 Depth=2
	global_load_u16 v5, v[0:1], off offset:256
	s_or_b32 exec_lo, exec_lo, s46
	s_and_saveexec_b32 s46, s18
	s_cbranch_execz .LBB122_132
.LBB122_165:                            ;   in Loop: Header=BB122_109 Depth=2
	global_load_u16 v6, v[0:1], off offset:320
	s_waitcnt vmcnt(0)
	v_lshl_or_b32 v5, v6, 16, v5
	s_or_b32 exec_lo, exec_lo, s46
	v_mov_b32_e32 v6, 0
	s_and_saveexec_b32 s46, s19
	s_cbranch_execz .LBB122_133
.LBB122_166:                            ;   in Loop: Header=BB122_109 Depth=2
	global_load_u16 v6, v[0:1], off offset:384
	s_or_b32 exec_lo, exec_lo, s46
	s_and_saveexec_b32 s46, s20
	s_cbranch_execz .LBB122_134
.LBB122_167:                            ;   in Loop: Header=BB122_109 Depth=2
	global_load_u16 v7, v[0:1], off offset:448
	s_waitcnt vmcnt(0)
	v_lshl_or_b32 v6, v7, 16, v6
	s_or_b32 exec_lo, exec_lo, s46
	v_mov_b32_e32 v7, 0
	s_and_saveexec_b32 s46, s21
	s_cbranch_execz .LBB122_135
.LBB122_168:                            ;   in Loop: Header=BB122_109 Depth=2
	global_load_u16 v7, v[0:1], off offset:512
	s_or_b32 exec_lo, exec_lo, s46
	s_and_saveexec_b32 s46, s22
	s_cbranch_execz .LBB122_136
.LBB122_169:                            ;   in Loop: Header=BB122_109 Depth=2
	global_load_u16 v16, v[0:1], off offset:576
	s_waitcnt vmcnt(0)
	v_lshl_or_b32 v7, v16, 16, v7
	s_or_b32 exec_lo, exec_lo, s46
	v_mov_b32_e32 v16, 0
	s_and_saveexec_b32 s46, s23
	s_cbranch_execz .LBB122_137
.LBB122_170:                            ;   in Loop: Header=BB122_109 Depth=2
	global_load_u16 v16, v[0:1], off offset:640
	s_or_b32 exec_lo, exec_lo, s46
	s_and_saveexec_b32 s46, s24
	s_cbranch_execz .LBB122_138
.LBB122_171:                            ;   in Loop: Header=BB122_109 Depth=2
	global_load_u16 v17, v[0:1], off offset:704
	s_waitcnt vmcnt(0)
	v_lshl_or_b32 v16, v17, 16, v16
	s_or_b32 exec_lo, exec_lo, s46
	v_mov_b32_e32 v17, 0
	s_and_saveexec_b32 s46, s25
	s_cbranch_execz .LBB122_139
.LBB122_172:                            ;   in Loop: Header=BB122_109 Depth=2
	global_load_u16 v17, v[0:1], off offset:768
	s_or_b32 exec_lo, exec_lo, s46
	s_and_saveexec_b32 s46, s26
	s_cbranch_execz .LBB122_140
.LBB122_173:                            ;   in Loop: Header=BB122_109 Depth=2
	global_load_u16 v143, v[0:1], off offset:832
	s_waitcnt vmcnt(0)
	v_lshl_or_b32 v17, v143, 16, v17
	s_or_b32 exec_lo, exec_lo, s46
	v_mov_b32_e32 v143, 0
	s_and_saveexec_b32 s46, s27
	s_cbranch_execz .LBB122_141
.LBB122_174:                            ;   in Loop: Header=BB122_109 Depth=2
	global_load_u16 v143, v[0:1], off offset:896
	s_or_b32 exec_lo, exec_lo, s46
	s_and_saveexec_b32 s46, s28
	s_cbranch_execnz .LBB122_142
	s_branch .LBB122_143
.LBB122_175:                            ;   in Loop: Header=BB122_109 Depth=2
                                        ; implicit-def: $vgpr16
.LBB122_176:                            ;   in Loop: Header=BB122_109 Depth=2
	s_waitcnt lgkmcnt(0)
	v_mov_b32_e32 v17, 0
	s_and_not1_b32 vcc_lo, exec_lo, s66
	s_cbranch_vccnz .LBB122_178
; %bb.177:                              ;   in Loop: Header=BB122_109 Depth=2
	s_mov_b32 s61, s65
	s_delay_alu instid0(SALU_CYCLE_1) | instskip(NEXT) | instid1(SALU_CYCLE_1)
	s_lshl_b64 s[46:47], s[60:61], 2
	s_add_u32 s46, s76, s46
	s_addc_u32 s47, s77, s47
	global_load_b32 v17, v21, s[46:47]
.LBB122_178:                            ;   in Loop: Header=BB122_109 Depth=2
	v_mov_b32_e32 v16, 1.0
.LBB122_179:                            ;   in Loop: Header=BB122_109 Depth=2
	v_mul_f32_e32 v164, 0x3fb8aa3b, v142
	s_waitcnt lgkmcnt(19)
	v_lshrrev_b32_e32 v144, 16, v13
	v_lshrrev_b32_e32 v145, 16, v14
	v_cvt_f32_f16_e32 v13, v13
	v_cvt_f32_f16_e64 v152, v14
	v_mul_f32_e32 v14, v164, v90
	v_lshrrev_b32_e32 v143, 16, v12
	v_lshrrev_b32_e32 v146, 16, v15
	v_mul_f32_e32 v13, v139, v13
	v_cvt_f32_f16_e32 v12, v12
	v_cmp_gt_f32_e32 vcc_lo, 0xc2fc0000, v14
	v_cvt_f32_f16_e64 v153, v15
	v_mul_f32_e32 v15, v164, v91
	v_cvt_f32_f16_e64 v151, v144
	v_mul_f32_e32 v12, v141, v12
	v_cndmask_b32_e64 v14, 0, 0x42800000, vcc_lo
	v_mul_f32_e32 v142, v164, v92
	v_cmp_gt_f32_e64 s46, 0xc2fc0000, v15
	v_cndmask_b32_e64 v144, 1.0, 0x1f800000, vcc_lo
	s_waitcnt lgkmcnt(18)
	v_lshrrev_b32_e32 v147, 16, v8
	v_fmac_f32_e32 v14, v164, v90
	v_cvt_f32_f16_e64 v143, v143
	v_cndmask_b32_e64 v15, 0, 0x42800000, s46
	v_cvt_f32_f16_e64 v154, v146
	v_cmp_gt_f32_e32 vcc_lo, 0xc2fc0000, v142
	v_exp_f32_e32 v14, v14
	v_mul_f32_e32 v142, v164, v93
	v_fmac_f32_e32 v15, v164, v91
	v_cvt_f32_f16_e64 v155, v147
	v_cndmask_b32_e64 v147, 0, 0x42800000, vcc_lo
	v_lshrrev_b32_e32 v148, 16, v9
	v_lshrrev_b32_e32 v149, 16, v10
	;; [unrolled: 1-line block ×3, first 2 shown]
	v_cvt_f32_f16_e32 v9, v9
	v_cvt_f32_f16_e32 v8, v8
	v_mul_f32_e32 v14, v14, v144
	v_exp_f32_e32 v146, v15
	v_cndmask_b32_e64 v15, 0, v12, s29
	v_cndmask_b32_e64 v12, 1.0, 0x1f800000, s46
	v_cmp_gt_f32_e64 s46, 0xc2fc0000, v142
	v_cndmask_b32_e64 v142, 1.0, v14, s29
	v_mul_f32_e32 v14, v140, v143
	v_cvt_f32_f16_e64 v160, v148
	v_cvt_f32_f16_e64 v162, v149
	v_cndmask_b32_e64 v144, 0, 0x42800000, s46
	v_cvt_f32_f16_e64 v167, v150
	v_mul_f32_e32 v143, v146, v12
	v_cndmask_b32_e64 v12, 0, v14, s30
	v_cndmask_b32_e64 v14, 1.0, 0x1f800000, vcc_lo
	v_fmac_f32_e32 v147, v164, v92
	v_fmac_f32_e32 v144, v164, v93
	v_dual_mul_f32 v149, v164, v95 :: v_dual_mul_f32 v154, v134, v154
	v_dual_mul_f32 v150, v164, v96 :: v_dual_mul_f32 v9, v131, v9
	s_delay_alu instid0(VALU_DEP_4)
	v_exp_f32_e32 v146, v147
	v_mul_f32_e32 v147, v164, v94
	v_exp_f32_e32 v148, v144
	v_cndmask_b32_e64 v144, 1.0, v143, s30
	v_cndmask_b32_e64 v143, 1.0, 0x1f800000, s46
	v_cmp_gt_f32_e64 s46, 0xc2fc0000, v149
	v_cvt_f32_f16_e32 v10, v10
	v_cvt_f32_f16_e32 v11, v11
	v_mul_f32_e32 v165, v164, v102
	s_delay_alu instid0(TRANS32_DEP_2) | instskip(SKIP_1) | instid1(TRANS32_DEP_1)
	v_dual_mul_f32 v155, v132, v155 :: v_dual_mul_f32 v14, v146, v14
	v_cndmask_b32_e64 v149, 0, 0x42800000, s46
	v_dual_mul_f32 v143, v148, v143 :: v_dual_mul_f32 v10, v129, v10
	v_cndmask_b32_e64 v13, 0, v13, s31
	s_delay_alu instid0(VALU_DEP_4)
	v_cndmask_b32_e64 v146, 1.0, v14, s31
	v_mul_f32_e32 v14, v138, v151
	v_cmp_gt_f32_e32 vcc_lo, 0xc2fc0000, v147
	v_cndmask_b32_e64 v148, 1.0, v143, s33
	v_dual_fmac_f32 v149, v164, v95 :: v_dual_mul_f32 v8, v133, v8
	v_mul_f32_e32 v151, v164, v97
	v_cndmask_b32_e64 v147, 0, 0x42800000, vcc_lo
	v_cndmask_b32_e64 v143, 1.0, 0x1f800000, vcc_lo
	v_cmp_gt_f32_e32 vcc_lo, 0xc2fc0000, v150
	v_exp_f32_e32 v149, v149
	v_cmp_gt_f32_e64 s47, 0xc2fc0000, v151
	v_fmac_f32_e32 v147, v164, v94
	v_mul_f32_e32 v158, v164, v99
	v_cndmask_b32_e64 v150, 0, 0x42800000, vcc_lo
	v_cvt_f32_f16_e64 v145, v145
	v_cndmask_b32_e64 v151, 0, 0x42800000, s47
	v_exp_f32_e32 v147, v147
	v_cndmask_b32_e64 v14, 0, v14, s33
	v_dual_fmac_f32 v150, v164, v96 :: v_dual_mul_f32 v11, v127, v11
	s_delay_alu instid0(VALU_DEP_3) | instskip(SKIP_2) | instid1(VALU_DEP_4)
	v_fmac_f32_e32 v151, v164, v97
	v_mul_f32_e32 v166, v164, v103
	v_mul_f32_e32 v162, v128, v162
	v_exp_f32_e32 v156, v150
	s_delay_alu instid0(TRANS32_DEP_2)
	v_mul_f32_e32 v147, v147, v143
	v_mul_f32_e32 v143, v137, v152
	v_cndmask_b32_e64 v152, 1.0, 0x1f800000, s46
	v_cmp_gt_f32_e64 s46, 0xc2fc0000, v158
	v_mul_f32_e32 v158, v164, v101
	v_cndmask_b32_e64 v150, 1.0, v147, s34
	v_cndmask_b32_e64 v143, 0, v143, s34
	v_mul_f32_e32 v147, v149, v152
	v_cndmask_b32_e64 v149, 1.0, 0x1f800000, vcc_lo
	v_exp_f32_e32 v152, v151
	v_cndmask_b32_e64 v162, 0, v162, s43
	s_delay_alu instid0(VALU_DEP_3) | instskip(NEXT) | instid1(VALU_DEP_3)
	v_cndmask_b32_e64 v151, 1.0, v147, s35
	v_mul_f32_e32 v149, v156, v149
	v_mul_f32_e32 v147, v135, v153
	v_cndmask_b32_e64 v156, 1.0, 0x1f800000, s47
	s_delay_alu instid0(VALU_DEP_3)
	v_cndmask_b32_e64 v153, 1.0, v149, s36
	v_mul_f32_e32 v157, v164, v98
	v_cndmask_b32_e64 v149, 0, v154, s37
	v_mul_f32_e32 v154, v164, v100
	v_mul_f32_e32 v152, v152, v156
	v_cndmask_b32_e64 v147, 0, v147, s36
	v_cmp_gt_f32_e32 vcc_lo, 0xc2fc0000, v157
	s_delay_alu instid0(VALU_DEP_4) | instskip(NEXT) | instid1(VALU_DEP_4)
	v_cmp_gt_f32_e64 s47, 0xc2fc0000, v154
	v_cndmask_b32_e64 v156, 1.0, v152, s37
	v_cndmask_b32_e64 v157, 0, 0x42800000, vcc_lo
	v_cndmask_b32_e64 v159, 1.0, 0x1f800000, vcc_lo
	s_delay_alu instid0(VALU_DEP_4) | instskip(SKIP_1) | instid1(VALU_DEP_4)
	v_cndmask_b32_e64 v154, 0, 0x42800000, s47
	v_cmp_gt_f32_e32 vcc_lo, 0xc2fc0000, v158
	v_fmac_f32_e32 v157, v164, v98
	s_delay_alu instid0(VALU_DEP_3) | instskip(SKIP_1) | instid1(VALU_DEP_3)
	v_fmac_f32_e32 v154, v164, v100
	v_cndmask_b32_e64 v158, 0, 0x42800000, vcc_lo
	v_exp_f32_e32 v152, v157
	v_cndmask_b32_e64 v157, 0, 0x42800000, s46
	s_delay_alu instid0(VALU_DEP_2) | instskip(NEXT) | instid1(VALU_DEP_2)
	v_fmac_f32_e32 v158, v164, v101
	v_fmac_f32_e32 v157, v164, v99
	s_delay_alu instid0(VALU_DEP_2) | instskip(NEXT) | instid1(VALU_DEP_1)
	v_exp_f32_e32 v163, v158
	v_exp_f32_e32 v161, v157
	s_delay_alu instid0(TRANS32_DEP_3)
	v_mul_f32_e32 v157, v152, v159
	v_cndmask_b32_e64 v152, 0, v8, s38
	v_exp_f32_e32 v8, v154
	v_cndmask_b32_e64 v154, 1.0, 0x1f800000, s46
	v_cndmask_b32_e64 v159, 1.0, 0x1f800000, s47
	v_cmp_gt_f32_e64 s46, 0xc2fc0000, v166
	v_cndmask_b32_e64 v157, 1.0, v157, s38
	s_delay_alu instid0(TRANS32_DEP_2) | instid1(VALU_DEP_4)
	v_mul_f32_e32 v158, v161, v154
	v_cndmask_b32_e64 v161, 1.0, 0x1f800000, vcc_lo
	v_cmp_gt_f32_e32 vcc_lo, 0xc2fc0000, v165
	s_delay_alu instid0(TRANS32_DEP_1)
	v_mul_f32_e32 v8, v8, v159
	v_cndmask_b32_e64 v154, 0, v155, s39
	v_cndmask_b32_e64 v155, 0, v9, s40
	v_mul_f32_e32 v9, v130, v160
	v_fma_f32 v165, v144, v15, v12
	v_cndmask_b32_e64 v159, 1.0, v8, s40
	v_mul_f32_e32 v8, v163, v161
	v_cndmask_b32_e64 v161, 0, 0x42800000, vcc_lo
	v_mul_f32_e32 v163, v144, v142
	v_cndmask_b32_e64 v160, 0, v9, s41
	v_cndmask_b32_e64 v158, 1.0, v158, s39
	v_cndmask_b32_e64 v166, 1.0, v8, s41
	v_fmac_f32_e32 v161, v164, v102
	v_mul_f32_e32 v9, v163, v146
	v_fma_f32 v163, v165, v146, v13
	v_cndmask_b32_e64 v8, 1.0, 0x1f800000, vcc_lo
	v_cndmask_b32_e64 v165, 0, 0x42800000, s46
	v_exp_f32_e32 v161, v161
	v_mul_f32_e32 v145, v136, v145
	v_mul_f32_e32 v9, v9, v148
	v_fma_f32 v163, v163, v148, v14
	v_fmac_f32_e32 v165, v164, v103
	s_delay_alu instid0(VALU_DEP_3) | instskip(NEXT) | instid1(VALU_DEP_3)
	v_mul_f32_e32 v9, v9, v150
	v_fma_f32 v163, v163, v150, v143
	s_delay_alu instid0(VALU_DEP_3) | instskip(NEXT) | instid1(TRANS32_DEP_2)
	v_exp_f32_e32 v165, v165
	v_mul_f32_e32 v8, v161, v8
	v_cndmask_b32_e64 v145, 0, v145, s35
	v_mul_f32_e32 v9, v9, v151
	v_cndmask_b32_e64 v161, 0, v10, s42
	v_cndmask_b32_e64 v10, 1.0, 0x1f800000, s46
	s_delay_alu instid0(VALU_DEP_4)
	v_fma_f32 v168, v163, v151, v145
	v_cndmask_b32_e64 v163, 1.0, v8, s42
	v_mul_f32_e32 v8, v9, v153
	s_delay_alu instid0(TRANS32_DEP_1) | instid1(VALU_DEP_4)
	v_mul_f32_e32 v10, v165, v10
	s_delay_alu instid0(VALU_DEP_4) | instskip(SKIP_1) | instid1(VALU_DEP_4)
	v_fma_f32 v9, v168, v153, v147
	v_mul_f32_e32 v168, v164, v104
	v_mul_f32_e32 v8, v8, v156
	s_delay_alu instid0(VALU_DEP_3) | instskip(NEXT) | instid1(VALU_DEP_3)
	v_fma_f32 v9, v9, v156, v149
	v_cmp_gt_f32_e32 vcc_lo, 0xc2fc0000, v168
	v_mul_f32_e32 v168, v164, v111
	s_delay_alu instid0(VALU_DEP_4) | instskip(NEXT) | instid1(VALU_DEP_4)
	v_mul_f32_e32 v8, v8, v157
	v_fma_f32 v9, v9, v157, v152
	v_cndmask_b32_e64 v165, 0, 0x42800000, vcc_lo
	s_delay_alu instid0(VALU_DEP_4) | instskip(NEXT) | instid1(VALU_DEP_4)
	v_cmp_gt_f32_e64 s46, 0xc2fc0000, v168
	v_mul_f32_e32 v8, v8, v158
	s_delay_alu instid0(VALU_DEP_4) | instskip(NEXT) | instid1(VALU_DEP_4)
	v_fma_f32 v9, v9, v158, v154
	v_fmac_f32_e32 v165, v164, v104
	s_delay_alu instid0(VALU_DEP_4) | instskip(NEXT) | instid1(VALU_DEP_4)
	v_cndmask_b32_e64 v168, 0, 0x42800000, s46
	v_mul_f32_e32 v8, v8, v159
	s_delay_alu instid0(VALU_DEP_4) | instskip(NEXT) | instid1(VALU_DEP_4)
	v_fma_f32 v9, v9, v159, v155
	v_exp_f32_e32 v169, v165
	s_delay_alu instid0(VALU_DEP_3)
	v_fmac_f32_e32 v168, v164, v111
	v_cndmask_b32_e64 v165, 1.0, v10, s43
	v_cndmask_b32_e64 v10, 1.0, 0x1f800000, vcc_lo
	v_mul_f32_e32 v8, v8, v166
	v_fma_f32 v9, v9, v166, v160
	v_exp_f32_e32 v170, v168
	v_cndmask_b32_e64 v164, 0, v11, s44
	v_cndmask_b32_e64 v11, 1.0, 0x1f800000, s46
	v_mul_f32_e32 v8, v8, v163
	v_mul_f32_e32 v10, v169, v10
	v_fma_f32 v9, v9, v163, v161
	s_delay_alu instid0(VALU_DEP_3) | instskip(NEXT) | instid1(VALU_DEP_3)
	v_mul_f32_e32 v8, v8, v165
	v_cndmask_b32_e64 v168, 1.0, v10, s44
	v_mul_f32_e32 v10, v122, v167
	s_delay_alu instid0(TRANS32_DEP_1) | instskip(SKIP_1) | instid1(VALU_DEP_4)
	v_mul_f32_e32 v11, v170, v11
	v_fma_f32 v9, v9, v165, v162
	v_mul_f32_e32 v8, v8, v168
	s_delay_alu instid0(VALU_DEP_4) | instskip(NEXT) | instid1(VALU_DEP_4)
	v_cndmask_b32_e64 v167, 0, v10, s45
	v_cndmask_b32_e64 v169, 1.0, v11, s45
	s_delay_alu instid0(VALU_DEP_4) | instskip(NEXT) | instid1(VALU_DEP_2)
	v_fma_f32 v9, v9, v168, v164
	v_mul_f32_e32 v8, v8, v169
	s_delay_alu instid0(VALU_DEP_2) | instskip(NEXT) | instid1(VALU_DEP_2)
	v_fma_f32 v9, v9, v169, v167
	v_mov_b32_dpp v11, v8 row_shr:1 row_mask:0xf bank_mask:0xf
	s_delay_alu instid0(VALU_DEP_2)
	v_mov_b32_dpp v10, v9 row_shr:1 row_mask:0xf bank_mask:0xf
	s_and_saveexec_b32 s46, s0
; %bb.180:                              ;   in Loop: Header=BB122_109 Depth=2
	s_delay_alu instid0(VALU_DEP_2) | instskip(NEXT) | instid1(VALU_DEP_1)
	v_mul_f32_e32 v11, v8, v11
	v_dual_fmac_f32 v9, v8, v10 :: v_dual_mov_b32 v8, v11
; %bb.181:                              ;   in Loop: Header=BB122_109 Depth=2
	s_or_b32 exec_lo, exec_lo, s46
	s_delay_alu instid0(VALU_DEP_1) | instskip(NEXT) | instid1(VALU_DEP_2)
	v_mov_b32_dpp v10, v8 row_shr:2 row_mask:0xf bank_mask:0xf
	v_mov_b32_dpp v11, v9 row_shr:2 row_mask:0xf bank_mask:0xf
	s_and_saveexec_b32 s46, s1
; %bb.182:                              ;   in Loop: Header=BB122_109 Depth=2
	s_delay_alu instid0(VALU_DEP_1) | instskip(NEXT) | instid1(VALU_DEP_3)
	v_fmac_f32_e32 v9, v8, v11
	v_mul_f32_e32 v8, v8, v10
; %bb.183:                              ;   in Loop: Header=BB122_109 Depth=2
	s_or_b32 exec_lo, exec_lo, s46
	s_delay_alu instid0(VALU_DEP_1) | instskip(NEXT) | instid1(VALU_DEP_3)
	v_mov_b32_dpp v10, v8 row_shr:4 row_mask:0xf bank_mask:0xf
	v_mov_b32_dpp v11, v9 row_shr:4 row_mask:0xf bank_mask:0xf
	s_and_saveexec_b32 s46, s2
; %bb.184:                              ;   in Loop: Header=BB122_109 Depth=2
	s_delay_alu instid0(VALU_DEP_1) | instskip(NEXT) | instid1(VALU_DEP_3)
	v_fmac_f32_e32 v9, v8, v11
	v_mul_f32_e32 v8, v8, v10
; %bb.185:                              ;   in Loop: Header=BB122_109 Depth=2
	s_or_b32 exec_lo, exec_lo, s46
	s_delay_alu instid0(VALU_DEP_1) | instskip(NEXT) | instid1(VALU_DEP_3)
	v_mov_b32_dpp v10, v8 row_shr:8 row_mask:0xf bank_mask:0xf
	v_mov_b32_dpp v11, v9 row_shr:8 row_mask:0xf bank_mask:0xf
	s_and_saveexec_b32 s46, s3
; %bb.186:                              ;   in Loop: Header=BB122_109 Depth=2
	s_delay_alu instid0(VALU_DEP_1) | instskip(NEXT) | instid1(VALU_DEP_3)
	v_fmac_f32_e32 v9, v8, v11
	v_mul_f32_e32 v8, v8, v10
; %bb.187:                              ;   in Loop: Header=BB122_109 Depth=2
	s_or_b32 exec_lo, exec_lo, s46
	ds_swizzle_b32 v11, v8 offset:swizzle(BROADCAST,32,15)
	ds_swizzle_b32 v10, v9 offset:swizzle(BROADCAST,32,15)
	s_and_saveexec_b32 s46, s4
	s_cbranch_execz .LBB122_189
; %bb.188:                              ;   in Loop: Header=BB122_109 Depth=2
	s_waitcnt lgkmcnt(1)
	v_mul_f32_e32 v11, v8, v11
	s_waitcnt lgkmcnt(0)
	s_delay_alu instid0(VALU_DEP_1)
	v_dual_fmac_f32 v9, v8, v10 :: v_dual_mov_b32 v8, v11
.LBB122_189:                            ;   in Loop: Header=BB122_109 Depth=2
	s_or_b32 exec_lo, exec_lo, s46
	s_and_saveexec_b32 s46, s5
	s_cbranch_execz .LBB122_191
; %bb.190:                              ;   in Loop: Header=BB122_109 Depth=2
	ds_store_b64 v69, v[8:9] offset:8448
.LBB122_191:                            ;   in Loop: Header=BB122_109 Depth=2
	s_or_b32 exec_lo, exec_lo, s46
	s_waitcnt vmcnt(0) lgkmcnt(0)
	s_waitcnt_vscnt null, 0x0
	s_barrier
	buffer_gl0_inv
	s_and_saveexec_b32 s46, s6
	s_cbranch_execz .LBB122_195
; %bb.192:                              ;   in Loop: Header=BB122_109 Depth=2
	ds_load_b64 v[10:11], v70 offset:8448
	s_waitcnt lgkmcnt(0)
	v_mov_b32_dpp v172, v10 row_shr:1 row_mask:0xf bank_mask:0xf
	v_mov_b32_dpp v171, v11 row_shr:1 row_mask:0xf bank_mask:0xf
	v_mov_b32_e32 v170, v10
	s_and_saveexec_b32 s47, s7
; %bb.193:                              ;   in Loop: Header=BB122_109 Depth=2
	s_delay_alu instid0(VALU_DEP_3) | instskip(NEXT) | instid1(VALU_DEP_3)
	v_mul_f32_e32 v170, v10, v172
	v_fmac_f32_e32 v11, v10, v171
	s_delay_alu instid0(VALU_DEP_2)
	v_mov_b32_e32 v10, v170
; %bb.194:                              ;   in Loop: Header=BB122_109 Depth=2
	s_or_b32 exec_lo, exec_lo, s47
	v_mov_b32_dpp v170, v170 row_shr:2 row_mask:0xf bank_mask:0xf
	s_delay_alu instid0(VALU_DEP_3) | instskip(NEXT) | instid1(VALU_DEP_2)
	v_mov_b32_dpp v171, v11 row_shr:2 row_mask:0xf bank_mask:0xf
	v_mul_f32_e32 v170, v10, v170
	s_delay_alu instid0(VALU_DEP_2) | instskip(NEXT) | instid1(VALU_DEP_2)
	v_fma_f32 v171, v10, v171, v11
	v_cndmask_b32_e64 v10, v10, v170, s8
	s_delay_alu instid0(VALU_DEP_2)
	v_cndmask_b32_e64 v11, v11, v171, s8
	ds_store_b64 v70, v[10:11] offset:8448
.LBB122_195:                            ;   in Loop: Header=BB122_109 Depth=2
	s_or_b32 exec_lo, exec_lo, s46
	s_waitcnt lgkmcnt(0)
	s_barrier
	buffer_gl0_inv
                                        ; implicit-def: $vgpr11
	s_and_saveexec_b32 s46, s10
	s_cbranch_execz .LBB122_197
; %bb.196:                              ;   in Loop: Header=BB122_109 Depth=2
	ds_load_b64 v[10:11], v69 offset:8440
	s_waitcnt lgkmcnt(0)
	v_mul_f32_e32 v170, v8, v10
	s_delay_alu instid0(VALU_DEP_1)
	v_dual_fmac_f32 v9, v8, v11 :: v_dual_mov_b32 v8, v170
.LBB122_197:                            ;   in Loop: Header=BB122_109 Depth=2
	s_or_b32 exec_lo, exec_lo, s46
	ds_bpermute_b32 v170, v71, v8
	ds_bpermute_b32 v171, v71, v9
	s_and_saveexec_b32 s46, s9
	s_cbranch_execz .LBB122_201
; %bb.198:                              ;   in Loop: Header=BB122_109 Depth=2
	ds_load_b64 v[8:9], v21 offset:8472
	s_and_saveexec_b32 s47, s11
	s_cbranch_execz .LBB122_200
; %bb.199:                              ;   in Loop: Header=BB122_109 Depth=2
	ds_store_b64 v21, v[16:17] offset:8472
.LBB122_200:                            ;   in Loop: Header=BB122_109 Depth=2
	s_or_b32 exec_lo, exec_lo, s47
	s_waitcnt lgkmcnt(0)
	v_fmac_f32_e32 v9, v17, v8
	s_delay_alu instid0(VALU_DEP_1)
	v_dual_mul_f32 v16, v16, v8 :: v_dual_mov_b32 v17, v9
.LBB122_201:                            ;   in Loop: Header=BB122_109 Depth=2
	s_or_b32 exec_lo, exec_lo, s46
	s_waitcnt lgkmcnt(0)
	s_barrier
	buffer_gl0_inv
	ds_load_b32 v8, v21 offset:8476
	s_and_saveexec_b32 s46, s11
	s_cbranch_execz .LBB122_108
; %bb.202:                              ;   in Loop: Header=BB122_109 Depth=2
	v_mov_b32_e32 v9, s89
	s_and_not1_b32 vcc_lo, exec_lo, s87
	ds_store_b64 v9, v[16:17]
	s_cbranch_vccnz .LBB122_108
; %bb.203:                              ;   in Loop: Header=BB122_109 Depth=2
	s_mov_b32 s61, s65
	s_delay_alu instid0(SALU_CYCLE_1) | instskip(NEXT) | instid1(SALU_CYCLE_1)
	s_lshl_b64 s[90:91], s[60:61], 2
	s_add_u32 s90, s76, s90
	s_addc_u32 s91, s77, s91
	global_store_b32 v21, v17, s[90:91]
	s_branch .LBB122_108
.LBB122_204:                            ;   in Loop: Header=BB122_12 Depth=1
	v_cvt_f16_f32_e32 v0, v121
	v_cvt_f16_f32_e32 v4, v120
	;; [unrolled: 1-line block ×16, first 2 shown]
	v_pack_b32_f16 v3, v3, v7
	v_pack_b32_f16 v2, v2, v6
	;; [unrolled: 1-line block ×8, first 2 shown]
	s_waitcnt_vscnt null, 0x0
	s_barrier
	buffer_gl0_inv
	ds_store_b128 v52, v[0:3]
	ds_store_b128 v52, v[4:7] offset:16
	; wave barrier
	ds_load_u16 v16, v37 offset:64
	ds_load_u16 v15, v38 offset:128
	;; [unrolled: 1-line block ×15, first 2 shown]
	s_mov_b32 s51, s65
	s_delay_alu instid0(SALU_CYCLE_1) | instskip(NEXT) | instid1(SALU_CYCLE_1)
	s_lshl_b64 s[30:31], s[50:51], 1
	v_add_co_u32 v0, vcc_lo, v72, s30
	v_add_co_ci_u32_e32 v1, vcc_lo, s31, v73, vcc_lo
	s_and_saveexec_b32 s29, s13
	s_cbranch_execnz .LBB122_222
; %bb.205:                              ;   in Loop: Header=BB122_12 Depth=1
	s_or_b32 exec_lo, exec_lo, s29
	s_and_saveexec_b32 s13, s14
	s_cbranch_execnz .LBB122_223
.LBB122_206:                            ;   in Loop: Header=BB122_12 Depth=1
	s_or_b32 exec_lo, exec_lo, s13
	s_and_saveexec_b32 s13, s15
	s_cbranch_execnz .LBB122_224
.LBB122_207:                            ;   in Loop: Header=BB122_12 Depth=1
	s_or_b32 exec_lo, exec_lo, s13
	s_and_saveexec_b32 s13, s16
	s_cbranch_execnz .LBB122_225
.LBB122_208:                            ;   in Loop: Header=BB122_12 Depth=1
	s_or_b32 exec_lo, exec_lo, s13
	s_and_saveexec_b32 s13, s17
	s_cbranch_execnz .LBB122_226
.LBB122_209:                            ;   in Loop: Header=BB122_12 Depth=1
	s_or_b32 exec_lo, exec_lo, s13
	s_and_saveexec_b32 s13, s18
	s_cbranch_execnz .LBB122_227
.LBB122_210:                            ;   in Loop: Header=BB122_12 Depth=1
	s_or_b32 exec_lo, exec_lo, s13
	s_and_saveexec_b32 s13, s19
	s_cbranch_execnz .LBB122_228
.LBB122_211:                            ;   in Loop: Header=BB122_12 Depth=1
	s_or_b32 exec_lo, exec_lo, s13
	s_and_saveexec_b32 s13, s20
	s_cbranch_execnz .LBB122_229
.LBB122_212:                            ;   in Loop: Header=BB122_12 Depth=1
	s_or_b32 exec_lo, exec_lo, s13
	s_and_saveexec_b32 s13, s21
	s_cbranch_execnz .LBB122_230
.LBB122_213:                            ;   in Loop: Header=BB122_12 Depth=1
	s_or_b32 exec_lo, exec_lo, s13
	s_and_saveexec_b32 s13, s22
	s_cbranch_execnz .LBB122_231
.LBB122_214:                            ;   in Loop: Header=BB122_12 Depth=1
	s_or_b32 exec_lo, exec_lo, s13
	s_and_saveexec_b32 s13, s23
	s_cbranch_execnz .LBB122_232
.LBB122_215:                            ;   in Loop: Header=BB122_12 Depth=1
	s_or_b32 exec_lo, exec_lo, s13
	s_and_saveexec_b32 s13, s24
	s_cbranch_execnz .LBB122_233
.LBB122_216:                            ;   in Loop: Header=BB122_12 Depth=1
	s_or_b32 exec_lo, exec_lo, s13
	s_and_saveexec_b32 s13, s25
	s_cbranch_execnz .LBB122_234
.LBB122_217:                            ;   in Loop: Header=BB122_12 Depth=1
	s_or_b32 exec_lo, exec_lo, s13
	s_and_saveexec_b32 s13, s26
	s_cbranch_execnz .LBB122_235
.LBB122_218:                            ;   in Loop: Header=BB122_12 Depth=1
	s_or_b32 exec_lo, exec_lo, s13
	s_and_saveexec_b32 s13, s27
	s_cbranch_execnz .LBB122_236
.LBB122_219:                            ;   in Loop: Header=BB122_12 Depth=1
	s_or_b32 exec_lo, exec_lo, s13
	s_and_saveexec_b32 s13, s28
	s_cbranch_execz .LBB122_11
	s_branch .LBB122_237
.LBB122_220:                            ;   in Loop: Header=BB122_12 Depth=1
	global_load_u16 v97, v[8:9], off offset:832
	s_or_b32 exec_lo, exec_lo, s29
	s_and_saveexec_b32 s29, s27
	s_cbranch_execz .LBB122_72
.LBB122_221:                            ;   in Loop: Header=BB122_12 Depth=1
	global_load_u16 v96, v[8:9], off offset:896
	s_or_b32 exec_lo, exec_lo, s29
	v_mov_b32_e32 v98, 0
	s_and_saveexec_b32 s29, s28
	s_cbranch_execnz .LBB122_73
	s_branch .LBB122_74
.LBB122_222:                            ;   in Loop: Header=BB122_12 Depth=1
	ds_load_u16 v17, v37
	s_waitcnt lgkmcnt(0)
	global_store_b16 v[0:1], v17, off
	s_or_b32 exec_lo, exec_lo, s29
	s_and_saveexec_b32 s13, s14
	s_cbranch_execz .LBB122_206
.LBB122_223:                            ;   in Loop: Header=BB122_12 Depth=1
	s_waitcnt lgkmcnt(14)
	global_store_b16 v[0:1], v16, off offset:64
	s_or_b32 exec_lo, exec_lo, s13
	s_and_saveexec_b32 s13, s15
	s_cbranch_execz .LBB122_207
.LBB122_224:                            ;   in Loop: Header=BB122_12 Depth=1
	s_waitcnt lgkmcnt(13)
	global_store_b16 v[0:1], v15, off offset:128
	s_or_b32 exec_lo, exec_lo, s13
	s_and_saveexec_b32 s13, s16
	s_cbranch_execz .LBB122_208
.LBB122_225:                            ;   in Loop: Header=BB122_12 Depth=1
	s_waitcnt lgkmcnt(12)
	global_store_b16 v[0:1], v14, off offset:192
	s_or_b32 exec_lo, exec_lo, s13
	s_and_saveexec_b32 s13, s17
	s_cbranch_execz .LBB122_209
.LBB122_226:                            ;   in Loop: Header=BB122_12 Depth=1
	s_waitcnt lgkmcnt(11)
	global_store_b16 v[0:1], v13, off offset:256
	s_or_b32 exec_lo, exec_lo, s13
	s_and_saveexec_b32 s13, s18
	s_cbranch_execz .LBB122_210
.LBB122_227:                            ;   in Loop: Header=BB122_12 Depth=1
	s_waitcnt lgkmcnt(10)
	global_store_b16 v[0:1], v12, off offset:320
	s_or_b32 exec_lo, exec_lo, s13
	s_and_saveexec_b32 s13, s19
	s_cbranch_execz .LBB122_211
.LBB122_228:                            ;   in Loop: Header=BB122_12 Depth=1
	s_waitcnt lgkmcnt(9)
	global_store_b16 v[0:1], v11, off offset:384
	s_or_b32 exec_lo, exec_lo, s13
	s_and_saveexec_b32 s13, s20
	s_cbranch_execz .LBB122_212
.LBB122_229:                            ;   in Loop: Header=BB122_12 Depth=1
	s_waitcnt lgkmcnt(8)
	global_store_b16 v[0:1], v10, off offset:448
	s_or_b32 exec_lo, exec_lo, s13
	s_and_saveexec_b32 s13, s21
	s_cbranch_execz .LBB122_213
.LBB122_230:                            ;   in Loop: Header=BB122_12 Depth=1
	s_waitcnt lgkmcnt(7)
	global_store_b16 v[0:1], v9, off offset:512
	s_or_b32 exec_lo, exec_lo, s13
	s_and_saveexec_b32 s13, s22
	s_cbranch_execz .LBB122_214
.LBB122_231:                            ;   in Loop: Header=BB122_12 Depth=1
	s_waitcnt lgkmcnt(6)
	global_store_b16 v[0:1], v8, off offset:576
	s_or_b32 exec_lo, exec_lo, s13
	s_and_saveexec_b32 s13, s23
	s_cbranch_execz .LBB122_215
.LBB122_232:                            ;   in Loop: Header=BB122_12 Depth=1
	s_waitcnt lgkmcnt(5)
	global_store_b16 v[0:1], v7, off offset:640
	s_or_b32 exec_lo, exec_lo, s13
	s_and_saveexec_b32 s13, s24
	s_cbranch_execz .LBB122_216
.LBB122_233:                            ;   in Loop: Header=BB122_12 Depth=1
	s_waitcnt lgkmcnt(4)
	global_store_b16 v[0:1], v6, off offset:704
	s_or_b32 exec_lo, exec_lo, s13
	s_and_saveexec_b32 s13, s25
	s_cbranch_execz .LBB122_217
.LBB122_234:                            ;   in Loop: Header=BB122_12 Depth=1
	s_waitcnt lgkmcnt(3)
	global_store_b16 v[0:1], v5, off offset:768
	s_or_b32 exec_lo, exec_lo, s13
	s_and_saveexec_b32 s13, s26
	s_cbranch_execz .LBB122_218
.LBB122_235:                            ;   in Loop: Header=BB122_12 Depth=1
	s_waitcnt lgkmcnt(2)
	global_store_b16 v[0:1], v4, off offset:832
	s_or_b32 exec_lo, exec_lo, s13
	s_and_saveexec_b32 s13, s27
	s_cbranch_execz .LBB122_219
.LBB122_236:                            ;   in Loop: Header=BB122_12 Depth=1
	s_waitcnt lgkmcnt(1)
	global_store_b16 v[0:1], v3, off offset:896
	s_or_b32 exec_lo, exec_lo, s13
	s_and_saveexec_b32 s13, s28
	s_cbranch_execz .LBB122_11
.LBB122_237:                            ;   in Loop: Header=BB122_12 Depth=1
	s_waitcnt lgkmcnt(0)
	global_store_b16 v[0:1], v2, off offset:960
	s_branch .LBB122_11
.LBB122_238:
	s_nop 0
	s_sendmsg sendmsg(MSG_DEALLOC_VGPRS)
	s_endpgm
	.section	.rodata,"a",@progbits
	.p2align	6, 0x0
	.amdhsa_kernel _Z25selective_scan_fwd_kernelI32Selective_Scan_fwd_kernel_traitsILi128ELi16ELi1ELb1ELb1ELb1ELb0ELb1EN3c104HalfEffEEv13SSMParamsBase
		.amdhsa_group_segment_fixed_size 0
		.amdhsa_private_segment_fixed_size 0
		.amdhsa_kernarg_size 248
		.amdhsa_user_sgpr_count 14
		.amdhsa_user_sgpr_dispatch_ptr 0
		.amdhsa_user_sgpr_queue_ptr 0
		.amdhsa_user_sgpr_kernarg_segment_ptr 1
		.amdhsa_user_sgpr_dispatch_id 0
		.amdhsa_user_sgpr_private_segment_size 0
		.amdhsa_wavefront_size32 1
		.amdhsa_uses_dynamic_stack 0
		.amdhsa_enable_private_segment 0
		.amdhsa_system_sgpr_workgroup_id_x 1
		.amdhsa_system_sgpr_workgroup_id_y 1
		.amdhsa_system_sgpr_workgroup_id_z 0
		.amdhsa_system_sgpr_workgroup_info 0
		.amdhsa_system_vgpr_workitem_id 0
		.amdhsa_next_free_vgpr 173
		.amdhsa_next_free_sgpr 92
		.amdhsa_reserve_vcc 1
		.amdhsa_float_round_mode_32 0
		.amdhsa_float_round_mode_16_64 0
		.amdhsa_float_denorm_mode_32 3
		.amdhsa_float_denorm_mode_16_64 3
		.amdhsa_dx10_clamp 1
		.amdhsa_ieee_mode 1
		.amdhsa_fp16_overflow 0
		.amdhsa_workgroup_processor_mode 1
		.amdhsa_memory_ordered 1
		.amdhsa_forward_progress 0
		.amdhsa_shared_vgpr_count 0
		.amdhsa_exception_fp_ieee_invalid_op 0
		.amdhsa_exception_fp_denorm_src 0
		.amdhsa_exception_fp_ieee_div_zero 0
		.amdhsa_exception_fp_ieee_overflow 0
		.amdhsa_exception_fp_ieee_underflow 0
		.amdhsa_exception_fp_ieee_inexact 0
		.amdhsa_exception_int_div_zero 0
	.end_amdhsa_kernel
	.section	.text._Z25selective_scan_fwd_kernelI32Selective_Scan_fwd_kernel_traitsILi128ELi16ELi1ELb1ELb1ELb1ELb0ELb1EN3c104HalfEffEEv13SSMParamsBase,"axG",@progbits,_Z25selective_scan_fwd_kernelI32Selective_Scan_fwd_kernel_traitsILi128ELi16ELi1ELb1ELb1ELb1ELb0ELb1EN3c104HalfEffEEv13SSMParamsBase,comdat
.Lfunc_end122:
	.size	_Z25selective_scan_fwd_kernelI32Selective_Scan_fwd_kernel_traitsILi128ELi16ELi1ELb1ELb1ELb1ELb0ELb1EN3c104HalfEffEEv13SSMParamsBase, .Lfunc_end122-_Z25selective_scan_fwd_kernelI32Selective_Scan_fwd_kernel_traitsILi128ELi16ELi1ELb1ELb1ELb1ELb0ELb1EN3c104HalfEffEEv13SSMParamsBase
                                        ; -- End function
	.section	.AMDGPU.csdata,"",@progbits
; Kernel info:
; codeLenInByte = 21472
; NumSgprs: 94
; NumVgprs: 173
; ScratchSize: 0
; MemoryBound: 0
; FloatMode: 240
; IeeeMode: 1
; LDSByteSize: 0 bytes/workgroup (compile time only)
; SGPRBlocks: 11
; VGPRBlocks: 21
; NumSGPRsForWavesPerEU: 94
; NumVGPRsForWavesPerEU: 173
; Occupancy: 8
; WaveLimiterHint : 1
; COMPUTE_PGM_RSRC2:SCRATCH_EN: 0
; COMPUTE_PGM_RSRC2:USER_SGPR: 14
; COMPUTE_PGM_RSRC2:TRAP_HANDLER: 0
; COMPUTE_PGM_RSRC2:TGID_X_EN: 1
; COMPUTE_PGM_RSRC2:TGID_Y_EN: 1
; COMPUTE_PGM_RSRC2:TGID_Z_EN: 0
; COMPUTE_PGM_RSRC2:TIDIG_COMP_CNT: 0
	.section	.text._Z25selective_scan_fwd_kernelI32Selective_Scan_fwd_kernel_traitsILi128ELi16ELi1ELb1ELb1ELb1ELb0ELb0EN3c104HalfEffEEv13SSMParamsBase,"axG",@progbits,_Z25selective_scan_fwd_kernelI32Selective_Scan_fwd_kernel_traitsILi128ELi16ELi1ELb1ELb1ELb1ELb0ELb0EN3c104HalfEffEEv13SSMParamsBase,comdat
	.protected	_Z25selective_scan_fwd_kernelI32Selective_Scan_fwd_kernel_traitsILi128ELi16ELi1ELb1ELb1ELb1ELb0ELb0EN3c104HalfEffEEv13SSMParamsBase ; -- Begin function _Z25selective_scan_fwd_kernelI32Selective_Scan_fwd_kernel_traitsILi128ELi16ELi1ELb1ELb1ELb1ELb0ELb0EN3c104HalfEffEEv13SSMParamsBase
	.globl	_Z25selective_scan_fwd_kernelI32Selective_Scan_fwd_kernel_traitsILi128ELi16ELi1ELb1ELb1ELb1ELb0ELb0EN3c104HalfEffEEv13SSMParamsBase
	.p2align	8
	.type	_Z25selective_scan_fwd_kernelI32Selective_Scan_fwd_kernel_traitsILi128ELi16ELi1ELb1ELb1ELb1ELb0ELb0EN3c104HalfEffEEv13SSMParamsBase,@function
_Z25selective_scan_fwd_kernelI32Selective_Scan_fwd_kernel_traitsILi128ELi16ELi1ELb1ELb1ELb1ELb0ELb0EN3c104HalfEffEEv13SSMParamsBase: ; @_Z25selective_scan_fwd_kernelI32Selective_Scan_fwd_kernel_traitsILi128ELi16ELi1ELb1ELb1ELb1ELb0ELb0EN3c104HalfEffEEv13SSMParamsBase
; %bb.0:
	s_clause 0x1
	s_load_b32 s9, s[0:1], 0x18
	s_load_b128 s[4:7], s[0:1], 0xe8
	s_mov_b32 s54, s15
	s_mov_b32 s56, 0
	s_waitcnt lgkmcnt(0)
	s_abs_i32 s8, s9
	s_cmp_eq_u64 s[6:7], 0
	v_cvt_f32_u32_e32 v1, s8
	s_delay_alu instid0(VALU_DEP_1) | instskip(SKIP_2) | instid1(VALU_DEP_1)
	v_rcp_iflag_f32_e32 v1, v1
	s_waitcnt_depctr 0xfff
	v_mul_f32_e32 v1, 0x4f7ffffe, v1
	v_cvt_u32_f32_e32 v1, v1
	s_delay_alu instid0(VALU_DEP_1)
	v_readfirstlane_b32 s10, v1
	s_cbranch_scc1 .LBB123_2
; %bb.1:
	v_mov_b32_e32 v1, 0
	s_ashr_i32 s3, s14, 31
	s_add_u32 s2, s6, s14
	s_addc_u32 s3, s7, s3
	global_load_u8 v1, v1, s[2:3]
	s_waitcnt vmcnt(0)
	v_and_b32_e32 v1, 1, v1
	s_delay_alu instid0(VALU_DEP_1)
	v_cmp_eq_u32_e64 s56, 1, v1
.LBB123_2:
	s_load_b64 s[6:7], s[0:1], 0x20
	s_cmp_eq_u64 s[4:5], 0
	s_cbranch_scc1 .LBB123_4
; %bb.3:
	s_ashr_i32 s15, s14, 31
	s_delay_alu instid0(SALU_CYCLE_1) | instskip(NEXT) | instid1(SALU_CYCLE_1)
	s_lshl_b64 s[2:3], s[14:15], 2
	s_add_u32 s2, s4, s2
	s_addc_u32 s3, s5, s3
	s_load_b32 s2, s[2:3], 0x0
	s_waitcnt lgkmcnt(0)
	s_ashr_i32 s3, s2, 31
	s_delay_alu instid0(SALU_CYCLE_1)
	s_cmp_eq_u64 s[6:7], s[2:3]
	s_cbranch_scc0 .LBB123_5
	s_branch .LBB123_86
.LBB123_4:
	s_mov_b32 s2, s14
	s_delay_alu instid0(SALU_CYCLE_1)
	s_ashr_i32 s3, s2, 31
	s_waitcnt lgkmcnt(0)
	s_cmp_eq_u64 s[6:7], s[2:3]
	s_cbranch_scc1 .LBB123_86
.LBB123_5:
	s_clause 0x1
	s_load_b512 s[16:31], s[0:1], 0x88
	s_load_b64 s[34:35], s[0:1], 0x8
	s_mov_b32 s57, 0
	s_mov_b32 s58, 0
	s_waitcnt lgkmcnt(0)
	s_cmp_eq_u64 s[22:23], 0
	s_cbranch_scc1 .LBB123_7
; %bb.6:
	s_ashr_i32 s55, s54, 31
	s_delay_alu instid0(SALU_CYCLE_1) | instskip(NEXT) | instid1(SALU_CYCLE_1)
	s_lshl_b64 s[4:5], s[54:55], 2
	s_add_u32 s4, s22, s4
	s_addc_u32 s5, s23, s5
	s_load_b32 s58, s[4:5], 0x0
.LBB123_7:
	s_cmp_eq_u64 s[28:29], 0
	s_cbranch_scc1 .LBB123_9
; %bb.8:
	s_ashr_i32 s55, s54, 31
	s_delay_alu instid0(SALU_CYCLE_1) | instskip(NEXT) | instid1(SALU_CYCLE_1)
	s_lshl_b64 s[4:5], s[54:55], 2
	s_add_u32 s4, s28, s4
	s_addc_u32 s5, s29, s5
	s_load_b32 s57, s[4:5], 0x0
.LBB123_9:
	s_cmp_lt_i32 s34, 1
	s_cbranch_scc1 .LBB123_86
; %bb.10:
	s_sub_i32 s3, 0, s8
	s_clause 0x1
	s_load_b64 s[4:5], s[0:1], 0x5c
	s_load_b128 s[44:47], s[0:1], 0x4c
	s_mul_i32 s3, s3, s10
	s_abs_i32 s6, s54
	s_mul_hi_u32 s3, s10, s3
	s_ashr_i32 s9, s9, 31
	s_add_i32 s10, s10, s3
	s_ashr_i32 s3, s54, 31
	s_mul_hi_u32 s7, s6, s10
	s_xor_b32 s3, s3, s9
	s_mul_i32 s10, s7, s8
	s_add_i32 s9, s7, 1
	s_sub_i32 s6, s6, s10
	s_load_b256 s[36:43], s[0:1], 0x2c
	s_sub_i32 s10, s6, s8
	s_cmp_ge_u32 s6, s8
	s_mov_b32 s53, 0
	s_cselect_b32 s7, s9, s7
	s_cselect_b32 s6, s10, s6
	s_add_i32 s9, s7, 1
	s_cmp_ge_u32 s6, s8
	s_waitcnt lgkmcnt(0)
	s_mul_i32 s52, s46, s14
	s_cselect_b32 s6, s9, s7
	s_load_b128 s[48:51], s[0:1], 0x7c
	s_xor_b32 s8, s6, s3
	s_lshl_b64 s[6:7], s[52:53], 1
	s_sub_i32 s3, s8, s3
	s_mul_i32 s52, s47, s54
	s_add_u32 s8, s24, s6
	s_addc_u32 s9, s25, s7
	s_lshl_b64 s[6:7], s[52:53], 1
	s_mul_i32 s52, s4, s14
	s_add_u32 s55, s8, s6
	s_addc_u32 s59, s9, s7
	s_lshl_b64 s[6:7], s[52:53], 1
	;; [unrolled: 4-line block ×3, first 2 shown]
	s_mul_i32 s52, s36, s54
	s_add_u32 s60, s6, s4
	s_addc_u32 s36, s7, s5
	s_load_b64 s[6:7], s[0:1], 0xc8
	s_lshl_b64 s[4:5], s[52:53], 2
	s_mul_i32 s52, s38, s14
	s_add_u32 s61, s16, s4
	s_waitcnt lgkmcnt(0)
	s_addc_u32 s51, s17, s5
	s_load_b64 s[16:17], s[0:1], 0x6c
	s_lshl_b64 s[4:5], s[52:53], 1
	s_mul_i32 s52, s3, s41
	s_add_u32 s8, s18, s4
	s_addc_u32 s9, s19, s5
	s_lshl_b64 s[4:5], s[52:53], 1
	s_mul_i32 s52, s42, s14
	s_add_u32 s41, s8, s4
	s_addc_u32 s62, s9, s5
	;; [unrolled: 4-line block ×3, first 2 shown]
	s_lshl_b64 s[4:5], s[52:53], 1
	s_mul_i32 s52, s2, s48
	v_dual_mov_b32 v34, 0 :: v_dual_lshlrev_b32 v1, 1, v0
	s_add_u32 s45, s8, s4
	s_addc_u32 s63, s3, s5
	s_lshl_b64 s[2:3], s[52:53], 2
	v_mbcnt_lo_u32_b32 v2, -1, 0
	s_add_u32 s4, s6, s2
	s_load_b32 s6, s[0:1], 0x28
	v_and_b32_e32 v1, 0xc0, v1
	v_and_b32_e32 v4, 0x60, v0
	s_mul_i32 s52, s49, s54
	s_addc_u32 s5, s7, s3
	s_lshl_b64 s[2:3], s[52:53], 2
	v_or_b32_e32 v3, v2, v1
	s_add_u32 s64, s4, s2
	v_lshrrev_b32_e32 v5, 5, v1
	v_or_b32_e32 v7, v2, v4
	s_addc_u32 s65, s5, s3
	v_or_b32_e32 v6, 32, v3
	s_add_i32 s0, s34, 0x7ff
	v_add_nc_u32_e32 v5, v5, v3
	s_lshr_b32 s66, s0, 11
	v_cmp_gt_u32_e64 s0, 0x100, v3
	v_lshrrev_b32_e32 v8, 5, v6
	v_lshlrev_b32_e32 v9, 1, v7
	v_bfe_u32 v7, v7, 4, 27
	v_lshl_add_u32 v35, v5, 4, 0
	s_waitcnt lgkmcnt(0)
	s_bitcmp1_b32 s6, 0
	v_add_lshl_u32 v3, v8, v3, 4
	s_cselect_b32 s67, -1, 0
	s_cmp_gt_i32 s35, 0
	v_add_lshl_u32 v5, v7, v9, 4
	s_cselect_b32 s68, -1, 0
	s_add_i32 s2, 0, 0x1080
	v_add_nc_u32_e32 v36, 0, v3
	v_add_nc_u32_e32 v38, s2, v3
	v_and_b32_e32 v3, 15, v2
	s_and_b32 s3, s34, 0x7ff
	v_add_nc_u32_e32 v39, s2, v5
	s_cmp_eq_u32 s3, 0
	s_mul_i32 s52, s16, s14
	v_cmp_ne_u32_e64 s2, 0, v3
	v_cmp_lt_u32_e64 s3, 1, v3
	v_cmp_lt_u32_e64 s4, 3, v3
	;; [unrolled: 1-line block ×3, first 2 shown]
	v_add_nc_u32_e32 v3, -1, v2
	s_cselect_b32 s69, -1, 0
	s_lshl_b64 s[14:15], s[52:53], 1
	s_add_i32 s70, s66, -1
	s_mul_i32 s52, s17, s54
	v_cmp_gt_i32_e32 vcc_lo, 0, v3
	v_add_nc_u32_e32 v37, 0, v5
	v_lshlrev_b32_e32 v40, 4, v0
	v_lshrrev_b32_e32 v5, 2, v0
	v_cmp_gt_u32_e64 s8, 4, v0
	v_cndmask_b32_e32 v3, v3, v2, vcc_lo
	v_or_b32_e32 v4, 31, v4
	v_lshl_add_u32 v42, v0, 3, 0
	v_cmp_gt_u32_e64 s11, 32, v0
	v_cmp_lt_u32_e64 s12, 31, v0
	v_cmp_eq_u32_e64 s13, 0, v0
	v_cmp_eq_u32_e64 s7, v4, v0
	s_add_u32 s16, s30, s14
	v_lshlrev_b32_e32 v0, 4, v2
	s_addc_u32 s17, s31, s15
	s_lshl_b64 s[14:15], s[52:53], 1
	v_and_b32_e32 v4, 3, v2
	s_add_u32 s14, s16, s14
	v_lshlrev_b32_e32 v43, 2, v3
	s_addc_u32 s15, s17, s15
	v_lshlrev_b32_e32 v3, 4, v1
	v_add_co_u32 v0, s14, s14, v0
	v_cmp_gt_u32_e64 s1, 0x100, v6
	v_and_b32_e32 v6, 16, v2
	v_and_b32_e32 v5, 24, v5
	v_cmp_ne_u32_e64 s9, 0, v4
	v_cmp_lt_u32_e64 s10, 1, v4
	v_add_co_ci_u32_e64 v4, null, s15, 0, s14
	v_add_co_u32 v44, vcc_lo, v0, v3
	v_cmp_ne_u32_e64 s6, 0, v6
	v_add_nc_u32_e32 v41, 0, v5
	v_cmp_eq_u32_e64 s14, 0, v2
	v_add_co_ci_u32_e32 v45, vcc_lo, 0, v4, vcc_lo
	v_or_b32_e32 v46, 1, v40
	v_or_b32_e32 v47, 2, v40
	;; [unrolled: 1-line block ×15, first 2 shown]
	v_lshlrev_b32_e32 v61, 4, v2
	v_lshlrev_b32_e32 v62, 4, v1
	s_mov_b32 s54, 0x3e9b6dac
	s_add_i32 s71, 0, 0x2120
	s_mov_b32 s72, 0
                                        ; implicit-def: $vgpr4
                                        ; implicit-def: $vgpr0
                                        ; implicit-def: $vgpr12
                                        ; implicit-def: $vgpr8
	s_branch .LBB123_12
.LBB123_11:                             ;   in Loop: Header=BB123_12 Depth=1
	v_cvt_f16_f32_e32 v16, v94
	v_cvt_f16_f32_e32 v20, v93
	v_cvt_f16_f32_e32 v17, v92
	v_cvt_f16_f32_e32 v21, v91
	v_cvt_f16_f32_e32 v18, v88
	v_cvt_f16_f32_e32 v22, v90
	v_cvt_f16_f32_e32 v19, v85
	v_cvt_f16_f32_e32 v23, v86
	v_cvt_f16_f32_e32 v24, v83
	v_cvt_f16_f32_e32 v25, v84
	v_cvt_f16_f32_e32 v26, v81
	v_cvt_f16_f32_e32 v27, v82
	v_cvt_f16_f32_e32 v28, v79
	v_cvt_f16_f32_e32 v29, v80
	v_cvt_f16_f32_e32 v30, v89
	v_cvt_f16_f32_e32 v31, v78
	v_pack_b32_f16 v19, v23, v19
	v_pack_b32_f16 v18, v22, v18
	;; [unrolled: 1-line block ×8, first 2 shown]
	s_waitcnt_vscnt null, 0x0
	s_barrier
	buffer_gl0_inv
	ds_store_b128 v37, v[16:19]
	ds_store_b128 v37, v[20:23] offset:16
	; wave barrier
	ds_load_b128 v[16:19], v35
	ds_load_b128 v[20:23], v36 offset:512
	s_add_u32 s60, s60, 0x1000
	s_addc_u32 s36, s36, 0
	s_mov_b32 s39, s53
	s_add_u32 s55, s55, 0x1000
	s_addc_u32 s59, s59, 0
	s_lshl_b64 s[16:17], s[38:39], 1
	s_add_u32 s41, s41, 0x1000
	v_add_co_u32 v24, vcc_lo, v44, s16
	s_addc_u32 s62, s62, 0
	v_add_co_ci_u32_e32 v25, vcc_lo, s17, v45, vcc_lo
	s_add_u32 s45, s45, 0x1000
	s_addc_u32 s63, s63, 0
	s_add_i32 s72, s72, 1
	s_delay_alu instid0(SALU_CYCLE_1)
	s_cmp_eq_u32 s72, s66
	s_waitcnt lgkmcnt(1)
	v_lshrrev_b32_e32 v28, 16, v19
	v_alignbit_b32 v27, v18, v17, 16
	v_alignbit_b32 v26, v17, v16, 16
	;; [unrolled: 1-line block ×3, first 2 shown]
	s_clause 0x3
	global_store_b16 v[24:25], v16, off
	global_store_b16 v[24:25], v28, off offset:14
	global_store_b32 v[24:25], v17, off offset:10
	global_store_b64 v[24:25], v[26:27], off offset:2
	s_waitcnt lgkmcnt(0)
	global_store_b128 v[24:25], v[20:23], off offset:512
	s_cbranch_scc1 .LBB123_86
.LBB123_12:                             ; =>This Loop Header: Depth=1
                                        ;     Child Loop BB123_55 Depth 2
	v_add_co_u32 v16, s15, s55, v61
	s_delay_alu instid0(VALU_DEP_1) | instskip(NEXT) | instid1(VALU_DEP_2)
	v_add_co_ci_u32_e64 v17, null, s59, 0, s15
	v_add_co_u32 v16, vcc_lo, v16, v62
	s_delay_alu instid0(VALU_DEP_2)
	v_add_co_ci_u32_e32 v17, vcc_lo, 0, v17, vcc_lo
	s_waitcnt_vscnt null, 0x0
	s_barrier
	buffer_gl0_inv
	s_and_saveexec_b32 s15, s0
	s_cbranch_execz .LBB123_14
; %bb.13:                               ;   in Loop: Header=BB123_12 Depth=1
	global_load_b128 v[12:15], v[16:17], off
.LBB123_14:                             ;   in Loop: Header=BB123_12 Depth=1
	s_or_b32 exec_lo, exec_lo, s15
	s_and_saveexec_b32 s15, s1
	s_cbranch_execz .LBB123_16
; %bb.15:                               ;   in Loop: Header=BB123_12 Depth=1
	global_load_b128 v[8:11], v[16:17], off offset:512
.LBB123_16:                             ;   in Loop: Header=BB123_12 Depth=1
	s_or_b32 exec_lo, exec_lo, s15
	s_waitcnt vmcnt(0)
	ds_store_b128 v35, v[12:15]
	ds_store_b128 v36, v[8:11] offset:512
	; wave barrier
	ds_load_b128 v[12:15], v37
	ds_load_b128 v[8:11], v37 offset:16
	v_add_co_u32 v16, s15, s60, v61
	s_delay_alu instid0(VALU_DEP_1) | instskip(SKIP_1) | instid1(VALU_DEP_2)
	v_add_co_ci_u32_e64 v17, null, s36, 0, s15
	s_waitcnt lgkmcnt(0)
	v_add_co_u32 v16, vcc_lo, v16, v62
	s_delay_alu instid0(VALU_DEP_2)
	v_add_co_ci_u32_e32 v17, vcc_lo, 0, v17, vcc_lo
	s_barrier
	buffer_gl0_inv
	s_and_saveexec_b32 s15, s0
	s_cbranch_execz .LBB123_18
; %bb.17:                               ;   in Loop: Header=BB123_12 Depth=1
	global_load_b128 v[4:7], v[16:17], off
.LBB123_18:                             ;   in Loop: Header=BB123_12 Depth=1
	s_or_b32 exec_lo, exec_lo, s15
	s_and_saveexec_b32 s15, s1
	s_cbranch_execz .LBB123_20
; %bb.19:                               ;   in Loop: Header=BB123_12 Depth=1
	global_load_b128 v[0:3], v[16:17], off offset:512
.LBB123_20:                             ;   in Loop: Header=BB123_12 Depth=1
	s_or_b32 exec_lo, exec_lo, s15
	s_waitcnt vmcnt(0)
	ds_store_b128 v35, v[4:7]
	ds_store_b128 v36, v[0:3] offset:512
	; wave barrier
	ds_load_b128 v[4:7], v37
	ds_load_b128 v[0:3], v37 offset:16
	s_waitcnt lgkmcnt(1)
	v_cvt_f32_f16_e32 v16, v4
	s_delay_alu instid0(VALU_DEP_1) | instskip(NEXT) | instid1(VALU_DEP_1)
	v_add_f32_e32 v63, s57, v16
	v_cmp_ge_f32_e32 vcc_lo, 0x41a00000, v63
	s_and_b32 s15, s67, vcc_lo
	s_delay_alu instid0(SALU_CYCLE_1)
	s_and_saveexec_b32 s16, s15
	s_cbranch_execz .LBB123_22
; %bb.21:                               ;   in Loop: Header=BB123_12 Depth=1
	v_mul_f32_e32 v16, 0x3fb8aa3b, v63
	v_cmp_ngt_f32_e32 vcc_lo, 0xc2ce8ed0, v63
	s_delay_alu instid0(VALU_DEP_2) | instskip(SKIP_1) | instid1(VALU_DEP_2)
	v_rndne_f32_e32 v17, v16
	v_fma_f32 v18, 0x3fb8aa3b, v63, -v16
	v_sub_f32_e32 v16, v16, v17
	s_delay_alu instid0(VALU_DEP_2) | instskip(SKIP_1) | instid1(VALU_DEP_2)
	v_fmac_f32_e32 v18, 0x32a5705f, v63
	v_cvt_i32_f32_e32 v17, v17
	v_add_f32_e32 v16, v16, v18
	s_delay_alu instid0(VALU_DEP_1) | instskip(SKIP_2) | instid1(VALU_DEP_1)
	v_exp_f32_e32 v16, v16
	s_waitcnt_depctr 0xfff
	v_ldexp_f32 v16, v16, v17
	v_cndmask_b32_e32 v16, 0, v16, vcc_lo
	v_cmp_nlt_f32_e32 vcc_lo, 0x42b17218, v63
	s_delay_alu instid0(VALU_DEP_2) | instskip(NEXT) | instid1(VALU_DEP_1)
	v_cndmask_b32_e32 v18, 0x7f800000, v16, vcc_lo
	v_add_f32_e32 v19, 1.0, v18
	s_delay_alu instid0(VALU_DEP_1) | instskip(NEXT) | instid1(VALU_DEP_1)
	v_cvt_f64_f32_e32 v[16:17], v19
	v_frexp_exp_i32_f64_e32 v16, v[16:17]
	v_frexp_mant_f32_e32 v17, v19
	s_delay_alu instid0(VALU_DEP_1) | instskip(SKIP_1) | instid1(VALU_DEP_1)
	v_cmp_gt_f32_e32 vcc_lo, 0x3f2aaaab, v17
	v_add_f32_e32 v17, -1.0, v19
	v_sub_f32_e32 v21, v17, v19
	v_sub_f32_e32 v17, v18, v17
	s_delay_alu instid0(VALU_DEP_2) | instskip(NEXT) | instid1(VALU_DEP_1)
	v_add_f32_e32 v21, 1.0, v21
	v_add_f32_e32 v17, v17, v21
	v_cmp_gt_f32_e64 s15, 0x33800000, v18
	v_subrev_co_ci_u32_e32 v16, vcc_lo, 0, v16, vcc_lo
	v_cmp_eq_f32_e32 vcc_lo, 0x7f800000, v18
	s_delay_alu instid0(VALU_DEP_2) | instskip(SKIP_2) | instid1(VALU_DEP_2)
	v_sub_nc_u32_e32 v20, 0, v16
	v_cvt_f32_i32_e32 v16, v16
	s_or_b32 vcc_lo, s15, vcc_lo
	v_ldexp_f32 v19, v19, v20
	v_ldexp_f32 v17, v17, v20
	s_delay_alu instid0(VALU_DEP_2) | instskip(NEXT) | instid1(VALU_DEP_1)
	v_add_f32_e32 v22, 1.0, v19
	v_dual_add_f32 v20, -1.0, v19 :: v_dual_add_f32 v21, -1.0, v22
	s_delay_alu instid0(VALU_DEP_1) | instskip(NEXT) | instid1(VALU_DEP_2)
	v_add_f32_e32 v23, 1.0, v20
	v_sub_f32_e32 v21, v19, v21
	s_delay_alu instid0(VALU_DEP_2) | instskip(NEXT) | instid1(VALU_DEP_2)
	v_sub_f32_e32 v19, v19, v23
	v_add_f32_e32 v21, v17, v21
	s_delay_alu instid0(VALU_DEP_2) | instskip(NEXT) | instid1(VALU_DEP_1)
	v_add_f32_e32 v17, v17, v19
	v_add_f32_e32 v24, v20, v17
	s_delay_alu instid0(VALU_DEP_1) | instskip(NEXT) | instid1(VALU_DEP_1)
	v_dual_add_f32 v23, v22, v21 :: v_dual_sub_f32 v20, v20, v24
	v_rcp_f32_e32 v19, v23
	v_sub_f32_e32 v22, v22, v23
	s_delay_alu instid0(VALU_DEP_1) | instskip(SKIP_2) | instid1(VALU_DEP_1)
	v_add_f32_e32 v21, v21, v22
	s_waitcnt_depctr 0xfff
	v_mul_f32_e32 v25, v24, v19
	v_mul_f32_e32 v26, v23, v25
	s_delay_alu instid0(VALU_DEP_1) | instskip(NEXT) | instid1(VALU_DEP_1)
	v_fma_f32 v22, v25, v23, -v26
	v_fmac_f32_e32 v22, v25, v21
	s_delay_alu instid0(VALU_DEP_1) | instskip(NEXT) | instid1(VALU_DEP_1)
	v_add_f32_e32 v27, v26, v22
	v_sub_f32_e32 v28, v24, v27
	s_delay_alu instid0(VALU_DEP_1) | instskip(SKIP_1) | instid1(VALU_DEP_2)
	v_sub_f32_e32 v24, v24, v28
	v_dual_add_f32 v17, v17, v20 :: v_dual_sub_f32 v20, v27, v26
	v_sub_f32_e32 v24, v24, v27
	s_delay_alu instid0(VALU_DEP_1) | instskip(NEXT) | instid1(VALU_DEP_1)
	v_dual_sub_f32 v20, v20, v22 :: v_dual_add_f32 v17, v17, v24
	v_add_f32_e32 v17, v20, v17
	s_delay_alu instid0(VALU_DEP_1) | instskip(NEXT) | instid1(VALU_DEP_1)
	v_add_f32_e32 v20, v28, v17
	v_mul_f32_e32 v22, v19, v20
	s_delay_alu instid0(VALU_DEP_1) | instskip(NEXT) | instid1(VALU_DEP_1)
	v_dual_sub_f32 v27, v28, v20 :: v_dual_mul_f32 v24, v23, v22
	v_add_f32_e32 v17, v17, v27
	s_delay_alu instid0(VALU_DEP_2) | instskip(NEXT) | instid1(VALU_DEP_1)
	v_fma_f32 v23, v22, v23, -v24
	v_fmac_f32_e32 v23, v22, v21
	s_delay_alu instid0(VALU_DEP_1) | instskip(NEXT) | instid1(VALU_DEP_1)
	v_add_f32_e32 v21, v24, v23
	v_sub_f32_e32 v26, v20, v21
	s_delay_alu instid0(VALU_DEP_1) | instskip(NEXT) | instid1(VALU_DEP_1)
	v_sub_f32_e32 v20, v20, v26
	v_sub_f32_e32 v20, v20, v21
	s_delay_alu instid0(VALU_DEP_1) | instskip(SKIP_2) | instid1(VALU_DEP_1)
	v_add_f32_e32 v17, v17, v20
	v_add_f32_e32 v20, v25, v22
	v_sub_f32_e32 v24, v21, v24
	v_sub_f32_e32 v21, v24, v23
	s_delay_alu instid0(VALU_DEP_1) | instskip(NEXT) | instid1(VALU_DEP_4)
	v_add_f32_e32 v17, v21, v17
	v_sub_f32_e32 v21, v20, v25
	s_delay_alu instid0(VALU_DEP_2) | instskip(NEXT) | instid1(VALU_DEP_2)
	v_add_f32_e32 v17, v26, v17
	v_sub_f32_e32 v21, v22, v21
	s_delay_alu instid0(VALU_DEP_2) | instskip(NEXT) | instid1(VALU_DEP_1)
	v_mul_f32_e32 v17, v19, v17
	v_add_f32_e32 v17, v21, v17
	s_delay_alu instid0(VALU_DEP_1) | instskip(NEXT) | instid1(VALU_DEP_1)
	v_add_f32_e32 v19, v20, v17
	v_mul_f32_e32 v21, v19, v19
	s_delay_alu instid0(VALU_DEP_1) | instskip(SKIP_1) | instid1(VALU_DEP_2)
	v_fmaak_f32 v22, s54, v21, 0x3ecc95a3
	v_mul_f32_e32 v23, v19, v21
	v_fmaak_f32 v21, v21, v22, 0x3f2aaada
	v_ldexp_f32 v22, v19, 1
	s_delay_alu instid0(VALU_DEP_2) | instskip(SKIP_1) | instid1(VALU_DEP_2)
	v_mul_f32_e32 v21, v23, v21
	v_sub_f32_e32 v19, v19, v20
	v_dual_mul_f32 v23, 0x3f317218, v16 :: v_dual_add_f32 v20, v22, v21
	s_delay_alu instid0(VALU_DEP_2) | instskip(NEXT) | instid1(VALU_DEP_2)
	v_sub_f32_e32 v17, v17, v19
	v_sub_f32_e32 v19, v20, v22
	s_delay_alu instid0(VALU_DEP_3) | instskip(NEXT) | instid1(VALU_DEP_3)
	v_fma_f32 v22, 0x3f317218, v16, -v23
	v_ldexp_f32 v17, v17, 1
	s_delay_alu instid0(VALU_DEP_2) | instskip(NEXT) | instid1(VALU_DEP_1)
	v_dual_sub_f32 v19, v21, v19 :: v_dual_fmac_f32 v22, 0xb102e308, v16
	v_dual_add_f32 v16, v17, v19 :: v_dual_add_f32 v17, v23, v22
	s_delay_alu instid0(VALU_DEP_1) | instskip(NEXT) | instid1(VALU_DEP_1)
	v_add_f32_e32 v19, v20, v16
	v_dual_add_f32 v21, v17, v19 :: v_dual_sub_f32 v20, v19, v20
	s_delay_alu instid0(VALU_DEP_1) | instskip(NEXT) | instid1(VALU_DEP_2)
	v_sub_f32_e32 v24, v21, v17
	v_dual_sub_f32 v23, v17, v23 :: v_dual_sub_f32 v16, v16, v20
	s_delay_alu instid0(VALU_DEP_1) | instskip(SKIP_1) | instid1(VALU_DEP_2)
	v_dual_sub_f32 v25, v21, v24 :: v_dual_sub_f32 v22, v22, v23
	v_sub_f32_e32 v19, v19, v24
	v_dual_sub_f32 v17, v17, v25 :: v_dual_add_f32 v20, v22, v16
	s_delay_alu instid0(VALU_DEP_1) | instskip(NEXT) | instid1(VALU_DEP_2)
	v_add_f32_e32 v17, v19, v17
	v_sub_f32_e32 v19, v20, v22
	s_delay_alu instid0(VALU_DEP_2) | instskip(NEXT) | instid1(VALU_DEP_2)
	v_add_f32_e32 v17, v20, v17
	v_sub_f32_e32 v20, v20, v19
	s_delay_alu instid0(VALU_DEP_2) | instskip(NEXT) | instid1(VALU_DEP_1)
	v_dual_sub_f32 v16, v16, v19 :: v_dual_add_f32 v23, v21, v17
	v_dual_sub_f32 v20, v22, v20 :: v_dual_sub_f32 v19, v23, v21
	s_delay_alu instid0(VALU_DEP_1) | instskip(NEXT) | instid1(VALU_DEP_1)
	v_dual_add_f32 v16, v16, v20 :: v_dual_sub_f32 v17, v17, v19
	v_add_f32_e32 v16, v16, v17
	s_delay_alu instid0(VALU_DEP_1) | instskip(NEXT) | instid1(VALU_DEP_1)
	v_add_f32_e32 v16, v23, v16
	v_cndmask_b32_e32 v63, v16, v18, vcc_lo
.LBB123_22:                             ;   in Loop: Header=BB123_12 Depth=1
	s_or_b32 exec_lo, exec_lo, s16
	v_lshrrev_b32_e32 v16, 16, v4
	s_delay_alu instid0(VALU_DEP_1) | instskip(NEXT) | instid1(VALU_DEP_1)
	v_cvt_f32_f16_e32 v16, v16
	v_add_f32_e32 v64, s57, v16
	s_delay_alu instid0(VALU_DEP_1) | instskip(SKIP_1) | instid1(SALU_CYCLE_1)
	v_cmp_ge_f32_e32 vcc_lo, 0x41a00000, v64
	s_and_b32 s15, s67, vcc_lo
	s_and_saveexec_b32 s16, s15
	s_cbranch_execz .LBB123_24
; %bb.23:                               ;   in Loop: Header=BB123_12 Depth=1
	v_mul_f32_e32 v16, 0x3fb8aa3b, v64
	v_cmp_ngt_f32_e32 vcc_lo, 0xc2ce8ed0, v64
	s_delay_alu instid0(VALU_DEP_2) | instskip(SKIP_1) | instid1(VALU_DEP_2)
	v_rndne_f32_e32 v17, v16
	v_fma_f32 v18, 0x3fb8aa3b, v64, -v16
	v_sub_f32_e32 v16, v16, v17
	s_delay_alu instid0(VALU_DEP_2) | instskip(SKIP_1) | instid1(VALU_DEP_2)
	v_fmac_f32_e32 v18, 0x32a5705f, v64
	v_cvt_i32_f32_e32 v17, v17
	v_add_f32_e32 v16, v16, v18
	s_delay_alu instid0(VALU_DEP_1) | instskip(SKIP_2) | instid1(VALU_DEP_1)
	v_exp_f32_e32 v16, v16
	s_waitcnt_depctr 0xfff
	v_ldexp_f32 v16, v16, v17
	v_cndmask_b32_e32 v16, 0, v16, vcc_lo
	v_cmp_nlt_f32_e32 vcc_lo, 0x42b17218, v64
	s_delay_alu instid0(VALU_DEP_2) | instskip(NEXT) | instid1(VALU_DEP_1)
	v_cndmask_b32_e32 v18, 0x7f800000, v16, vcc_lo
	v_add_f32_e32 v19, 1.0, v18
	s_delay_alu instid0(VALU_DEP_1) | instskip(NEXT) | instid1(VALU_DEP_1)
	v_cvt_f64_f32_e32 v[16:17], v19
	v_frexp_exp_i32_f64_e32 v16, v[16:17]
	v_frexp_mant_f32_e32 v17, v19
	s_delay_alu instid0(VALU_DEP_1) | instskip(SKIP_1) | instid1(VALU_DEP_1)
	v_cmp_gt_f32_e32 vcc_lo, 0x3f2aaaab, v17
	v_add_f32_e32 v17, -1.0, v19
	v_sub_f32_e32 v21, v17, v19
	v_sub_f32_e32 v17, v18, v17
	s_delay_alu instid0(VALU_DEP_2) | instskip(NEXT) | instid1(VALU_DEP_1)
	v_add_f32_e32 v21, 1.0, v21
	v_add_f32_e32 v17, v17, v21
	v_cmp_gt_f32_e64 s15, 0x33800000, v18
	v_subrev_co_ci_u32_e32 v16, vcc_lo, 0, v16, vcc_lo
	v_cmp_eq_f32_e32 vcc_lo, 0x7f800000, v18
	s_delay_alu instid0(VALU_DEP_2) | instskip(SKIP_2) | instid1(VALU_DEP_2)
	v_sub_nc_u32_e32 v20, 0, v16
	v_cvt_f32_i32_e32 v16, v16
	s_or_b32 vcc_lo, s15, vcc_lo
	v_ldexp_f32 v19, v19, v20
	v_ldexp_f32 v17, v17, v20
	s_delay_alu instid0(VALU_DEP_2) | instskip(NEXT) | instid1(VALU_DEP_1)
	v_add_f32_e32 v22, 1.0, v19
	v_dual_add_f32 v20, -1.0, v19 :: v_dual_add_f32 v21, -1.0, v22
	s_delay_alu instid0(VALU_DEP_1) | instskip(NEXT) | instid1(VALU_DEP_2)
	v_add_f32_e32 v23, 1.0, v20
	v_sub_f32_e32 v21, v19, v21
	s_delay_alu instid0(VALU_DEP_2) | instskip(NEXT) | instid1(VALU_DEP_2)
	v_sub_f32_e32 v19, v19, v23
	v_add_f32_e32 v21, v17, v21
	s_delay_alu instid0(VALU_DEP_2) | instskip(NEXT) | instid1(VALU_DEP_1)
	v_add_f32_e32 v17, v17, v19
	v_add_f32_e32 v24, v20, v17
	s_delay_alu instid0(VALU_DEP_1) | instskip(NEXT) | instid1(VALU_DEP_1)
	v_dual_add_f32 v23, v22, v21 :: v_dual_sub_f32 v20, v20, v24
	v_rcp_f32_e32 v19, v23
	v_sub_f32_e32 v22, v22, v23
	s_delay_alu instid0(VALU_DEP_1) | instskip(SKIP_2) | instid1(VALU_DEP_1)
	v_add_f32_e32 v21, v21, v22
	s_waitcnt_depctr 0xfff
	v_mul_f32_e32 v25, v24, v19
	v_mul_f32_e32 v26, v23, v25
	s_delay_alu instid0(VALU_DEP_1) | instskip(NEXT) | instid1(VALU_DEP_1)
	v_fma_f32 v22, v25, v23, -v26
	v_fmac_f32_e32 v22, v25, v21
	s_delay_alu instid0(VALU_DEP_1) | instskip(NEXT) | instid1(VALU_DEP_1)
	v_add_f32_e32 v27, v26, v22
	v_sub_f32_e32 v28, v24, v27
	s_delay_alu instid0(VALU_DEP_1) | instskip(SKIP_1) | instid1(VALU_DEP_2)
	v_sub_f32_e32 v24, v24, v28
	v_dual_add_f32 v17, v17, v20 :: v_dual_sub_f32 v20, v27, v26
	v_sub_f32_e32 v24, v24, v27
	s_delay_alu instid0(VALU_DEP_1) | instskip(NEXT) | instid1(VALU_DEP_1)
	v_dual_sub_f32 v20, v20, v22 :: v_dual_add_f32 v17, v17, v24
	v_add_f32_e32 v17, v20, v17
	s_delay_alu instid0(VALU_DEP_1) | instskip(NEXT) | instid1(VALU_DEP_1)
	v_add_f32_e32 v20, v28, v17
	v_mul_f32_e32 v22, v19, v20
	s_delay_alu instid0(VALU_DEP_1) | instskip(NEXT) | instid1(VALU_DEP_1)
	v_dual_sub_f32 v27, v28, v20 :: v_dual_mul_f32 v24, v23, v22
	v_add_f32_e32 v17, v17, v27
	s_delay_alu instid0(VALU_DEP_2) | instskip(NEXT) | instid1(VALU_DEP_1)
	v_fma_f32 v23, v22, v23, -v24
	v_fmac_f32_e32 v23, v22, v21
	s_delay_alu instid0(VALU_DEP_1) | instskip(NEXT) | instid1(VALU_DEP_1)
	v_add_f32_e32 v21, v24, v23
	v_sub_f32_e32 v26, v20, v21
	s_delay_alu instid0(VALU_DEP_1) | instskip(NEXT) | instid1(VALU_DEP_1)
	v_sub_f32_e32 v20, v20, v26
	v_sub_f32_e32 v20, v20, v21
	s_delay_alu instid0(VALU_DEP_1) | instskip(SKIP_2) | instid1(VALU_DEP_1)
	v_add_f32_e32 v17, v17, v20
	v_add_f32_e32 v20, v25, v22
	v_sub_f32_e32 v24, v21, v24
	v_sub_f32_e32 v21, v24, v23
	s_delay_alu instid0(VALU_DEP_1) | instskip(NEXT) | instid1(VALU_DEP_4)
	v_add_f32_e32 v17, v21, v17
	v_sub_f32_e32 v21, v20, v25
	s_delay_alu instid0(VALU_DEP_2) | instskip(NEXT) | instid1(VALU_DEP_2)
	v_add_f32_e32 v17, v26, v17
	v_sub_f32_e32 v21, v22, v21
	s_delay_alu instid0(VALU_DEP_2) | instskip(NEXT) | instid1(VALU_DEP_1)
	v_mul_f32_e32 v17, v19, v17
	v_add_f32_e32 v17, v21, v17
	s_delay_alu instid0(VALU_DEP_1) | instskip(NEXT) | instid1(VALU_DEP_1)
	v_add_f32_e32 v19, v20, v17
	v_mul_f32_e32 v21, v19, v19
	s_delay_alu instid0(VALU_DEP_1) | instskip(SKIP_1) | instid1(VALU_DEP_2)
	v_fmaak_f32 v22, s54, v21, 0x3ecc95a3
	v_mul_f32_e32 v23, v19, v21
	v_fmaak_f32 v21, v21, v22, 0x3f2aaada
	v_ldexp_f32 v22, v19, 1
	s_delay_alu instid0(VALU_DEP_2) | instskip(SKIP_1) | instid1(VALU_DEP_2)
	v_mul_f32_e32 v21, v23, v21
	v_sub_f32_e32 v19, v19, v20
	v_dual_mul_f32 v23, 0x3f317218, v16 :: v_dual_add_f32 v20, v22, v21
	s_delay_alu instid0(VALU_DEP_2) | instskip(NEXT) | instid1(VALU_DEP_2)
	v_sub_f32_e32 v17, v17, v19
	v_sub_f32_e32 v19, v20, v22
	s_delay_alu instid0(VALU_DEP_3) | instskip(NEXT) | instid1(VALU_DEP_3)
	v_fma_f32 v22, 0x3f317218, v16, -v23
	v_ldexp_f32 v17, v17, 1
	s_delay_alu instid0(VALU_DEP_2) | instskip(NEXT) | instid1(VALU_DEP_1)
	v_dual_sub_f32 v19, v21, v19 :: v_dual_fmac_f32 v22, 0xb102e308, v16
	v_dual_add_f32 v16, v17, v19 :: v_dual_add_f32 v17, v23, v22
	s_delay_alu instid0(VALU_DEP_1) | instskip(NEXT) | instid1(VALU_DEP_1)
	v_add_f32_e32 v19, v20, v16
	v_dual_add_f32 v21, v17, v19 :: v_dual_sub_f32 v20, v19, v20
	s_delay_alu instid0(VALU_DEP_1) | instskip(NEXT) | instid1(VALU_DEP_2)
	v_sub_f32_e32 v24, v21, v17
	v_dual_sub_f32 v23, v17, v23 :: v_dual_sub_f32 v16, v16, v20
	s_delay_alu instid0(VALU_DEP_1) | instskip(SKIP_1) | instid1(VALU_DEP_2)
	v_dual_sub_f32 v25, v21, v24 :: v_dual_sub_f32 v22, v22, v23
	v_sub_f32_e32 v19, v19, v24
	v_dual_sub_f32 v17, v17, v25 :: v_dual_add_f32 v20, v22, v16
	s_delay_alu instid0(VALU_DEP_1) | instskip(NEXT) | instid1(VALU_DEP_2)
	v_add_f32_e32 v17, v19, v17
	v_sub_f32_e32 v19, v20, v22
	s_delay_alu instid0(VALU_DEP_2) | instskip(NEXT) | instid1(VALU_DEP_2)
	v_add_f32_e32 v17, v20, v17
	v_sub_f32_e32 v20, v20, v19
	s_delay_alu instid0(VALU_DEP_2) | instskip(NEXT) | instid1(VALU_DEP_1)
	v_dual_sub_f32 v16, v16, v19 :: v_dual_add_f32 v23, v21, v17
	v_dual_sub_f32 v20, v22, v20 :: v_dual_sub_f32 v19, v23, v21
	s_delay_alu instid0(VALU_DEP_1) | instskip(NEXT) | instid1(VALU_DEP_1)
	v_dual_add_f32 v16, v16, v20 :: v_dual_sub_f32 v17, v17, v19
	v_add_f32_e32 v16, v16, v17
	s_delay_alu instid0(VALU_DEP_1) | instskip(NEXT) | instid1(VALU_DEP_1)
	v_add_f32_e32 v16, v23, v16
	v_cndmask_b32_e32 v64, v16, v18, vcc_lo
.LBB123_24:                             ;   in Loop: Header=BB123_12 Depth=1
	s_or_b32 exec_lo, exec_lo, s16
	v_cvt_f32_f16_e32 v16, v5
	s_delay_alu instid0(VALU_DEP_1) | instskip(NEXT) | instid1(VALU_DEP_1)
	v_add_f32_e32 v65, s57, v16
	v_cmp_ge_f32_e32 vcc_lo, 0x41a00000, v65
	s_and_b32 s15, s67, vcc_lo
	s_delay_alu instid0(SALU_CYCLE_1)
	s_and_saveexec_b32 s16, s15
	s_cbranch_execz .LBB123_26
; %bb.25:                               ;   in Loop: Header=BB123_12 Depth=1
	v_mul_f32_e32 v16, 0x3fb8aa3b, v65
	v_cmp_ngt_f32_e32 vcc_lo, 0xc2ce8ed0, v65
	s_delay_alu instid0(VALU_DEP_2) | instskip(SKIP_1) | instid1(VALU_DEP_2)
	v_rndne_f32_e32 v17, v16
	v_fma_f32 v18, 0x3fb8aa3b, v65, -v16
	v_sub_f32_e32 v16, v16, v17
	s_delay_alu instid0(VALU_DEP_2) | instskip(SKIP_1) | instid1(VALU_DEP_2)
	v_fmac_f32_e32 v18, 0x32a5705f, v65
	v_cvt_i32_f32_e32 v17, v17
	v_add_f32_e32 v16, v16, v18
	s_delay_alu instid0(VALU_DEP_1) | instskip(SKIP_2) | instid1(VALU_DEP_1)
	v_exp_f32_e32 v16, v16
	s_waitcnt_depctr 0xfff
	v_ldexp_f32 v16, v16, v17
	v_cndmask_b32_e32 v16, 0, v16, vcc_lo
	v_cmp_nlt_f32_e32 vcc_lo, 0x42b17218, v65
	s_delay_alu instid0(VALU_DEP_2) | instskip(NEXT) | instid1(VALU_DEP_1)
	v_cndmask_b32_e32 v18, 0x7f800000, v16, vcc_lo
	v_add_f32_e32 v19, 1.0, v18
	s_delay_alu instid0(VALU_DEP_1) | instskip(NEXT) | instid1(VALU_DEP_1)
	v_cvt_f64_f32_e32 v[16:17], v19
	v_frexp_exp_i32_f64_e32 v16, v[16:17]
	v_frexp_mant_f32_e32 v17, v19
	s_delay_alu instid0(VALU_DEP_1) | instskip(SKIP_1) | instid1(VALU_DEP_1)
	v_cmp_gt_f32_e32 vcc_lo, 0x3f2aaaab, v17
	v_add_f32_e32 v17, -1.0, v19
	v_sub_f32_e32 v21, v17, v19
	v_sub_f32_e32 v17, v18, v17
	s_delay_alu instid0(VALU_DEP_2) | instskip(NEXT) | instid1(VALU_DEP_1)
	v_add_f32_e32 v21, 1.0, v21
	v_add_f32_e32 v17, v17, v21
	v_cmp_gt_f32_e64 s15, 0x33800000, v18
	v_subrev_co_ci_u32_e32 v16, vcc_lo, 0, v16, vcc_lo
	v_cmp_eq_f32_e32 vcc_lo, 0x7f800000, v18
	s_delay_alu instid0(VALU_DEP_2) | instskip(SKIP_2) | instid1(VALU_DEP_2)
	v_sub_nc_u32_e32 v20, 0, v16
	v_cvt_f32_i32_e32 v16, v16
	s_or_b32 vcc_lo, s15, vcc_lo
	v_ldexp_f32 v19, v19, v20
	v_ldexp_f32 v17, v17, v20
	s_delay_alu instid0(VALU_DEP_2) | instskip(NEXT) | instid1(VALU_DEP_1)
	v_add_f32_e32 v22, 1.0, v19
	v_dual_add_f32 v20, -1.0, v19 :: v_dual_add_f32 v21, -1.0, v22
	s_delay_alu instid0(VALU_DEP_1) | instskip(NEXT) | instid1(VALU_DEP_2)
	v_add_f32_e32 v23, 1.0, v20
	v_sub_f32_e32 v21, v19, v21
	s_delay_alu instid0(VALU_DEP_2) | instskip(NEXT) | instid1(VALU_DEP_2)
	v_sub_f32_e32 v19, v19, v23
	v_add_f32_e32 v21, v17, v21
	s_delay_alu instid0(VALU_DEP_2) | instskip(NEXT) | instid1(VALU_DEP_1)
	v_add_f32_e32 v17, v17, v19
	v_add_f32_e32 v24, v20, v17
	s_delay_alu instid0(VALU_DEP_1) | instskip(NEXT) | instid1(VALU_DEP_1)
	v_dual_add_f32 v23, v22, v21 :: v_dual_sub_f32 v20, v20, v24
	v_rcp_f32_e32 v19, v23
	v_sub_f32_e32 v22, v22, v23
	s_delay_alu instid0(VALU_DEP_1) | instskip(SKIP_2) | instid1(VALU_DEP_1)
	v_add_f32_e32 v21, v21, v22
	s_waitcnt_depctr 0xfff
	v_mul_f32_e32 v25, v24, v19
	v_mul_f32_e32 v26, v23, v25
	s_delay_alu instid0(VALU_DEP_1) | instskip(NEXT) | instid1(VALU_DEP_1)
	v_fma_f32 v22, v25, v23, -v26
	v_fmac_f32_e32 v22, v25, v21
	s_delay_alu instid0(VALU_DEP_1) | instskip(NEXT) | instid1(VALU_DEP_1)
	v_add_f32_e32 v27, v26, v22
	v_sub_f32_e32 v28, v24, v27
	s_delay_alu instid0(VALU_DEP_1) | instskip(SKIP_1) | instid1(VALU_DEP_2)
	v_sub_f32_e32 v24, v24, v28
	v_dual_add_f32 v17, v17, v20 :: v_dual_sub_f32 v20, v27, v26
	v_sub_f32_e32 v24, v24, v27
	s_delay_alu instid0(VALU_DEP_1) | instskip(NEXT) | instid1(VALU_DEP_1)
	v_dual_sub_f32 v20, v20, v22 :: v_dual_add_f32 v17, v17, v24
	v_add_f32_e32 v17, v20, v17
	s_delay_alu instid0(VALU_DEP_1) | instskip(NEXT) | instid1(VALU_DEP_1)
	v_add_f32_e32 v20, v28, v17
	v_mul_f32_e32 v22, v19, v20
	s_delay_alu instid0(VALU_DEP_1) | instskip(NEXT) | instid1(VALU_DEP_1)
	v_dual_sub_f32 v27, v28, v20 :: v_dual_mul_f32 v24, v23, v22
	v_add_f32_e32 v17, v17, v27
	s_delay_alu instid0(VALU_DEP_2) | instskip(NEXT) | instid1(VALU_DEP_1)
	v_fma_f32 v23, v22, v23, -v24
	v_fmac_f32_e32 v23, v22, v21
	s_delay_alu instid0(VALU_DEP_1) | instskip(NEXT) | instid1(VALU_DEP_1)
	v_add_f32_e32 v21, v24, v23
	v_sub_f32_e32 v26, v20, v21
	s_delay_alu instid0(VALU_DEP_1) | instskip(NEXT) | instid1(VALU_DEP_1)
	v_sub_f32_e32 v20, v20, v26
	v_sub_f32_e32 v20, v20, v21
	s_delay_alu instid0(VALU_DEP_1) | instskip(SKIP_2) | instid1(VALU_DEP_1)
	v_add_f32_e32 v17, v17, v20
	v_add_f32_e32 v20, v25, v22
	v_sub_f32_e32 v24, v21, v24
	v_sub_f32_e32 v21, v24, v23
	s_delay_alu instid0(VALU_DEP_1) | instskip(NEXT) | instid1(VALU_DEP_4)
	v_add_f32_e32 v17, v21, v17
	v_sub_f32_e32 v21, v20, v25
	s_delay_alu instid0(VALU_DEP_2) | instskip(NEXT) | instid1(VALU_DEP_2)
	v_add_f32_e32 v17, v26, v17
	v_sub_f32_e32 v21, v22, v21
	s_delay_alu instid0(VALU_DEP_2) | instskip(NEXT) | instid1(VALU_DEP_1)
	v_mul_f32_e32 v17, v19, v17
	v_add_f32_e32 v17, v21, v17
	s_delay_alu instid0(VALU_DEP_1) | instskip(NEXT) | instid1(VALU_DEP_1)
	v_add_f32_e32 v19, v20, v17
	v_mul_f32_e32 v21, v19, v19
	s_delay_alu instid0(VALU_DEP_1) | instskip(SKIP_1) | instid1(VALU_DEP_2)
	v_fmaak_f32 v22, s54, v21, 0x3ecc95a3
	v_mul_f32_e32 v23, v19, v21
	v_fmaak_f32 v21, v21, v22, 0x3f2aaada
	v_ldexp_f32 v22, v19, 1
	s_delay_alu instid0(VALU_DEP_2) | instskip(SKIP_1) | instid1(VALU_DEP_2)
	v_mul_f32_e32 v21, v23, v21
	v_sub_f32_e32 v19, v19, v20
	v_dual_mul_f32 v23, 0x3f317218, v16 :: v_dual_add_f32 v20, v22, v21
	s_delay_alu instid0(VALU_DEP_2) | instskip(NEXT) | instid1(VALU_DEP_2)
	v_sub_f32_e32 v17, v17, v19
	v_sub_f32_e32 v19, v20, v22
	s_delay_alu instid0(VALU_DEP_3) | instskip(NEXT) | instid1(VALU_DEP_3)
	v_fma_f32 v22, 0x3f317218, v16, -v23
	v_ldexp_f32 v17, v17, 1
	s_delay_alu instid0(VALU_DEP_2) | instskip(NEXT) | instid1(VALU_DEP_1)
	v_dual_sub_f32 v19, v21, v19 :: v_dual_fmac_f32 v22, 0xb102e308, v16
	v_dual_add_f32 v16, v17, v19 :: v_dual_add_f32 v17, v23, v22
	s_delay_alu instid0(VALU_DEP_1) | instskip(NEXT) | instid1(VALU_DEP_1)
	v_add_f32_e32 v19, v20, v16
	v_dual_add_f32 v21, v17, v19 :: v_dual_sub_f32 v20, v19, v20
	s_delay_alu instid0(VALU_DEP_1) | instskip(NEXT) | instid1(VALU_DEP_2)
	v_sub_f32_e32 v24, v21, v17
	v_dual_sub_f32 v23, v17, v23 :: v_dual_sub_f32 v16, v16, v20
	s_delay_alu instid0(VALU_DEP_1) | instskip(SKIP_1) | instid1(VALU_DEP_2)
	v_dual_sub_f32 v25, v21, v24 :: v_dual_sub_f32 v22, v22, v23
	v_sub_f32_e32 v19, v19, v24
	v_dual_sub_f32 v17, v17, v25 :: v_dual_add_f32 v20, v22, v16
	s_delay_alu instid0(VALU_DEP_1) | instskip(NEXT) | instid1(VALU_DEP_2)
	v_add_f32_e32 v17, v19, v17
	v_sub_f32_e32 v19, v20, v22
	s_delay_alu instid0(VALU_DEP_2) | instskip(NEXT) | instid1(VALU_DEP_2)
	v_add_f32_e32 v17, v20, v17
	v_sub_f32_e32 v20, v20, v19
	s_delay_alu instid0(VALU_DEP_2) | instskip(NEXT) | instid1(VALU_DEP_1)
	v_dual_sub_f32 v16, v16, v19 :: v_dual_add_f32 v23, v21, v17
	v_dual_sub_f32 v20, v22, v20 :: v_dual_sub_f32 v19, v23, v21
	s_delay_alu instid0(VALU_DEP_1) | instskip(NEXT) | instid1(VALU_DEP_1)
	v_dual_add_f32 v16, v16, v20 :: v_dual_sub_f32 v17, v17, v19
	v_add_f32_e32 v16, v16, v17
	s_delay_alu instid0(VALU_DEP_1) | instskip(NEXT) | instid1(VALU_DEP_1)
	v_add_f32_e32 v16, v23, v16
	v_cndmask_b32_e32 v65, v16, v18, vcc_lo
.LBB123_26:                             ;   in Loop: Header=BB123_12 Depth=1
	s_or_b32 exec_lo, exec_lo, s16
	v_lshrrev_b32_e32 v16, 16, v5
	s_delay_alu instid0(VALU_DEP_1) | instskip(NEXT) | instid1(VALU_DEP_1)
	v_cvt_f32_f16_e32 v16, v16
	v_add_f32_e32 v66, s57, v16
	s_delay_alu instid0(VALU_DEP_1) | instskip(SKIP_1) | instid1(SALU_CYCLE_1)
	v_cmp_ge_f32_e32 vcc_lo, 0x41a00000, v66
	s_and_b32 s15, s67, vcc_lo
	s_and_saveexec_b32 s16, s15
	s_cbranch_execz .LBB123_28
; %bb.27:                               ;   in Loop: Header=BB123_12 Depth=1
	v_mul_f32_e32 v16, 0x3fb8aa3b, v66
	v_cmp_ngt_f32_e32 vcc_lo, 0xc2ce8ed0, v66
	s_delay_alu instid0(VALU_DEP_2) | instskip(SKIP_1) | instid1(VALU_DEP_2)
	v_rndne_f32_e32 v17, v16
	v_fma_f32 v18, 0x3fb8aa3b, v66, -v16
	v_sub_f32_e32 v16, v16, v17
	s_delay_alu instid0(VALU_DEP_2) | instskip(SKIP_1) | instid1(VALU_DEP_2)
	v_fmac_f32_e32 v18, 0x32a5705f, v66
	v_cvt_i32_f32_e32 v17, v17
	v_add_f32_e32 v16, v16, v18
	s_delay_alu instid0(VALU_DEP_1) | instskip(SKIP_2) | instid1(VALU_DEP_1)
	v_exp_f32_e32 v16, v16
	s_waitcnt_depctr 0xfff
	v_ldexp_f32 v16, v16, v17
	v_cndmask_b32_e32 v16, 0, v16, vcc_lo
	v_cmp_nlt_f32_e32 vcc_lo, 0x42b17218, v66
	s_delay_alu instid0(VALU_DEP_2) | instskip(NEXT) | instid1(VALU_DEP_1)
	v_cndmask_b32_e32 v18, 0x7f800000, v16, vcc_lo
	v_add_f32_e32 v19, 1.0, v18
	s_delay_alu instid0(VALU_DEP_1) | instskip(NEXT) | instid1(VALU_DEP_1)
	v_cvt_f64_f32_e32 v[16:17], v19
	v_frexp_exp_i32_f64_e32 v16, v[16:17]
	v_frexp_mant_f32_e32 v17, v19
	s_delay_alu instid0(VALU_DEP_1) | instskip(SKIP_1) | instid1(VALU_DEP_1)
	v_cmp_gt_f32_e32 vcc_lo, 0x3f2aaaab, v17
	v_add_f32_e32 v17, -1.0, v19
	v_sub_f32_e32 v21, v17, v19
	v_sub_f32_e32 v17, v18, v17
	s_delay_alu instid0(VALU_DEP_2) | instskip(NEXT) | instid1(VALU_DEP_1)
	v_add_f32_e32 v21, 1.0, v21
	v_add_f32_e32 v17, v17, v21
	v_cmp_gt_f32_e64 s15, 0x33800000, v18
	v_subrev_co_ci_u32_e32 v16, vcc_lo, 0, v16, vcc_lo
	v_cmp_eq_f32_e32 vcc_lo, 0x7f800000, v18
	s_delay_alu instid0(VALU_DEP_2) | instskip(SKIP_2) | instid1(VALU_DEP_2)
	v_sub_nc_u32_e32 v20, 0, v16
	v_cvt_f32_i32_e32 v16, v16
	s_or_b32 vcc_lo, s15, vcc_lo
	v_ldexp_f32 v19, v19, v20
	v_ldexp_f32 v17, v17, v20
	s_delay_alu instid0(VALU_DEP_2) | instskip(NEXT) | instid1(VALU_DEP_1)
	v_add_f32_e32 v22, 1.0, v19
	v_dual_add_f32 v20, -1.0, v19 :: v_dual_add_f32 v21, -1.0, v22
	s_delay_alu instid0(VALU_DEP_1) | instskip(NEXT) | instid1(VALU_DEP_2)
	v_add_f32_e32 v23, 1.0, v20
	v_sub_f32_e32 v21, v19, v21
	s_delay_alu instid0(VALU_DEP_2) | instskip(NEXT) | instid1(VALU_DEP_2)
	v_sub_f32_e32 v19, v19, v23
	v_add_f32_e32 v21, v17, v21
	s_delay_alu instid0(VALU_DEP_2) | instskip(NEXT) | instid1(VALU_DEP_1)
	v_add_f32_e32 v17, v17, v19
	v_add_f32_e32 v24, v20, v17
	s_delay_alu instid0(VALU_DEP_1) | instskip(NEXT) | instid1(VALU_DEP_1)
	v_dual_add_f32 v23, v22, v21 :: v_dual_sub_f32 v20, v20, v24
	v_rcp_f32_e32 v19, v23
	v_sub_f32_e32 v22, v22, v23
	s_delay_alu instid0(VALU_DEP_1) | instskip(SKIP_2) | instid1(VALU_DEP_1)
	v_add_f32_e32 v21, v21, v22
	s_waitcnt_depctr 0xfff
	v_mul_f32_e32 v25, v24, v19
	v_mul_f32_e32 v26, v23, v25
	s_delay_alu instid0(VALU_DEP_1) | instskip(NEXT) | instid1(VALU_DEP_1)
	v_fma_f32 v22, v25, v23, -v26
	v_fmac_f32_e32 v22, v25, v21
	s_delay_alu instid0(VALU_DEP_1) | instskip(NEXT) | instid1(VALU_DEP_1)
	v_add_f32_e32 v27, v26, v22
	v_sub_f32_e32 v28, v24, v27
	s_delay_alu instid0(VALU_DEP_1) | instskip(SKIP_1) | instid1(VALU_DEP_2)
	v_sub_f32_e32 v24, v24, v28
	v_dual_add_f32 v17, v17, v20 :: v_dual_sub_f32 v20, v27, v26
	v_sub_f32_e32 v24, v24, v27
	s_delay_alu instid0(VALU_DEP_1) | instskip(NEXT) | instid1(VALU_DEP_1)
	v_dual_sub_f32 v20, v20, v22 :: v_dual_add_f32 v17, v17, v24
	v_add_f32_e32 v17, v20, v17
	s_delay_alu instid0(VALU_DEP_1) | instskip(NEXT) | instid1(VALU_DEP_1)
	v_add_f32_e32 v20, v28, v17
	v_mul_f32_e32 v22, v19, v20
	s_delay_alu instid0(VALU_DEP_1) | instskip(NEXT) | instid1(VALU_DEP_1)
	v_dual_sub_f32 v27, v28, v20 :: v_dual_mul_f32 v24, v23, v22
	v_add_f32_e32 v17, v17, v27
	s_delay_alu instid0(VALU_DEP_2) | instskip(NEXT) | instid1(VALU_DEP_1)
	v_fma_f32 v23, v22, v23, -v24
	v_fmac_f32_e32 v23, v22, v21
	s_delay_alu instid0(VALU_DEP_1) | instskip(NEXT) | instid1(VALU_DEP_1)
	v_add_f32_e32 v21, v24, v23
	v_sub_f32_e32 v26, v20, v21
	s_delay_alu instid0(VALU_DEP_1) | instskip(NEXT) | instid1(VALU_DEP_1)
	v_sub_f32_e32 v20, v20, v26
	v_sub_f32_e32 v20, v20, v21
	s_delay_alu instid0(VALU_DEP_1) | instskip(SKIP_2) | instid1(VALU_DEP_1)
	v_add_f32_e32 v17, v17, v20
	v_add_f32_e32 v20, v25, v22
	v_sub_f32_e32 v24, v21, v24
	v_sub_f32_e32 v21, v24, v23
	s_delay_alu instid0(VALU_DEP_1) | instskip(NEXT) | instid1(VALU_DEP_4)
	v_add_f32_e32 v17, v21, v17
	v_sub_f32_e32 v21, v20, v25
	s_delay_alu instid0(VALU_DEP_2) | instskip(NEXT) | instid1(VALU_DEP_2)
	v_add_f32_e32 v17, v26, v17
	v_sub_f32_e32 v21, v22, v21
	s_delay_alu instid0(VALU_DEP_2) | instskip(NEXT) | instid1(VALU_DEP_1)
	v_mul_f32_e32 v17, v19, v17
	v_add_f32_e32 v17, v21, v17
	s_delay_alu instid0(VALU_DEP_1) | instskip(NEXT) | instid1(VALU_DEP_1)
	v_add_f32_e32 v19, v20, v17
	v_mul_f32_e32 v21, v19, v19
	s_delay_alu instid0(VALU_DEP_1) | instskip(SKIP_1) | instid1(VALU_DEP_2)
	v_fmaak_f32 v22, s54, v21, 0x3ecc95a3
	v_mul_f32_e32 v23, v19, v21
	v_fmaak_f32 v21, v21, v22, 0x3f2aaada
	v_ldexp_f32 v22, v19, 1
	s_delay_alu instid0(VALU_DEP_2) | instskip(SKIP_1) | instid1(VALU_DEP_2)
	v_mul_f32_e32 v21, v23, v21
	v_sub_f32_e32 v19, v19, v20
	v_dual_mul_f32 v23, 0x3f317218, v16 :: v_dual_add_f32 v20, v22, v21
	s_delay_alu instid0(VALU_DEP_2) | instskip(NEXT) | instid1(VALU_DEP_2)
	v_sub_f32_e32 v17, v17, v19
	v_sub_f32_e32 v19, v20, v22
	s_delay_alu instid0(VALU_DEP_3) | instskip(NEXT) | instid1(VALU_DEP_3)
	v_fma_f32 v22, 0x3f317218, v16, -v23
	v_ldexp_f32 v17, v17, 1
	s_delay_alu instid0(VALU_DEP_2) | instskip(NEXT) | instid1(VALU_DEP_1)
	v_dual_sub_f32 v19, v21, v19 :: v_dual_fmac_f32 v22, 0xb102e308, v16
	v_dual_add_f32 v16, v17, v19 :: v_dual_add_f32 v17, v23, v22
	s_delay_alu instid0(VALU_DEP_1) | instskip(NEXT) | instid1(VALU_DEP_1)
	v_add_f32_e32 v19, v20, v16
	v_dual_add_f32 v21, v17, v19 :: v_dual_sub_f32 v20, v19, v20
	s_delay_alu instid0(VALU_DEP_1) | instskip(NEXT) | instid1(VALU_DEP_2)
	v_sub_f32_e32 v24, v21, v17
	v_dual_sub_f32 v23, v17, v23 :: v_dual_sub_f32 v16, v16, v20
	s_delay_alu instid0(VALU_DEP_1) | instskip(SKIP_1) | instid1(VALU_DEP_2)
	v_dual_sub_f32 v25, v21, v24 :: v_dual_sub_f32 v22, v22, v23
	v_sub_f32_e32 v19, v19, v24
	v_dual_sub_f32 v17, v17, v25 :: v_dual_add_f32 v20, v22, v16
	s_delay_alu instid0(VALU_DEP_1) | instskip(NEXT) | instid1(VALU_DEP_2)
	v_add_f32_e32 v17, v19, v17
	v_sub_f32_e32 v19, v20, v22
	s_delay_alu instid0(VALU_DEP_2) | instskip(NEXT) | instid1(VALU_DEP_2)
	v_add_f32_e32 v17, v20, v17
	v_sub_f32_e32 v20, v20, v19
	s_delay_alu instid0(VALU_DEP_2) | instskip(NEXT) | instid1(VALU_DEP_1)
	v_dual_sub_f32 v16, v16, v19 :: v_dual_add_f32 v23, v21, v17
	v_dual_sub_f32 v20, v22, v20 :: v_dual_sub_f32 v19, v23, v21
	s_delay_alu instid0(VALU_DEP_1) | instskip(NEXT) | instid1(VALU_DEP_1)
	v_dual_add_f32 v16, v16, v20 :: v_dual_sub_f32 v17, v17, v19
	v_add_f32_e32 v16, v16, v17
	s_delay_alu instid0(VALU_DEP_1) | instskip(NEXT) | instid1(VALU_DEP_1)
	v_add_f32_e32 v16, v23, v16
	v_cndmask_b32_e32 v66, v16, v18, vcc_lo
.LBB123_28:                             ;   in Loop: Header=BB123_12 Depth=1
	s_or_b32 exec_lo, exec_lo, s16
	v_cvt_f32_f16_e32 v16, v6
	s_delay_alu instid0(VALU_DEP_1) | instskip(NEXT) | instid1(VALU_DEP_1)
	v_add_f32_e32 v67, s57, v16
	v_cmp_ge_f32_e32 vcc_lo, 0x41a00000, v67
	s_and_b32 s15, s67, vcc_lo
	s_delay_alu instid0(SALU_CYCLE_1)
	s_and_saveexec_b32 s16, s15
	s_cbranch_execz .LBB123_30
; %bb.29:                               ;   in Loop: Header=BB123_12 Depth=1
	v_mul_f32_e32 v16, 0x3fb8aa3b, v67
	v_cmp_ngt_f32_e32 vcc_lo, 0xc2ce8ed0, v67
	s_delay_alu instid0(VALU_DEP_2) | instskip(SKIP_1) | instid1(VALU_DEP_2)
	v_rndne_f32_e32 v17, v16
	v_fma_f32 v18, 0x3fb8aa3b, v67, -v16
	v_sub_f32_e32 v16, v16, v17
	s_delay_alu instid0(VALU_DEP_2) | instskip(SKIP_1) | instid1(VALU_DEP_2)
	v_fmac_f32_e32 v18, 0x32a5705f, v67
	v_cvt_i32_f32_e32 v17, v17
	v_add_f32_e32 v16, v16, v18
	s_delay_alu instid0(VALU_DEP_1) | instskip(SKIP_2) | instid1(VALU_DEP_1)
	v_exp_f32_e32 v16, v16
	s_waitcnt_depctr 0xfff
	v_ldexp_f32 v16, v16, v17
	v_cndmask_b32_e32 v16, 0, v16, vcc_lo
	v_cmp_nlt_f32_e32 vcc_lo, 0x42b17218, v67
	s_delay_alu instid0(VALU_DEP_2) | instskip(NEXT) | instid1(VALU_DEP_1)
	v_cndmask_b32_e32 v18, 0x7f800000, v16, vcc_lo
	v_add_f32_e32 v19, 1.0, v18
	s_delay_alu instid0(VALU_DEP_1) | instskip(NEXT) | instid1(VALU_DEP_1)
	v_cvt_f64_f32_e32 v[16:17], v19
	v_frexp_exp_i32_f64_e32 v16, v[16:17]
	v_frexp_mant_f32_e32 v17, v19
	s_delay_alu instid0(VALU_DEP_1) | instskip(SKIP_1) | instid1(VALU_DEP_1)
	v_cmp_gt_f32_e32 vcc_lo, 0x3f2aaaab, v17
	v_add_f32_e32 v17, -1.0, v19
	v_sub_f32_e32 v21, v17, v19
	v_sub_f32_e32 v17, v18, v17
	s_delay_alu instid0(VALU_DEP_2) | instskip(NEXT) | instid1(VALU_DEP_1)
	v_add_f32_e32 v21, 1.0, v21
	v_add_f32_e32 v17, v17, v21
	v_cmp_gt_f32_e64 s15, 0x33800000, v18
	v_subrev_co_ci_u32_e32 v16, vcc_lo, 0, v16, vcc_lo
	v_cmp_eq_f32_e32 vcc_lo, 0x7f800000, v18
	s_delay_alu instid0(VALU_DEP_2) | instskip(SKIP_2) | instid1(VALU_DEP_2)
	v_sub_nc_u32_e32 v20, 0, v16
	v_cvt_f32_i32_e32 v16, v16
	s_or_b32 vcc_lo, s15, vcc_lo
	v_ldexp_f32 v19, v19, v20
	v_ldexp_f32 v17, v17, v20
	s_delay_alu instid0(VALU_DEP_2) | instskip(NEXT) | instid1(VALU_DEP_1)
	v_add_f32_e32 v22, 1.0, v19
	v_dual_add_f32 v20, -1.0, v19 :: v_dual_add_f32 v21, -1.0, v22
	s_delay_alu instid0(VALU_DEP_1) | instskip(NEXT) | instid1(VALU_DEP_2)
	v_add_f32_e32 v23, 1.0, v20
	v_sub_f32_e32 v21, v19, v21
	s_delay_alu instid0(VALU_DEP_2) | instskip(NEXT) | instid1(VALU_DEP_2)
	v_sub_f32_e32 v19, v19, v23
	v_add_f32_e32 v21, v17, v21
	s_delay_alu instid0(VALU_DEP_2) | instskip(NEXT) | instid1(VALU_DEP_1)
	v_add_f32_e32 v17, v17, v19
	v_add_f32_e32 v24, v20, v17
	s_delay_alu instid0(VALU_DEP_1) | instskip(NEXT) | instid1(VALU_DEP_1)
	v_dual_add_f32 v23, v22, v21 :: v_dual_sub_f32 v20, v20, v24
	v_rcp_f32_e32 v19, v23
	v_sub_f32_e32 v22, v22, v23
	s_delay_alu instid0(VALU_DEP_1) | instskip(SKIP_2) | instid1(VALU_DEP_1)
	v_add_f32_e32 v21, v21, v22
	s_waitcnt_depctr 0xfff
	v_mul_f32_e32 v25, v24, v19
	v_mul_f32_e32 v26, v23, v25
	s_delay_alu instid0(VALU_DEP_1) | instskip(NEXT) | instid1(VALU_DEP_1)
	v_fma_f32 v22, v25, v23, -v26
	v_fmac_f32_e32 v22, v25, v21
	s_delay_alu instid0(VALU_DEP_1) | instskip(NEXT) | instid1(VALU_DEP_1)
	v_add_f32_e32 v27, v26, v22
	v_sub_f32_e32 v28, v24, v27
	s_delay_alu instid0(VALU_DEP_1) | instskip(SKIP_1) | instid1(VALU_DEP_2)
	v_sub_f32_e32 v24, v24, v28
	v_dual_add_f32 v17, v17, v20 :: v_dual_sub_f32 v20, v27, v26
	v_sub_f32_e32 v24, v24, v27
	s_delay_alu instid0(VALU_DEP_1) | instskip(NEXT) | instid1(VALU_DEP_1)
	v_dual_sub_f32 v20, v20, v22 :: v_dual_add_f32 v17, v17, v24
	v_add_f32_e32 v17, v20, v17
	s_delay_alu instid0(VALU_DEP_1) | instskip(NEXT) | instid1(VALU_DEP_1)
	v_add_f32_e32 v20, v28, v17
	v_mul_f32_e32 v22, v19, v20
	s_delay_alu instid0(VALU_DEP_1) | instskip(NEXT) | instid1(VALU_DEP_1)
	v_dual_sub_f32 v27, v28, v20 :: v_dual_mul_f32 v24, v23, v22
	v_add_f32_e32 v17, v17, v27
	s_delay_alu instid0(VALU_DEP_2) | instskip(NEXT) | instid1(VALU_DEP_1)
	v_fma_f32 v23, v22, v23, -v24
	v_fmac_f32_e32 v23, v22, v21
	s_delay_alu instid0(VALU_DEP_1) | instskip(NEXT) | instid1(VALU_DEP_1)
	v_add_f32_e32 v21, v24, v23
	v_sub_f32_e32 v26, v20, v21
	s_delay_alu instid0(VALU_DEP_1) | instskip(NEXT) | instid1(VALU_DEP_1)
	v_sub_f32_e32 v20, v20, v26
	v_sub_f32_e32 v20, v20, v21
	s_delay_alu instid0(VALU_DEP_1) | instskip(SKIP_2) | instid1(VALU_DEP_1)
	v_add_f32_e32 v17, v17, v20
	v_add_f32_e32 v20, v25, v22
	v_sub_f32_e32 v24, v21, v24
	v_sub_f32_e32 v21, v24, v23
	s_delay_alu instid0(VALU_DEP_1) | instskip(NEXT) | instid1(VALU_DEP_4)
	v_add_f32_e32 v17, v21, v17
	v_sub_f32_e32 v21, v20, v25
	s_delay_alu instid0(VALU_DEP_2) | instskip(NEXT) | instid1(VALU_DEP_2)
	v_add_f32_e32 v17, v26, v17
	v_sub_f32_e32 v21, v22, v21
	s_delay_alu instid0(VALU_DEP_2) | instskip(NEXT) | instid1(VALU_DEP_1)
	v_mul_f32_e32 v17, v19, v17
	v_add_f32_e32 v17, v21, v17
	s_delay_alu instid0(VALU_DEP_1) | instskip(NEXT) | instid1(VALU_DEP_1)
	v_add_f32_e32 v19, v20, v17
	v_mul_f32_e32 v21, v19, v19
	s_delay_alu instid0(VALU_DEP_1) | instskip(SKIP_1) | instid1(VALU_DEP_2)
	v_fmaak_f32 v22, s54, v21, 0x3ecc95a3
	v_mul_f32_e32 v23, v19, v21
	v_fmaak_f32 v21, v21, v22, 0x3f2aaada
	v_ldexp_f32 v22, v19, 1
	s_delay_alu instid0(VALU_DEP_2) | instskip(SKIP_1) | instid1(VALU_DEP_2)
	v_mul_f32_e32 v21, v23, v21
	v_sub_f32_e32 v19, v19, v20
	v_dual_mul_f32 v23, 0x3f317218, v16 :: v_dual_add_f32 v20, v22, v21
	s_delay_alu instid0(VALU_DEP_2) | instskip(NEXT) | instid1(VALU_DEP_2)
	v_sub_f32_e32 v17, v17, v19
	v_sub_f32_e32 v19, v20, v22
	s_delay_alu instid0(VALU_DEP_3) | instskip(NEXT) | instid1(VALU_DEP_3)
	v_fma_f32 v22, 0x3f317218, v16, -v23
	v_ldexp_f32 v17, v17, 1
	s_delay_alu instid0(VALU_DEP_2) | instskip(NEXT) | instid1(VALU_DEP_1)
	v_dual_sub_f32 v19, v21, v19 :: v_dual_fmac_f32 v22, 0xb102e308, v16
	v_dual_add_f32 v16, v17, v19 :: v_dual_add_f32 v17, v23, v22
	s_delay_alu instid0(VALU_DEP_1) | instskip(NEXT) | instid1(VALU_DEP_1)
	v_add_f32_e32 v19, v20, v16
	v_dual_add_f32 v21, v17, v19 :: v_dual_sub_f32 v20, v19, v20
	s_delay_alu instid0(VALU_DEP_1) | instskip(NEXT) | instid1(VALU_DEP_2)
	v_sub_f32_e32 v24, v21, v17
	v_dual_sub_f32 v23, v17, v23 :: v_dual_sub_f32 v16, v16, v20
	s_delay_alu instid0(VALU_DEP_1) | instskip(SKIP_1) | instid1(VALU_DEP_2)
	v_dual_sub_f32 v25, v21, v24 :: v_dual_sub_f32 v22, v22, v23
	v_sub_f32_e32 v19, v19, v24
	v_dual_sub_f32 v17, v17, v25 :: v_dual_add_f32 v20, v22, v16
	s_delay_alu instid0(VALU_DEP_1) | instskip(NEXT) | instid1(VALU_DEP_2)
	v_add_f32_e32 v17, v19, v17
	v_sub_f32_e32 v19, v20, v22
	s_delay_alu instid0(VALU_DEP_2) | instskip(NEXT) | instid1(VALU_DEP_2)
	v_add_f32_e32 v17, v20, v17
	v_sub_f32_e32 v20, v20, v19
	s_delay_alu instid0(VALU_DEP_2) | instskip(NEXT) | instid1(VALU_DEP_1)
	v_dual_sub_f32 v16, v16, v19 :: v_dual_add_f32 v23, v21, v17
	v_dual_sub_f32 v20, v22, v20 :: v_dual_sub_f32 v19, v23, v21
	s_delay_alu instid0(VALU_DEP_1) | instskip(NEXT) | instid1(VALU_DEP_1)
	v_dual_add_f32 v16, v16, v20 :: v_dual_sub_f32 v17, v17, v19
	v_add_f32_e32 v16, v16, v17
	s_delay_alu instid0(VALU_DEP_1) | instskip(NEXT) | instid1(VALU_DEP_1)
	v_add_f32_e32 v16, v23, v16
	v_cndmask_b32_e32 v67, v16, v18, vcc_lo
.LBB123_30:                             ;   in Loop: Header=BB123_12 Depth=1
	s_or_b32 exec_lo, exec_lo, s16
	v_lshrrev_b32_e32 v16, 16, v6
	s_delay_alu instid0(VALU_DEP_1) | instskip(NEXT) | instid1(VALU_DEP_1)
	v_cvt_f32_f16_e32 v16, v16
	v_add_f32_e32 v68, s57, v16
	s_delay_alu instid0(VALU_DEP_1) | instskip(SKIP_1) | instid1(SALU_CYCLE_1)
	v_cmp_ge_f32_e32 vcc_lo, 0x41a00000, v68
	s_and_b32 s15, s67, vcc_lo
	s_and_saveexec_b32 s16, s15
	s_cbranch_execz .LBB123_32
; %bb.31:                               ;   in Loop: Header=BB123_12 Depth=1
	v_mul_f32_e32 v16, 0x3fb8aa3b, v68
	v_cmp_ngt_f32_e32 vcc_lo, 0xc2ce8ed0, v68
	s_delay_alu instid0(VALU_DEP_2) | instskip(SKIP_1) | instid1(VALU_DEP_2)
	v_rndne_f32_e32 v17, v16
	v_fma_f32 v18, 0x3fb8aa3b, v68, -v16
	v_sub_f32_e32 v16, v16, v17
	s_delay_alu instid0(VALU_DEP_2) | instskip(SKIP_1) | instid1(VALU_DEP_2)
	v_fmac_f32_e32 v18, 0x32a5705f, v68
	v_cvt_i32_f32_e32 v17, v17
	v_add_f32_e32 v16, v16, v18
	s_delay_alu instid0(VALU_DEP_1) | instskip(SKIP_2) | instid1(VALU_DEP_1)
	v_exp_f32_e32 v16, v16
	s_waitcnt_depctr 0xfff
	v_ldexp_f32 v16, v16, v17
	v_cndmask_b32_e32 v16, 0, v16, vcc_lo
	v_cmp_nlt_f32_e32 vcc_lo, 0x42b17218, v68
	s_delay_alu instid0(VALU_DEP_2) | instskip(NEXT) | instid1(VALU_DEP_1)
	v_cndmask_b32_e32 v18, 0x7f800000, v16, vcc_lo
	v_add_f32_e32 v19, 1.0, v18
	s_delay_alu instid0(VALU_DEP_1) | instskip(NEXT) | instid1(VALU_DEP_1)
	v_cvt_f64_f32_e32 v[16:17], v19
	v_frexp_exp_i32_f64_e32 v16, v[16:17]
	v_frexp_mant_f32_e32 v17, v19
	s_delay_alu instid0(VALU_DEP_1) | instskip(SKIP_1) | instid1(VALU_DEP_1)
	v_cmp_gt_f32_e32 vcc_lo, 0x3f2aaaab, v17
	v_add_f32_e32 v17, -1.0, v19
	v_sub_f32_e32 v21, v17, v19
	v_sub_f32_e32 v17, v18, v17
	s_delay_alu instid0(VALU_DEP_2) | instskip(NEXT) | instid1(VALU_DEP_1)
	v_add_f32_e32 v21, 1.0, v21
	v_add_f32_e32 v17, v17, v21
	v_cmp_gt_f32_e64 s15, 0x33800000, v18
	v_subrev_co_ci_u32_e32 v16, vcc_lo, 0, v16, vcc_lo
	v_cmp_eq_f32_e32 vcc_lo, 0x7f800000, v18
	s_delay_alu instid0(VALU_DEP_2) | instskip(SKIP_2) | instid1(VALU_DEP_2)
	v_sub_nc_u32_e32 v20, 0, v16
	v_cvt_f32_i32_e32 v16, v16
	s_or_b32 vcc_lo, s15, vcc_lo
	v_ldexp_f32 v19, v19, v20
	v_ldexp_f32 v17, v17, v20
	s_delay_alu instid0(VALU_DEP_2) | instskip(NEXT) | instid1(VALU_DEP_1)
	v_add_f32_e32 v22, 1.0, v19
	v_dual_add_f32 v20, -1.0, v19 :: v_dual_add_f32 v21, -1.0, v22
	s_delay_alu instid0(VALU_DEP_1) | instskip(NEXT) | instid1(VALU_DEP_2)
	v_add_f32_e32 v23, 1.0, v20
	v_sub_f32_e32 v21, v19, v21
	s_delay_alu instid0(VALU_DEP_2) | instskip(NEXT) | instid1(VALU_DEP_2)
	v_sub_f32_e32 v19, v19, v23
	v_add_f32_e32 v21, v17, v21
	s_delay_alu instid0(VALU_DEP_2) | instskip(NEXT) | instid1(VALU_DEP_1)
	v_add_f32_e32 v17, v17, v19
	v_add_f32_e32 v24, v20, v17
	s_delay_alu instid0(VALU_DEP_1) | instskip(NEXT) | instid1(VALU_DEP_1)
	v_dual_add_f32 v23, v22, v21 :: v_dual_sub_f32 v20, v20, v24
	v_rcp_f32_e32 v19, v23
	v_sub_f32_e32 v22, v22, v23
	s_delay_alu instid0(VALU_DEP_1) | instskip(SKIP_2) | instid1(VALU_DEP_1)
	v_add_f32_e32 v21, v21, v22
	s_waitcnt_depctr 0xfff
	v_mul_f32_e32 v25, v24, v19
	v_mul_f32_e32 v26, v23, v25
	s_delay_alu instid0(VALU_DEP_1) | instskip(NEXT) | instid1(VALU_DEP_1)
	v_fma_f32 v22, v25, v23, -v26
	v_fmac_f32_e32 v22, v25, v21
	s_delay_alu instid0(VALU_DEP_1) | instskip(NEXT) | instid1(VALU_DEP_1)
	v_add_f32_e32 v27, v26, v22
	v_sub_f32_e32 v28, v24, v27
	s_delay_alu instid0(VALU_DEP_1) | instskip(SKIP_1) | instid1(VALU_DEP_2)
	v_sub_f32_e32 v24, v24, v28
	v_dual_add_f32 v17, v17, v20 :: v_dual_sub_f32 v20, v27, v26
	v_sub_f32_e32 v24, v24, v27
	s_delay_alu instid0(VALU_DEP_1) | instskip(NEXT) | instid1(VALU_DEP_1)
	v_dual_sub_f32 v20, v20, v22 :: v_dual_add_f32 v17, v17, v24
	v_add_f32_e32 v17, v20, v17
	s_delay_alu instid0(VALU_DEP_1) | instskip(NEXT) | instid1(VALU_DEP_1)
	v_add_f32_e32 v20, v28, v17
	v_mul_f32_e32 v22, v19, v20
	s_delay_alu instid0(VALU_DEP_1) | instskip(NEXT) | instid1(VALU_DEP_1)
	v_dual_sub_f32 v27, v28, v20 :: v_dual_mul_f32 v24, v23, v22
	v_add_f32_e32 v17, v17, v27
	s_delay_alu instid0(VALU_DEP_2) | instskip(NEXT) | instid1(VALU_DEP_1)
	v_fma_f32 v23, v22, v23, -v24
	v_fmac_f32_e32 v23, v22, v21
	s_delay_alu instid0(VALU_DEP_1) | instskip(NEXT) | instid1(VALU_DEP_1)
	v_add_f32_e32 v21, v24, v23
	v_sub_f32_e32 v26, v20, v21
	s_delay_alu instid0(VALU_DEP_1) | instskip(NEXT) | instid1(VALU_DEP_1)
	v_sub_f32_e32 v20, v20, v26
	v_sub_f32_e32 v20, v20, v21
	s_delay_alu instid0(VALU_DEP_1) | instskip(SKIP_2) | instid1(VALU_DEP_1)
	v_add_f32_e32 v17, v17, v20
	v_add_f32_e32 v20, v25, v22
	v_sub_f32_e32 v24, v21, v24
	v_sub_f32_e32 v21, v24, v23
	s_delay_alu instid0(VALU_DEP_1) | instskip(NEXT) | instid1(VALU_DEP_4)
	v_add_f32_e32 v17, v21, v17
	v_sub_f32_e32 v21, v20, v25
	s_delay_alu instid0(VALU_DEP_2) | instskip(NEXT) | instid1(VALU_DEP_2)
	v_add_f32_e32 v17, v26, v17
	v_sub_f32_e32 v21, v22, v21
	s_delay_alu instid0(VALU_DEP_2) | instskip(NEXT) | instid1(VALU_DEP_1)
	v_mul_f32_e32 v17, v19, v17
	v_add_f32_e32 v17, v21, v17
	s_delay_alu instid0(VALU_DEP_1) | instskip(NEXT) | instid1(VALU_DEP_1)
	v_add_f32_e32 v19, v20, v17
	v_mul_f32_e32 v21, v19, v19
	s_delay_alu instid0(VALU_DEP_1) | instskip(SKIP_1) | instid1(VALU_DEP_2)
	v_fmaak_f32 v22, s54, v21, 0x3ecc95a3
	v_mul_f32_e32 v23, v19, v21
	v_fmaak_f32 v21, v21, v22, 0x3f2aaada
	v_ldexp_f32 v22, v19, 1
	s_delay_alu instid0(VALU_DEP_2) | instskip(SKIP_1) | instid1(VALU_DEP_2)
	v_mul_f32_e32 v21, v23, v21
	v_sub_f32_e32 v19, v19, v20
	v_dual_mul_f32 v23, 0x3f317218, v16 :: v_dual_add_f32 v20, v22, v21
	s_delay_alu instid0(VALU_DEP_2) | instskip(NEXT) | instid1(VALU_DEP_2)
	v_sub_f32_e32 v17, v17, v19
	v_sub_f32_e32 v19, v20, v22
	s_delay_alu instid0(VALU_DEP_3) | instskip(NEXT) | instid1(VALU_DEP_3)
	v_fma_f32 v22, 0x3f317218, v16, -v23
	v_ldexp_f32 v17, v17, 1
	s_delay_alu instid0(VALU_DEP_2) | instskip(NEXT) | instid1(VALU_DEP_1)
	v_dual_sub_f32 v19, v21, v19 :: v_dual_fmac_f32 v22, 0xb102e308, v16
	v_dual_add_f32 v16, v17, v19 :: v_dual_add_f32 v17, v23, v22
	s_delay_alu instid0(VALU_DEP_1) | instskip(NEXT) | instid1(VALU_DEP_1)
	v_add_f32_e32 v19, v20, v16
	v_dual_add_f32 v21, v17, v19 :: v_dual_sub_f32 v20, v19, v20
	s_delay_alu instid0(VALU_DEP_1) | instskip(NEXT) | instid1(VALU_DEP_2)
	v_sub_f32_e32 v24, v21, v17
	v_dual_sub_f32 v23, v17, v23 :: v_dual_sub_f32 v16, v16, v20
	s_delay_alu instid0(VALU_DEP_1) | instskip(SKIP_1) | instid1(VALU_DEP_2)
	v_dual_sub_f32 v25, v21, v24 :: v_dual_sub_f32 v22, v22, v23
	v_sub_f32_e32 v19, v19, v24
	v_dual_sub_f32 v17, v17, v25 :: v_dual_add_f32 v20, v22, v16
	s_delay_alu instid0(VALU_DEP_1) | instskip(NEXT) | instid1(VALU_DEP_2)
	v_add_f32_e32 v17, v19, v17
	v_sub_f32_e32 v19, v20, v22
	s_delay_alu instid0(VALU_DEP_2) | instskip(NEXT) | instid1(VALU_DEP_2)
	v_add_f32_e32 v17, v20, v17
	v_sub_f32_e32 v20, v20, v19
	s_delay_alu instid0(VALU_DEP_2) | instskip(NEXT) | instid1(VALU_DEP_1)
	v_dual_sub_f32 v16, v16, v19 :: v_dual_add_f32 v23, v21, v17
	v_dual_sub_f32 v20, v22, v20 :: v_dual_sub_f32 v19, v23, v21
	s_delay_alu instid0(VALU_DEP_1) | instskip(NEXT) | instid1(VALU_DEP_1)
	v_dual_add_f32 v16, v16, v20 :: v_dual_sub_f32 v17, v17, v19
	v_add_f32_e32 v16, v16, v17
	s_delay_alu instid0(VALU_DEP_1) | instskip(NEXT) | instid1(VALU_DEP_1)
	v_add_f32_e32 v16, v23, v16
	v_cndmask_b32_e32 v68, v16, v18, vcc_lo
.LBB123_32:                             ;   in Loop: Header=BB123_12 Depth=1
	s_or_b32 exec_lo, exec_lo, s16
	v_cvt_f32_f16_e32 v16, v7
	s_delay_alu instid0(VALU_DEP_1) | instskip(NEXT) | instid1(VALU_DEP_1)
	v_add_f32_e32 v69, s57, v16
	v_cmp_ge_f32_e32 vcc_lo, 0x41a00000, v69
	s_and_b32 s15, s67, vcc_lo
	s_delay_alu instid0(SALU_CYCLE_1)
	s_and_saveexec_b32 s16, s15
	s_cbranch_execz .LBB123_34
; %bb.33:                               ;   in Loop: Header=BB123_12 Depth=1
	v_mul_f32_e32 v16, 0x3fb8aa3b, v69
	v_cmp_ngt_f32_e32 vcc_lo, 0xc2ce8ed0, v69
	s_delay_alu instid0(VALU_DEP_2) | instskip(SKIP_1) | instid1(VALU_DEP_2)
	v_rndne_f32_e32 v17, v16
	v_fma_f32 v18, 0x3fb8aa3b, v69, -v16
	v_sub_f32_e32 v16, v16, v17
	s_delay_alu instid0(VALU_DEP_2) | instskip(SKIP_1) | instid1(VALU_DEP_2)
	v_fmac_f32_e32 v18, 0x32a5705f, v69
	v_cvt_i32_f32_e32 v17, v17
	v_add_f32_e32 v16, v16, v18
	s_delay_alu instid0(VALU_DEP_1) | instskip(SKIP_2) | instid1(VALU_DEP_1)
	v_exp_f32_e32 v16, v16
	s_waitcnt_depctr 0xfff
	v_ldexp_f32 v16, v16, v17
	v_cndmask_b32_e32 v16, 0, v16, vcc_lo
	v_cmp_nlt_f32_e32 vcc_lo, 0x42b17218, v69
	s_delay_alu instid0(VALU_DEP_2) | instskip(NEXT) | instid1(VALU_DEP_1)
	v_cndmask_b32_e32 v18, 0x7f800000, v16, vcc_lo
	v_add_f32_e32 v19, 1.0, v18
	s_delay_alu instid0(VALU_DEP_1) | instskip(NEXT) | instid1(VALU_DEP_1)
	v_cvt_f64_f32_e32 v[16:17], v19
	v_frexp_exp_i32_f64_e32 v16, v[16:17]
	v_frexp_mant_f32_e32 v17, v19
	s_delay_alu instid0(VALU_DEP_1) | instskip(SKIP_1) | instid1(VALU_DEP_1)
	v_cmp_gt_f32_e32 vcc_lo, 0x3f2aaaab, v17
	v_add_f32_e32 v17, -1.0, v19
	v_sub_f32_e32 v21, v17, v19
	v_sub_f32_e32 v17, v18, v17
	s_delay_alu instid0(VALU_DEP_2) | instskip(NEXT) | instid1(VALU_DEP_1)
	v_add_f32_e32 v21, 1.0, v21
	v_add_f32_e32 v17, v17, v21
	v_cmp_gt_f32_e64 s15, 0x33800000, v18
	v_subrev_co_ci_u32_e32 v16, vcc_lo, 0, v16, vcc_lo
	v_cmp_eq_f32_e32 vcc_lo, 0x7f800000, v18
	s_delay_alu instid0(VALU_DEP_2) | instskip(SKIP_2) | instid1(VALU_DEP_2)
	v_sub_nc_u32_e32 v20, 0, v16
	v_cvt_f32_i32_e32 v16, v16
	s_or_b32 vcc_lo, s15, vcc_lo
	v_ldexp_f32 v19, v19, v20
	v_ldexp_f32 v17, v17, v20
	s_delay_alu instid0(VALU_DEP_2) | instskip(NEXT) | instid1(VALU_DEP_1)
	v_add_f32_e32 v22, 1.0, v19
	v_dual_add_f32 v20, -1.0, v19 :: v_dual_add_f32 v21, -1.0, v22
	s_delay_alu instid0(VALU_DEP_1) | instskip(NEXT) | instid1(VALU_DEP_2)
	v_add_f32_e32 v23, 1.0, v20
	v_sub_f32_e32 v21, v19, v21
	s_delay_alu instid0(VALU_DEP_2) | instskip(NEXT) | instid1(VALU_DEP_2)
	v_sub_f32_e32 v19, v19, v23
	v_add_f32_e32 v21, v17, v21
	s_delay_alu instid0(VALU_DEP_2) | instskip(NEXT) | instid1(VALU_DEP_1)
	v_add_f32_e32 v17, v17, v19
	v_add_f32_e32 v24, v20, v17
	s_delay_alu instid0(VALU_DEP_1) | instskip(NEXT) | instid1(VALU_DEP_1)
	v_dual_add_f32 v23, v22, v21 :: v_dual_sub_f32 v20, v20, v24
	v_rcp_f32_e32 v19, v23
	v_sub_f32_e32 v22, v22, v23
	s_delay_alu instid0(VALU_DEP_1) | instskip(SKIP_2) | instid1(VALU_DEP_1)
	v_add_f32_e32 v21, v21, v22
	s_waitcnt_depctr 0xfff
	v_mul_f32_e32 v25, v24, v19
	v_mul_f32_e32 v26, v23, v25
	s_delay_alu instid0(VALU_DEP_1) | instskip(NEXT) | instid1(VALU_DEP_1)
	v_fma_f32 v22, v25, v23, -v26
	v_fmac_f32_e32 v22, v25, v21
	s_delay_alu instid0(VALU_DEP_1) | instskip(NEXT) | instid1(VALU_DEP_1)
	v_add_f32_e32 v27, v26, v22
	v_sub_f32_e32 v28, v24, v27
	s_delay_alu instid0(VALU_DEP_1) | instskip(SKIP_1) | instid1(VALU_DEP_2)
	v_sub_f32_e32 v24, v24, v28
	v_dual_add_f32 v17, v17, v20 :: v_dual_sub_f32 v20, v27, v26
	v_sub_f32_e32 v24, v24, v27
	s_delay_alu instid0(VALU_DEP_1) | instskip(NEXT) | instid1(VALU_DEP_1)
	v_dual_sub_f32 v20, v20, v22 :: v_dual_add_f32 v17, v17, v24
	v_add_f32_e32 v17, v20, v17
	s_delay_alu instid0(VALU_DEP_1) | instskip(NEXT) | instid1(VALU_DEP_1)
	v_add_f32_e32 v20, v28, v17
	v_mul_f32_e32 v22, v19, v20
	s_delay_alu instid0(VALU_DEP_1) | instskip(NEXT) | instid1(VALU_DEP_1)
	v_dual_sub_f32 v27, v28, v20 :: v_dual_mul_f32 v24, v23, v22
	v_add_f32_e32 v17, v17, v27
	s_delay_alu instid0(VALU_DEP_2) | instskip(NEXT) | instid1(VALU_DEP_1)
	v_fma_f32 v23, v22, v23, -v24
	v_fmac_f32_e32 v23, v22, v21
	s_delay_alu instid0(VALU_DEP_1) | instskip(NEXT) | instid1(VALU_DEP_1)
	v_add_f32_e32 v21, v24, v23
	v_sub_f32_e32 v26, v20, v21
	s_delay_alu instid0(VALU_DEP_1) | instskip(NEXT) | instid1(VALU_DEP_1)
	v_sub_f32_e32 v20, v20, v26
	v_sub_f32_e32 v20, v20, v21
	s_delay_alu instid0(VALU_DEP_1) | instskip(SKIP_2) | instid1(VALU_DEP_1)
	v_add_f32_e32 v17, v17, v20
	v_add_f32_e32 v20, v25, v22
	v_sub_f32_e32 v24, v21, v24
	v_sub_f32_e32 v21, v24, v23
	s_delay_alu instid0(VALU_DEP_1) | instskip(NEXT) | instid1(VALU_DEP_4)
	v_add_f32_e32 v17, v21, v17
	v_sub_f32_e32 v21, v20, v25
	s_delay_alu instid0(VALU_DEP_2) | instskip(NEXT) | instid1(VALU_DEP_2)
	v_add_f32_e32 v17, v26, v17
	v_sub_f32_e32 v21, v22, v21
	s_delay_alu instid0(VALU_DEP_2) | instskip(NEXT) | instid1(VALU_DEP_1)
	v_mul_f32_e32 v17, v19, v17
	v_add_f32_e32 v17, v21, v17
	s_delay_alu instid0(VALU_DEP_1) | instskip(NEXT) | instid1(VALU_DEP_1)
	v_add_f32_e32 v19, v20, v17
	v_mul_f32_e32 v21, v19, v19
	s_delay_alu instid0(VALU_DEP_1) | instskip(SKIP_1) | instid1(VALU_DEP_2)
	v_fmaak_f32 v22, s54, v21, 0x3ecc95a3
	v_mul_f32_e32 v23, v19, v21
	v_fmaak_f32 v21, v21, v22, 0x3f2aaada
	v_ldexp_f32 v22, v19, 1
	s_delay_alu instid0(VALU_DEP_2) | instskip(SKIP_1) | instid1(VALU_DEP_2)
	v_mul_f32_e32 v21, v23, v21
	v_sub_f32_e32 v19, v19, v20
	v_dual_mul_f32 v23, 0x3f317218, v16 :: v_dual_add_f32 v20, v22, v21
	s_delay_alu instid0(VALU_DEP_2) | instskip(NEXT) | instid1(VALU_DEP_2)
	v_sub_f32_e32 v17, v17, v19
	v_sub_f32_e32 v19, v20, v22
	s_delay_alu instid0(VALU_DEP_3) | instskip(NEXT) | instid1(VALU_DEP_3)
	v_fma_f32 v22, 0x3f317218, v16, -v23
	v_ldexp_f32 v17, v17, 1
	s_delay_alu instid0(VALU_DEP_2) | instskip(NEXT) | instid1(VALU_DEP_1)
	v_dual_sub_f32 v19, v21, v19 :: v_dual_fmac_f32 v22, 0xb102e308, v16
	v_dual_add_f32 v16, v17, v19 :: v_dual_add_f32 v17, v23, v22
	s_delay_alu instid0(VALU_DEP_1) | instskip(NEXT) | instid1(VALU_DEP_1)
	v_add_f32_e32 v19, v20, v16
	v_dual_add_f32 v21, v17, v19 :: v_dual_sub_f32 v20, v19, v20
	s_delay_alu instid0(VALU_DEP_1) | instskip(NEXT) | instid1(VALU_DEP_2)
	v_sub_f32_e32 v24, v21, v17
	v_dual_sub_f32 v23, v17, v23 :: v_dual_sub_f32 v16, v16, v20
	s_delay_alu instid0(VALU_DEP_1) | instskip(SKIP_1) | instid1(VALU_DEP_2)
	v_dual_sub_f32 v25, v21, v24 :: v_dual_sub_f32 v22, v22, v23
	v_sub_f32_e32 v19, v19, v24
	v_dual_sub_f32 v17, v17, v25 :: v_dual_add_f32 v20, v22, v16
	s_delay_alu instid0(VALU_DEP_1) | instskip(NEXT) | instid1(VALU_DEP_2)
	v_add_f32_e32 v17, v19, v17
	v_sub_f32_e32 v19, v20, v22
	s_delay_alu instid0(VALU_DEP_2) | instskip(NEXT) | instid1(VALU_DEP_2)
	v_add_f32_e32 v17, v20, v17
	v_sub_f32_e32 v20, v20, v19
	s_delay_alu instid0(VALU_DEP_2) | instskip(NEXT) | instid1(VALU_DEP_1)
	v_dual_sub_f32 v16, v16, v19 :: v_dual_add_f32 v23, v21, v17
	v_dual_sub_f32 v20, v22, v20 :: v_dual_sub_f32 v19, v23, v21
	s_delay_alu instid0(VALU_DEP_1) | instskip(NEXT) | instid1(VALU_DEP_1)
	v_dual_add_f32 v16, v16, v20 :: v_dual_sub_f32 v17, v17, v19
	v_add_f32_e32 v16, v16, v17
	s_delay_alu instid0(VALU_DEP_1) | instskip(NEXT) | instid1(VALU_DEP_1)
	v_add_f32_e32 v16, v23, v16
	v_cndmask_b32_e32 v69, v16, v18, vcc_lo
.LBB123_34:                             ;   in Loop: Header=BB123_12 Depth=1
	s_or_b32 exec_lo, exec_lo, s16
	v_lshrrev_b32_e32 v16, 16, v7
	s_delay_alu instid0(VALU_DEP_1) | instskip(NEXT) | instid1(VALU_DEP_1)
	v_cvt_f32_f16_e32 v16, v16
	v_add_f32_e32 v70, s57, v16
	s_delay_alu instid0(VALU_DEP_1) | instskip(SKIP_1) | instid1(SALU_CYCLE_1)
	v_cmp_ge_f32_e32 vcc_lo, 0x41a00000, v70
	s_and_b32 s15, s67, vcc_lo
	s_and_saveexec_b32 s16, s15
	s_cbranch_execz .LBB123_36
; %bb.35:                               ;   in Loop: Header=BB123_12 Depth=1
	v_mul_f32_e32 v16, 0x3fb8aa3b, v70
	v_cmp_ngt_f32_e32 vcc_lo, 0xc2ce8ed0, v70
	s_delay_alu instid0(VALU_DEP_2) | instskip(SKIP_1) | instid1(VALU_DEP_2)
	v_rndne_f32_e32 v17, v16
	v_fma_f32 v18, 0x3fb8aa3b, v70, -v16
	v_sub_f32_e32 v16, v16, v17
	s_delay_alu instid0(VALU_DEP_2) | instskip(SKIP_1) | instid1(VALU_DEP_2)
	v_fmac_f32_e32 v18, 0x32a5705f, v70
	v_cvt_i32_f32_e32 v17, v17
	v_add_f32_e32 v16, v16, v18
	s_delay_alu instid0(VALU_DEP_1) | instskip(SKIP_2) | instid1(VALU_DEP_1)
	v_exp_f32_e32 v16, v16
	s_waitcnt_depctr 0xfff
	v_ldexp_f32 v16, v16, v17
	v_cndmask_b32_e32 v16, 0, v16, vcc_lo
	v_cmp_nlt_f32_e32 vcc_lo, 0x42b17218, v70
	s_delay_alu instid0(VALU_DEP_2) | instskip(NEXT) | instid1(VALU_DEP_1)
	v_cndmask_b32_e32 v18, 0x7f800000, v16, vcc_lo
	v_add_f32_e32 v19, 1.0, v18
	s_delay_alu instid0(VALU_DEP_1) | instskip(NEXT) | instid1(VALU_DEP_1)
	v_cvt_f64_f32_e32 v[16:17], v19
	v_frexp_exp_i32_f64_e32 v16, v[16:17]
	v_frexp_mant_f32_e32 v17, v19
	s_delay_alu instid0(VALU_DEP_1) | instskip(SKIP_1) | instid1(VALU_DEP_1)
	v_cmp_gt_f32_e32 vcc_lo, 0x3f2aaaab, v17
	v_add_f32_e32 v17, -1.0, v19
	v_sub_f32_e32 v21, v17, v19
	v_sub_f32_e32 v17, v18, v17
	s_delay_alu instid0(VALU_DEP_2) | instskip(NEXT) | instid1(VALU_DEP_1)
	v_add_f32_e32 v21, 1.0, v21
	v_add_f32_e32 v17, v17, v21
	v_cmp_gt_f32_e64 s15, 0x33800000, v18
	v_subrev_co_ci_u32_e32 v16, vcc_lo, 0, v16, vcc_lo
	v_cmp_eq_f32_e32 vcc_lo, 0x7f800000, v18
	s_delay_alu instid0(VALU_DEP_2) | instskip(SKIP_2) | instid1(VALU_DEP_2)
	v_sub_nc_u32_e32 v20, 0, v16
	v_cvt_f32_i32_e32 v16, v16
	s_or_b32 vcc_lo, s15, vcc_lo
	v_ldexp_f32 v19, v19, v20
	v_ldexp_f32 v17, v17, v20
	s_delay_alu instid0(VALU_DEP_2) | instskip(NEXT) | instid1(VALU_DEP_1)
	v_add_f32_e32 v22, 1.0, v19
	v_dual_add_f32 v20, -1.0, v19 :: v_dual_add_f32 v21, -1.0, v22
	s_delay_alu instid0(VALU_DEP_1) | instskip(NEXT) | instid1(VALU_DEP_2)
	v_add_f32_e32 v23, 1.0, v20
	v_sub_f32_e32 v21, v19, v21
	s_delay_alu instid0(VALU_DEP_2) | instskip(NEXT) | instid1(VALU_DEP_2)
	v_sub_f32_e32 v19, v19, v23
	v_add_f32_e32 v21, v17, v21
	s_delay_alu instid0(VALU_DEP_2) | instskip(NEXT) | instid1(VALU_DEP_1)
	v_add_f32_e32 v17, v17, v19
	v_add_f32_e32 v24, v20, v17
	s_delay_alu instid0(VALU_DEP_1) | instskip(NEXT) | instid1(VALU_DEP_1)
	v_dual_add_f32 v23, v22, v21 :: v_dual_sub_f32 v20, v20, v24
	v_rcp_f32_e32 v19, v23
	v_sub_f32_e32 v22, v22, v23
	s_delay_alu instid0(VALU_DEP_1) | instskip(SKIP_2) | instid1(VALU_DEP_1)
	v_add_f32_e32 v21, v21, v22
	s_waitcnt_depctr 0xfff
	v_mul_f32_e32 v25, v24, v19
	v_mul_f32_e32 v26, v23, v25
	s_delay_alu instid0(VALU_DEP_1) | instskip(NEXT) | instid1(VALU_DEP_1)
	v_fma_f32 v22, v25, v23, -v26
	v_fmac_f32_e32 v22, v25, v21
	s_delay_alu instid0(VALU_DEP_1) | instskip(NEXT) | instid1(VALU_DEP_1)
	v_add_f32_e32 v27, v26, v22
	v_sub_f32_e32 v28, v24, v27
	s_delay_alu instid0(VALU_DEP_1) | instskip(SKIP_1) | instid1(VALU_DEP_2)
	v_sub_f32_e32 v24, v24, v28
	v_dual_add_f32 v17, v17, v20 :: v_dual_sub_f32 v20, v27, v26
	v_sub_f32_e32 v24, v24, v27
	s_delay_alu instid0(VALU_DEP_1) | instskip(NEXT) | instid1(VALU_DEP_1)
	v_dual_sub_f32 v20, v20, v22 :: v_dual_add_f32 v17, v17, v24
	v_add_f32_e32 v17, v20, v17
	s_delay_alu instid0(VALU_DEP_1) | instskip(NEXT) | instid1(VALU_DEP_1)
	v_add_f32_e32 v20, v28, v17
	v_mul_f32_e32 v22, v19, v20
	s_delay_alu instid0(VALU_DEP_1) | instskip(NEXT) | instid1(VALU_DEP_1)
	v_dual_sub_f32 v27, v28, v20 :: v_dual_mul_f32 v24, v23, v22
	v_add_f32_e32 v17, v17, v27
	s_delay_alu instid0(VALU_DEP_2) | instskip(NEXT) | instid1(VALU_DEP_1)
	v_fma_f32 v23, v22, v23, -v24
	v_fmac_f32_e32 v23, v22, v21
	s_delay_alu instid0(VALU_DEP_1) | instskip(NEXT) | instid1(VALU_DEP_1)
	v_add_f32_e32 v21, v24, v23
	v_sub_f32_e32 v26, v20, v21
	s_delay_alu instid0(VALU_DEP_1) | instskip(NEXT) | instid1(VALU_DEP_1)
	v_sub_f32_e32 v20, v20, v26
	v_sub_f32_e32 v20, v20, v21
	s_delay_alu instid0(VALU_DEP_1) | instskip(SKIP_2) | instid1(VALU_DEP_1)
	v_add_f32_e32 v17, v17, v20
	v_add_f32_e32 v20, v25, v22
	v_sub_f32_e32 v24, v21, v24
	v_sub_f32_e32 v21, v24, v23
	s_delay_alu instid0(VALU_DEP_1) | instskip(NEXT) | instid1(VALU_DEP_4)
	v_add_f32_e32 v17, v21, v17
	v_sub_f32_e32 v21, v20, v25
	s_delay_alu instid0(VALU_DEP_2) | instskip(NEXT) | instid1(VALU_DEP_2)
	v_add_f32_e32 v17, v26, v17
	v_sub_f32_e32 v21, v22, v21
	s_delay_alu instid0(VALU_DEP_2) | instskip(NEXT) | instid1(VALU_DEP_1)
	v_mul_f32_e32 v17, v19, v17
	v_add_f32_e32 v17, v21, v17
	s_delay_alu instid0(VALU_DEP_1) | instskip(NEXT) | instid1(VALU_DEP_1)
	v_add_f32_e32 v19, v20, v17
	v_mul_f32_e32 v21, v19, v19
	s_delay_alu instid0(VALU_DEP_1) | instskip(SKIP_1) | instid1(VALU_DEP_2)
	v_fmaak_f32 v22, s54, v21, 0x3ecc95a3
	v_mul_f32_e32 v23, v19, v21
	v_fmaak_f32 v21, v21, v22, 0x3f2aaada
	v_ldexp_f32 v22, v19, 1
	s_delay_alu instid0(VALU_DEP_2) | instskip(SKIP_1) | instid1(VALU_DEP_2)
	v_mul_f32_e32 v21, v23, v21
	v_sub_f32_e32 v19, v19, v20
	v_dual_mul_f32 v23, 0x3f317218, v16 :: v_dual_add_f32 v20, v22, v21
	s_delay_alu instid0(VALU_DEP_2) | instskip(NEXT) | instid1(VALU_DEP_2)
	v_sub_f32_e32 v17, v17, v19
	v_sub_f32_e32 v19, v20, v22
	s_delay_alu instid0(VALU_DEP_3) | instskip(NEXT) | instid1(VALU_DEP_3)
	v_fma_f32 v22, 0x3f317218, v16, -v23
	v_ldexp_f32 v17, v17, 1
	s_delay_alu instid0(VALU_DEP_2) | instskip(NEXT) | instid1(VALU_DEP_1)
	v_dual_sub_f32 v19, v21, v19 :: v_dual_fmac_f32 v22, 0xb102e308, v16
	v_dual_add_f32 v16, v17, v19 :: v_dual_add_f32 v17, v23, v22
	s_delay_alu instid0(VALU_DEP_1) | instskip(NEXT) | instid1(VALU_DEP_1)
	v_add_f32_e32 v19, v20, v16
	v_dual_add_f32 v21, v17, v19 :: v_dual_sub_f32 v20, v19, v20
	s_delay_alu instid0(VALU_DEP_1) | instskip(NEXT) | instid1(VALU_DEP_2)
	v_sub_f32_e32 v24, v21, v17
	v_dual_sub_f32 v23, v17, v23 :: v_dual_sub_f32 v16, v16, v20
	s_delay_alu instid0(VALU_DEP_1) | instskip(SKIP_1) | instid1(VALU_DEP_2)
	v_dual_sub_f32 v25, v21, v24 :: v_dual_sub_f32 v22, v22, v23
	v_sub_f32_e32 v19, v19, v24
	v_dual_sub_f32 v17, v17, v25 :: v_dual_add_f32 v20, v22, v16
	s_delay_alu instid0(VALU_DEP_1) | instskip(NEXT) | instid1(VALU_DEP_2)
	v_add_f32_e32 v17, v19, v17
	v_sub_f32_e32 v19, v20, v22
	s_delay_alu instid0(VALU_DEP_2) | instskip(NEXT) | instid1(VALU_DEP_2)
	v_add_f32_e32 v17, v20, v17
	v_sub_f32_e32 v20, v20, v19
	s_delay_alu instid0(VALU_DEP_2) | instskip(NEXT) | instid1(VALU_DEP_1)
	v_dual_sub_f32 v16, v16, v19 :: v_dual_add_f32 v23, v21, v17
	v_dual_sub_f32 v20, v22, v20 :: v_dual_sub_f32 v19, v23, v21
	s_delay_alu instid0(VALU_DEP_1) | instskip(NEXT) | instid1(VALU_DEP_1)
	v_dual_add_f32 v16, v16, v20 :: v_dual_sub_f32 v17, v17, v19
	v_add_f32_e32 v16, v16, v17
	s_delay_alu instid0(VALU_DEP_1) | instskip(NEXT) | instid1(VALU_DEP_1)
	v_add_f32_e32 v16, v23, v16
	v_cndmask_b32_e32 v70, v16, v18, vcc_lo
.LBB123_36:                             ;   in Loop: Header=BB123_12 Depth=1
	s_or_b32 exec_lo, exec_lo, s16
	s_waitcnt lgkmcnt(0)
	v_cvt_f32_f16_e32 v16, v0
	s_delay_alu instid0(VALU_DEP_1) | instskip(NEXT) | instid1(VALU_DEP_1)
	v_add_f32_e32 v71, s57, v16
	v_cmp_ge_f32_e32 vcc_lo, 0x41a00000, v71
	s_and_b32 s15, s67, vcc_lo
	s_delay_alu instid0(SALU_CYCLE_1)
	s_and_saveexec_b32 s16, s15
	s_cbranch_execz .LBB123_38
; %bb.37:                               ;   in Loop: Header=BB123_12 Depth=1
	v_mul_f32_e32 v16, 0x3fb8aa3b, v71
	v_cmp_ngt_f32_e32 vcc_lo, 0xc2ce8ed0, v71
	s_delay_alu instid0(VALU_DEP_2) | instskip(SKIP_1) | instid1(VALU_DEP_2)
	v_rndne_f32_e32 v17, v16
	v_fma_f32 v18, 0x3fb8aa3b, v71, -v16
	v_sub_f32_e32 v16, v16, v17
	s_delay_alu instid0(VALU_DEP_2) | instskip(SKIP_1) | instid1(VALU_DEP_2)
	v_fmac_f32_e32 v18, 0x32a5705f, v71
	v_cvt_i32_f32_e32 v17, v17
	v_add_f32_e32 v16, v16, v18
	s_delay_alu instid0(VALU_DEP_1) | instskip(SKIP_2) | instid1(VALU_DEP_1)
	v_exp_f32_e32 v16, v16
	s_waitcnt_depctr 0xfff
	v_ldexp_f32 v16, v16, v17
	v_cndmask_b32_e32 v16, 0, v16, vcc_lo
	v_cmp_nlt_f32_e32 vcc_lo, 0x42b17218, v71
	s_delay_alu instid0(VALU_DEP_2) | instskip(NEXT) | instid1(VALU_DEP_1)
	v_cndmask_b32_e32 v18, 0x7f800000, v16, vcc_lo
	v_add_f32_e32 v19, 1.0, v18
	s_delay_alu instid0(VALU_DEP_1) | instskip(NEXT) | instid1(VALU_DEP_1)
	v_cvt_f64_f32_e32 v[16:17], v19
	v_frexp_exp_i32_f64_e32 v16, v[16:17]
	v_frexp_mant_f32_e32 v17, v19
	s_delay_alu instid0(VALU_DEP_1) | instskip(SKIP_1) | instid1(VALU_DEP_1)
	v_cmp_gt_f32_e32 vcc_lo, 0x3f2aaaab, v17
	v_add_f32_e32 v17, -1.0, v19
	v_sub_f32_e32 v21, v17, v19
	v_sub_f32_e32 v17, v18, v17
	s_delay_alu instid0(VALU_DEP_2) | instskip(NEXT) | instid1(VALU_DEP_1)
	v_add_f32_e32 v21, 1.0, v21
	v_add_f32_e32 v17, v17, v21
	v_cmp_gt_f32_e64 s15, 0x33800000, v18
	v_subrev_co_ci_u32_e32 v16, vcc_lo, 0, v16, vcc_lo
	v_cmp_eq_f32_e32 vcc_lo, 0x7f800000, v18
	s_delay_alu instid0(VALU_DEP_2) | instskip(SKIP_2) | instid1(VALU_DEP_2)
	v_sub_nc_u32_e32 v20, 0, v16
	v_cvt_f32_i32_e32 v16, v16
	s_or_b32 vcc_lo, s15, vcc_lo
	v_ldexp_f32 v19, v19, v20
	v_ldexp_f32 v17, v17, v20
	s_delay_alu instid0(VALU_DEP_2) | instskip(NEXT) | instid1(VALU_DEP_1)
	v_add_f32_e32 v22, 1.0, v19
	v_dual_add_f32 v20, -1.0, v19 :: v_dual_add_f32 v21, -1.0, v22
	s_delay_alu instid0(VALU_DEP_1) | instskip(NEXT) | instid1(VALU_DEP_2)
	v_add_f32_e32 v23, 1.0, v20
	v_sub_f32_e32 v21, v19, v21
	s_delay_alu instid0(VALU_DEP_2) | instskip(NEXT) | instid1(VALU_DEP_2)
	v_sub_f32_e32 v19, v19, v23
	v_add_f32_e32 v21, v17, v21
	s_delay_alu instid0(VALU_DEP_2) | instskip(NEXT) | instid1(VALU_DEP_1)
	v_add_f32_e32 v17, v17, v19
	v_add_f32_e32 v24, v20, v17
	s_delay_alu instid0(VALU_DEP_1) | instskip(NEXT) | instid1(VALU_DEP_1)
	v_dual_add_f32 v23, v22, v21 :: v_dual_sub_f32 v20, v20, v24
	v_rcp_f32_e32 v19, v23
	v_sub_f32_e32 v22, v22, v23
	s_delay_alu instid0(VALU_DEP_1) | instskip(SKIP_2) | instid1(VALU_DEP_1)
	v_add_f32_e32 v21, v21, v22
	s_waitcnt_depctr 0xfff
	v_mul_f32_e32 v25, v24, v19
	v_mul_f32_e32 v26, v23, v25
	s_delay_alu instid0(VALU_DEP_1) | instskip(NEXT) | instid1(VALU_DEP_1)
	v_fma_f32 v22, v25, v23, -v26
	v_fmac_f32_e32 v22, v25, v21
	s_delay_alu instid0(VALU_DEP_1) | instskip(NEXT) | instid1(VALU_DEP_1)
	v_add_f32_e32 v27, v26, v22
	v_sub_f32_e32 v28, v24, v27
	s_delay_alu instid0(VALU_DEP_1) | instskip(SKIP_1) | instid1(VALU_DEP_2)
	v_sub_f32_e32 v24, v24, v28
	v_dual_add_f32 v17, v17, v20 :: v_dual_sub_f32 v20, v27, v26
	v_sub_f32_e32 v24, v24, v27
	s_delay_alu instid0(VALU_DEP_1) | instskip(NEXT) | instid1(VALU_DEP_1)
	v_dual_sub_f32 v20, v20, v22 :: v_dual_add_f32 v17, v17, v24
	v_add_f32_e32 v17, v20, v17
	s_delay_alu instid0(VALU_DEP_1) | instskip(NEXT) | instid1(VALU_DEP_1)
	v_add_f32_e32 v20, v28, v17
	v_mul_f32_e32 v22, v19, v20
	s_delay_alu instid0(VALU_DEP_1) | instskip(NEXT) | instid1(VALU_DEP_1)
	v_dual_sub_f32 v27, v28, v20 :: v_dual_mul_f32 v24, v23, v22
	v_add_f32_e32 v17, v17, v27
	s_delay_alu instid0(VALU_DEP_2) | instskip(NEXT) | instid1(VALU_DEP_1)
	v_fma_f32 v23, v22, v23, -v24
	v_fmac_f32_e32 v23, v22, v21
	s_delay_alu instid0(VALU_DEP_1) | instskip(NEXT) | instid1(VALU_DEP_1)
	v_add_f32_e32 v21, v24, v23
	v_sub_f32_e32 v26, v20, v21
	s_delay_alu instid0(VALU_DEP_1) | instskip(NEXT) | instid1(VALU_DEP_1)
	v_sub_f32_e32 v20, v20, v26
	v_sub_f32_e32 v20, v20, v21
	s_delay_alu instid0(VALU_DEP_1) | instskip(SKIP_2) | instid1(VALU_DEP_1)
	v_add_f32_e32 v17, v17, v20
	v_add_f32_e32 v20, v25, v22
	v_sub_f32_e32 v24, v21, v24
	v_sub_f32_e32 v21, v24, v23
	s_delay_alu instid0(VALU_DEP_1) | instskip(NEXT) | instid1(VALU_DEP_4)
	v_add_f32_e32 v17, v21, v17
	v_sub_f32_e32 v21, v20, v25
	s_delay_alu instid0(VALU_DEP_2) | instskip(NEXT) | instid1(VALU_DEP_2)
	v_add_f32_e32 v17, v26, v17
	v_sub_f32_e32 v21, v22, v21
	s_delay_alu instid0(VALU_DEP_2) | instskip(NEXT) | instid1(VALU_DEP_1)
	v_mul_f32_e32 v17, v19, v17
	v_add_f32_e32 v17, v21, v17
	s_delay_alu instid0(VALU_DEP_1) | instskip(NEXT) | instid1(VALU_DEP_1)
	v_add_f32_e32 v19, v20, v17
	v_mul_f32_e32 v21, v19, v19
	s_delay_alu instid0(VALU_DEP_1) | instskip(SKIP_1) | instid1(VALU_DEP_2)
	v_fmaak_f32 v22, s54, v21, 0x3ecc95a3
	v_mul_f32_e32 v23, v19, v21
	v_fmaak_f32 v21, v21, v22, 0x3f2aaada
	v_ldexp_f32 v22, v19, 1
	s_delay_alu instid0(VALU_DEP_2) | instskip(SKIP_1) | instid1(VALU_DEP_2)
	v_mul_f32_e32 v21, v23, v21
	v_sub_f32_e32 v19, v19, v20
	v_dual_mul_f32 v23, 0x3f317218, v16 :: v_dual_add_f32 v20, v22, v21
	s_delay_alu instid0(VALU_DEP_2) | instskip(NEXT) | instid1(VALU_DEP_2)
	v_sub_f32_e32 v17, v17, v19
	v_sub_f32_e32 v19, v20, v22
	s_delay_alu instid0(VALU_DEP_3) | instskip(NEXT) | instid1(VALU_DEP_3)
	v_fma_f32 v22, 0x3f317218, v16, -v23
	v_ldexp_f32 v17, v17, 1
	s_delay_alu instid0(VALU_DEP_2) | instskip(NEXT) | instid1(VALU_DEP_1)
	v_dual_sub_f32 v19, v21, v19 :: v_dual_fmac_f32 v22, 0xb102e308, v16
	v_dual_add_f32 v16, v17, v19 :: v_dual_add_f32 v17, v23, v22
	s_delay_alu instid0(VALU_DEP_1) | instskip(NEXT) | instid1(VALU_DEP_1)
	v_add_f32_e32 v19, v20, v16
	v_dual_add_f32 v21, v17, v19 :: v_dual_sub_f32 v20, v19, v20
	s_delay_alu instid0(VALU_DEP_1) | instskip(NEXT) | instid1(VALU_DEP_2)
	v_sub_f32_e32 v24, v21, v17
	v_dual_sub_f32 v23, v17, v23 :: v_dual_sub_f32 v16, v16, v20
	s_delay_alu instid0(VALU_DEP_1) | instskip(SKIP_1) | instid1(VALU_DEP_2)
	v_dual_sub_f32 v25, v21, v24 :: v_dual_sub_f32 v22, v22, v23
	v_sub_f32_e32 v19, v19, v24
	v_dual_sub_f32 v17, v17, v25 :: v_dual_add_f32 v20, v22, v16
	s_delay_alu instid0(VALU_DEP_1) | instskip(NEXT) | instid1(VALU_DEP_2)
	v_add_f32_e32 v17, v19, v17
	v_sub_f32_e32 v19, v20, v22
	s_delay_alu instid0(VALU_DEP_2) | instskip(NEXT) | instid1(VALU_DEP_2)
	v_add_f32_e32 v17, v20, v17
	v_sub_f32_e32 v20, v20, v19
	s_delay_alu instid0(VALU_DEP_2) | instskip(NEXT) | instid1(VALU_DEP_1)
	v_dual_sub_f32 v16, v16, v19 :: v_dual_add_f32 v23, v21, v17
	v_dual_sub_f32 v20, v22, v20 :: v_dual_sub_f32 v19, v23, v21
	s_delay_alu instid0(VALU_DEP_1) | instskip(NEXT) | instid1(VALU_DEP_1)
	v_dual_add_f32 v16, v16, v20 :: v_dual_sub_f32 v17, v17, v19
	v_add_f32_e32 v16, v16, v17
	s_delay_alu instid0(VALU_DEP_1) | instskip(NEXT) | instid1(VALU_DEP_1)
	v_add_f32_e32 v16, v23, v16
	v_cndmask_b32_e32 v71, v16, v18, vcc_lo
.LBB123_38:                             ;   in Loop: Header=BB123_12 Depth=1
	s_or_b32 exec_lo, exec_lo, s16
	v_lshrrev_b32_e32 v16, 16, v0
	s_delay_alu instid0(VALU_DEP_1) | instskip(NEXT) | instid1(VALU_DEP_1)
	v_cvt_f32_f16_e32 v16, v16
	v_add_f32_e32 v72, s57, v16
	s_delay_alu instid0(VALU_DEP_1) | instskip(SKIP_1) | instid1(SALU_CYCLE_1)
	v_cmp_ge_f32_e32 vcc_lo, 0x41a00000, v72
	s_and_b32 s15, s67, vcc_lo
	s_and_saveexec_b32 s16, s15
	s_cbranch_execz .LBB123_40
; %bb.39:                               ;   in Loop: Header=BB123_12 Depth=1
	v_mul_f32_e32 v16, 0x3fb8aa3b, v72
	v_cmp_ngt_f32_e32 vcc_lo, 0xc2ce8ed0, v72
	s_delay_alu instid0(VALU_DEP_2) | instskip(SKIP_1) | instid1(VALU_DEP_2)
	v_rndne_f32_e32 v17, v16
	v_fma_f32 v18, 0x3fb8aa3b, v72, -v16
	v_sub_f32_e32 v16, v16, v17
	s_delay_alu instid0(VALU_DEP_2) | instskip(SKIP_1) | instid1(VALU_DEP_2)
	v_fmac_f32_e32 v18, 0x32a5705f, v72
	v_cvt_i32_f32_e32 v17, v17
	v_add_f32_e32 v16, v16, v18
	s_delay_alu instid0(VALU_DEP_1) | instskip(SKIP_2) | instid1(VALU_DEP_1)
	v_exp_f32_e32 v16, v16
	s_waitcnt_depctr 0xfff
	v_ldexp_f32 v16, v16, v17
	v_cndmask_b32_e32 v16, 0, v16, vcc_lo
	v_cmp_nlt_f32_e32 vcc_lo, 0x42b17218, v72
	s_delay_alu instid0(VALU_DEP_2) | instskip(NEXT) | instid1(VALU_DEP_1)
	v_cndmask_b32_e32 v18, 0x7f800000, v16, vcc_lo
	v_add_f32_e32 v19, 1.0, v18
	s_delay_alu instid0(VALU_DEP_1) | instskip(NEXT) | instid1(VALU_DEP_1)
	v_cvt_f64_f32_e32 v[16:17], v19
	v_frexp_exp_i32_f64_e32 v16, v[16:17]
	v_frexp_mant_f32_e32 v17, v19
	s_delay_alu instid0(VALU_DEP_1) | instskip(SKIP_1) | instid1(VALU_DEP_1)
	v_cmp_gt_f32_e32 vcc_lo, 0x3f2aaaab, v17
	v_add_f32_e32 v17, -1.0, v19
	v_sub_f32_e32 v21, v17, v19
	v_sub_f32_e32 v17, v18, v17
	s_delay_alu instid0(VALU_DEP_2) | instskip(NEXT) | instid1(VALU_DEP_1)
	v_add_f32_e32 v21, 1.0, v21
	v_add_f32_e32 v17, v17, v21
	v_cmp_gt_f32_e64 s15, 0x33800000, v18
	v_subrev_co_ci_u32_e32 v16, vcc_lo, 0, v16, vcc_lo
	v_cmp_eq_f32_e32 vcc_lo, 0x7f800000, v18
	s_delay_alu instid0(VALU_DEP_2) | instskip(SKIP_2) | instid1(VALU_DEP_2)
	v_sub_nc_u32_e32 v20, 0, v16
	v_cvt_f32_i32_e32 v16, v16
	s_or_b32 vcc_lo, s15, vcc_lo
	v_ldexp_f32 v19, v19, v20
	v_ldexp_f32 v17, v17, v20
	s_delay_alu instid0(VALU_DEP_2) | instskip(NEXT) | instid1(VALU_DEP_1)
	v_add_f32_e32 v22, 1.0, v19
	v_dual_add_f32 v20, -1.0, v19 :: v_dual_add_f32 v21, -1.0, v22
	s_delay_alu instid0(VALU_DEP_1) | instskip(NEXT) | instid1(VALU_DEP_2)
	v_add_f32_e32 v23, 1.0, v20
	v_sub_f32_e32 v21, v19, v21
	s_delay_alu instid0(VALU_DEP_2) | instskip(NEXT) | instid1(VALU_DEP_2)
	v_sub_f32_e32 v19, v19, v23
	v_add_f32_e32 v21, v17, v21
	s_delay_alu instid0(VALU_DEP_2) | instskip(NEXT) | instid1(VALU_DEP_1)
	v_add_f32_e32 v17, v17, v19
	v_add_f32_e32 v24, v20, v17
	s_delay_alu instid0(VALU_DEP_1) | instskip(NEXT) | instid1(VALU_DEP_1)
	v_dual_add_f32 v23, v22, v21 :: v_dual_sub_f32 v20, v20, v24
	v_rcp_f32_e32 v19, v23
	v_sub_f32_e32 v22, v22, v23
	s_delay_alu instid0(VALU_DEP_1) | instskip(SKIP_2) | instid1(VALU_DEP_1)
	v_add_f32_e32 v21, v21, v22
	s_waitcnt_depctr 0xfff
	v_mul_f32_e32 v25, v24, v19
	v_mul_f32_e32 v26, v23, v25
	s_delay_alu instid0(VALU_DEP_1) | instskip(NEXT) | instid1(VALU_DEP_1)
	v_fma_f32 v22, v25, v23, -v26
	v_fmac_f32_e32 v22, v25, v21
	s_delay_alu instid0(VALU_DEP_1) | instskip(NEXT) | instid1(VALU_DEP_1)
	v_add_f32_e32 v27, v26, v22
	v_sub_f32_e32 v28, v24, v27
	s_delay_alu instid0(VALU_DEP_1) | instskip(SKIP_1) | instid1(VALU_DEP_2)
	v_sub_f32_e32 v24, v24, v28
	v_dual_add_f32 v17, v17, v20 :: v_dual_sub_f32 v20, v27, v26
	v_sub_f32_e32 v24, v24, v27
	s_delay_alu instid0(VALU_DEP_1) | instskip(NEXT) | instid1(VALU_DEP_1)
	v_dual_sub_f32 v20, v20, v22 :: v_dual_add_f32 v17, v17, v24
	v_add_f32_e32 v17, v20, v17
	s_delay_alu instid0(VALU_DEP_1) | instskip(NEXT) | instid1(VALU_DEP_1)
	v_add_f32_e32 v20, v28, v17
	v_mul_f32_e32 v22, v19, v20
	s_delay_alu instid0(VALU_DEP_1) | instskip(NEXT) | instid1(VALU_DEP_1)
	v_dual_sub_f32 v27, v28, v20 :: v_dual_mul_f32 v24, v23, v22
	v_add_f32_e32 v17, v17, v27
	s_delay_alu instid0(VALU_DEP_2) | instskip(NEXT) | instid1(VALU_DEP_1)
	v_fma_f32 v23, v22, v23, -v24
	v_fmac_f32_e32 v23, v22, v21
	s_delay_alu instid0(VALU_DEP_1) | instskip(NEXT) | instid1(VALU_DEP_1)
	v_add_f32_e32 v21, v24, v23
	v_sub_f32_e32 v26, v20, v21
	s_delay_alu instid0(VALU_DEP_1) | instskip(NEXT) | instid1(VALU_DEP_1)
	v_sub_f32_e32 v20, v20, v26
	v_sub_f32_e32 v20, v20, v21
	s_delay_alu instid0(VALU_DEP_1) | instskip(SKIP_2) | instid1(VALU_DEP_1)
	v_add_f32_e32 v17, v17, v20
	v_add_f32_e32 v20, v25, v22
	v_sub_f32_e32 v24, v21, v24
	v_sub_f32_e32 v21, v24, v23
	s_delay_alu instid0(VALU_DEP_1) | instskip(NEXT) | instid1(VALU_DEP_4)
	v_add_f32_e32 v17, v21, v17
	v_sub_f32_e32 v21, v20, v25
	s_delay_alu instid0(VALU_DEP_2) | instskip(NEXT) | instid1(VALU_DEP_2)
	v_add_f32_e32 v17, v26, v17
	v_sub_f32_e32 v21, v22, v21
	s_delay_alu instid0(VALU_DEP_2) | instskip(NEXT) | instid1(VALU_DEP_1)
	v_mul_f32_e32 v17, v19, v17
	v_add_f32_e32 v17, v21, v17
	s_delay_alu instid0(VALU_DEP_1) | instskip(NEXT) | instid1(VALU_DEP_1)
	v_add_f32_e32 v19, v20, v17
	v_mul_f32_e32 v21, v19, v19
	s_delay_alu instid0(VALU_DEP_1) | instskip(SKIP_1) | instid1(VALU_DEP_2)
	v_fmaak_f32 v22, s54, v21, 0x3ecc95a3
	v_mul_f32_e32 v23, v19, v21
	v_fmaak_f32 v21, v21, v22, 0x3f2aaada
	v_ldexp_f32 v22, v19, 1
	s_delay_alu instid0(VALU_DEP_2) | instskip(SKIP_1) | instid1(VALU_DEP_2)
	v_mul_f32_e32 v21, v23, v21
	v_sub_f32_e32 v19, v19, v20
	v_dual_mul_f32 v23, 0x3f317218, v16 :: v_dual_add_f32 v20, v22, v21
	s_delay_alu instid0(VALU_DEP_2) | instskip(NEXT) | instid1(VALU_DEP_2)
	v_sub_f32_e32 v17, v17, v19
	v_sub_f32_e32 v19, v20, v22
	s_delay_alu instid0(VALU_DEP_3) | instskip(NEXT) | instid1(VALU_DEP_3)
	v_fma_f32 v22, 0x3f317218, v16, -v23
	v_ldexp_f32 v17, v17, 1
	s_delay_alu instid0(VALU_DEP_2) | instskip(NEXT) | instid1(VALU_DEP_1)
	v_dual_sub_f32 v19, v21, v19 :: v_dual_fmac_f32 v22, 0xb102e308, v16
	v_dual_add_f32 v16, v17, v19 :: v_dual_add_f32 v17, v23, v22
	s_delay_alu instid0(VALU_DEP_1) | instskip(NEXT) | instid1(VALU_DEP_1)
	v_add_f32_e32 v19, v20, v16
	v_dual_add_f32 v21, v17, v19 :: v_dual_sub_f32 v20, v19, v20
	s_delay_alu instid0(VALU_DEP_1) | instskip(NEXT) | instid1(VALU_DEP_2)
	v_sub_f32_e32 v24, v21, v17
	v_dual_sub_f32 v23, v17, v23 :: v_dual_sub_f32 v16, v16, v20
	s_delay_alu instid0(VALU_DEP_1) | instskip(SKIP_1) | instid1(VALU_DEP_2)
	v_dual_sub_f32 v25, v21, v24 :: v_dual_sub_f32 v22, v22, v23
	v_sub_f32_e32 v19, v19, v24
	v_dual_sub_f32 v17, v17, v25 :: v_dual_add_f32 v20, v22, v16
	s_delay_alu instid0(VALU_DEP_1) | instskip(NEXT) | instid1(VALU_DEP_2)
	v_add_f32_e32 v17, v19, v17
	v_sub_f32_e32 v19, v20, v22
	s_delay_alu instid0(VALU_DEP_2) | instskip(NEXT) | instid1(VALU_DEP_2)
	v_add_f32_e32 v17, v20, v17
	v_sub_f32_e32 v20, v20, v19
	s_delay_alu instid0(VALU_DEP_2) | instskip(NEXT) | instid1(VALU_DEP_1)
	v_dual_sub_f32 v16, v16, v19 :: v_dual_add_f32 v23, v21, v17
	v_dual_sub_f32 v20, v22, v20 :: v_dual_sub_f32 v19, v23, v21
	s_delay_alu instid0(VALU_DEP_1) | instskip(NEXT) | instid1(VALU_DEP_1)
	v_dual_add_f32 v16, v16, v20 :: v_dual_sub_f32 v17, v17, v19
	v_add_f32_e32 v16, v16, v17
	s_delay_alu instid0(VALU_DEP_1) | instskip(NEXT) | instid1(VALU_DEP_1)
	v_add_f32_e32 v16, v23, v16
	v_cndmask_b32_e32 v72, v16, v18, vcc_lo
.LBB123_40:                             ;   in Loop: Header=BB123_12 Depth=1
	s_or_b32 exec_lo, exec_lo, s16
	v_cvt_f32_f16_e32 v16, v1
	s_delay_alu instid0(VALU_DEP_1) | instskip(NEXT) | instid1(VALU_DEP_1)
	v_add_f32_e32 v73, s57, v16
	v_cmp_ge_f32_e32 vcc_lo, 0x41a00000, v73
	s_and_b32 s15, s67, vcc_lo
	s_delay_alu instid0(SALU_CYCLE_1)
	s_and_saveexec_b32 s16, s15
	s_cbranch_execz .LBB123_42
; %bb.41:                               ;   in Loop: Header=BB123_12 Depth=1
	v_mul_f32_e32 v16, 0x3fb8aa3b, v73
	v_cmp_ngt_f32_e32 vcc_lo, 0xc2ce8ed0, v73
	s_delay_alu instid0(VALU_DEP_2) | instskip(SKIP_1) | instid1(VALU_DEP_2)
	v_rndne_f32_e32 v17, v16
	v_fma_f32 v18, 0x3fb8aa3b, v73, -v16
	v_sub_f32_e32 v16, v16, v17
	s_delay_alu instid0(VALU_DEP_2) | instskip(SKIP_1) | instid1(VALU_DEP_2)
	v_fmac_f32_e32 v18, 0x32a5705f, v73
	v_cvt_i32_f32_e32 v17, v17
	v_add_f32_e32 v16, v16, v18
	s_delay_alu instid0(VALU_DEP_1) | instskip(SKIP_2) | instid1(VALU_DEP_1)
	v_exp_f32_e32 v16, v16
	s_waitcnt_depctr 0xfff
	v_ldexp_f32 v16, v16, v17
	v_cndmask_b32_e32 v16, 0, v16, vcc_lo
	v_cmp_nlt_f32_e32 vcc_lo, 0x42b17218, v73
	s_delay_alu instid0(VALU_DEP_2) | instskip(NEXT) | instid1(VALU_DEP_1)
	v_cndmask_b32_e32 v18, 0x7f800000, v16, vcc_lo
	v_add_f32_e32 v19, 1.0, v18
	s_delay_alu instid0(VALU_DEP_1) | instskip(NEXT) | instid1(VALU_DEP_1)
	v_cvt_f64_f32_e32 v[16:17], v19
	v_frexp_exp_i32_f64_e32 v16, v[16:17]
	v_frexp_mant_f32_e32 v17, v19
	s_delay_alu instid0(VALU_DEP_1) | instskip(SKIP_1) | instid1(VALU_DEP_1)
	v_cmp_gt_f32_e32 vcc_lo, 0x3f2aaaab, v17
	v_add_f32_e32 v17, -1.0, v19
	v_sub_f32_e32 v21, v17, v19
	v_sub_f32_e32 v17, v18, v17
	s_delay_alu instid0(VALU_DEP_2) | instskip(NEXT) | instid1(VALU_DEP_1)
	v_add_f32_e32 v21, 1.0, v21
	v_add_f32_e32 v17, v17, v21
	v_cmp_gt_f32_e64 s15, 0x33800000, v18
	v_subrev_co_ci_u32_e32 v16, vcc_lo, 0, v16, vcc_lo
	v_cmp_eq_f32_e32 vcc_lo, 0x7f800000, v18
	s_delay_alu instid0(VALU_DEP_2) | instskip(SKIP_2) | instid1(VALU_DEP_2)
	v_sub_nc_u32_e32 v20, 0, v16
	v_cvt_f32_i32_e32 v16, v16
	s_or_b32 vcc_lo, s15, vcc_lo
	v_ldexp_f32 v19, v19, v20
	v_ldexp_f32 v17, v17, v20
	s_delay_alu instid0(VALU_DEP_2) | instskip(NEXT) | instid1(VALU_DEP_1)
	v_add_f32_e32 v22, 1.0, v19
	v_dual_add_f32 v20, -1.0, v19 :: v_dual_add_f32 v21, -1.0, v22
	s_delay_alu instid0(VALU_DEP_1) | instskip(NEXT) | instid1(VALU_DEP_2)
	v_add_f32_e32 v23, 1.0, v20
	v_sub_f32_e32 v21, v19, v21
	s_delay_alu instid0(VALU_DEP_2) | instskip(NEXT) | instid1(VALU_DEP_2)
	v_sub_f32_e32 v19, v19, v23
	v_add_f32_e32 v21, v17, v21
	s_delay_alu instid0(VALU_DEP_2) | instskip(NEXT) | instid1(VALU_DEP_1)
	v_add_f32_e32 v17, v17, v19
	v_add_f32_e32 v24, v20, v17
	s_delay_alu instid0(VALU_DEP_1) | instskip(NEXT) | instid1(VALU_DEP_1)
	v_dual_add_f32 v23, v22, v21 :: v_dual_sub_f32 v20, v20, v24
	v_rcp_f32_e32 v19, v23
	v_sub_f32_e32 v22, v22, v23
	s_delay_alu instid0(VALU_DEP_1) | instskip(SKIP_2) | instid1(VALU_DEP_1)
	v_add_f32_e32 v21, v21, v22
	s_waitcnt_depctr 0xfff
	v_mul_f32_e32 v25, v24, v19
	v_mul_f32_e32 v26, v23, v25
	s_delay_alu instid0(VALU_DEP_1) | instskip(NEXT) | instid1(VALU_DEP_1)
	v_fma_f32 v22, v25, v23, -v26
	v_fmac_f32_e32 v22, v25, v21
	s_delay_alu instid0(VALU_DEP_1) | instskip(NEXT) | instid1(VALU_DEP_1)
	v_add_f32_e32 v27, v26, v22
	v_sub_f32_e32 v28, v24, v27
	s_delay_alu instid0(VALU_DEP_1) | instskip(SKIP_1) | instid1(VALU_DEP_2)
	v_sub_f32_e32 v24, v24, v28
	v_dual_add_f32 v17, v17, v20 :: v_dual_sub_f32 v20, v27, v26
	v_sub_f32_e32 v24, v24, v27
	s_delay_alu instid0(VALU_DEP_1) | instskip(NEXT) | instid1(VALU_DEP_1)
	v_dual_sub_f32 v20, v20, v22 :: v_dual_add_f32 v17, v17, v24
	v_add_f32_e32 v17, v20, v17
	s_delay_alu instid0(VALU_DEP_1) | instskip(NEXT) | instid1(VALU_DEP_1)
	v_add_f32_e32 v20, v28, v17
	v_mul_f32_e32 v22, v19, v20
	s_delay_alu instid0(VALU_DEP_1) | instskip(NEXT) | instid1(VALU_DEP_1)
	v_dual_sub_f32 v27, v28, v20 :: v_dual_mul_f32 v24, v23, v22
	v_add_f32_e32 v17, v17, v27
	s_delay_alu instid0(VALU_DEP_2) | instskip(NEXT) | instid1(VALU_DEP_1)
	v_fma_f32 v23, v22, v23, -v24
	v_fmac_f32_e32 v23, v22, v21
	s_delay_alu instid0(VALU_DEP_1) | instskip(NEXT) | instid1(VALU_DEP_1)
	v_add_f32_e32 v21, v24, v23
	v_sub_f32_e32 v26, v20, v21
	s_delay_alu instid0(VALU_DEP_1) | instskip(NEXT) | instid1(VALU_DEP_1)
	v_sub_f32_e32 v20, v20, v26
	v_sub_f32_e32 v20, v20, v21
	s_delay_alu instid0(VALU_DEP_1) | instskip(SKIP_2) | instid1(VALU_DEP_1)
	v_add_f32_e32 v17, v17, v20
	v_add_f32_e32 v20, v25, v22
	v_sub_f32_e32 v24, v21, v24
	v_sub_f32_e32 v21, v24, v23
	s_delay_alu instid0(VALU_DEP_1) | instskip(NEXT) | instid1(VALU_DEP_4)
	v_add_f32_e32 v17, v21, v17
	v_sub_f32_e32 v21, v20, v25
	s_delay_alu instid0(VALU_DEP_2) | instskip(NEXT) | instid1(VALU_DEP_2)
	v_add_f32_e32 v17, v26, v17
	v_sub_f32_e32 v21, v22, v21
	s_delay_alu instid0(VALU_DEP_2) | instskip(NEXT) | instid1(VALU_DEP_1)
	v_mul_f32_e32 v17, v19, v17
	v_add_f32_e32 v17, v21, v17
	s_delay_alu instid0(VALU_DEP_1) | instskip(NEXT) | instid1(VALU_DEP_1)
	v_add_f32_e32 v19, v20, v17
	v_mul_f32_e32 v21, v19, v19
	s_delay_alu instid0(VALU_DEP_1) | instskip(SKIP_1) | instid1(VALU_DEP_2)
	v_fmaak_f32 v22, s54, v21, 0x3ecc95a3
	v_mul_f32_e32 v23, v19, v21
	v_fmaak_f32 v21, v21, v22, 0x3f2aaada
	v_ldexp_f32 v22, v19, 1
	s_delay_alu instid0(VALU_DEP_2) | instskip(SKIP_1) | instid1(VALU_DEP_2)
	v_mul_f32_e32 v21, v23, v21
	v_sub_f32_e32 v19, v19, v20
	v_dual_mul_f32 v23, 0x3f317218, v16 :: v_dual_add_f32 v20, v22, v21
	s_delay_alu instid0(VALU_DEP_2) | instskip(NEXT) | instid1(VALU_DEP_2)
	v_sub_f32_e32 v17, v17, v19
	v_sub_f32_e32 v19, v20, v22
	s_delay_alu instid0(VALU_DEP_3) | instskip(NEXT) | instid1(VALU_DEP_3)
	v_fma_f32 v22, 0x3f317218, v16, -v23
	v_ldexp_f32 v17, v17, 1
	s_delay_alu instid0(VALU_DEP_2) | instskip(NEXT) | instid1(VALU_DEP_1)
	v_dual_sub_f32 v19, v21, v19 :: v_dual_fmac_f32 v22, 0xb102e308, v16
	v_dual_add_f32 v16, v17, v19 :: v_dual_add_f32 v17, v23, v22
	s_delay_alu instid0(VALU_DEP_1) | instskip(NEXT) | instid1(VALU_DEP_1)
	v_add_f32_e32 v19, v20, v16
	v_dual_add_f32 v21, v17, v19 :: v_dual_sub_f32 v20, v19, v20
	s_delay_alu instid0(VALU_DEP_1) | instskip(NEXT) | instid1(VALU_DEP_2)
	v_sub_f32_e32 v24, v21, v17
	v_dual_sub_f32 v23, v17, v23 :: v_dual_sub_f32 v16, v16, v20
	s_delay_alu instid0(VALU_DEP_1) | instskip(SKIP_1) | instid1(VALU_DEP_2)
	v_dual_sub_f32 v25, v21, v24 :: v_dual_sub_f32 v22, v22, v23
	v_sub_f32_e32 v19, v19, v24
	v_dual_sub_f32 v17, v17, v25 :: v_dual_add_f32 v20, v22, v16
	s_delay_alu instid0(VALU_DEP_1) | instskip(NEXT) | instid1(VALU_DEP_2)
	v_add_f32_e32 v17, v19, v17
	v_sub_f32_e32 v19, v20, v22
	s_delay_alu instid0(VALU_DEP_2) | instskip(NEXT) | instid1(VALU_DEP_2)
	v_add_f32_e32 v17, v20, v17
	v_sub_f32_e32 v20, v20, v19
	s_delay_alu instid0(VALU_DEP_2) | instskip(NEXT) | instid1(VALU_DEP_1)
	v_dual_sub_f32 v16, v16, v19 :: v_dual_add_f32 v23, v21, v17
	v_dual_sub_f32 v20, v22, v20 :: v_dual_sub_f32 v19, v23, v21
	s_delay_alu instid0(VALU_DEP_1) | instskip(NEXT) | instid1(VALU_DEP_1)
	v_dual_add_f32 v16, v16, v20 :: v_dual_sub_f32 v17, v17, v19
	v_add_f32_e32 v16, v16, v17
	s_delay_alu instid0(VALU_DEP_1) | instskip(NEXT) | instid1(VALU_DEP_1)
	v_add_f32_e32 v16, v23, v16
	v_cndmask_b32_e32 v73, v16, v18, vcc_lo
.LBB123_42:                             ;   in Loop: Header=BB123_12 Depth=1
	s_or_b32 exec_lo, exec_lo, s16
	v_lshrrev_b32_e32 v16, 16, v1
	s_delay_alu instid0(VALU_DEP_1) | instskip(NEXT) | instid1(VALU_DEP_1)
	v_cvt_f32_f16_e32 v16, v16
	v_add_f32_e32 v74, s57, v16
	s_delay_alu instid0(VALU_DEP_1) | instskip(SKIP_1) | instid1(SALU_CYCLE_1)
	v_cmp_ge_f32_e32 vcc_lo, 0x41a00000, v74
	s_and_b32 s15, s67, vcc_lo
	s_and_saveexec_b32 s16, s15
	s_cbranch_execz .LBB123_44
; %bb.43:                               ;   in Loop: Header=BB123_12 Depth=1
	v_mul_f32_e32 v16, 0x3fb8aa3b, v74
	v_cmp_ngt_f32_e32 vcc_lo, 0xc2ce8ed0, v74
	s_delay_alu instid0(VALU_DEP_2) | instskip(SKIP_1) | instid1(VALU_DEP_2)
	v_rndne_f32_e32 v17, v16
	v_fma_f32 v18, 0x3fb8aa3b, v74, -v16
	v_sub_f32_e32 v16, v16, v17
	s_delay_alu instid0(VALU_DEP_2) | instskip(SKIP_1) | instid1(VALU_DEP_2)
	v_fmac_f32_e32 v18, 0x32a5705f, v74
	v_cvt_i32_f32_e32 v17, v17
	v_add_f32_e32 v16, v16, v18
	s_delay_alu instid0(VALU_DEP_1) | instskip(SKIP_2) | instid1(VALU_DEP_1)
	v_exp_f32_e32 v16, v16
	s_waitcnt_depctr 0xfff
	v_ldexp_f32 v16, v16, v17
	v_cndmask_b32_e32 v16, 0, v16, vcc_lo
	v_cmp_nlt_f32_e32 vcc_lo, 0x42b17218, v74
	s_delay_alu instid0(VALU_DEP_2) | instskip(NEXT) | instid1(VALU_DEP_1)
	v_cndmask_b32_e32 v18, 0x7f800000, v16, vcc_lo
	v_add_f32_e32 v19, 1.0, v18
	s_delay_alu instid0(VALU_DEP_1) | instskip(NEXT) | instid1(VALU_DEP_1)
	v_cvt_f64_f32_e32 v[16:17], v19
	v_frexp_exp_i32_f64_e32 v16, v[16:17]
	v_frexp_mant_f32_e32 v17, v19
	s_delay_alu instid0(VALU_DEP_1) | instskip(SKIP_1) | instid1(VALU_DEP_1)
	v_cmp_gt_f32_e32 vcc_lo, 0x3f2aaaab, v17
	v_add_f32_e32 v17, -1.0, v19
	v_sub_f32_e32 v21, v17, v19
	v_sub_f32_e32 v17, v18, v17
	s_delay_alu instid0(VALU_DEP_2) | instskip(NEXT) | instid1(VALU_DEP_1)
	v_add_f32_e32 v21, 1.0, v21
	v_add_f32_e32 v17, v17, v21
	v_cmp_gt_f32_e64 s15, 0x33800000, v18
	v_subrev_co_ci_u32_e32 v16, vcc_lo, 0, v16, vcc_lo
	v_cmp_eq_f32_e32 vcc_lo, 0x7f800000, v18
	s_delay_alu instid0(VALU_DEP_2) | instskip(SKIP_2) | instid1(VALU_DEP_2)
	v_sub_nc_u32_e32 v20, 0, v16
	v_cvt_f32_i32_e32 v16, v16
	s_or_b32 vcc_lo, s15, vcc_lo
	v_ldexp_f32 v19, v19, v20
	v_ldexp_f32 v17, v17, v20
	s_delay_alu instid0(VALU_DEP_2) | instskip(NEXT) | instid1(VALU_DEP_1)
	v_add_f32_e32 v22, 1.0, v19
	v_dual_add_f32 v20, -1.0, v19 :: v_dual_add_f32 v21, -1.0, v22
	s_delay_alu instid0(VALU_DEP_1) | instskip(NEXT) | instid1(VALU_DEP_2)
	v_add_f32_e32 v23, 1.0, v20
	v_sub_f32_e32 v21, v19, v21
	s_delay_alu instid0(VALU_DEP_2) | instskip(NEXT) | instid1(VALU_DEP_2)
	v_sub_f32_e32 v19, v19, v23
	v_add_f32_e32 v21, v17, v21
	s_delay_alu instid0(VALU_DEP_2) | instskip(NEXT) | instid1(VALU_DEP_1)
	v_add_f32_e32 v17, v17, v19
	v_add_f32_e32 v24, v20, v17
	s_delay_alu instid0(VALU_DEP_1) | instskip(NEXT) | instid1(VALU_DEP_1)
	v_dual_add_f32 v23, v22, v21 :: v_dual_sub_f32 v20, v20, v24
	v_rcp_f32_e32 v19, v23
	v_sub_f32_e32 v22, v22, v23
	s_delay_alu instid0(VALU_DEP_1) | instskip(SKIP_2) | instid1(VALU_DEP_1)
	v_add_f32_e32 v21, v21, v22
	s_waitcnt_depctr 0xfff
	v_mul_f32_e32 v25, v24, v19
	v_mul_f32_e32 v26, v23, v25
	s_delay_alu instid0(VALU_DEP_1) | instskip(NEXT) | instid1(VALU_DEP_1)
	v_fma_f32 v22, v25, v23, -v26
	v_fmac_f32_e32 v22, v25, v21
	s_delay_alu instid0(VALU_DEP_1) | instskip(NEXT) | instid1(VALU_DEP_1)
	v_add_f32_e32 v27, v26, v22
	v_sub_f32_e32 v28, v24, v27
	s_delay_alu instid0(VALU_DEP_1) | instskip(SKIP_1) | instid1(VALU_DEP_2)
	v_sub_f32_e32 v24, v24, v28
	v_dual_add_f32 v17, v17, v20 :: v_dual_sub_f32 v20, v27, v26
	v_sub_f32_e32 v24, v24, v27
	s_delay_alu instid0(VALU_DEP_1) | instskip(NEXT) | instid1(VALU_DEP_1)
	v_dual_sub_f32 v20, v20, v22 :: v_dual_add_f32 v17, v17, v24
	v_add_f32_e32 v17, v20, v17
	s_delay_alu instid0(VALU_DEP_1) | instskip(NEXT) | instid1(VALU_DEP_1)
	v_add_f32_e32 v20, v28, v17
	v_mul_f32_e32 v22, v19, v20
	s_delay_alu instid0(VALU_DEP_1) | instskip(NEXT) | instid1(VALU_DEP_1)
	v_dual_sub_f32 v27, v28, v20 :: v_dual_mul_f32 v24, v23, v22
	v_add_f32_e32 v17, v17, v27
	s_delay_alu instid0(VALU_DEP_2) | instskip(NEXT) | instid1(VALU_DEP_1)
	v_fma_f32 v23, v22, v23, -v24
	v_fmac_f32_e32 v23, v22, v21
	s_delay_alu instid0(VALU_DEP_1) | instskip(NEXT) | instid1(VALU_DEP_1)
	v_add_f32_e32 v21, v24, v23
	v_sub_f32_e32 v26, v20, v21
	s_delay_alu instid0(VALU_DEP_1) | instskip(NEXT) | instid1(VALU_DEP_1)
	v_sub_f32_e32 v20, v20, v26
	v_sub_f32_e32 v20, v20, v21
	s_delay_alu instid0(VALU_DEP_1) | instskip(SKIP_2) | instid1(VALU_DEP_1)
	v_add_f32_e32 v17, v17, v20
	v_add_f32_e32 v20, v25, v22
	v_sub_f32_e32 v24, v21, v24
	v_sub_f32_e32 v21, v24, v23
	s_delay_alu instid0(VALU_DEP_1) | instskip(NEXT) | instid1(VALU_DEP_4)
	v_add_f32_e32 v17, v21, v17
	v_sub_f32_e32 v21, v20, v25
	s_delay_alu instid0(VALU_DEP_2) | instskip(NEXT) | instid1(VALU_DEP_2)
	v_add_f32_e32 v17, v26, v17
	v_sub_f32_e32 v21, v22, v21
	s_delay_alu instid0(VALU_DEP_2) | instskip(NEXT) | instid1(VALU_DEP_1)
	v_mul_f32_e32 v17, v19, v17
	v_add_f32_e32 v17, v21, v17
	s_delay_alu instid0(VALU_DEP_1) | instskip(NEXT) | instid1(VALU_DEP_1)
	v_add_f32_e32 v19, v20, v17
	v_mul_f32_e32 v21, v19, v19
	s_delay_alu instid0(VALU_DEP_1) | instskip(SKIP_1) | instid1(VALU_DEP_2)
	v_fmaak_f32 v22, s54, v21, 0x3ecc95a3
	v_mul_f32_e32 v23, v19, v21
	v_fmaak_f32 v21, v21, v22, 0x3f2aaada
	v_ldexp_f32 v22, v19, 1
	s_delay_alu instid0(VALU_DEP_2) | instskip(SKIP_1) | instid1(VALU_DEP_2)
	v_mul_f32_e32 v21, v23, v21
	v_sub_f32_e32 v19, v19, v20
	v_dual_mul_f32 v23, 0x3f317218, v16 :: v_dual_add_f32 v20, v22, v21
	s_delay_alu instid0(VALU_DEP_2) | instskip(NEXT) | instid1(VALU_DEP_2)
	v_sub_f32_e32 v17, v17, v19
	v_sub_f32_e32 v19, v20, v22
	s_delay_alu instid0(VALU_DEP_3) | instskip(NEXT) | instid1(VALU_DEP_3)
	v_fma_f32 v22, 0x3f317218, v16, -v23
	v_ldexp_f32 v17, v17, 1
	s_delay_alu instid0(VALU_DEP_2) | instskip(NEXT) | instid1(VALU_DEP_1)
	v_dual_sub_f32 v19, v21, v19 :: v_dual_fmac_f32 v22, 0xb102e308, v16
	v_dual_add_f32 v16, v17, v19 :: v_dual_add_f32 v17, v23, v22
	s_delay_alu instid0(VALU_DEP_1) | instskip(NEXT) | instid1(VALU_DEP_1)
	v_add_f32_e32 v19, v20, v16
	v_dual_add_f32 v21, v17, v19 :: v_dual_sub_f32 v20, v19, v20
	s_delay_alu instid0(VALU_DEP_1) | instskip(NEXT) | instid1(VALU_DEP_2)
	v_sub_f32_e32 v24, v21, v17
	v_dual_sub_f32 v23, v17, v23 :: v_dual_sub_f32 v16, v16, v20
	s_delay_alu instid0(VALU_DEP_1) | instskip(SKIP_1) | instid1(VALU_DEP_2)
	v_dual_sub_f32 v25, v21, v24 :: v_dual_sub_f32 v22, v22, v23
	v_sub_f32_e32 v19, v19, v24
	v_dual_sub_f32 v17, v17, v25 :: v_dual_add_f32 v20, v22, v16
	s_delay_alu instid0(VALU_DEP_1) | instskip(NEXT) | instid1(VALU_DEP_2)
	v_add_f32_e32 v17, v19, v17
	v_sub_f32_e32 v19, v20, v22
	s_delay_alu instid0(VALU_DEP_2) | instskip(NEXT) | instid1(VALU_DEP_2)
	v_add_f32_e32 v17, v20, v17
	v_sub_f32_e32 v20, v20, v19
	s_delay_alu instid0(VALU_DEP_2) | instskip(NEXT) | instid1(VALU_DEP_1)
	v_dual_sub_f32 v16, v16, v19 :: v_dual_add_f32 v23, v21, v17
	v_dual_sub_f32 v20, v22, v20 :: v_dual_sub_f32 v19, v23, v21
	s_delay_alu instid0(VALU_DEP_1) | instskip(NEXT) | instid1(VALU_DEP_1)
	v_dual_add_f32 v16, v16, v20 :: v_dual_sub_f32 v17, v17, v19
	v_add_f32_e32 v16, v16, v17
	s_delay_alu instid0(VALU_DEP_1) | instskip(NEXT) | instid1(VALU_DEP_1)
	v_add_f32_e32 v16, v23, v16
	v_cndmask_b32_e32 v74, v16, v18, vcc_lo
.LBB123_44:                             ;   in Loop: Header=BB123_12 Depth=1
	s_or_b32 exec_lo, exec_lo, s16
	v_cvt_f32_f16_e32 v16, v2
	s_delay_alu instid0(VALU_DEP_1) | instskip(NEXT) | instid1(VALU_DEP_1)
	v_add_f32_e32 v75, s57, v16
	v_cmp_ge_f32_e32 vcc_lo, 0x41a00000, v75
	s_and_b32 s15, s67, vcc_lo
	s_delay_alu instid0(SALU_CYCLE_1)
	s_and_saveexec_b32 s16, s15
	s_cbranch_execz .LBB123_46
; %bb.45:                               ;   in Loop: Header=BB123_12 Depth=1
	v_mul_f32_e32 v16, 0x3fb8aa3b, v75
	v_cmp_ngt_f32_e32 vcc_lo, 0xc2ce8ed0, v75
	s_delay_alu instid0(VALU_DEP_2) | instskip(SKIP_1) | instid1(VALU_DEP_2)
	v_rndne_f32_e32 v17, v16
	v_fma_f32 v18, 0x3fb8aa3b, v75, -v16
	v_sub_f32_e32 v16, v16, v17
	s_delay_alu instid0(VALU_DEP_2) | instskip(SKIP_1) | instid1(VALU_DEP_2)
	v_fmac_f32_e32 v18, 0x32a5705f, v75
	v_cvt_i32_f32_e32 v17, v17
	v_add_f32_e32 v16, v16, v18
	s_delay_alu instid0(VALU_DEP_1) | instskip(SKIP_2) | instid1(VALU_DEP_1)
	v_exp_f32_e32 v16, v16
	s_waitcnt_depctr 0xfff
	v_ldexp_f32 v16, v16, v17
	v_cndmask_b32_e32 v16, 0, v16, vcc_lo
	v_cmp_nlt_f32_e32 vcc_lo, 0x42b17218, v75
	s_delay_alu instid0(VALU_DEP_2) | instskip(NEXT) | instid1(VALU_DEP_1)
	v_cndmask_b32_e32 v18, 0x7f800000, v16, vcc_lo
	v_add_f32_e32 v19, 1.0, v18
	s_delay_alu instid0(VALU_DEP_1) | instskip(NEXT) | instid1(VALU_DEP_1)
	v_cvt_f64_f32_e32 v[16:17], v19
	v_frexp_exp_i32_f64_e32 v16, v[16:17]
	v_frexp_mant_f32_e32 v17, v19
	s_delay_alu instid0(VALU_DEP_1) | instskip(SKIP_1) | instid1(VALU_DEP_1)
	v_cmp_gt_f32_e32 vcc_lo, 0x3f2aaaab, v17
	v_add_f32_e32 v17, -1.0, v19
	v_sub_f32_e32 v21, v17, v19
	v_sub_f32_e32 v17, v18, v17
	s_delay_alu instid0(VALU_DEP_2) | instskip(NEXT) | instid1(VALU_DEP_1)
	v_add_f32_e32 v21, 1.0, v21
	v_add_f32_e32 v17, v17, v21
	v_cmp_gt_f32_e64 s15, 0x33800000, v18
	v_subrev_co_ci_u32_e32 v16, vcc_lo, 0, v16, vcc_lo
	v_cmp_eq_f32_e32 vcc_lo, 0x7f800000, v18
	s_delay_alu instid0(VALU_DEP_2) | instskip(SKIP_2) | instid1(VALU_DEP_2)
	v_sub_nc_u32_e32 v20, 0, v16
	v_cvt_f32_i32_e32 v16, v16
	s_or_b32 vcc_lo, s15, vcc_lo
	v_ldexp_f32 v19, v19, v20
	v_ldexp_f32 v17, v17, v20
	s_delay_alu instid0(VALU_DEP_2) | instskip(NEXT) | instid1(VALU_DEP_1)
	v_add_f32_e32 v22, 1.0, v19
	v_dual_add_f32 v20, -1.0, v19 :: v_dual_add_f32 v21, -1.0, v22
	s_delay_alu instid0(VALU_DEP_1) | instskip(NEXT) | instid1(VALU_DEP_2)
	v_add_f32_e32 v23, 1.0, v20
	v_sub_f32_e32 v21, v19, v21
	s_delay_alu instid0(VALU_DEP_2) | instskip(NEXT) | instid1(VALU_DEP_2)
	v_sub_f32_e32 v19, v19, v23
	v_add_f32_e32 v21, v17, v21
	s_delay_alu instid0(VALU_DEP_2) | instskip(NEXT) | instid1(VALU_DEP_1)
	v_add_f32_e32 v17, v17, v19
	v_add_f32_e32 v24, v20, v17
	s_delay_alu instid0(VALU_DEP_1) | instskip(NEXT) | instid1(VALU_DEP_1)
	v_dual_add_f32 v23, v22, v21 :: v_dual_sub_f32 v20, v20, v24
	v_rcp_f32_e32 v19, v23
	v_sub_f32_e32 v22, v22, v23
	s_delay_alu instid0(VALU_DEP_1) | instskip(SKIP_2) | instid1(VALU_DEP_1)
	v_add_f32_e32 v21, v21, v22
	s_waitcnt_depctr 0xfff
	v_mul_f32_e32 v25, v24, v19
	v_mul_f32_e32 v26, v23, v25
	s_delay_alu instid0(VALU_DEP_1) | instskip(NEXT) | instid1(VALU_DEP_1)
	v_fma_f32 v22, v25, v23, -v26
	v_fmac_f32_e32 v22, v25, v21
	s_delay_alu instid0(VALU_DEP_1) | instskip(NEXT) | instid1(VALU_DEP_1)
	v_add_f32_e32 v27, v26, v22
	v_sub_f32_e32 v28, v24, v27
	s_delay_alu instid0(VALU_DEP_1) | instskip(SKIP_1) | instid1(VALU_DEP_2)
	v_sub_f32_e32 v24, v24, v28
	v_dual_add_f32 v17, v17, v20 :: v_dual_sub_f32 v20, v27, v26
	v_sub_f32_e32 v24, v24, v27
	s_delay_alu instid0(VALU_DEP_1) | instskip(NEXT) | instid1(VALU_DEP_1)
	v_dual_sub_f32 v20, v20, v22 :: v_dual_add_f32 v17, v17, v24
	v_add_f32_e32 v17, v20, v17
	s_delay_alu instid0(VALU_DEP_1) | instskip(NEXT) | instid1(VALU_DEP_1)
	v_add_f32_e32 v20, v28, v17
	v_mul_f32_e32 v22, v19, v20
	s_delay_alu instid0(VALU_DEP_1) | instskip(NEXT) | instid1(VALU_DEP_1)
	v_dual_sub_f32 v27, v28, v20 :: v_dual_mul_f32 v24, v23, v22
	v_add_f32_e32 v17, v17, v27
	s_delay_alu instid0(VALU_DEP_2) | instskip(NEXT) | instid1(VALU_DEP_1)
	v_fma_f32 v23, v22, v23, -v24
	v_fmac_f32_e32 v23, v22, v21
	s_delay_alu instid0(VALU_DEP_1) | instskip(NEXT) | instid1(VALU_DEP_1)
	v_add_f32_e32 v21, v24, v23
	v_sub_f32_e32 v26, v20, v21
	s_delay_alu instid0(VALU_DEP_1) | instskip(NEXT) | instid1(VALU_DEP_1)
	v_sub_f32_e32 v20, v20, v26
	v_sub_f32_e32 v20, v20, v21
	s_delay_alu instid0(VALU_DEP_1) | instskip(SKIP_2) | instid1(VALU_DEP_1)
	v_add_f32_e32 v17, v17, v20
	v_add_f32_e32 v20, v25, v22
	v_sub_f32_e32 v24, v21, v24
	v_sub_f32_e32 v21, v24, v23
	s_delay_alu instid0(VALU_DEP_1) | instskip(NEXT) | instid1(VALU_DEP_4)
	v_add_f32_e32 v17, v21, v17
	v_sub_f32_e32 v21, v20, v25
	s_delay_alu instid0(VALU_DEP_2) | instskip(NEXT) | instid1(VALU_DEP_2)
	v_add_f32_e32 v17, v26, v17
	v_sub_f32_e32 v21, v22, v21
	s_delay_alu instid0(VALU_DEP_2) | instskip(NEXT) | instid1(VALU_DEP_1)
	v_mul_f32_e32 v17, v19, v17
	v_add_f32_e32 v17, v21, v17
	s_delay_alu instid0(VALU_DEP_1) | instskip(NEXT) | instid1(VALU_DEP_1)
	v_add_f32_e32 v19, v20, v17
	v_mul_f32_e32 v21, v19, v19
	s_delay_alu instid0(VALU_DEP_1) | instskip(SKIP_1) | instid1(VALU_DEP_2)
	v_fmaak_f32 v22, s54, v21, 0x3ecc95a3
	v_mul_f32_e32 v23, v19, v21
	v_fmaak_f32 v21, v21, v22, 0x3f2aaada
	v_ldexp_f32 v22, v19, 1
	s_delay_alu instid0(VALU_DEP_2) | instskip(SKIP_1) | instid1(VALU_DEP_2)
	v_mul_f32_e32 v21, v23, v21
	v_sub_f32_e32 v19, v19, v20
	v_dual_mul_f32 v23, 0x3f317218, v16 :: v_dual_add_f32 v20, v22, v21
	s_delay_alu instid0(VALU_DEP_2) | instskip(NEXT) | instid1(VALU_DEP_2)
	v_sub_f32_e32 v17, v17, v19
	v_sub_f32_e32 v19, v20, v22
	s_delay_alu instid0(VALU_DEP_3) | instskip(NEXT) | instid1(VALU_DEP_3)
	v_fma_f32 v22, 0x3f317218, v16, -v23
	v_ldexp_f32 v17, v17, 1
	s_delay_alu instid0(VALU_DEP_2) | instskip(NEXT) | instid1(VALU_DEP_1)
	v_dual_sub_f32 v19, v21, v19 :: v_dual_fmac_f32 v22, 0xb102e308, v16
	v_dual_add_f32 v16, v17, v19 :: v_dual_add_f32 v17, v23, v22
	s_delay_alu instid0(VALU_DEP_1) | instskip(NEXT) | instid1(VALU_DEP_1)
	v_add_f32_e32 v19, v20, v16
	v_dual_add_f32 v21, v17, v19 :: v_dual_sub_f32 v20, v19, v20
	s_delay_alu instid0(VALU_DEP_1) | instskip(NEXT) | instid1(VALU_DEP_2)
	v_sub_f32_e32 v24, v21, v17
	v_dual_sub_f32 v23, v17, v23 :: v_dual_sub_f32 v16, v16, v20
	s_delay_alu instid0(VALU_DEP_1) | instskip(SKIP_1) | instid1(VALU_DEP_2)
	v_dual_sub_f32 v25, v21, v24 :: v_dual_sub_f32 v22, v22, v23
	v_sub_f32_e32 v19, v19, v24
	v_dual_sub_f32 v17, v17, v25 :: v_dual_add_f32 v20, v22, v16
	s_delay_alu instid0(VALU_DEP_1) | instskip(NEXT) | instid1(VALU_DEP_2)
	v_add_f32_e32 v17, v19, v17
	v_sub_f32_e32 v19, v20, v22
	s_delay_alu instid0(VALU_DEP_2) | instskip(NEXT) | instid1(VALU_DEP_2)
	v_add_f32_e32 v17, v20, v17
	v_sub_f32_e32 v20, v20, v19
	s_delay_alu instid0(VALU_DEP_2) | instskip(NEXT) | instid1(VALU_DEP_1)
	v_dual_sub_f32 v16, v16, v19 :: v_dual_add_f32 v23, v21, v17
	v_dual_sub_f32 v20, v22, v20 :: v_dual_sub_f32 v19, v23, v21
	s_delay_alu instid0(VALU_DEP_1) | instskip(NEXT) | instid1(VALU_DEP_1)
	v_dual_add_f32 v16, v16, v20 :: v_dual_sub_f32 v17, v17, v19
	v_add_f32_e32 v16, v16, v17
	s_delay_alu instid0(VALU_DEP_1) | instskip(NEXT) | instid1(VALU_DEP_1)
	v_add_f32_e32 v16, v23, v16
	v_cndmask_b32_e32 v75, v16, v18, vcc_lo
.LBB123_46:                             ;   in Loop: Header=BB123_12 Depth=1
	s_or_b32 exec_lo, exec_lo, s16
	v_lshrrev_b32_e32 v16, 16, v2
	s_delay_alu instid0(VALU_DEP_1) | instskip(NEXT) | instid1(VALU_DEP_1)
	v_cvt_f32_f16_e32 v16, v16
	v_add_f32_e32 v76, s57, v16
	s_delay_alu instid0(VALU_DEP_1) | instskip(SKIP_1) | instid1(SALU_CYCLE_1)
	v_cmp_ge_f32_e32 vcc_lo, 0x41a00000, v76
	s_and_b32 s15, s67, vcc_lo
	s_and_saveexec_b32 s16, s15
	s_cbranch_execz .LBB123_48
; %bb.47:                               ;   in Loop: Header=BB123_12 Depth=1
	v_mul_f32_e32 v16, 0x3fb8aa3b, v76
	v_cmp_ngt_f32_e32 vcc_lo, 0xc2ce8ed0, v76
	s_delay_alu instid0(VALU_DEP_2) | instskip(SKIP_1) | instid1(VALU_DEP_2)
	v_rndne_f32_e32 v17, v16
	v_fma_f32 v18, 0x3fb8aa3b, v76, -v16
	v_sub_f32_e32 v16, v16, v17
	s_delay_alu instid0(VALU_DEP_2) | instskip(SKIP_1) | instid1(VALU_DEP_2)
	v_fmac_f32_e32 v18, 0x32a5705f, v76
	v_cvt_i32_f32_e32 v17, v17
	v_add_f32_e32 v16, v16, v18
	s_delay_alu instid0(VALU_DEP_1) | instskip(SKIP_2) | instid1(VALU_DEP_1)
	v_exp_f32_e32 v16, v16
	s_waitcnt_depctr 0xfff
	v_ldexp_f32 v16, v16, v17
	v_cndmask_b32_e32 v16, 0, v16, vcc_lo
	v_cmp_nlt_f32_e32 vcc_lo, 0x42b17218, v76
	s_delay_alu instid0(VALU_DEP_2) | instskip(NEXT) | instid1(VALU_DEP_1)
	v_cndmask_b32_e32 v18, 0x7f800000, v16, vcc_lo
	v_add_f32_e32 v19, 1.0, v18
	s_delay_alu instid0(VALU_DEP_1) | instskip(NEXT) | instid1(VALU_DEP_1)
	v_cvt_f64_f32_e32 v[16:17], v19
	v_frexp_exp_i32_f64_e32 v16, v[16:17]
	v_frexp_mant_f32_e32 v17, v19
	s_delay_alu instid0(VALU_DEP_1) | instskip(SKIP_1) | instid1(VALU_DEP_1)
	v_cmp_gt_f32_e32 vcc_lo, 0x3f2aaaab, v17
	v_add_f32_e32 v17, -1.0, v19
	v_sub_f32_e32 v21, v17, v19
	v_sub_f32_e32 v17, v18, v17
	s_delay_alu instid0(VALU_DEP_2) | instskip(NEXT) | instid1(VALU_DEP_1)
	v_add_f32_e32 v21, 1.0, v21
	v_add_f32_e32 v17, v17, v21
	v_cmp_gt_f32_e64 s15, 0x33800000, v18
	v_subrev_co_ci_u32_e32 v16, vcc_lo, 0, v16, vcc_lo
	v_cmp_eq_f32_e32 vcc_lo, 0x7f800000, v18
	s_delay_alu instid0(VALU_DEP_2) | instskip(SKIP_2) | instid1(VALU_DEP_2)
	v_sub_nc_u32_e32 v20, 0, v16
	v_cvt_f32_i32_e32 v16, v16
	s_or_b32 vcc_lo, s15, vcc_lo
	v_ldexp_f32 v19, v19, v20
	v_ldexp_f32 v17, v17, v20
	s_delay_alu instid0(VALU_DEP_2) | instskip(NEXT) | instid1(VALU_DEP_1)
	v_add_f32_e32 v22, 1.0, v19
	v_dual_add_f32 v20, -1.0, v19 :: v_dual_add_f32 v21, -1.0, v22
	s_delay_alu instid0(VALU_DEP_1) | instskip(NEXT) | instid1(VALU_DEP_2)
	v_add_f32_e32 v23, 1.0, v20
	v_sub_f32_e32 v21, v19, v21
	s_delay_alu instid0(VALU_DEP_2) | instskip(NEXT) | instid1(VALU_DEP_2)
	v_sub_f32_e32 v19, v19, v23
	v_add_f32_e32 v21, v17, v21
	s_delay_alu instid0(VALU_DEP_2) | instskip(NEXT) | instid1(VALU_DEP_1)
	v_add_f32_e32 v17, v17, v19
	v_add_f32_e32 v24, v20, v17
	s_delay_alu instid0(VALU_DEP_1) | instskip(NEXT) | instid1(VALU_DEP_1)
	v_dual_add_f32 v23, v22, v21 :: v_dual_sub_f32 v20, v20, v24
	v_rcp_f32_e32 v19, v23
	v_sub_f32_e32 v22, v22, v23
	s_delay_alu instid0(VALU_DEP_1) | instskip(SKIP_2) | instid1(VALU_DEP_1)
	v_add_f32_e32 v21, v21, v22
	s_waitcnt_depctr 0xfff
	v_mul_f32_e32 v25, v24, v19
	v_mul_f32_e32 v26, v23, v25
	s_delay_alu instid0(VALU_DEP_1) | instskip(NEXT) | instid1(VALU_DEP_1)
	v_fma_f32 v22, v25, v23, -v26
	v_fmac_f32_e32 v22, v25, v21
	s_delay_alu instid0(VALU_DEP_1) | instskip(NEXT) | instid1(VALU_DEP_1)
	v_add_f32_e32 v27, v26, v22
	v_sub_f32_e32 v28, v24, v27
	s_delay_alu instid0(VALU_DEP_1) | instskip(SKIP_1) | instid1(VALU_DEP_2)
	v_sub_f32_e32 v24, v24, v28
	v_dual_add_f32 v17, v17, v20 :: v_dual_sub_f32 v20, v27, v26
	v_sub_f32_e32 v24, v24, v27
	s_delay_alu instid0(VALU_DEP_1) | instskip(NEXT) | instid1(VALU_DEP_1)
	v_dual_sub_f32 v20, v20, v22 :: v_dual_add_f32 v17, v17, v24
	v_add_f32_e32 v17, v20, v17
	s_delay_alu instid0(VALU_DEP_1) | instskip(NEXT) | instid1(VALU_DEP_1)
	v_add_f32_e32 v20, v28, v17
	v_mul_f32_e32 v22, v19, v20
	s_delay_alu instid0(VALU_DEP_1) | instskip(NEXT) | instid1(VALU_DEP_1)
	v_dual_sub_f32 v27, v28, v20 :: v_dual_mul_f32 v24, v23, v22
	v_add_f32_e32 v17, v17, v27
	s_delay_alu instid0(VALU_DEP_2) | instskip(NEXT) | instid1(VALU_DEP_1)
	v_fma_f32 v23, v22, v23, -v24
	v_fmac_f32_e32 v23, v22, v21
	s_delay_alu instid0(VALU_DEP_1) | instskip(NEXT) | instid1(VALU_DEP_1)
	v_add_f32_e32 v21, v24, v23
	v_sub_f32_e32 v26, v20, v21
	s_delay_alu instid0(VALU_DEP_1) | instskip(NEXT) | instid1(VALU_DEP_1)
	v_sub_f32_e32 v20, v20, v26
	v_sub_f32_e32 v20, v20, v21
	s_delay_alu instid0(VALU_DEP_1) | instskip(SKIP_2) | instid1(VALU_DEP_1)
	v_add_f32_e32 v17, v17, v20
	v_add_f32_e32 v20, v25, v22
	v_sub_f32_e32 v24, v21, v24
	v_sub_f32_e32 v21, v24, v23
	s_delay_alu instid0(VALU_DEP_1) | instskip(NEXT) | instid1(VALU_DEP_4)
	v_add_f32_e32 v17, v21, v17
	v_sub_f32_e32 v21, v20, v25
	s_delay_alu instid0(VALU_DEP_2) | instskip(NEXT) | instid1(VALU_DEP_2)
	v_add_f32_e32 v17, v26, v17
	v_sub_f32_e32 v21, v22, v21
	s_delay_alu instid0(VALU_DEP_2) | instskip(NEXT) | instid1(VALU_DEP_1)
	v_mul_f32_e32 v17, v19, v17
	v_add_f32_e32 v17, v21, v17
	s_delay_alu instid0(VALU_DEP_1) | instskip(NEXT) | instid1(VALU_DEP_1)
	v_add_f32_e32 v19, v20, v17
	v_mul_f32_e32 v21, v19, v19
	s_delay_alu instid0(VALU_DEP_1) | instskip(SKIP_1) | instid1(VALU_DEP_2)
	v_fmaak_f32 v22, s54, v21, 0x3ecc95a3
	v_mul_f32_e32 v23, v19, v21
	v_fmaak_f32 v21, v21, v22, 0x3f2aaada
	v_ldexp_f32 v22, v19, 1
	s_delay_alu instid0(VALU_DEP_2) | instskip(SKIP_1) | instid1(VALU_DEP_2)
	v_mul_f32_e32 v21, v23, v21
	v_sub_f32_e32 v19, v19, v20
	v_dual_mul_f32 v23, 0x3f317218, v16 :: v_dual_add_f32 v20, v22, v21
	s_delay_alu instid0(VALU_DEP_2) | instskip(NEXT) | instid1(VALU_DEP_2)
	v_sub_f32_e32 v17, v17, v19
	v_sub_f32_e32 v19, v20, v22
	s_delay_alu instid0(VALU_DEP_3) | instskip(NEXT) | instid1(VALU_DEP_3)
	v_fma_f32 v22, 0x3f317218, v16, -v23
	v_ldexp_f32 v17, v17, 1
	s_delay_alu instid0(VALU_DEP_2) | instskip(NEXT) | instid1(VALU_DEP_1)
	v_dual_sub_f32 v19, v21, v19 :: v_dual_fmac_f32 v22, 0xb102e308, v16
	v_dual_add_f32 v16, v17, v19 :: v_dual_add_f32 v17, v23, v22
	s_delay_alu instid0(VALU_DEP_1) | instskip(NEXT) | instid1(VALU_DEP_1)
	v_add_f32_e32 v19, v20, v16
	v_dual_add_f32 v21, v17, v19 :: v_dual_sub_f32 v20, v19, v20
	s_delay_alu instid0(VALU_DEP_1) | instskip(NEXT) | instid1(VALU_DEP_2)
	v_sub_f32_e32 v24, v21, v17
	v_dual_sub_f32 v23, v17, v23 :: v_dual_sub_f32 v16, v16, v20
	s_delay_alu instid0(VALU_DEP_1) | instskip(SKIP_1) | instid1(VALU_DEP_2)
	v_dual_sub_f32 v25, v21, v24 :: v_dual_sub_f32 v22, v22, v23
	v_sub_f32_e32 v19, v19, v24
	v_dual_sub_f32 v17, v17, v25 :: v_dual_add_f32 v20, v22, v16
	s_delay_alu instid0(VALU_DEP_1) | instskip(NEXT) | instid1(VALU_DEP_2)
	v_add_f32_e32 v17, v19, v17
	v_sub_f32_e32 v19, v20, v22
	s_delay_alu instid0(VALU_DEP_2) | instskip(NEXT) | instid1(VALU_DEP_2)
	v_add_f32_e32 v17, v20, v17
	v_sub_f32_e32 v20, v20, v19
	s_delay_alu instid0(VALU_DEP_2) | instskip(NEXT) | instid1(VALU_DEP_1)
	v_dual_sub_f32 v16, v16, v19 :: v_dual_add_f32 v23, v21, v17
	v_dual_sub_f32 v20, v22, v20 :: v_dual_sub_f32 v19, v23, v21
	s_delay_alu instid0(VALU_DEP_1) | instskip(NEXT) | instid1(VALU_DEP_1)
	v_dual_add_f32 v16, v16, v20 :: v_dual_sub_f32 v17, v17, v19
	v_add_f32_e32 v16, v16, v17
	s_delay_alu instid0(VALU_DEP_1) | instskip(NEXT) | instid1(VALU_DEP_1)
	v_add_f32_e32 v16, v23, v16
	v_cndmask_b32_e32 v76, v16, v18, vcc_lo
.LBB123_48:                             ;   in Loop: Header=BB123_12 Depth=1
	s_or_b32 exec_lo, exec_lo, s16
	v_cvt_f32_f16_e32 v16, v3
	s_delay_alu instid0(VALU_DEP_1) | instskip(NEXT) | instid1(VALU_DEP_1)
	v_add_f32_e32 v77, s57, v16
	v_cmp_ge_f32_e32 vcc_lo, 0x41a00000, v77
	s_and_b32 s15, s67, vcc_lo
	s_delay_alu instid0(SALU_CYCLE_1)
	s_and_saveexec_b32 s16, s15
	s_cbranch_execz .LBB123_50
; %bb.49:                               ;   in Loop: Header=BB123_12 Depth=1
	v_mul_f32_e32 v16, 0x3fb8aa3b, v77
	v_cmp_ngt_f32_e32 vcc_lo, 0xc2ce8ed0, v77
	s_delay_alu instid0(VALU_DEP_2) | instskip(SKIP_1) | instid1(VALU_DEP_2)
	v_rndne_f32_e32 v17, v16
	v_fma_f32 v18, 0x3fb8aa3b, v77, -v16
	v_sub_f32_e32 v16, v16, v17
	s_delay_alu instid0(VALU_DEP_2) | instskip(SKIP_1) | instid1(VALU_DEP_2)
	v_fmac_f32_e32 v18, 0x32a5705f, v77
	v_cvt_i32_f32_e32 v17, v17
	v_add_f32_e32 v16, v16, v18
	s_delay_alu instid0(VALU_DEP_1) | instskip(SKIP_2) | instid1(VALU_DEP_1)
	v_exp_f32_e32 v16, v16
	s_waitcnt_depctr 0xfff
	v_ldexp_f32 v16, v16, v17
	v_cndmask_b32_e32 v16, 0, v16, vcc_lo
	v_cmp_nlt_f32_e32 vcc_lo, 0x42b17218, v77
	s_delay_alu instid0(VALU_DEP_2) | instskip(NEXT) | instid1(VALU_DEP_1)
	v_cndmask_b32_e32 v18, 0x7f800000, v16, vcc_lo
	v_add_f32_e32 v19, 1.0, v18
	s_delay_alu instid0(VALU_DEP_1) | instskip(NEXT) | instid1(VALU_DEP_1)
	v_cvt_f64_f32_e32 v[16:17], v19
	v_frexp_exp_i32_f64_e32 v16, v[16:17]
	v_frexp_mant_f32_e32 v17, v19
	s_delay_alu instid0(VALU_DEP_1) | instskip(SKIP_1) | instid1(VALU_DEP_1)
	v_cmp_gt_f32_e32 vcc_lo, 0x3f2aaaab, v17
	v_add_f32_e32 v17, -1.0, v19
	v_sub_f32_e32 v21, v17, v19
	v_sub_f32_e32 v17, v18, v17
	s_delay_alu instid0(VALU_DEP_2) | instskip(NEXT) | instid1(VALU_DEP_1)
	v_add_f32_e32 v21, 1.0, v21
	v_add_f32_e32 v17, v17, v21
	v_cmp_gt_f32_e64 s15, 0x33800000, v18
	v_subrev_co_ci_u32_e32 v16, vcc_lo, 0, v16, vcc_lo
	v_cmp_eq_f32_e32 vcc_lo, 0x7f800000, v18
	s_delay_alu instid0(VALU_DEP_2) | instskip(SKIP_2) | instid1(VALU_DEP_2)
	v_sub_nc_u32_e32 v20, 0, v16
	v_cvt_f32_i32_e32 v16, v16
	s_or_b32 vcc_lo, s15, vcc_lo
	v_ldexp_f32 v19, v19, v20
	v_ldexp_f32 v17, v17, v20
	s_delay_alu instid0(VALU_DEP_2) | instskip(NEXT) | instid1(VALU_DEP_1)
	v_add_f32_e32 v22, 1.0, v19
	v_dual_add_f32 v20, -1.0, v19 :: v_dual_add_f32 v21, -1.0, v22
	s_delay_alu instid0(VALU_DEP_1) | instskip(NEXT) | instid1(VALU_DEP_2)
	v_add_f32_e32 v23, 1.0, v20
	v_sub_f32_e32 v21, v19, v21
	s_delay_alu instid0(VALU_DEP_2) | instskip(NEXT) | instid1(VALU_DEP_2)
	v_sub_f32_e32 v19, v19, v23
	v_add_f32_e32 v21, v17, v21
	s_delay_alu instid0(VALU_DEP_2) | instskip(NEXT) | instid1(VALU_DEP_1)
	v_add_f32_e32 v17, v17, v19
	v_add_f32_e32 v24, v20, v17
	s_delay_alu instid0(VALU_DEP_1) | instskip(NEXT) | instid1(VALU_DEP_1)
	v_dual_add_f32 v23, v22, v21 :: v_dual_sub_f32 v20, v20, v24
	v_rcp_f32_e32 v19, v23
	v_sub_f32_e32 v22, v22, v23
	s_delay_alu instid0(VALU_DEP_1) | instskip(SKIP_2) | instid1(VALU_DEP_1)
	v_add_f32_e32 v21, v21, v22
	s_waitcnt_depctr 0xfff
	v_mul_f32_e32 v25, v24, v19
	v_mul_f32_e32 v26, v23, v25
	s_delay_alu instid0(VALU_DEP_1) | instskip(NEXT) | instid1(VALU_DEP_1)
	v_fma_f32 v22, v25, v23, -v26
	v_fmac_f32_e32 v22, v25, v21
	s_delay_alu instid0(VALU_DEP_1) | instskip(NEXT) | instid1(VALU_DEP_1)
	v_add_f32_e32 v27, v26, v22
	v_sub_f32_e32 v28, v24, v27
	s_delay_alu instid0(VALU_DEP_1) | instskip(SKIP_1) | instid1(VALU_DEP_2)
	v_sub_f32_e32 v24, v24, v28
	v_dual_add_f32 v17, v17, v20 :: v_dual_sub_f32 v20, v27, v26
	v_sub_f32_e32 v24, v24, v27
	s_delay_alu instid0(VALU_DEP_1) | instskip(NEXT) | instid1(VALU_DEP_1)
	v_dual_sub_f32 v20, v20, v22 :: v_dual_add_f32 v17, v17, v24
	v_add_f32_e32 v17, v20, v17
	s_delay_alu instid0(VALU_DEP_1) | instskip(NEXT) | instid1(VALU_DEP_1)
	v_add_f32_e32 v20, v28, v17
	v_mul_f32_e32 v22, v19, v20
	s_delay_alu instid0(VALU_DEP_1) | instskip(NEXT) | instid1(VALU_DEP_1)
	v_dual_sub_f32 v27, v28, v20 :: v_dual_mul_f32 v24, v23, v22
	v_add_f32_e32 v17, v17, v27
	s_delay_alu instid0(VALU_DEP_2) | instskip(NEXT) | instid1(VALU_DEP_1)
	v_fma_f32 v23, v22, v23, -v24
	v_fmac_f32_e32 v23, v22, v21
	s_delay_alu instid0(VALU_DEP_1) | instskip(NEXT) | instid1(VALU_DEP_1)
	v_add_f32_e32 v21, v24, v23
	v_sub_f32_e32 v26, v20, v21
	s_delay_alu instid0(VALU_DEP_1) | instskip(NEXT) | instid1(VALU_DEP_1)
	v_sub_f32_e32 v20, v20, v26
	v_sub_f32_e32 v20, v20, v21
	s_delay_alu instid0(VALU_DEP_1) | instskip(SKIP_2) | instid1(VALU_DEP_1)
	v_add_f32_e32 v17, v17, v20
	v_add_f32_e32 v20, v25, v22
	v_sub_f32_e32 v24, v21, v24
	v_sub_f32_e32 v21, v24, v23
	s_delay_alu instid0(VALU_DEP_1) | instskip(NEXT) | instid1(VALU_DEP_4)
	v_add_f32_e32 v17, v21, v17
	v_sub_f32_e32 v21, v20, v25
	s_delay_alu instid0(VALU_DEP_2) | instskip(NEXT) | instid1(VALU_DEP_2)
	v_add_f32_e32 v17, v26, v17
	v_sub_f32_e32 v21, v22, v21
	s_delay_alu instid0(VALU_DEP_2) | instskip(NEXT) | instid1(VALU_DEP_1)
	v_mul_f32_e32 v17, v19, v17
	v_add_f32_e32 v17, v21, v17
	s_delay_alu instid0(VALU_DEP_1) | instskip(NEXT) | instid1(VALU_DEP_1)
	v_add_f32_e32 v19, v20, v17
	v_mul_f32_e32 v21, v19, v19
	s_delay_alu instid0(VALU_DEP_1) | instskip(SKIP_1) | instid1(VALU_DEP_2)
	v_fmaak_f32 v22, s54, v21, 0x3ecc95a3
	v_mul_f32_e32 v23, v19, v21
	v_fmaak_f32 v21, v21, v22, 0x3f2aaada
	v_ldexp_f32 v22, v19, 1
	s_delay_alu instid0(VALU_DEP_2) | instskip(SKIP_1) | instid1(VALU_DEP_2)
	v_mul_f32_e32 v21, v23, v21
	v_sub_f32_e32 v19, v19, v20
	v_dual_mul_f32 v23, 0x3f317218, v16 :: v_dual_add_f32 v20, v22, v21
	s_delay_alu instid0(VALU_DEP_2) | instskip(NEXT) | instid1(VALU_DEP_2)
	v_sub_f32_e32 v17, v17, v19
	v_sub_f32_e32 v19, v20, v22
	s_delay_alu instid0(VALU_DEP_3) | instskip(NEXT) | instid1(VALU_DEP_3)
	v_fma_f32 v22, 0x3f317218, v16, -v23
	v_ldexp_f32 v17, v17, 1
	s_delay_alu instid0(VALU_DEP_2) | instskip(NEXT) | instid1(VALU_DEP_1)
	v_dual_sub_f32 v19, v21, v19 :: v_dual_fmac_f32 v22, 0xb102e308, v16
	v_dual_add_f32 v16, v17, v19 :: v_dual_add_f32 v17, v23, v22
	s_delay_alu instid0(VALU_DEP_1) | instskip(NEXT) | instid1(VALU_DEP_1)
	v_add_f32_e32 v19, v20, v16
	v_dual_add_f32 v21, v17, v19 :: v_dual_sub_f32 v20, v19, v20
	s_delay_alu instid0(VALU_DEP_1) | instskip(NEXT) | instid1(VALU_DEP_2)
	v_sub_f32_e32 v24, v21, v17
	v_dual_sub_f32 v23, v17, v23 :: v_dual_sub_f32 v16, v16, v20
	s_delay_alu instid0(VALU_DEP_1) | instskip(SKIP_1) | instid1(VALU_DEP_2)
	v_dual_sub_f32 v25, v21, v24 :: v_dual_sub_f32 v22, v22, v23
	v_sub_f32_e32 v19, v19, v24
	v_dual_sub_f32 v17, v17, v25 :: v_dual_add_f32 v20, v22, v16
	s_delay_alu instid0(VALU_DEP_1) | instskip(NEXT) | instid1(VALU_DEP_2)
	v_add_f32_e32 v17, v19, v17
	v_sub_f32_e32 v19, v20, v22
	s_delay_alu instid0(VALU_DEP_2) | instskip(NEXT) | instid1(VALU_DEP_2)
	v_add_f32_e32 v17, v20, v17
	v_sub_f32_e32 v20, v20, v19
	s_delay_alu instid0(VALU_DEP_2) | instskip(NEXT) | instid1(VALU_DEP_1)
	v_dual_sub_f32 v16, v16, v19 :: v_dual_add_f32 v23, v21, v17
	v_dual_sub_f32 v20, v22, v20 :: v_dual_sub_f32 v19, v23, v21
	s_delay_alu instid0(VALU_DEP_1) | instskip(NEXT) | instid1(VALU_DEP_1)
	v_dual_add_f32 v16, v16, v20 :: v_dual_sub_f32 v17, v17, v19
	v_add_f32_e32 v16, v16, v17
	s_delay_alu instid0(VALU_DEP_1) | instskip(NEXT) | instid1(VALU_DEP_1)
	v_add_f32_e32 v16, v23, v16
	v_cndmask_b32_e32 v77, v16, v18, vcc_lo
.LBB123_50:                             ;   in Loop: Header=BB123_12 Depth=1
	s_or_b32 exec_lo, exec_lo, s16
	v_lshrrev_b32_e32 v16, 16, v3
	s_delay_alu instid0(VALU_DEP_1) | instskip(NEXT) | instid1(VALU_DEP_1)
	v_cvt_f32_f16_e32 v16, v16
	v_add_f32_e32 v87, s57, v16
	s_delay_alu instid0(VALU_DEP_1) | instskip(SKIP_1) | instid1(SALU_CYCLE_1)
	v_cmp_ge_f32_e32 vcc_lo, 0x41a00000, v87
	s_and_b32 s15, s67, vcc_lo
	s_and_saveexec_b32 s16, s15
	s_cbranch_execz .LBB123_52
; %bb.51:                               ;   in Loop: Header=BB123_12 Depth=1
	v_mul_f32_e32 v16, 0x3fb8aa3b, v87
	v_cmp_ngt_f32_e32 vcc_lo, 0xc2ce8ed0, v87
	s_delay_alu instid0(VALU_DEP_2) | instskip(SKIP_1) | instid1(VALU_DEP_2)
	v_rndne_f32_e32 v17, v16
	v_fma_f32 v18, 0x3fb8aa3b, v87, -v16
	v_sub_f32_e32 v16, v16, v17
	s_delay_alu instid0(VALU_DEP_2) | instskip(SKIP_1) | instid1(VALU_DEP_2)
	v_fmac_f32_e32 v18, 0x32a5705f, v87
	v_cvt_i32_f32_e32 v17, v17
	v_add_f32_e32 v16, v16, v18
	s_delay_alu instid0(VALU_DEP_1) | instskip(SKIP_2) | instid1(VALU_DEP_1)
	v_exp_f32_e32 v16, v16
	s_waitcnt_depctr 0xfff
	v_ldexp_f32 v16, v16, v17
	v_cndmask_b32_e32 v16, 0, v16, vcc_lo
	v_cmp_nlt_f32_e32 vcc_lo, 0x42b17218, v87
	s_delay_alu instid0(VALU_DEP_2) | instskip(NEXT) | instid1(VALU_DEP_1)
	v_cndmask_b32_e32 v18, 0x7f800000, v16, vcc_lo
	v_add_f32_e32 v19, 1.0, v18
	s_delay_alu instid0(VALU_DEP_1) | instskip(NEXT) | instid1(VALU_DEP_1)
	v_cvt_f64_f32_e32 v[16:17], v19
	v_frexp_exp_i32_f64_e32 v16, v[16:17]
	v_frexp_mant_f32_e32 v17, v19
	s_delay_alu instid0(VALU_DEP_1) | instskip(SKIP_1) | instid1(VALU_DEP_1)
	v_cmp_gt_f32_e32 vcc_lo, 0x3f2aaaab, v17
	v_add_f32_e32 v17, -1.0, v19
	v_sub_f32_e32 v21, v17, v19
	v_sub_f32_e32 v17, v18, v17
	s_delay_alu instid0(VALU_DEP_2) | instskip(NEXT) | instid1(VALU_DEP_1)
	v_add_f32_e32 v21, 1.0, v21
	v_add_f32_e32 v17, v17, v21
	v_cmp_gt_f32_e64 s15, 0x33800000, v18
	v_subrev_co_ci_u32_e32 v16, vcc_lo, 0, v16, vcc_lo
	v_cmp_eq_f32_e32 vcc_lo, 0x7f800000, v18
	s_delay_alu instid0(VALU_DEP_2) | instskip(SKIP_2) | instid1(VALU_DEP_2)
	v_sub_nc_u32_e32 v20, 0, v16
	v_cvt_f32_i32_e32 v16, v16
	s_or_b32 vcc_lo, s15, vcc_lo
	v_ldexp_f32 v19, v19, v20
	v_ldexp_f32 v17, v17, v20
	s_delay_alu instid0(VALU_DEP_2) | instskip(NEXT) | instid1(VALU_DEP_1)
	v_add_f32_e32 v22, 1.0, v19
	v_dual_add_f32 v20, -1.0, v19 :: v_dual_add_f32 v21, -1.0, v22
	s_delay_alu instid0(VALU_DEP_1) | instskip(NEXT) | instid1(VALU_DEP_2)
	v_add_f32_e32 v23, 1.0, v20
	v_sub_f32_e32 v21, v19, v21
	s_delay_alu instid0(VALU_DEP_2) | instskip(NEXT) | instid1(VALU_DEP_2)
	v_sub_f32_e32 v19, v19, v23
	v_add_f32_e32 v21, v17, v21
	s_delay_alu instid0(VALU_DEP_2) | instskip(NEXT) | instid1(VALU_DEP_1)
	v_add_f32_e32 v17, v17, v19
	v_add_f32_e32 v24, v20, v17
	s_delay_alu instid0(VALU_DEP_1) | instskip(NEXT) | instid1(VALU_DEP_1)
	v_dual_add_f32 v23, v22, v21 :: v_dual_sub_f32 v20, v20, v24
	v_rcp_f32_e32 v19, v23
	v_sub_f32_e32 v22, v22, v23
	s_delay_alu instid0(VALU_DEP_1) | instskip(SKIP_2) | instid1(VALU_DEP_1)
	v_add_f32_e32 v21, v21, v22
	s_waitcnt_depctr 0xfff
	v_mul_f32_e32 v25, v24, v19
	v_mul_f32_e32 v26, v23, v25
	s_delay_alu instid0(VALU_DEP_1) | instskip(NEXT) | instid1(VALU_DEP_1)
	v_fma_f32 v22, v25, v23, -v26
	v_fmac_f32_e32 v22, v25, v21
	s_delay_alu instid0(VALU_DEP_1) | instskip(NEXT) | instid1(VALU_DEP_1)
	v_add_f32_e32 v27, v26, v22
	v_sub_f32_e32 v28, v24, v27
	s_delay_alu instid0(VALU_DEP_1) | instskip(SKIP_1) | instid1(VALU_DEP_2)
	v_sub_f32_e32 v24, v24, v28
	v_dual_add_f32 v17, v17, v20 :: v_dual_sub_f32 v20, v27, v26
	v_sub_f32_e32 v24, v24, v27
	s_delay_alu instid0(VALU_DEP_1) | instskip(NEXT) | instid1(VALU_DEP_1)
	v_dual_sub_f32 v20, v20, v22 :: v_dual_add_f32 v17, v17, v24
	v_add_f32_e32 v17, v20, v17
	s_delay_alu instid0(VALU_DEP_1) | instskip(NEXT) | instid1(VALU_DEP_1)
	v_add_f32_e32 v20, v28, v17
	v_mul_f32_e32 v22, v19, v20
	s_delay_alu instid0(VALU_DEP_1) | instskip(NEXT) | instid1(VALU_DEP_1)
	v_dual_sub_f32 v27, v28, v20 :: v_dual_mul_f32 v24, v23, v22
	v_add_f32_e32 v17, v17, v27
	s_delay_alu instid0(VALU_DEP_2) | instskip(NEXT) | instid1(VALU_DEP_1)
	v_fma_f32 v23, v22, v23, -v24
	v_fmac_f32_e32 v23, v22, v21
	s_delay_alu instid0(VALU_DEP_1) | instskip(NEXT) | instid1(VALU_DEP_1)
	v_add_f32_e32 v21, v24, v23
	v_sub_f32_e32 v26, v20, v21
	s_delay_alu instid0(VALU_DEP_1) | instskip(NEXT) | instid1(VALU_DEP_1)
	v_sub_f32_e32 v20, v20, v26
	v_sub_f32_e32 v20, v20, v21
	s_delay_alu instid0(VALU_DEP_1) | instskip(SKIP_2) | instid1(VALU_DEP_1)
	v_add_f32_e32 v17, v17, v20
	v_add_f32_e32 v20, v25, v22
	v_sub_f32_e32 v24, v21, v24
	v_sub_f32_e32 v21, v24, v23
	s_delay_alu instid0(VALU_DEP_1) | instskip(NEXT) | instid1(VALU_DEP_4)
	v_add_f32_e32 v17, v21, v17
	v_sub_f32_e32 v21, v20, v25
	s_delay_alu instid0(VALU_DEP_2) | instskip(NEXT) | instid1(VALU_DEP_2)
	v_add_f32_e32 v17, v26, v17
	v_sub_f32_e32 v21, v22, v21
	s_delay_alu instid0(VALU_DEP_2) | instskip(NEXT) | instid1(VALU_DEP_1)
	v_mul_f32_e32 v17, v19, v17
	v_add_f32_e32 v17, v21, v17
	s_delay_alu instid0(VALU_DEP_1) | instskip(NEXT) | instid1(VALU_DEP_1)
	v_add_f32_e32 v19, v20, v17
	v_mul_f32_e32 v21, v19, v19
	s_delay_alu instid0(VALU_DEP_1) | instskip(SKIP_1) | instid1(VALU_DEP_2)
	v_fmaak_f32 v22, s54, v21, 0x3ecc95a3
	v_mul_f32_e32 v23, v19, v21
	v_fmaak_f32 v21, v21, v22, 0x3f2aaada
	v_ldexp_f32 v22, v19, 1
	s_delay_alu instid0(VALU_DEP_2) | instskip(SKIP_1) | instid1(VALU_DEP_2)
	v_mul_f32_e32 v21, v23, v21
	v_sub_f32_e32 v19, v19, v20
	v_dual_mul_f32 v23, 0x3f317218, v16 :: v_dual_add_f32 v20, v22, v21
	s_delay_alu instid0(VALU_DEP_2) | instskip(NEXT) | instid1(VALU_DEP_2)
	v_sub_f32_e32 v17, v17, v19
	v_sub_f32_e32 v19, v20, v22
	s_delay_alu instid0(VALU_DEP_3) | instskip(NEXT) | instid1(VALU_DEP_3)
	v_fma_f32 v22, 0x3f317218, v16, -v23
	v_ldexp_f32 v17, v17, 1
	s_delay_alu instid0(VALU_DEP_2) | instskip(NEXT) | instid1(VALU_DEP_1)
	v_dual_sub_f32 v19, v21, v19 :: v_dual_fmac_f32 v22, 0xb102e308, v16
	v_dual_add_f32 v16, v17, v19 :: v_dual_add_f32 v17, v23, v22
	s_delay_alu instid0(VALU_DEP_1) | instskip(NEXT) | instid1(VALU_DEP_1)
	v_add_f32_e32 v19, v20, v16
	v_dual_add_f32 v21, v17, v19 :: v_dual_sub_f32 v20, v19, v20
	s_delay_alu instid0(VALU_DEP_1) | instskip(NEXT) | instid1(VALU_DEP_2)
	v_sub_f32_e32 v24, v21, v17
	v_dual_sub_f32 v23, v17, v23 :: v_dual_sub_f32 v16, v16, v20
	s_delay_alu instid0(VALU_DEP_1) | instskip(SKIP_1) | instid1(VALU_DEP_2)
	v_dual_sub_f32 v25, v21, v24 :: v_dual_sub_f32 v22, v22, v23
	v_sub_f32_e32 v19, v19, v24
	v_dual_sub_f32 v17, v17, v25 :: v_dual_add_f32 v20, v22, v16
	s_delay_alu instid0(VALU_DEP_1) | instskip(NEXT) | instid1(VALU_DEP_2)
	v_add_f32_e32 v17, v19, v17
	v_sub_f32_e32 v19, v20, v22
	s_delay_alu instid0(VALU_DEP_2) | instskip(NEXT) | instid1(VALU_DEP_2)
	v_add_f32_e32 v17, v20, v17
	v_sub_f32_e32 v20, v20, v19
	s_delay_alu instid0(VALU_DEP_2) | instskip(NEXT) | instid1(VALU_DEP_1)
	v_dual_sub_f32 v16, v16, v19 :: v_dual_add_f32 v23, v21, v17
	v_dual_sub_f32 v20, v22, v20 :: v_dual_sub_f32 v19, v23, v21
	s_delay_alu instid0(VALU_DEP_1) | instskip(NEXT) | instid1(VALU_DEP_1)
	v_dual_add_f32 v16, v16, v20 :: v_dual_sub_f32 v17, v17, v19
	v_add_f32_e32 v16, v16, v17
	s_delay_alu instid0(VALU_DEP_1) | instskip(NEXT) | instid1(VALU_DEP_1)
	v_add_f32_e32 v16, v23, v16
	v_cndmask_b32_e32 v87, v16, v18, vcc_lo
.LBB123_52:                             ;   in Loop: Header=BB123_12 Depth=1
	s_or_b32 exec_lo, exec_lo, s16
	v_lshrrev_b32_e32 v18, 16, v10
	v_lshrrev_b32_e32 v20, 16, v11
	v_lshrrev_b32_e32 v19, 16, v9
	v_lshrrev_b32_e32 v21, 16, v8
	v_lshrrev_b32_e32 v24, 16, v15
	v_lshrrev_b32_e32 v26, 16, v14
	v_lshrrev_b32_e32 v28, 16, v13
	v_lshrrev_b32_e32 v30, 16, v12
	v_cvt_f32_f16_e32 v16, v11
	v_cvt_f32_f16_e32 v17, v10
	;; [unrolled: 1-line block ×16, first 2 shown]
	v_dual_mul_f32 v78, s58, v16 :: v_dual_mul_f32 v79, s58, v18
	v_dual_mul_f32 v80, s58, v17 :: v_dual_mul_f32 v81, s58, v19
	;; [unrolled: 1-line block ×6, first 2 shown]
	v_mul_f32_e32 v90, s58, v27
	v_dual_mul_f32 v92, s58, v28 :: v_dual_mul_f32 v89, s58, v23
	v_mul_f32_e32 v94, s58, v30
	s_lshl_b32 s38, s72, 11
	s_and_b32 vcc_lo, exec_lo, s68
	s_barrier
	buffer_gl0_inv
	s_cbranch_vccz .LBB123_11
; %bb.53:                               ;   in Loop: Header=BB123_12 Depth=1
	v_dual_mul_f32 v95, v87, v23 :: v_dual_mul_f32 v100, v77, v16
	v_add_co_u32 v23, s15, s41, v61
	s_delay_alu instid0(VALU_DEP_1) | instskip(SKIP_1) | instid1(VALU_DEP_1)
	v_add_co_ci_u32_e64 v32, null, s62, 0, s15
	v_add_co_u32 v33, s15, s45, v61
	v_add_co_ci_u32_e64 v99, null, s63, 0, s15
	s_delay_alu instid0(VALU_DEP_4) | instskip(NEXT) | instid1(VALU_DEP_4)
	v_add_co_u32 v96, vcc_lo, v23, v62
	v_add_co_ci_u32_e32 v97, vcc_lo, 0, v32, vcc_lo
	s_delay_alu instid0(VALU_DEP_4)
	v_add_co_u32 v98, vcc_lo, v33, v62
	s_sub_i32 s26, s34, s38
	v_add_co_ci_u32_e32 v99, vcc_lo, 0, v99, vcc_lo
	v_cmp_gt_u32_e32 vcc_lo, s26, v40
	s_cmp_lg_u32 s72, 0
	v_cmp_gt_u32_e64 s17, s26, v47
	s_cselect_b32 s39, -1, 0
	s_cmp_eq_u32 s72, s70
	v_cmp_gt_u32_e64 s18, s26, v48
	s_cselect_b32 s73, -1, 0
	s_or_b32 s15, s69, vcc_lo
	v_cmp_gt_u32_e32 vcc_lo, s26, v46
	v_cmp_gt_u32_e64 s19, s26, v49
	v_cmp_gt_u32_e64 s20, s26, v50
	;; [unrolled: 1-line block ×4, first 2 shown]
	s_or_b32 s16, s69, vcc_lo
	v_cmp_gt_u32_e32 vcc_lo, s26, v51
	v_cmp_gt_u32_e64 s24, s26, v54
	v_cmp_gt_u32_e64 s25, s26, v55
	v_cmp_gt_u32_e64 s27, s26, v57
	v_cmp_gt_u32_e64 s28, s26, v58
	s_or_b32 s21, s69, vcc_lo
	v_cmp_gt_u32_e32 vcc_lo, s26, v56
	v_cmp_gt_u32_e64 s29, s26, v59
	v_cmp_gt_u32_e64 s30, s26, v60
	v_dual_mul_f32 v101, v76, v18 :: v_dual_mul_f32 v102, v75, v17
	v_dual_mul_f32 v103, v74, v19 :: v_dual_mul_f32 v104, v73, v20
	;; [unrolled: 1-line block ×7, first 2 shown]
	s_mov_b32 s52, 0
	s_or_b32 s17, s69, s17
	s_or_b32 s18, s69, s18
	;; [unrolled: 1-line block ×8, first 2 shown]
	s_or_b32 s26, s69, vcc_lo
	s_or_b32 s27, s69, s27
	s_or_b32 s28, s69, s28
	;; [unrolled: 1-line block ×4, first 2 shown]
	s_mov_b32 s42, s52
	s_mov_b32 s46, s52
	;; [unrolled: 1-line block ×5, first 2 shown]
	s_branch .LBB123_55
.LBB123_54:                             ;   in Loop: Header=BB123_55 Depth=2
	s_or_b32 exec_lo, exec_lo, s31
	v_cndmask_b32_e64 v25, v144, v27, s14
	v_cndmask_b32_e64 v26, v143, v26, s14
	s_add_i32 s74, s74, -1
	s_add_i32 s75, s75, 8
	s_add_i32 s48, s48, s50
	v_fma_f32 v25, v25, v115, v31
	v_mul_f32_e32 v26, v26, v115
	s_add_i32 s46, s46, s44
	s_add_i32 s42, s42, s40
	;; [unrolled: 1-line block ×3, first 2 shown]
	v_cndmask_b32_e64 v25, v25, v31, s13
	v_cndmask_b32_e64 v26, v26, v115, s13
	s_cmp_eq_u32 s74, 0
	s_waitcnt lgkmcnt(0)
	s_delay_alu instid0(VALU_DEP_1) | instskip(NEXT) | instid1(VALU_DEP_1)
	v_fmac_f32_e32 v25, v24, v26
	v_fmac_f32_e32 v28, v25, v117
	s_delay_alu instid0(VALU_DEP_1) | instskip(NEXT) | instid1(VALU_DEP_1)
	v_fmac_f32_e32 v29, v28, v119
	v_fmac_f32_e32 v30, v29, v121
	v_fma_mix_f32 v93, v25, v20, v93 op_sel_hi:[0,1,0]
	s_delay_alu instid0(VALU_DEP_2) | instskip(SKIP_1) | instid1(VALU_DEP_2)
	v_fmac_f32_e32 v116, v30, v123
	v_fma_mix_f32 v92, v30, v21, v92 op_sel:[0,1,0] op_sel_hi:[0,1,0]
	v_fmac_f32_e32 v118, v116, v124
	v_fma_mix_f32 v90, v116, v22, v90 op_sel_hi:[0,1,0]
	s_delay_alu instid0(VALU_DEP_2) | instskip(SKIP_1) | instid1(VALU_DEP_2)
	v_fmac_f32_e32 v120, v118, v126
	v_fma_mix_f32 v91, v29, v21, v91 op_sel_hi:[0,1,0]
	v_fmac_f32_e32 v122, v120, v129
	v_fma_mix_f32 v86, v120, v23, v86 op_sel_hi:[0,1,0]
	s_delay_alu instid0(VALU_DEP_2) | instskip(SKIP_1) | instid1(VALU_DEP_2)
	v_fmac_f32_e32 v125, v122, v130
	v_fma_mix_f32 v94, v28, v20, v94 op_sel:[0,1,0] op_sel_hi:[0,1,0]
	v_fmac_f32_e32 v127, v125, v131
	v_fma_mix_f32 v88, v118, v22, v88 op_sel:[0,1,0] op_sel_hi:[0,1,0]
	v_fma_mix_f32 v84, v125, v16, v84 op_sel_hi:[0,1,0]
	s_delay_alu instid0(VALU_DEP_3) | instskip(SKIP_1) | instid1(VALU_DEP_2)
	v_fmac_f32_e32 v128, v127, v132
	v_fma_mix_f32 v83, v127, v16, v83 op_sel:[0,1,0] op_sel_hi:[0,1,0]
	v_fmac_f32_e32 v133, v128, v139
	v_fma_mix_f32 v82, v128, v17, v82 op_sel_hi:[0,1,0]
	s_delay_alu instid0(VALU_DEP_2) | instskip(NEXT) | instid1(VALU_DEP_1)
	v_fmac_f32_e32 v134, v133, v136
	v_fmac_f32_e32 v135, v134, v138
	v_fma_mix_f32 v85, v122, v23, v85 op_sel:[0,1,0] op_sel_hi:[0,1,0]
	v_fma_mix_f32 v80, v134, v18, v80 op_sel_hi:[0,1,0]
	s_delay_alu instid0(VALU_DEP_3) | instskip(SKIP_1) | instid1(VALU_DEP_2)
	v_fmac_f32_e32 v137, v135, v141
	v_fma_mix_f32 v79, v135, v18, v79 op_sel:[0,1,0] op_sel_hi:[0,1,0]
	v_fmac_f32_e32 v140, v137, v142
	v_fma_mix_f32 v81, v133, v17, v81 op_sel:[0,1,0] op_sel_hi:[0,1,0]
	v_fma_mix_f32 v78, v137, v19, v78 op_sel_hi:[0,1,0]
	s_delay_alu instid0(VALU_DEP_3)
	v_fma_mix_f32 v89, v140, v19, v89 op_sel:[0,1,0] op_sel_hi:[0,1,0]
	s_cbranch_scc1 .LBB123_11
.LBB123_55:                             ;   Parent Loop BB123_12 Depth=1
                                        ; =>  This Inner Loop Header: Depth=2
	s_lshl_b64 s[76:77], s[52:53], 2
	s_mov_b32 s43, s53
	s_add_u32 s76, s61, s76
	s_addc_u32 s77, s51, s77
	s_lshl_b64 s[78:79], s[42:43], 1
	s_mov_b32 s47, s53
	v_add_co_u32 v20, vcc_lo, v96, s78
	v_add_co_ci_u32_e32 v21, vcc_lo, s79, v97, vcc_lo
	s_lshl_b64 s[78:79], s[46:47], 1
	s_clause 0x1
	global_load_b128 v[16:19], v[20:21], off
	global_load_b128 v[20:23], v[20:21], off offset:512
	v_add_co_u32 v24, vcc_lo, v98, s78
	v_add_co_ci_u32_e32 v25, vcc_lo, s79, v99, vcc_lo
	global_load_b32 v115, v34, s[76:77]
	s_and_not1_b32 vcc_lo, exec_lo, s39
	s_waitcnt vmcnt(2)
	ds_store_b128 v35, v[16:19]
	s_waitcnt vmcnt(1)
	ds_store_b128 v36, v[20:23] offset:512
	; wave barrier
	s_clause 0x1
	global_load_b128 v[16:19], v[24:25], off
	global_load_b128 v[20:23], v[24:25], off offset:512
	ds_load_b128 v[28:31], v37
	ds_load_b128 v[24:27], v37 offset:16
	s_waitcnt vmcnt(1)
	ds_store_b128 v35, v[16:19] offset:4224
	s_waitcnt vmcnt(0)
	ds_store_b128 v38, v[20:23] offset:512
	; wave barrier
	ds_load_b128 v[20:23], v37 offset:4224
	ds_load_b128 v[16:19], v39 offset:16
	s_cbranch_vccnz .LBB123_57
; %bb.56:                               ;   in Loop: Header=BB123_55 Depth=2
	v_mov_b32_e32 v32, s75
	ds_load_b64 v[32:33], v32
	s_cbranch_execz .LBB123_58
	s_branch .LBB123_61
.LBB123_57:                             ;   in Loop: Header=BB123_55 Depth=2
                                        ; implicit-def: $vgpr32
.LBB123_58:                             ;   in Loop: Header=BB123_55 Depth=2
	s_waitcnt lgkmcnt(0)
	v_mov_b32_e32 v33, 0
	s_and_not1_b32 vcc_lo, exec_lo, s56
	s_cbranch_vccnz .LBB123_60
; %bb.59:                               ;   in Loop: Header=BB123_55 Depth=2
	s_mov_b32 s49, s53
	s_delay_alu instid0(SALU_CYCLE_1) | instskip(NEXT) | instid1(SALU_CYCLE_1)
	s_lshl_b64 s[76:77], s[48:49], 2
	s_add_u32 s76, s64, s76
	s_addc_u32 s77, s65, s77
	global_load_b32 v33, v34, s[76:77]
.LBB123_60:                             ;   in Loop: Header=BB123_55 Depth=2
	v_mov_b32_e32 v32, 1.0
.LBB123_61:                             ;   in Loop: Header=BB123_55 Depth=2
	s_waitcnt lgkmcnt(5)
	v_lshrrev_b32_e32 v116, 16, v28
	v_cvt_f32_f16_e32 v28, v28
	v_mul_f32_e32 v137, 0x3fb8aa3b, v115
	v_lshrrev_b32_e32 v115, 16, v29
	v_lshrrev_b32_e32 v117, 16, v30
	v_cvt_f32_f16_e32 v120, v30
	v_mul_f32_e32 v28, v114, v28
	s_waitcnt lgkmcnt(4)
	v_lshrrev_b32_e32 v30, 16, v24
	v_cvt_f32_f16_e32 v118, v115
	v_lshrrev_b32_e32 v115, 16, v31
	v_cvt_f32_f16_e32 v125, v31
	v_cvt_f32_f16_e32 v122, v117
	;; [unrolled: 1-line block ×3, first 2 shown]
	v_lshrrev_b32_e32 v30, 16, v25
	v_cvt_f32_f16_e32 v126, v115
	v_mul_f32_e32 v115, v137, v64
	v_mul_f32_e32 v117, v137, v65
	v_cvt_f32_f16_e32 v116, v116
	v_cvt_f32_f16_e64 v133, v30
	v_lshrrev_b32_e32 v30, 16, v26
	v_cmp_gt_f32_e64 s31, 0xc2fc0000, v115
	v_cvt_f32_f16_e32 v29, v29
	v_mul_f32_e32 v124, v137, v68
	v_cvt_f32_f16_e32 v25, v25
	v_cvt_f32_f16_e64 v135, v30
	v_cndmask_b32_e64 v115, 0, 0x42800000, s31
	v_lshrrev_b32_e32 v30, 16, v27
	s_delay_alu instid0(VALU_DEP_4) | instskip(SKIP_1) | instid1(VALU_DEP_4)
	v_dual_mul_f32 v128, v137, v70 :: v_dual_mul_f32 v25, v104, v25
	v_cvt_f32_f16_e32 v24, v24
	v_fmac_f32_e32 v115, v137, v64
	s_delay_alu instid0(VALU_DEP_4) | instskip(NEXT) | instid1(VALU_DEP_4)
	v_cvt_f32_f16_e64 v140, v30
	v_cmp_gt_f32_e64 s33, 0xc2fc0000, v128
	v_cvt_f32_f16_e32 v27, v27
	v_mul_f32_e32 v122, v109, v122
	v_exp_f32_e32 v119, v115
	v_mul_f32_e32 v31, v137, v63
	v_mul_f32_e32 v115, v137, v66
	v_cndmask_b32_e64 v128, 0, 0x42800000, s33
	v_mul_f32_e32 v131, v137, v73
	v_mul_f32_e32 v138, v137, v75
	v_cmp_gt_f32_e32 vcc_lo, 0xc2fc0000, v31
	v_mul_f32_e32 v139, v137, v76
	v_fmac_f32_e32 v128, v137, v70
	v_cvt_f32_f16_e32 v26, v26
	v_mul_f32_e32 v127, v105, v127
	v_cndmask_b32_e64 v31, 0, 0x42800000, vcc_lo
	v_cndmask_b32_e64 v30, 1.0, 0x1f800000, vcc_lo
	v_cmp_gt_f32_e32 vcc_lo, 0xc2fc0000, v117
	v_mul_f32_e32 v26, v102, v26
	v_exp_f32_e32 v128, v128
	v_fmac_f32_e32 v31, v137, v63
	v_cndmask_b32_e64 v127, 0, v127, s24
	v_cndmask_b32_e64 v117, 0, 0x42800000, vcc_lo
	v_dual_mul_f32 v29, v112, v29 :: v_dual_mul_f32 v24, v106, v24
	s_delay_alu instid0(VALU_DEP_4) | instskip(SKIP_1) | instid1(VALU_DEP_3)
	v_exp_f32_e32 v31, v31
	v_mul_f32_e32 v27, v100, v27
	v_fmac_f32_e32 v117, v137, v65
	s_delay_alu instid0(VALU_DEP_3)
	v_cndmask_b32_e64 v29, 0, v29, s17
	s_waitcnt_depctr 0xfff
	v_mul_f32_e32 v30, v31, v30
	v_cndmask_b32_e64 v31, 0, v28, s15
	v_cndmask_b32_e64 v28, 1.0, 0x1f800000, s31
	v_cmp_gt_f32_e64 s31, 0xc2fc0000, v115
	s_delay_alu instid0(VALU_DEP_4) | instskip(SKIP_1) | instid1(VALU_DEP_4)
	v_cndmask_b32_e64 v115, 1.0, v30, s15
	v_mul_f32_e32 v30, v113, v116
	v_mul_f32_e32 v116, v119, v28
	v_exp_f32_e32 v119, v117
	v_mul_f32_e32 v117, v137, v67
	v_cndmask_b32_e64 v121, 0, 0x42800000, s31
	v_cndmask_b32_e64 v28, 0, v30, s16
	v_cndmask_b32_e64 v30, 1.0, 0x1f800000, vcc_lo
	s_delay_alu instid0(VALU_DEP_4) | instskip(SKIP_3) | instid1(TRANS32_DEP_1)
	v_cmp_gt_f32_e32 vcc_lo, 0xc2fc0000, v117
	v_cndmask_b32_e64 v117, 1.0, v116, s16
	v_cndmask_b32_e64 v116, 1.0, 0x1f800000, s31
	v_cmp_gt_f32_e64 s31, 0xc2fc0000, v124
	v_mul_f32_e32 v30, v119, v30
	v_cndmask_b32_e64 v123, 0, 0x42800000, vcc_lo
	s_delay_alu instid0(VALU_DEP_3) | instskip(SKIP_1) | instid1(VALU_DEP_3)
	v_cndmask_b32_e64 v129, 1.0, 0x1f800000, s31
	v_fmac_f32_e32 v121, v137, v66
	v_fmac_f32_e32 v123, v137, v67
	v_cndmask_b32_e64 v119, 1.0, v30, s17
	v_mul_f32_e32 v30, v111, v118
	v_mul_f32_e32 v124, v137, v69
	v_exp_f32_e32 v121, v121
	v_exp_f32_e32 v118, v123
	v_cndmask_b32_e64 v123, 0, 0x42800000, s31
	v_cndmask_b32_e64 v30, 0, v30, s18
	s_delay_alu instid0(VALU_DEP_2) | instskip(SKIP_2) | instid1(VALU_DEP_1)
	v_fmac_f32_e32 v123, v137, v68
	s_waitcnt_depctr 0xfff
	v_mul_f32_e32 v116, v121, v116
	v_cndmask_b32_e64 v121, 1.0, v116, s18
	v_cndmask_b32_e64 v116, 1.0, 0x1f800000, vcc_lo
	v_cmp_gt_f32_e32 vcc_lo, 0xc2fc0000, v124
	s_delay_alu instid0(VALU_DEP_2) | instskip(SKIP_3) | instid1(VALU_DEP_3)
	v_mul_f32_e32 v118, v118, v116
	v_cndmask_b32_e64 v124, 0, 0x42800000, vcc_lo
	v_mul_f32_e32 v116, v110, v120
	v_exp_f32_e32 v120, v123
	v_cndmask_b32_e64 v123, 1.0, v118, s19
	s_delay_alu instid0(VALU_DEP_3) | instskip(SKIP_3) | instid1(VALU_DEP_4)
	v_fmac_f32_e32 v124, v137, v69
	v_cndmask_b32_e64 v118, 0, v122, s20
	v_cndmask_b32_e64 v122, 1.0, 0x1f800000, vcc_lo
	v_cndmask_b32_e64 v116, 0, v116, s19
	v_exp_f32_e32 v130, v124
	s_delay_alu instid0(TRANS32_DEP_2) | instskip(NEXT) | instid1(VALU_DEP_1)
	v_dual_mul_f32 v120, v120, v129 :: v_dual_mul_f32 v129, v137, v71
	v_cndmask_b32_e64 v124, 1.0, v120, s20
	v_mul_f32_e32 v120, v108, v125
	v_cndmask_b32_e64 v125, 1.0, 0x1f800000, s33
	s_delay_alu instid0(VALU_DEP_4)
	v_cmp_gt_f32_e32 vcc_lo, 0xc2fc0000, v129
	s_waitcnt_depctr 0xfff
	v_mul_f32_e32 v122, v130, v122
	v_mul_f32_e32 v129, v107, v126
	v_cmp_gt_f32_e64 s33, 0xc2fc0000, v131
	v_mul_f32_e32 v125, v128, v125
	v_cndmask_b32_e64 v130, 0, 0x42800000, vcc_lo
	v_mul_f32_e32 v128, v137, v72
	v_mul_f32_e32 v131, v137, v74
	v_cndmask_b32_e64 v126, 1.0, v122, s21
	v_cndmask_b32_e64 v122, 0, v129, s22
	v_fmac_f32_e32 v130, v137, v71
	v_cmp_gt_f32_e64 s31, 0xc2fc0000, v128
	v_cndmask_b32_e64 v129, 1.0, v125, s22
	v_cndmask_b32_e64 v132, 1.0, 0x1f800000, vcc_lo
	v_cmp_gt_f32_e32 vcc_lo, 0xc2fc0000, v131
	v_exp_f32_e32 v125, v130
	v_cndmask_b32_e64 v128, 0, 0x42800000, s31
	v_cndmask_b32_e64 v130, 0, 0x42800000, s33
	v_cndmask_b32_e64 v134, 1.0, 0x1f800000, s31
	v_cndmask_b32_e64 v131, 0, 0x42800000, vcc_lo
	v_cmp_gt_f32_e64 s31, 0xc2fc0000, v139
	v_fmac_f32_e32 v128, v137, v72
	v_fmac_f32_e32 v130, v137, v73
	v_cndmask_b32_e64 v120, 0, v120, s21
	v_fmac_f32_e32 v131, v137, v74
	v_mul_f32_e32 v132, v125, v132
	v_exp_f32_e32 v128, v128
	v_cndmask_b32_e64 v125, 0, v24, s23
	v_exp_f32_e32 v24, v130
	v_exp_f32_e32 v136, v131
	v_cndmask_b32_e64 v130, 1.0, v132, s23
	v_cndmask_b32_e64 v132, 1.0, 0x1f800000, s33
	s_delay_alu instid0(TRANS32_DEP_3)
	v_mul_f32_e32 v128, v128, v134
	v_cndmask_b32_e64 v134, 1.0, 0x1f800000, vcc_lo
	s_waitcnt_depctr 0xfff
	v_mul_f32_e32 v24, v24, v132
	v_cmp_gt_f32_e32 vcc_lo, 0xc2fc0000, v138
	v_fma_f32 v138, v117, v31, v28
	v_cndmask_b32_e64 v131, 1.0, v128, s24
	v_cndmask_b32_e64 v128, 0, v25, s25
	v_cndmask_b32_e64 v132, 1.0, v24, s25
	v_dual_mul_f32 v24, v136, v134 :: v_dual_mul_f32 v25, v103, v133
	v_cndmask_b32_e64 v134, 0, 0x42800000, vcc_lo
	v_mul_f32_e32 v136, v117, v115
	s_delay_alu instid0(VALU_DEP_3) | instskip(NEXT) | instid1(VALU_DEP_4)
	v_cndmask_b32_e64 v139, 1.0, v24, s26
	v_cndmask_b32_e64 v133, 0, v25, s26
	s_delay_alu instid0(VALU_DEP_4) | instskip(NEXT) | instid1(VALU_DEP_4)
	v_fmac_f32_e32 v134, v137, v75
	v_mul_f32_e32 v25, v136, v119
	v_fma_f32 v136, v138, v119, v29
	v_cndmask_b32_e64 v24, 1.0, 0x1f800000, vcc_lo
	v_cndmask_b32_e64 v138, 0, 0x42800000, s31
	v_exp_f32_e32 v134, v134
	v_mul_f32_e32 v25, v25, v121
	v_fma_f32 v136, v136, v121, v30
	s_delay_alu instid0(VALU_DEP_3) | instskip(NEXT) | instid1(VALU_DEP_3)
	v_fmac_f32_e32 v138, v137, v76
	v_mul_f32_e32 v25, v25, v123
	s_delay_alu instid0(VALU_DEP_3) | instskip(NEXT) | instid1(VALU_DEP_3)
	v_fma_f32 v136, v136, v123, v116
	v_exp_f32_e32 v138, v138
	s_delay_alu instid0(TRANS32_DEP_2) | instskip(NEXT) | instid1(VALU_DEP_3)
	v_mul_f32_e32 v24, v134, v24
	v_mul_f32_e32 v25, v25, v124
	s_delay_alu instid0(VALU_DEP_3)
	v_fma_f32 v141, v136, v124, v118
	v_cndmask_b32_e64 v134, 0, v26, s27
	v_cndmask_b32_e64 v26, 1.0, 0x1f800000, s31
	v_cndmask_b32_e64 v136, 1.0, v24, s27
	v_mul_f32_e32 v24, v25, v126
	v_fma_f32 v25, v141, v126, v120
	s_delay_alu instid0(TRANS32_DEP_1) | instid1(VALU_DEP_4)
	v_mul_f32_e32 v26, v138, v26
	s_delay_alu instid0(VALU_DEP_3) | instskip(NEXT) | instid1(VALU_DEP_3)
	v_mul_f32_e32 v24, v24, v129
	v_fma_f32 v25, v25, v129, v122
	s_delay_alu instid0(VALU_DEP_2) | instskip(NEXT) | instid1(VALU_DEP_2)
	v_mul_f32_e32 v24, v24, v130
	v_fma_f32 v25, v25, v130, v125
	s_delay_alu instid0(VALU_DEP_2) | instskip(NEXT) | instid1(VALU_DEP_2)
	;; [unrolled: 3-line block ×3, first 2 shown]
	v_dual_mul_f32 v24, v24, v132 :: v_dual_mul_f32 v141, v137, v77
	v_fma_f32 v25, v25, v132, v128
	s_delay_alu instid0(VALU_DEP_2) | instskip(NEXT) | instid1(VALU_DEP_3)
	v_mul_f32_e32 v24, v24, v139
	v_cmp_gt_f32_e32 vcc_lo, 0xc2fc0000, v141
	v_mul_f32_e32 v141, v137, v87
	s_delay_alu instid0(VALU_DEP_4) | instskip(NEXT) | instid1(VALU_DEP_4)
	v_fma_f32 v25, v25, v139, v133
	v_mul_f32_e32 v24, v24, v136
	v_cndmask_b32_e64 v138, 0, 0x42800000, vcc_lo
	s_delay_alu instid0(VALU_DEP_4) | instskip(NEXT) | instid1(VALU_DEP_4)
	v_cmp_gt_f32_e64 s31, 0xc2fc0000, v141
	v_fma_f32 v25, v25, v136, v134
	s_delay_alu instid0(VALU_DEP_3) | instskip(NEXT) | instid1(VALU_DEP_3)
	v_fmac_f32_e32 v138, v137, v77
	v_cndmask_b32_e64 v141, 0, 0x42800000, s31
	s_delay_alu instid0(VALU_DEP_2) | instskip(NEXT) | instid1(VALU_DEP_1)
	v_exp_f32_e32 v142, v138
	v_fmac_f32_e32 v141, v137, v87
	v_cndmask_b32_e64 v138, 1.0, v26, s28
	v_cndmask_b32_e64 v26, 1.0, 0x1f800000, vcc_lo
	v_mul_f32_e32 v135, v101, v135
	v_cndmask_b32_e64 v137, 0, v27, s29
	v_exp_f32_e32 v143, v141
	v_cndmask_b32_e64 v27, 1.0, 0x1f800000, s31
	v_mul_f32_e32 v24, v24, v138
	s_delay_alu instid0(TRANS32_DEP_2) | instskip(SKIP_1) | instid1(VALU_DEP_2)
	v_mul_f32_e32 v26, v142, v26
	v_cndmask_b32_e64 v135, 0, v135, s28
	v_cndmask_b32_e64 v141, 1.0, v26, s29
	v_mul_f32_e32 v26, v95, v140
	s_delay_alu instid0(TRANS32_DEP_1) | instskip(NEXT) | instid1(VALU_DEP_4)
	v_mul_f32_e32 v27, v143, v27
	v_fma_f32 v25, v25, v138, v135
	s_delay_alu instid0(VALU_DEP_4) | instskip(NEXT) | instid1(VALU_DEP_4)
	v_mul_f32_e32 v24, v24, v141
	v_cndmask_b32_e64 v140, 0, v26, s30
	s_delay_alu instid0(VALU_DEP_4) | instskip(NEXT) | instid1(VALU_DEP_4)
	v_cndmask_b32_e64 v142, 1.0, v27, s30
	v_fma_f32 v25, v25, v141, v137
	s_delay_alu instid0(VALU_DEP_2) | instskip(NEXT) | instid1(VALU_DEP_2)
	v_mul_f32_e32 v24, v24, v142
	v_fma_f32 v25, v25, v142, v140
	s_delay_alu instid0(VALU_DEP_2) | instskip(NEXT) | instid1(VALU_DEP_2)
	v_mov_b32_dpp v27, v24 row_shr:1 row_mask:0xf bank_mask:0xf
	v_mov_b32_dpp v26, v25 row_shr:1 row_mask:0xf bank_mask:0xf
	s_and_saveexec_b32 s31, s2
; %bb.62:                               ;   in Loop: Header=BB123_55 Depth=2
	s_delay_alu instid0(VALU_DEP_2) | instskip(NEXT) | instid1(VALU_DEP_1)
	v_mul_f32_e32 v27, v24, v27
	v_dual_fmac_f32 v25, v24, v26 :: v_dual_mov_b32 v24, v27
; %bb.63:                               ;   in Loop: Header=BB123_55 Depth=2
	s_or_b32 exec_lo, exec_lo, s31
	s_delay_alu instid0(VALU_DEP_1) | instskip(NEXT) | instid1(VALU_DEP_2)
	v_mov_b32_dpp v26, v24 row_shr:2 row_mask:0xf bank_mask:0xf
	v_mov_b32_dpp v27, v25 row_shr:2 row_mask:0xf bank_mask:0xf
	s_and_saveexec_b32 s31, s3
; %bb.64:                               ;   in Loop: Header=BB123_55 Depth=2
	s_delay_alu instid0(VALU_DEP_1) | instskip(NEXT) | instid1(VALU_DEP_3)
	v_fmac_f32_e32 v25, v24, v27
	v_mul_f32_e32 v24, v24, v26
; %bb.65:                               ;   in Loop: Header=BB123_55 Depth=2
	s_or_b32 exec_lo, exec_lo, s31
	s_delay_alu instid0(VALU_DEP_1) | instskip(NEXT) | instid1(VALU_DEP_3)
	v_mov_b32_dpp v26, v24 row_shr:4 row_mask:0xf bank_mask:0xf
	v_mov_b32_dpp v27, v25 row_shr:4 row_mask:0xf bank_mask:0xf
	s_and_saveexec_b32 s31, s4
; %bb.66:                               ;   in Loop: Header=BB123_55 Depth=2
	s_delay_alu instid0(VALU_DEP_1) | instskip(NEXT) | instid1(VALU_DEP_3)
	v_fmac_f32_e32 v25, v24, v27
	v_mul_f32_e32 v24, v24, v26
; %bb.67:                               ;   in Loop: Header=BB123_55 Depth=2
	s_or_b32 exec_lo, exec_lo, s31
	s_delay_alu instid0(VALU_DEP_1) | instskip(NEXT) | instid1(VALU_DEP_3)
	v_mov_b32_dpp v26, v24 row_shr:8 row_mask:0xf bank_mask:0xf
	v_mov_b32_dpp v27, v25 row_shr:8 row_mask:0xf bank_mask:0xf
	s_and_saveexec_b32 s31, s5
; %bb.68:                               ;   in Loop: Header=BB123_55 Depth=2
	s_delay_alu instid0(VALU_DEP_1) | instskip(NEXT) | instid1(VALU_DEP_3)
	v_fmac_f32_e32 v25, v24, v27
	v_mul_f32_e32 v24, v24, v26
; %bb.69:                               ;   in Loop: Header=BB123_55 Depth=2
	s_or_b32 exec_lo, exec_lo, s31
	ds_swizzle_b32 v27, v24 offset:swizzle(BROADCAST,32,15)
	ds_swizzle_b32 v26, v25 offset:swizzle(BROADCAST,32,15)
	s_and_saveexec_b32 s31, s6
	s_cbranch_execz .LBB123_71
; %bb.70:                               ;   in Loop: Header=BB123_55 Depth=2
	s_waitcnt lgkmcnt(1)
	v_mul_f32_e32 v27, v24, v27
	s_waitcnt lgkmcnt(0)
	s_delay_alu instid0(VALU_DEP_1)
	v_dual_fmac_f32 v25, v24, v26 :: v_dual_mov_b32 v24, v27
.LBB123_71:                             ;   in Loop: Header=BB123_55 Depth=2
	s_or_b32 exec_lo, exec_lo, s31
	s_and_saveexec_b32 s31, s7
	s_cbranch_execz .LBB123_73
; %bb.72:                               ;   in Loop: Header=BB123_55 Depth=2
	ds_store_b64 v41, v[24:25] offset:8448
.LBB123_73:                             ;   in Loop: Header=BB123_55 Depth=2
	s_or_b32 exec_lo, exec_lo, s31
	s_waitcnt vmcnt(0) lgkmcnt(0)
	s_waitcnt_vscnt null, 0x0
	s_barrier
	buffer_gl0_inv
	s_and_saveexec_b32 s31, s8
	s_cbranch_execz .LBB123_77
; %bb.74:                               ;   in Loop: Header=BB123_55 Depth=2
	ds_load_b64 v[26:27], v42 offset:8448
	s_waitcnt lgkmcnt(0)
	v_mov_b32_dpp v145, v26 row_shr:1 row_mask:0xf bank_mask:0xf
	v_mov_b32_dpp v144, v27 row_shr:1 row_mask:0xf bank_mask:0xf
	v_mov_b32_e32 v143, v26
	s_and_saveexec_b32 s33, s9
; %bb.75:                               ;   in Loop: Header=BB123_55 Depth=2
	s_delay_alu instid0(VALU_DEP_3) | instskip(NEXT) | instid1(VALU_DEP_1)
	v_mul_f32_e32 v143, v26, v145
	v_dual_fmac_f32 v27, v26, v144 :: v_dual_mov_b32 v26, v143
; %bb.76:                               ;   in Loop: Header=BB123_55 Depth=2
	s_or_b32 exec_lo, exec_lo, s33
	v_mov_b32_dpp v143, v143 row_shr:2 row_mask:0xf bank_mask:0xf
	s_delay_alu instid0(VALU_DEP_2) | instskip(NEXT) | instid1(VALU_DEP_2)
	v_mov_b32_dpp v144, v27 row_shr:2 row_mask:0xf bank_mask:0xf
	v_mul_f32_e32 v143, v26, v143
	s_delay_alu instid0(VALU_DEP_2) | instskip(NEXT) | instid1(VALU_DEP_2)
	v_fma_f32 v144, v26, v144, v27
	v_cndmask_b32_e64 v26, v26, v143, s10
	s_delay_alu instid0(VALU_DEP_2)
	v_cndmask_b32_e64 v27, v27, v144, s10
	ds_store_b64 v42, v[26:27] offset:8448
.LBB123_77:                             ;   in Loop: Header=BB123_55 Depth=2
	s_or_b32 exec_lo, exec_lo, s31
	s_waitcnt lgkmcnt(0)
	s_barrier
	buffer_gl0_inv
                                        ; implicit-def: $vgpr27
	s_and_saveexec_b32 s31, s12
	s_cbranch_execz .LBB123_79
; %bb.78:                               ;   in Loop: Header=BB123_55 Depth=2
	ds_load_b64 v[26:27], v41 offset:8440
	s_waitcnt lgkmcnt(0)
	v_mul_f32_e32 v143, v24, v26
	s_delay_alu instid0(VALU_DEP_1)
	v_dual_fmac_f32 v25, v24, v27 :: v_dual_mov_b32 v24, v143
.LBB123_79:                             ;   in Loop: Header=BB123_55 Depth=2
	s_or_b32 exec_lo, exec_lo, s31
	ds_bpermute_b32 v143, v43, v24
	ds_bpermute_b32 v144, v43, v25
	s_and_saveexec_b32 s31, s11
	s_cbranch_execz .LBB123_83
; %bb.80:                               ;   in Loop: Header=BB123_55 Depth=2
	ds_load_b64 v[24:25], v34 offset:8472
	s_and_saveexec_b32 s33, s13
	s_cbranch_execz .LBB123_82
; %bb.81:                               ;   in Loop: Header=BB123_55 Depth=2
	ds_store_b64 v34, v[32:33] offset:8472
.LBB123_82:                             ;   in Loop: Header=BB123_55 Depth=2
	s_or_b32 exec_lo, exec_lo, s33
	s_waitcnt lgkmcnt(0)
	v_fmac_f32_e32 v25, v33, v24
	s_delay_alu instid0(VALU_DEP_1)
	v_dual_mul_f32 v32, v32, v24 :: v_dual_mov_b32 v33, v25
.LBB123_83:                             ;   in Loop: Header=BB123_55 Depth=2
	s_or_b32 exec_lo, exec_lo, s31
	s_waitcnt lgkmcnt(0)
	s_barrier
	buffer_gl0_inv
	ds_load_b32 v24, v34 offset:8476
	s_and_saveexec_b32 s31, s13
	s_cbranch_execz .LBB123_54
; %bb.84:                               ;   in Loop: Header=BB123_55 Depth=2
	v_mov_b32_e32 v25, s75
	s_and_not1_b32 vcc_lo, exec_lo, s73
	ds_store_b64 v25, v[32:33]
	s_cbranch_vccnz .LBB123_54
; %bb.85:                               ;   in Loop: Header=BB123_55 Depth=2
	s_mov_b32 s49, s53
	s_delay_alu instid0(SALU_CYCLE_1) | instskip(NEXT) | instid1(SALU_CYCLE_1)
	s_lshl_b64 s[76:77], s[48:49], 2
	s_add_u32 s76, s64, s76
	s_addc_u32 s77, s65, s77
	global_store_b32 v34, v33, s[76:77]
	s_branch .LBB123_54
.LBB123_86:
	s_nop 0
	s_sendmsg sendmsg(MSG_DEALLOC_VGPRS)
	s_endpgm
	.section	.rodata,"a",@progbits
	.p2align	6, 0x0
	.amdhsa_kernel _Z25selective_scan_fwd_kernelI32Selective_Scan_fwd_kernel_traitsILi128ELi16ELi1ELb1ELb1ELb1ELb0ELb0EN3c104HalfEffEEv13SSMParamsBase
		.amdhsa_group_segment_fixed_size 0
		.amdhsa_private_segment_fixed_size 0
		.amdhsa_kernarg_size 248
		.amdhsa_user_sgpr_count 14
		.amdhsa_user_sgpr_dispatch_ptr 0
		.amdhsa_user_sgpr_queue_ptr 0
		.amdhsa_user_sgpr_kernarg_segment_ptr 1
		.amdhsa_user_sgpr_dispatch_id 0
		.amdhsa_user_sgpr_private_segment_size 0
		.amdhsa_wavefront_size32 1
		.amdhsa_uses_dynamic_stack 0
		.amdhsa_enable_private_segment 0
		.amdhsa_system_sgpr_workgroup_id_x 1
		.amdhsa_system_sgpr_workgroup_id_y 1
		.amdhsa_system_sgpr_workgroup_id_z 0
		.amdhsa_system_sgpr_workgroup_info 0
		.amdhsa_system_vgpr_workitem_id 0
		.amdhsa_next_free_vgpr 146
		.amdhsa_next_free_sgpr 80
		.amdhsa_reserve_vcc 1
		.amdhsa_float_round_mode_32 0
		.amdhsa_float_round_mode_16_64 0
		.amdhsa_float_denorm_mode_32 3
		.amdhsa_float_denorm_mode_16_64 3
		.amdhsa_dx10_clamp 1
		.amdhsa_ieee_mode 1
		.amdhsa_fp16_overflow 0
		.amdhsa_workgroup_processor_mode 1
		.amdhsa_memory_ordered 1
		.amdhsa_forward_progress 0
		.amdhsa_shared_vgpr_count 0
		.amdhsa_exception_fp_ieee_invalid_op 0
		.amdhsa_exception_fp_denorm_src 0
		.amdhsa_exception_fp_ieee_div_zero 0
		.amdhsa_exception_fp_ieee_overflow 0
		.amdhsa_exception_fp_ieee_underflow 0
		.amdhsa_exception_fp_ieee_inexact 0
		.amdhsa_exception_int_div_zero 0
	.end_amdhsa_kernel
	.section	.text._Z25selective_scan_fwd_kernelI32Selective_Scan_fwd_kernel_traitsILi128ELi16ELi1ELb1ELb1ELb1ELb0ELb0EN3c104HalfEffEEv13SSMParamsBase,"axG",@progbits,_Z25selective_scan_fwd_kernelI32Selective_Scan_fwd_kernel_traitsILi128ELi16ELi1ELb1ELb1ELb1ELb0ELb0EN3c104HalfEffEEv13SSMParamsBase,comdat
.Lfunc_end123:
	.size	_Z25selective_scan_fwd_kernelI32Selective_Scan_fwd_kernel_traitsILi128ELi16ELi1ELb1ELb1ELb1ELb0ELb0EN3c104HalfEffEEv13SSMParamsBase, .Lfunc_end123-_Z25selective_scan_fwd_kernelI32Selective_Scan_fwd_kernel_traitsILi128ELi16ELi1ELb1ELb1ELb1ELb0ELb0EN3c104HalfEffEEv13SSMParamsBase
                                        ; -- End function
	.section	.AMDGPU.csdata,"",@progbits
; Kernel info:
; codeLenInByte = 17780
; NumSgprs: 82
; NumVgprs: 146
; ScratchSize: 0
; MemoryBound: 1
; FloatMode: 240
; IeeeMode: 1
; LDSByteSize: 0 bytes/workgroup (compile time only)
; SGPRBlocks: 10
; VGPRBlocks: 18
; NumSGPRsForWavesPerEU: 82
; NumVGPRsForWavesPerEU: 146
; Occupancy: 9
; WaveLimiterHint : 1
; COMPUTE_PGM_RSRC2:SCRATCH_EN: 0
; COMPUTE_PGM_RSRC2:USER_SGPR: 14
; COMPUTE_PGM_RSRC2:TRAP_HANDLER: 0
; COMPUTE_PGM_RSRC2:TGID_X_EN: 1
; COMPUTE_PGM_RSRC2:TGID_Y_EN: 1
; COMPUTE_PGM_RSRC2:TGID_Z_EN: 0
; COMPUTE_PGM_RSRC2:TIDIG_COMP_CNT: 0
	.section	.text._Z25selective_scan_fwd_kernelI32Selective_Scan_fwd_kernel_traitsILi128ELi16ELi1ELb0ELb1ELb1ELb1ELb1EN3c104HalfEffEEv13SSMParamsBase,"axG",@progbits,_Z25selective_scan_fwd_kernelI32Selective_Scan_fwd_kernel_traitsILi128ELi16ELi1ELb0ELb1ELb1ELb1ELb1EN3c104HalfEffEEv13SSMParamsBase,comdat
	.protected	_Z25selective_scan_fwd_kernelI32Selective_Scan_fwd_kernel_traitsILi128ELi16ELi1ELb0ELb1ELb1ELb1ELb1EN3c104HalfEffEEv13SSMParamsBase ; -- Begin function _Z25selective_scan_fwd_kernelI32Selective_Scan_fwd_kernel_traitsILi128ELi16ELi1ELb0ELb1ELb1ELb1ELb1EN3c104HalfEffEEv13SSMParamsBase
	.globl	_Z25selective_scan_fwd_kernelI32Selective_Scan_fwd_kernel_traitsILi128ELi16ELi1ELb0ELb1ELb1ELb1ELb1EN3c104HalfEffEEv13SSMParamsBase
	.p2align	8
	.type	_Z25selective_scan_fwd_kernelI32Selective_Scan_fwd_kernel_traitsILi128ELi16ELi1ELb0ELb1ELb1ELb1ELb1EN3c104HalfEffEEv13SSMParamsBase,@function
_Z25selective_scan_fwd_kernelI32Selective_Scan_fwd_kernel_traitsILi128ELi16ELi1ELb0ELb1ELb1ELb1ELb1EN3c104HalfEffEEv13SSMParamsBase: ; @_Z25selective_scan_fwd_kernelI32Selective_Scan_fwd_kernel_traitsILi128ELi16ELi1ELb0ELb1ELb1ELb1ELb1EN3c104HalfEffEEv13SSMParamsBase
; %bb.0:
	s_clause 0x2
	s_load_b32 s11, s[0:1], 0x18
	s_load_b256 s[36:43], s[0:1], 0xc8
	s_load_b128 s[4:7], s[0:1], 0xe8
	s_mov_b32 s34, s15
	s_ashr_i32 s15, s14, 31
	s_mov_b32 s66, 0
	s_lshl_b64 s[8:9], s[14:15], 2
	s_waitcnt lgkmcnt(0)
	s_abs_i32 s10, s11
	s_add_u32 s2, s42, s8
	v_cvt_f32_u32_e32 v1, s10
	s_addc_u32 s3, s43, s9
	s_cmp_eq_u64 s[6:7], 0
	s_delay_alu instid0(VALU_DEP_1) | instskip(SKIP_2) | instid1(VALU_DEP_1)
	v_rcp_iflag_f32_e32 v1, v1
	s_waitcnt_depctr 0xfff
	v_mul_f32_e32 v1, 0x4f7ffffe, v1
	v_cvt_u32_f32_e32 v1, v1
	s_delay_alu instid0(VALU_DEP_1)
	v_readfirstlane_b32 s12, v1
	s_cbranch_scc1 .LBB124_2
; %bb.1:
	v_mov_b32_e32 v1, 0
	s_add_u32 s6, s6, s14
	s_addc_u32 s7, s7, s15
	global_load_u8 v1, v1, s[6:7]
	s_waitcnt vmcnt(0)
	v_and_b32_e32 v1, 1, v1
	s_delay_alu instid0(VALU_DEP_1)
	v_cmp_eq_u32_e64 s66, 1, v1
.LBB124_2:
	s_load_b64 s[6:7], s[0:1], 0x20
	s_cmp_eq_u64 s[4:5], 0
	s_cbranch_scc1 .LBB124_4
; %bb.3:
	s_add_u32 s4, s4, s8
	s_addc_u32 s5, s5, s9
	s_load_b32 s14, s[4:5], 0x0
	s_waitcnt lgkmcnt(0)
	s_ashr_i32 s15, s14, 31
.LBB124_4:
	s_waitcnt lgkmcnt(0)
	s_cmp_eq_u64 s[6:7], s[14:15]
	s_cbranch_scc1 .LBB124_302
; %bb.5:
	s_load_b512 s[16:31], s[0:1], 0x88
	s_load_b64 s[42:43], s[2:3], 0x0
	s_mov_b32 s67, 0
	s_mov_b32 s68, 0
	s_waitcnt lgkmcnt(0)
	s_cmp_eq_u64 s[22:23], 0
	s_cbranch_scc1 .LBB124_7
; %bb.6:
	s_ashr_i32 s35, s34, 31
	s_delay_alu instid0(SALU_CYCLE_1) | instskip(NEXT) | instid1(SALU_CYCLE_1)
	s_lshl_b64 s[2:3], s[34:35], 2
	s_add_u32 s2, s22, s2
	s_addc_u32 s3, s23, s3
	s_load_b32 s68, s[2:3], 0x0
.LBB124_7:
	s_cmp_eq_u64 s[28:29], 0
	s_cbranch_scc1 .LBB124_9
; %bb.8:
	s_ashr_i32 s35, s34, 31
	s_delay_alu instid0(SALU_CYCLE_1) | instskip(NEXT) | instid1(SALU_CYCLE_1)
	s_lshl_b64 s[2:3], s[34:35], 2
	s_add_u32 s2, s28, s2
	s_addc_u32 s3, s29, s3
	s_load_b32 s67, s[2:3], 0x0
.LBB124_9:
	s_sub_i32 s69, s43, s42
	s_delay_alu instid0(SALU_CYCLE_1)
	s_cmp_lt_i32 s69, 1
	s_cbranch_scc1 .LBB124_302
; %bb.10:
	s_sub_i32 s2, 0, s10
	s_load_b256 s[48:55], s[0:1], 0x4c
	s_mul_i32 s2, s2, s12
	s_abs_i32 s3, s34
	s_mul_hi_u32 s2, s12, s2
	s_ashr_i32 s5, s11, 31
	s_add_i32 s12, s12, s2
	s_ashr_i32 s2, s34, 31
	s_mul_hi_u32 s4, s3, s12
	s_xor_b32 s5, s2, s5
	s_mul_i32 s6, s4, s10
	s_load_b256 s[56:63], s[0:1], 0x2c
	s_sub_i32 s2, s3, s6
	s_add_i32 s3, s4, 1
	s_sub_i32 s6, s2, s10
	s_cmp_ge_u32 s2, s10
	s_mov_b32 s65, 0
	s_cselect_b32 s3, s3, s4
	s_cselect_b32 s2, s6, s2
	s_add_i32 s4, s3, 1
	s_cmp_ge_u32 s2, s10
	s_waitcnt lgkmcnt(0)
	s_mul_i32 s64, s42, s50
	s_cselect_b32 s4, s4, s3
	s_lshl_b64 s[2:3], s[64:65], 1
	s_xor_b32 s4, s4, s5
	s_mul_i32 s64, s51, s34
	s_sub_i32 s6, s4, s5
	s_add_u32 s4, s24, s2
	s_addc_u32 s5, s25, s3
	s_lshl_b64 s[2:3], s[64:65], 1
	s_mul_i32 s64, s42, s52
	s_add_u32 s63, s4, s2
	s_addc_u32 s70, s5, s3
	s_lshl_b64 s[2:3], s[64:65], 1
	s_mul_i32 s64, s53, s34
	;; [unrolled: 4-line block ×3, first 2 shown]
	s_add_u32 s71, s4, s2
	s_addc_u32 s56, s5, s3
	s_load_b64 s[4:5], s[0:1], 0x7c
	v_dual_mov_b32 v21, 0 :: v_dual_lshlrev_b32 v18, 4, v0
	s_lshl_b64 s[2:3], s[64:65], 2
	s_mul_i32 s64, s42, s58
	s_add_u32 s72, s16, s2
	v_mbcnt_lo_u32_b32 v19, -1, 0
	v_and_b32_e32 v1, 0x600, v18
	s_addc_u32 s73, s17, s3
	s_lshl_b64 s[2:3], s[64:65], 1
	s_mul_i32 s64, s6, s61
	s_add_u32 s7, s18, s2
	s_addc_u32 s8, s19, s3
	s_clause 0x3
	s_load_b128 s[16:19], s[0:1], 0x6c
	s_load_b32 s75, s[0:1], 0x84
	s_load_b32 s78, s[0:1], 0xc
	;; [unrolled: 1-line block ×3, first 2 shown]
	v_or_b32_e32 v20, v19, v1
	s_lshl_b64 s[2:3], s[64:65], 1
	s_mul_i32 s64, s42, s62
	s_add_u32 s61, s7, s2
	s_addc_u32 s62, s8, s3
	s_lshl_b64 s[2:3], s[64:65], 1
	s_mul_i32 s64, s6, s49
	v_or_b32_e32 v24, 0x60, v20
	v_and_b32_e32 v14, 0x60, v0
	s_add_u32 s7, s20, s2
	s_addc_u32 s6, s21, s3
	s_lshl_b64 s[2:3], s[64:65], 1
	s_waitcnt lgkmcnt(0)
	s_mul_i32 s64, s14, s4
	s_add_u32 s49, s7, s2
	s_addc_u32 s74, s6, s3
	s_lshl_b64 s[2:3], s[64:65], 2
	v_or_b32_e32 v26, 0xa0, v20
	v_or_b32_e32 v28, 0xe0, v20
	;; [unrolled: 1-line block ×5, first 2 shown]
	v_lshrrev_b32_e32 v2, 5, v24
	v_or_b32_e32 v36, 0x1e0, v20
	v_or_b32_e32 v16, v19, v14
	s_mul_i32 s64, s5, s34
	s_add_u32 s4, s36, s2
	s_addc_u32 s5, s37, s3
	s_lshl_b64 s[2:3], s[64:65], 2
	v_or_b32_e32 v23, 64, v20
	s_add_u32 s76, s4, s2
	v_or_b32_e32 v25, 0x80, v20
	v_or_b32_e32 v27, 0xc0, v20
	;; [unrolled: 1-line block ×6, first 2 shown]
	v_and_b32_e32 v2, 50, v2
	v_lshrrev_b32_e32 v5, 5, v26
	v_lshrrev_b32_e32 v8, 5, v28
	;; [unrolled: 1-line block ×6, first 2 shown]
	v_lshrrev_b16 v50, 1, v16
	s_addc_u32 s77, s5, s3
	s_add_i32 s2, s69, 0x7ff
	v_lshrrev_b32_e32 v3, 5, v1
	s_lshr_b32 s79, s2, 11
	s_bitcmp1_b32 s0, 0
	v_lshrrev_b32_e32 v4, 5, v23
	v_lshrrev_b32_e32 v6, 5, v25
	v_add_lshl_u32 v2, v2, v20, 1
	v_and_b32_e32 v5, 52, v5
	v_lshrrev_b32_e32 v7, 5, v27
	v_and_b32_e32 v8, 54, v8
	v_lshrrev_b32_e32 v10, 5, v29
	;; [unrolled: 2-line block ×5, first 2 shown]
	v_and_b32_e32 v51, 62, v49
	v_lshlrev_b32_e32 v16, 4, v16
	v_and_b32_e32 v52, 62, v50
	s_cselect_b32 s80, -1, 0
	s_cmp_gt_i32 s78, 0
	v_add_lshl_u32 v3, v3, v20, 1
	s_cselect_b32 s81, -1, 0
	s_add_i32 s0, 0, 0x1080
	v_add_lshl_u32 v4, v4, v20, 1
	v_add_lshl_u32 v6, v6, v20, 1
	v_add_nc_u32_e32 v39, 0, v2
	v_add_lshl_u32 v5, v5, v20, 1
	v_add_lshl_u32 v7, v7, v20, 1
	;; [unrolled: 1-line block ×12, first 2 shown]
	v_add_nc_u32_e32 v55, s0, v2
	v_and_b32_e32 v2, 15, v19
	s_and_b32 s1, s69, 0x7ff
	v_add_nc_u32_e32 v51, 0, v67
	v_add_nc_u32_e32 v53, s0, v3
	;; [unrolled: 1-line block ×15, first 2 shown]
	s_cmp_eq_u32 s1, 0
	v_add_nc_u32_e32 v68, s0, v16
	v_cmp_ne_u32_e64 s0, 0, v2
	v_cmp_lt_u32_e64 s1, 1, v2
	v_cmp_lt_u32_e64 s2, 3, v2
	;; [unrolled: 1-line block ×3, first 2 shown]
	v_add_nc_u32_e32 v2, -1, v19
	v_add_nc_u32_e32 v37, 0, v3
	v_lshrrev_b32_e32 v3, 2, v0
	s_mul_i32 s64, s42, s16
	v_add_nc_u32_e32 v41, 0, v5
	v_or_b32_e32 v5, 31, v14
	v_cmp_gt_i32_e32 vcc_lo, 0, v2
	s_cselect_b32 s82, -1, 0
	s_lshl_b64 s[12:13], s[64:65], 1
	v_and_b32_e32 v3, 24, v3
	s_add_i32 s83, s79, -1
	v_cndmask_b32_e32 v2, v2, v19, vcc_lo
	s_mul_i32 s64, s17, s34
	s_add_u32 s16, s30, s12
	s_addc_u32 s13, s31, s13
	s_lshl_b64 s[14:15], s[64:65], 1
	v_cmp_eq_u32_e64 s5, v5, v0
	v_cmp_gt_u32_e64 s6, 4, v0
	v_lshl_add_u32 v70, v0, 3, 0
	v_cmp_gt_u32_e64 s9, 32, v0
	v_cmp_lt_u32_e64 s10, 31, v0
	v_cmp_eq_u32_e64 s11, 0, v0
	s_mul_i32 s64, s42, s54
	v_lshlrev_b32_e32 v0, 1, v19
	s_add_u32 s16, s16, s14
	v_add_nc_u32_e32 v38, 0, v4
	v_and_b32_e32 v4, 16, v19
	v_add_nc_u32_e32 v69, 0, v3
	v_and_b32_e32 v3, 3, v19
	s_addc_u32 s13, s13, s15
	s_lshl_b64 s[14:15], s[64:65], 1
	s_mul_i32 s64, s55, s34
	s_add_u32 s17, s38, s14
	v_lshlrev_b32_e32 v71, 2, v2
	s_addc_u32 s20, s39, s15
	s_lshl_b64 s[14:15], s[64:65], 1
	v_add_co_u32 v2, s16, s16, v0
	s_mul_i32 s64, s42, s18
	v_cmp_ne_u32_e64 s4, 0, v4
	v_cmp_ne_u32_e64 s7, 0, v3
	v_cmp_lt_u32_e64 s8, 1, v3
	v_add_co_ci_u32_e64 v3, null, s13, 0, s16
	s_add_u32 s13, s17, s14
	v_lshlrev_b32_e32 v4, 1, v1
	s_addc_u32 s16, s20, s15
	s_lshl_b64 s[14:15], s[64:65], 1
	s_mul_i32 s64, s19, s34
	s_add_u32 s17, s40, s14
	s_addc_u32 s18, s41, s15
	s_lshl_b64 s[14:15], s[64:65], 1
	v_add_co_u32 v72, vcc_lo, v2, v4
	v_add_co_u32 v2, s13, s13, v0
	s_add_u32 s14, s17, s14
	v_add_co_ci_u32_e32 v73, vcc_lo, 0, v3, vcc_lo
	v_add_co_ci_u32_e64 v3, null, s16, 0, s13
	s_addc_u32 s15, s18, s15
	v_add_co_u32 v0, s13, s14, v0
	s_delay_alu instid0(VALU_DEP_1) | instskip(SKIP_2) | instid1(VALU_DEP_4)
	v_add_co_ci_u32_e64 v5, null, s15, 0, s13
	v_add_co_u32 v74, vcc_lo, v2, v4
	v_add_co_ci_u32_e32 v75, vcc_lo, 0, v3, vcc_lo
	v_add_co_u32 v76, vcc_lo, v0, v4
	v_or_b32_e32 v22, 32, v20
	v_add_nc_u32_e32 v40, 0, v6
	v_add_nc_u32_e32 v42, 0, v7
	;; [unrolled: 1-line block ×11, first 2 shown]
	v_cmp_eq_u32_e64 s12, 0, v19
	v_add_co_ci_u32_e32 v77, vcc_lo, 0, v5, vcc_lo
	v_or_b32_e32 v78, 1, v18
	v_or_b32_e32 v79, 2, v18
	;; [unrolled: 1-line block ×15, first 2 shown]
	v_lshlrev_b32_e32 v93, 1, v1
	s_mov_b32 s84, 0x3e9b6dac
	s_add_i32 s85, 0, 0x2120
	s_mov_b32 s86, 0xbfb8aa3b
	s_mov_b32 s87, 0xb2a5705f
	;; [unrolled: 1-line block ×3, first 2 shown]
	s_branch .LBB124_12
.LBB124_11:                             ;   in Loop: Header=BB124_12 Depth=1
	s_or_b32 exec_lo, exec_lo, s13
	s_add_u32 s71, s71, 0x1000
	s_addc_u32 s56, s56, 0
	s_add_u32 s63, s63, 0x1000
	s_addc_u32 s70, s70, 0
	;; [unrolled: 2-line block ×4, first 2 shown]
	s_add_i32 s88, s88, 1
	s_delay_alu instid0(SALU_CYCLE_1)
	s_cmp_lg_u32 s88, s79
	s_cbranch_scc0 .LBB124_302
.LBB124_12:                             ; =>This Loop Header: Depth=1
                                        ;     Child Loop BB124_109 Depth 2
	s_waitcnt lgkmcnt(14)
	v_lshlrev_b32_e32 v16, 1, v19
	s_lshl_b32 s50, s88, 11
	s_waitcnt lgkmcnt(0)
	v_mov_b32_e32 v2, 0
	s_sub_i32 s41, s69, s50
	v_add_co_u32 v0, s13, s63, v16
	s_delay_alu instid0(VALU_DEP_1) | instskip(SKIP_1) | instid1(VALU_DEP_3)
	v_add_co_ci_u32_e64 v1, null, s70, 0, s13
	v_cmp_gt_u32_e64 s13, s41, v20
	v_add_co_u32 v0, vcc_lo, v0, v93
	s_delay_alu instid0(VALU_DEP_3)
	v_add_co_ci_u32_e32 v1, vcc_lo, 0, v1, vcc_lo
	s_waitcnt_vscnt null, 0x0
	s_barrier
	buffer_gl0_inv
	s_and_saveexec_b32 s14, s13
	s_cbranch_execz .LBB124_14
; %bb.13:                               ;   in Loop: Header=BB124_12 Depth=1
	global_load_u16 v2, v[0:1], off
.LBB124_14:                             ;   in Loop: Header=BB124_12 Depth=1
	s_or_b32 exec_lo, exec_lo, s14
	v_cmp_gt_u32_e64 s14, s41, v22
	v_dual_mov_b32 v3, 0 :: v_dual_mov_b32 v4, 0
	s_delay_alu instid0(VALU_DEP_2)
	s_and_saveexec_b32 s15, s14
	s_cbranch_execz .LBB124_16
; %bb.15:                               ;   in Loop: Header=BB124_12 Depth=1
	global_load_u16 v4, v[0:1], off offset:64
.LBB124_16:                             ;   in Loop: Header=BB124_12 Depth=1
	s_or_b32 exec_lo, exec_lo, s15
	v_cmp_gt_u32_e64 s15, s41, v23
	s_delay_alu instid0(VALU_DEP_1)
	s_and_saveexec_b32 s16, s15
	s_cbranch_execz .LBB124_18
; %bb.17:                               ;   in Loop: Header=BB124_12 Depth=1
	global_load_u16 v3, v[0:1], off offset:128
.LBB124_18:                             ;   in Loop: Header=BB124_12 Depth=1
	s_or_b32 exec_lo, exec_lo, s16
	v_cmp_gt_u32_e64 s16, s41, v24
	v_dual_mov_b32 v5, 0 :: v_dual_mov_b32 v6, 0
	s_delay_alu instid0(VALU_DEP_2)
	s_and_saveexec_b32 s17, s16
	s_cbranch_execz .LBB124_20
; %bb.19:                               ;   in Loop: Header=BB124_12 Depth=1
	global_load_u16 v6, v[0:1], off offset:192
.LBB124_20:                             ;   in Loop: Header=BB124_12 Depth=1
	s_or_b32 exec_lo, exec_lo, s17
	v_cmp_gt_u32_e64 s17, s41, v25
	s_delay_alu instid0(VALU_DEP_1)
	s_and_saveexec_b32 s18, s17
	s_cbranch_execz .LBB124_22
; %bb.21:                               ;   in Loop: Header=BB124_12 Depth=1
	global_load_u16 v5, v[0:1], off offset:256
.LBB124_22:                             ;   in Loop: Header=BB124_12 Depth=1
	;; [unrolled: 17-line block ×3, first 2 shown]
	s_or_b32 exec_lo, exec_lo, s20
	v_cmp_gt_u32_e64 s20, s41, v28
	v_mov_b32_e32 v9, 0
	v_mov_b32_e32 v11, 0
	s_delay_alu instid0(VALU_DEP_3)
	s_and_saveexec_b32 s21, s20
	s_cbranch_execz .LBB124_28
; %bb.27:                               ;   in Loop: Header=BB124_12 Depth=1
	global_load_u16 v11, v[0:1], off offset:448
.LBB124_28:                             ;   in Loop: Header=BB124_12 Depth=1
	s_or_b32 exec_lo, exec_lo, s21
	v_cmp_gt_u32_e64 s21, s41, v29
	s_delay_alu instid0(VALU_DEP_1)
	s_and_saveexec_b32 s22, s21
	s_cbranch_execz .LBB124_30
; %bb.29:                               ;   in Loop: Header=BB124_12 Depth=1
	global_load_u16 v9, v[0:1], off offset:512
.LBB124_30:                             ;   in Loop: Header=BB124_12 Depth=1
	s_or_b32 exec_lo, exec_lo, s22
	v_cmp_gt_u32_e64 s22, s41, v30
	v_dual_mov_b32 v12, 0 :: v_dual_mov_b32 v13, 0
	s_delay_alu instid0(VALU_DEP_2)
	s_and_saveexec_b32 s23, s22
	s_cbranch_execz .LBB124_32
; %bb.31:                               ;   in Loop: Header=BB124_12 Depth=1
	global_load_u16 v13, v[0:1], off offset:576
.LBB124_32:                             ;   in Loop: Header=BB124_12 Depth=1
	s_or_b32 exec_lo, exec_lo, s23
	v_cmp_gt_u32_e64 s23, s41, v31
	s_delay_alu instid0(VALU_DEP_1)
	s_and_saveexec_b32 s24, s23
	s_cbranch_execz .LBB124_34
; %bb.33:                               ;   in Loop: Header=BB124_12 Depth=1
	global_load_u16 v12, v[0:1], off offset:640
.LBB124_34:                             ;   in Loop: Header=BB124_12 Depth=1
	s_or_b32 exec_lo, exec_lo, s24
	v_cmp_gt_u32_e64 s24, s41, v32
	v_dual_mov_b32 v14, 0 :: v_dual_mov_b32 v15, 0
	s_delay_alu instid0(VALU_DEP_2)
	;; [unrolled: 17-line block ×4, first 2 shown]
	s_and_saveexec_b32 s29, s28
	s_cbranch_execz .LBB124_44
; %bb.43:                               ;   in Loop: Header=BB124_12 Depth=1
	global_load_u16 v95, v[0:1], off offset:960
.LBB124_44:                             ;   in Loop: Header=BB124_12 Depth=1
	s_or_b32 exec_lo, exec_lo, s29
	s_waitcnt vmcnt(0)
	ds_store_b16 v37, v2
	ds_store_b16 v37, v4 offset:64
	ds_store_b16 v38, v3 offset:128
	;; [unrolled: 1-line block ×15, first 2 shown]
	; wave barrier
	ds_load_b128 v[0:3], v52
	ds_load_b128 v[4:7], v52 offset:16
	v_add_co_u32 v8, s29, s71, v16
	s_delay_alu instid0(VALU_DEP_1) | instskip(SKIP_1) | instid1(VALU_DEP_2)
	v_add_co_ci_u32_e64 v9, null, s56, 0, s29
	s_waitcnt lgkmcnt(0)
	v_add_co_u32 v8, vcc_lo, v8, v93
	s_delay_alu instid0(VALU_DEP_2)
	v_add_co_ci_u32_e32 v9, vcc_lo, 0, v9, vcc_lo
	s_barrier
	buffer_gl0_inv
	s_and_saveexec_b32 s29, s13
	s_cbranch_execz .LBB124_46
; %bb.45:                               ;   in Loop: Header=BB124_12 Depth=1
	global_load_u16 v10, v[8:9], off
.LBB124_46:                             ;   in Loop: Header=BB124_12 Depth=1
	s_or_b32 exec_lo, exec_lo, s29
	v_dual_mov_b32 v11, 0 :: v_dual_mov_b32 v12, 0
	s_and_saveexec_b32 s29, s14
	s_cbranch_execz .LBB124_48
; %bb.47:                               ;   in Loop: Header=BB124_12 Depth=1
	global_load_u16 v12, v[8:9], off offset:64
.LBB124_48:                             ;   in Loop: Header=BB124_12 Depth=1
	s_or_b32 exec_lo, exec_lo, s29
	s_and_saveexec_b32 s29, s15
	s_cbranch_execz .LBB124_50
; %bb.49:                               ;   in Loop: Header=BB124_12 Depth=1
	global_load_u16 v11, v[8:9], off offset:128
.LBB124_50:                             ;   in Loop: Header=BB124_12 Depth=1
	s_or_b32 exec_lo, exec_lo, s29
	v_dual_mov_b32 v13, 0 :: v_dual_mov_b32 v14, 0
	s_and_saveexec_b32 s29, s16
	s_cbranch_execz .LBB124_52
; %bb.51:                               ;   in Loop: Header=BB124_12 Depth=1
	global_load_u16 v14, v[8:9], off offset:192
.LBB124_52:                             ;   in Loop: Header=BB124_12 Depth=1
	s_or_b32 exec_lo, exec_lo, s29
	s_and_saveexec_b32 s29, s17
	s_cbranch_execz .LBB124_54
; %bb.53:                               ;   in Loop: Header=BB124_12 Depth=1
	global_load_u16 v13, v[8:9], off offset:256
.LBB124_54:                             ;   in Loop: Header=BB124_12 Depth=1
	s_or_b32 exec_lo, exec_lo, s29
	v_mov_b32_e32 v15, 0
	v_mov_b32_e32 v17, 0
	s_and_saveexec_b32 s29, s18
	s_cbranch_execz .LBB124_56
; %bb.55:                               ;   in Loop: Header=BB124_12 Depth=1
	global_load_u16 v17, v[8:9], off offset:320
.LBB124_56:                             ;   in Loop: Header=BB124_12 Depth=1
	s_or_b32 exec_lo, exec_lo, s29
	s_and_saveexec_b32 s29, s19
	s_cbranch_execz .LBB124_58
; %bb.57:                               ;   in Loop: Header=BB124_12 Depth=1
	global_load_u16 v15, v[8:9], off offset:384
.LBB124_58:                             ;   in Loop: Header=BB124_12 Depth=1
	s_or_b32 exec_lo, exec_lo, s29
	v_dual_mov_b32 v94, 0 :: v_dual_mov_b32 v95, 0
	s_and_saveexec_b32 s29, s20
	s_cbranch_execz .LBB124_60
; %bb.59:                               ;   in Loop: Header=BB124_12 Depth=1
	global_load_u16 v95, v[8:9], off offset:448
.LBB124_60:                             ;   in Loop: Header=BB124_12 Depth=1
	s_or_b32 exec_lo, exec_lo, s29
	s_and_saveexec_b32 s29, s21
	s_cbranch_execz .LBB124_62
; %bb.61:                               ;   in Loop: Header=BB124_12 Depth=1
	global_load_u16 v94, v[8:9], off offset:512
.LBB124_62:                             ;   in Loop: Header=BB124_12 Depth=1
	s_or_b32 exec_lo, exec_lo, s29
	v_dual_mov_b32 v96, 0 :: v_dual_mov_b32 v97, 0
	;; [unrolled: 13-line block ×4, first 2 shown]
	s_and_saveexec_b32 s29, s26
	s_cbranch_execnz .LBB124_269
; %bb.71:                               ;   in Loop: Header=BB124_12 Depth=1
	s_or_b32 exec_lo, exec_lo, s29
	s_and_saveexec_b32 s29, s27
	s_cbranch_execnz .LBB124_270
.LBB124_72:                             ;   in Loop: Header=BB124_12 Depth=1
	s_or_b32 exec_lo, exec_lo, s29
	v_mov_b32_e32 v102, 0
	s_and_saveexec_b32 s29, s28
	s_cbranch_execz .LBB124_74
.LBB124_73:                             ;   in Loop: Header=BB124_12 Depth=1
	global_load_u16 v102, v[8:9], off offset:960
.LBB124_74:                             ;   in Loop: Header=BB124_12 Depth=1
	s_or_b32 exec_lo, exec_lo, s29
	s_waitcnt vmcnt(0)
	ds_store_b16 v37, v10
	ds_store_b16 v37, v12 offset:64
	ds_store_b16 v38, v11 offset:128
	ds_store_b16 v39, v14 offset:192
	ds_store_b16 v40, v13 offset:256
	ds_store_b16 v41, v17 offset:320
	ds_store_b16 v42, v15 offset:384
	ds_store_b16 v43, v95 offset:448
	ds_store_b16 v44, v94 offset:512
	ds_store_b16 v45, v97 offset:576
	ds_store_b16 v46, v96 offset:640
	ds_store_b16 v47, v99 offset:704
	ds_store_b16 v48, v98 offset:768
	ds_store_b16 v49, v101 offset:832
	ds_store_b16 v50, v100 offset:896
	ds_store_b16 v51, v102 offset:960
	; wave barrier
	ds_load_b128 v[12:15], v52
	ds_load_b128 v[8:11], v52 offset:16
	s_waitcnt lgkmcnt(1)
	v_cvt_f32_f16_e32 v17, v12
	s_delay_alu instid0(VALU_DEP_1) | instskip(NEXT) | instid1(VALU_DEP_1)
	v_add_f32_e32 v94, s67, v17
	v_cmp_ge_f32_e32 vcc_lo, 0x41a00000, v94
	s_and_b32 s29, s80, vcc_lo
	s_delay_alu instid0(SALU_CYCLE_1)
	s_and_saveexec_b32 s30, s29
	s_cbranch_execz .LBB124_76
; %bb.75:                               ;   in Loop: Header=BB124_12 Depth=1
	v_mul_f32_e32 v17, 0x3fb8aa3b, v94
	v_cmp_ngt_f32_e32 vcc_lo, 0xc2ce8ed0, v94
	s_delay_alu instid0(VALU_DEP_2) | instskip(SKIP_1) | instid1(VALU_DEP_1)
	v_rndne_f32_e32 v95, v17
	v_fma_f32 v96, 0x3fb8aa3b, v94, -v17
	v_dual_sub_f32 v17, v17, v95 :: v_dual_fmac_f32 v96, 0x32a5705f, v94
	v_cvt_i32_f32_e32 v95, v95
	s_delay_alu instid0(VALU_DEP_2) | instskip(NEXT) | instid1(VALU_DEP_1)
	v_add_f32_e32 v17, v17, v96
	v_exp_f32_e32 v17, v17
	s_waitcnt_depctr 0xfff
	v_ldexp_f32 v17, v17, v95
	s_delay_alu instid0(VALU_DEP_1) | instskip(SKIP_1) | instid1(VALU_DEP_2)
	v_cndmask_b32_e32 v17, 0, v17, vcc_lo
	v_cmp_nlt_f32_e32 vcc_lo, 0x42b17218, v94
	v_cndmask_b32_e32 v17, 0x7f800000, v17, vcc_lo
	s_delay_alu instid0(VALU_DEP_1) | instskip(NEXT) | instid1(VALU_DEP_1)
	v_add_f32_e32 v96, 1.0, v17
	v_cvt_f64_f32_e32 v[94:95], v96
	s_delay_alu instid0(VALU_DEP_1) | instskip(SKIP_1) | instid1(VALU_DEP_1)
	v_frexp_exp_i32_f64_e32 v94, v[94:95]
	v_frexp_mant_f32_e32 v95, v96
	v_cmp_gt_f32_e32 vcc_lo, 0x3f2aaaab, v95
	v_add_f32_e32 v95, -1.0, v96
	s_delay_alu instid0(VALU_DEP_1) | instskip(NEXT) | instid1(VALU_DEP_1)
	v_dual_sub_f32 v98, v95, v96 :: v_dual_sub_f32 v95, v17, v95
	v_add_f32_e32 v98, 1.0, v98
	v_subrev_co_ci_u32_e32 v94, vcc_lo, 0, v94, vcc_lo
	s_delay_alu instid0(VALU_DEP_1) | instskip(SKIP_1) | instid1(VALU_DEP_2)
	v_sub_nc_u32_e32 v97, 0, v94
	v_cvt_f32_i32_e32 v94, v94
	v_ldexp_f32 v96, v96, v97
	v_add_f32_e32 v95, v95, v98
	s_delay_alu instid0(VALU_DEP_1) | instskip(NEXT) | instid1(VALU_DEP_3)
	v_ldexp_f32 v95, v95, v97
	v_add_f32_e32 v99, 1.0, v96
	s_delay_alu instid0(VALU_DEP_1) | instskip(NEXT) | instid1(VALU_DEP_1)
	v_add_f32_e32 v98, -1.0, v99
	v_sub_f32_e32 v98, v96, v98
	v_cmp_eq_f32_e32 vcc_lo, 0x7f800000, v17
	v_cmp_gt_f32_e64 s29, 0x33800000, v17
	s_delay_alu instid0(VALU_DEP_3) | instskip(NEXT) | instid1(VALU_DEP_2)
	v_dual_add_f32 v98, v95, v98 :: v_dual_add_f32 v97, -1.0, v96
	s_or_b32 vcc_lo, s29, vcc_lo
	s_delay_alu instid0(VALU_DEP_1) | instskip(NEXT) | instid1(VALU_DEP_1)
	v_add_f32_e32 v100, 1.0, v97
	v_sub_f32_e32 v96, v96, v100
	s_delay_alu instid0(VALU_DEP_3) | instskip(NEXT) | instid1(VALU_DEP_1)
	v_add_f32_e32 v100, v99, v98
	v_sub_f32_e32 v99, v99, v100
	s_delay_alu instid0(VALU_DEP_3) | instskip(SKIP_1) | instid1(VALU_DEP_2)
	v_add_f32_e32 v95, v95, v96
	v_rcp_f32_e32 v96, v100
	v_add_f32_e32 v98, v98, v99
	s_delay_alu instid0(VALU_DEP_2) | instskip(NEXT) | instid1(VALU_DEP_1)
	v_add_f32_e32 v101, v97, v95
	v_sub_f32_e32 v97, v97, v101
	s_waitcnt_depctr 0xfff
	v_dual_mul_f32 v102, v101, v96 :: v_dual_add_f32 v95, v95, v97
	s_delay_alu instid0(VALU_DEP_1) | instskip(NEXT) | instid1(VALU_DEP_1)
	v_mul_f32_e32 v103, v100, v102
	v_fma_f32 v99, v102, v100, -v103
	s_delay_alu instid0(VALU_DEP_1) | instskip(NEXT) | instid1(VALU_DEP_1)
	v_fmac_f32_e32 v99, v102, v98
	v_add_f32_e32 v104, v103, v99
	s_delay_alu instid0(VALU_DEP_1) | instskip(NEXT) | instid1(VALU_DEP_1)
	v_sub_f32_e32 v105, v101, v104
	v_sub_f32_e32 v101, v101, v105
	;; [unrolled: 1-line block ×3, first 2 shown]
	s_delay_alu instid0(VALU_DEP_2) | instskip(NEXT) | instid1(VALU_DEP_2)
	v_sub_f32_e32 v101, v101, v104
	v_sub_f32_e32 v97, v97, v99
	s_delay_alu instid0(VALU_DEP_2) | instskip(NEXT) | instid1(VALU_DEP_1)
	v_add_f32_e32 v95, v95, v101
	v_add_f32_e32 v95, v97, v95
	s_delay_alu instid0(VALU_DEP_1) | instskip(NEXT) | instid1(VALU_DEP_1)
	v_add_f32_e32 v97, v105, v95
	v_mul_f32_e32 v99, v96, v97
	s_delay_alu instid0(VALU_DEP_1) | instskip(NEXT) | instid1(VALU_DEP_1)
	v_dual_sub_f32 v104, v105, v97 :: v_dual_mul_f32 v101, v100, v99
	v_add_f32_e32 v95, v95, v104
	s_delay_alu instid0(VALU_DEP_2) | instskip(NEXT) | instid1(VALU_DEP_1)
	v_fma_f32 v100, v99, v100, -v101
	v_fmac_f32_e32 v100, v99, v98
	s_delay_alu instid0(VALU_DEP_1) | instskip(NEXT) | instid1(VALU_DEP_1)
	v_add_f32_e32 v98, v101, v100
	v_sub_f32_e32 v103, v97, v98
	v_sub_f32_e32 v101, v98, v101
	s_delay_alu instid0(VALU_DEP_2) | instskip(NEXT) | instid1(VALU_DEP_1)
	v_sub_f32_e32 v97, v97, v103
	v_sub_f32_e32 v97, v97, v98
	s_delay_alu instid0(VALU_DEP_1) | instskip(SKIP_1) | instid1(VALU_DEP_1)
	v_dual_sub_f32 v98, v101, v100 :: v_dual_add_f32 v95, v95, v97
	v_add_f32_e32 v97, v102, v99
	v_dual_add_f32 v95, v98, v95 :: v_dual_sub_f32 v98, v97, v102
	s_delay_alu instid0(VALU_DEP_1) | instskip(NEXT) | instid1(VALU_DEP_1)
	v_add_f32_e32 v95, v103, v95
	v_dual_sub_f32 v98, v99, v98 :: v_dual_mul_f32 v95, v96, v95
	s_delay_alu instid0(VALU_DEP_1) | instskip(NEXT) | instid1(VALU_DEP_1)
	v_add_f32_e32 v95, v98, v95
	v_add_f32_e32 v96, v97, v95
	s_delay_alu instid0(VALU_DEP_1) | instskip(NEXT) | instid1(VALU_DEP_1)
	v_mul_f32_e32 v98, v96, v96
	v_fmaak_f32 v99, s84, v98, 0x3ecc95a3
	v_mul_f32_e32 v100, v96, v98
	s_delay_alu instid0(VALU_DEP_2) | instskip(SKIP_2) | instid1(VALU_DEP_3)
	v_fmaak_f32 v98, v98, v99, 0x3f2aaada
	v_ldexp_f32 v99, v96, 1
	v_sub_f32_e32 v96, v96, v97
	v_mul_f32_e32 v98, v100, v98
	s_delay_alu instid0(VALU_DEP_2) | instskip(NEXT) | instid1(VALU_DEP_2)
	v_dual_mul_f32 v100, 0x3f317218, v94 :: v_dual_sub_f32 v95, v95, v96
	v_add_f32_e32 v97, v99, v98
	s_delay_alu instid0(VALU_DEP_2) | instskip(NEXT) | instid1(VALU_DEP_2)
	v_ldexp_f32 v95, v95, 1
	v_sub_f32_e32 v96, v97, v99
	s_delay_alu instid0(VALU_DEP_4) | instskip(NEXT) | instid1(VALU_DEP_1)
	v_fma_f32 v99, 0x3f317218, v94, -v100
	v_dual_sub_f32 v96, v98, v96 :: v_dual_fmac_f32 v99, 0xb102e308, v94
	s_delay_alu instid0(VALU_DEP_1) | instskip(NEXT) | instid1(VALU_DEP_1)
	v_dual_add_f32 v94, v95, v96 :: v_dual_add_f32 v95, v100, v99
	v_add_f32_e32 v96, v97, v94
	s_delay_alu instid0(VALU_DEP_2) | instskip(NEXT) | instid1(VALU_DEP_2)
	v_sub_f32_e32 v100, v95, v100
	v_dual_add_f32 v98, v95, v96 :: v_dual_sub_f32 v97, v96, v97
	s_delay_alu instid0(VALU_DEP_2) | instskip(NEXT) | instid1(VALU_DEP_2)
	v_sub_f32_e32 v99, v99, v100
	v_sub_f32_e32 v101, v98, v95
	s_delay_alu instid0(VALU_DEP_3) | instskip(NEXT) | instid1(VALU_DEP_2)
	v_sub_f32_e32 v94, v94, v97
	v_sub_f32_e32 v102, v98, v101
	s_delay_alu instid0(VALU_DEP_2) | instskip(NEXT) | instid1(VALU_DEP_2)
	v_dual_sub_f32 v96, v96, v101 :: v_dual_add_f32 v97, v99, v94
	v_sub_f32_e32 v95, v95, v102
	s_delay_alu instid0(VALU_DEP_1) | instskip(NEXT) | instid1(VALU_DEP_3)
	v_add_f32_e32 v95, v96, v95
	v_sub_f32_e32 v96, v97, v99
	s_delay_alu instid0(VALU_DEP_2) | instskip(NEXT) | instid1(VALU_DEP_2)
	v_add_f32_e32 v95, v97, v95
	v_sub_f32_e32 v97, v97, v96
	v_sub_f32_e32 v94, v94, v96
	s_delay_alu instid0(VALU_DEP_2) | instskip(NEXT) | instid1(VALU_DEP_1)
	v_dual_add_f32 v100, v98, v95 :: v_dual_sub_f32 v97, v99, v97
	v_sub_f32_e32 v96, v100, v98
	s_delay_alu instid0(VALU_DEP_1) | instskip(NEXT) | instid1(VALU_DEP_1)
	v_dual_add_f32 v94, v94, v97 :: v_dual_sub_f32 v95, v95, v96
	v_add_f32_e32 v94, v94, v95
	s_delay_alu instid0(VALU_DEP_1) | instskip(NEXT) | instid1(VALU_DEP_1)
	v_add_f32_e32 v94, v100, v94
	v_cndmask_b32_e32 v94, v94, v17, vcc_lo
.LBB124_76:                             ;   in Loop: Header=BB124_12 Depth=1
	s_or_b32 exec_lo, exec_lo, s30
	v_lshrrev_b32_e32 v12, 16, v12
	s_delay_alu instid0(VALU_DEP_1) | instskip(NEXT) | instid1(VALU_DEP_1)
	v_cvt_f32_f16_e32 v12, v12
	v_add_f32_e32 v95, s67, v12
	s_delay_alu instid0(VALU_DEP_1) | instskip(SKIP_1) | instid1(SALU_CYCLE_1)
	v_cmp_ge_f32_e32 vcc_lo, 0x41a00000, v95
	s_and_b32 s29, s80, vcc_lo
	s_and_saveexec_b32 s30, s29
	s_cbranch_execz .LBB124_78
; %bb.77:                               ;   in Loop: Header=BB124_12 Depth=1
	v_mul_f32_e32 v12, 0x3fb8aa3b, v95
	v_cmp_ngt_f32_e32 vcc_lo, 0xc2ce8ed0, v95
	s_delay_alu instid0(VALU_DEP_2) | instskip(SKIP_1) | instid1(VALU_DEP_2)
	v_rndne_f32_e32 v17, v12
	v_fma_f32 v96, 0x3fb8aa3b, v95, -v12
	v_sub_f32_e32 v12, v12, v17
	s_delay_alu instid0(VALU_DEP_2) | instskip(SKIP_1) | instid1(VALU_DEP_2)
	v_fmac_f32_e32 v96, 0x32a5705f, v95
	v_cvt_i32_f32_e32 v17, v17
	v_add_f32_e32 v12, v12, v96
	s_delay_alu instid0(VALU_DEP_1) | instskip(SKIP_2) | instid1(VALU_DEP_1)
	v_exp_f32_e32 v12, v12
	s_waitcnt_depctr 0xfff
	v_ldexp_f32 v12, v12, v17
	v_cndmask_b32_e32 v12, 0, v12, vcc_lo
	v_cmp_nlt_f32_e32 vcc_lo, 0x42b17218, v95
	s_delay_alu instid0(VALU_DEP_2) | instskip(NEXT) | instid1(VALU_DEP_1)
	v_cndmask_b32_e32 v12, 0x7f800000, v12, vcc_lo
	v_add_f32_e32 v17, 1.0, v12
	s_delay_alu instid0(VALU_DEP_1) | instskip(NEXT) | instid1(VALU_DEP_1)
	v_cvt_f64_f32_e32 v[95:96], v17
	v_frexp_exp_i32_f64_e32 v95, v[95:96]
	v_frexp_mant_f32_e32 v96, v17
	s_delay_alu instid0(VALU_DEP_1) | instskip(SKIP_1) | instid1(VALU_DEP_1)
	v_cmp_gt_f32_e32 vcc_lo, 0x3f2aaaab, v96
	v_add_f32_e32 v96, -1.0, v17
	v_sub_f32_e32 v98, v96, v17
	v_sub_f32_e32 v96, v12, v96
	s_delay_alu instid0(VALU_DEP_2) | instskip(NEXT) | instid1(VALU_DEP_1)
	v_add_f32_e32 v98, 1.0, v98
	v_add_f32_e32 v96, v96, v98
	v_subrev_co_ci_u32_e32 v95, vcc_lo, 0, v95, vcc_lo
	s_delay_alu instid0(VALU_DEP_1) | instskip(SKIP_1) | instid1(VALU_DEP_2)
	v_sub_nc_u32_e32 v97, 0, v95
	v_cvt_f32_i32_e32 v95, v95
	v_ldexp_f32 v17, v17, v97
	v_ldexp_f32 v96, v96, v97
	s_delay_alu instid0(VALU_DEP_2) | instskip(NEXT) | instid1(VALU_DEP_1)
	v_add_f32_e32 v99, 1.0, v17
	v_dual_add_f32 v97, -1.0, v17 :: v_dual_add_f32 v98, -1.0, v99
	s_delay_alu instid0(VALU_DEP_1) | instskip(NEXT) | instid1(VALU_DEP_2)
	v_add_f32_e32 v100, 1.0, v97
	v_sub_f32_e32 v98, v17, v98
	s_delay_alu instid0(VALU_DEP_2) | instskip(NEXT) | instid1(VALU_DEP_1)
	v_sub_f32_e32 v17, v17, v100
	v_add_f32_e32 v17, v96, v17
	s_delay_alu instid0(VALU_DEP_1) | instskip(SKIP_2) | instid1(VALU_DEP_3)
	v_add_f32_e32 v101, v97, v17
	v_cmp_eq_f32_e32 vcc_lo, 0x7f800000, v12
	v_cmp_gt_f32_e64 s29, 0x33800000, v12
	v_dual_sub_f32 v97, v97, v101 :: v_dual_add_f32 v98, v96, v98
	s_delay_alu instid0(VALU_DEP_2) | instskip(NEXT) | instid1(VALU_DEP_1)
	s_or_b32 vcc_lo, s29, vcc_lo
	v_dual_add_f32 v17, v17, v97 :: v_dual_add_f32 v100, v99, v98
	s_delay_alu instid0(VALU_DEP_1) | instskip(SKIP_1) | instid1(VALU_DEP_1)
	v_rcp_f32_e32 v96, v100
	v_sub_f32_e32 v99, v99, v100
	v_add_f32_e32 v98, v98, v99
	s_waitcnt_depctr 0xfff
	v_mul_f32_e32 v102, v101, v96
	s_delay_alu instid0(VALU_DEP_1) | instskip(NEXT) | instid1(VALU_DEP_1)
	v_mul_f32_e32 v103, v100, v102
	v_fma_f32 v99, v102, v100, -v103
	s_delay_alu instid0(VALU_DEP_1) | instskip(NEXT) | instid1(VALU_DEP_1)
	v_fmac_f32_e32 v99, v102, v98
	v_add_f32_e32 v104, v103, v99
	s_delay_alu instid0(VALU_DEP_1) | instskip(SKIP_1) | instid1(VALU_DEP_2)
	v_sub_f32_e32 v105, v101, v104
	v_sub_f32_e32 v97, v104, v103
	;; [unrolled: 1-line block ×3, first 2 shown]
	s_delay_alu instid0(VALU_DEP_2) | instskip(NEXT) | instid1(VALU_DEP_2)
	v_sub_f32_e32 v97, v97, v99
	v_sub_f32_e32 v101, v101, v104
	s_delay_alu instid0(VALU_DEP_1) | instskip(NEXT) | instid1(VALU_DEP_1)
	v_add_f32_e32 v17, v17, v101
	v_add_f32_e32 v17, v97, v17
	s_delay_alu instid0(VALU_DEP_1) | instskip(NEXT) | instid1(VALU_DEP_1)
	v_add_f32_e32 v97, v105, v17
	v_mul_f32_e32 v99, v96, v97
	s_delay_alu instid0(VALU_DEP_1) | instskip(NEXT) | instid1(VALU_DEP_1)
	v_mul_f32_e32 v101, v100, v99
	v_fma_f32 v100, v99, v100, -v101
	s_delay_alu instid0(VALU_DEP_1) | instskip(SKIP_1) | instid1(VALU_DEP_2)
	v_fmac_f32_e32 v100, v99, v98
	v_sub_f32_e32 v104, v105, v97
	v_add_f32_e32 v98, v101, v100
	s_delay_alu instid0(VALU_DEP_2) | instskip(NEXT) | instid1(VALU_DEP_2)
	v_add_f32_e32 v17, v17, v104
	v_sub_f32_e32 v103, v97, v98
	s_delay_alu instid0(VALU_DEP_1) | instskip(NEXT) | instid1(VALU_DEP_1)
	v_sub_f32_e32 v97, v97, v103
	v_sub_f32_e32 v97, v97, v98
	s_delay_alu instid0(VALU_DEP_1) | instskip(SKIP_2) | instid1(VALU_DEP_1)
	v_add_f32_e32 v17, v17, v97
	v_add_f32_e32 v97, v102, v99
	v_sub_f32_e32 v101, v98, v101
	v_sub_f32_e32 v98, v101, v100
	s_delay_alu instid0(VALU_DEP_1) | instskip(NEXT) | instid1(VALU_DEP_1)
	v_dual_add_f32 v17, v98, v17 :: v_dual_sub_f32 v98, v97, v102
	v_add_f32_e32 v17, v103, v17
	s_delay_alu instid0(VALU_DEP_1) | instskip(NEXT) | instid1(VALU_DEP_1)
	v_dual_sub_f32 v98, v99, v98 :: v_dual_mul_f32 v17, v96, v17
	v_add_f32_e32 v17, v98, v17
	s_delay_alu instid0(VALU_DEP_1) | instskip(NEXT) | instid1(VALU_DEP_1)
	v_add_f32_e32 v96, v97, v17
	v_mul_f32_e32 v98, v96, v96
	s_delay_alu instid0(VALU_DEP_1) | instskip(SKIP_1) | instid1(VALU_DEP_2)
	v_fmaak_f32 v99, s84, v98, 0x3ecc95a3
	v_mul_f32_e32 v100, v96, v98
	v_fmaak_f32 v98, v98, v99, 0x3f2aaada
	v_ldexp_f32 v99, v96, 1
	s_delay_alu instid0(VALU_DEP_2) | instskip(SKIP_1) | instid1(VALU_DEP_2)
	v_mul_f32_e32 v98, v100, v98
	v_sub_f32_e32 v96, v96, v97
	v_dual_mul_f32 v100, 0x3f317218, v95 :: v_dual_add_f32 v97, v99, v98
	s_delay_alu instid0(VALU_DEP_2) | instskip(NEXT) | instid1(VALU_DEP_2)
	v_sub_f32_e32 v17, v17, v96
	v_sub_f32_e32 v96, v97, v99
	s_delay_alu instid0(VALU_DEP_3) | instskip(NEXT) | instid1(VALU_DEP_3)
	v_fma_f32 v99, 0x3f317218, v95, -v100
	v_ldexp_f32 v17, v17, 1
	s_delay_alu instid0(VALU_DEP_2) | instskip(NEXT) | instid1(VALU_DEP_1)
	v_dual_sub_f32 v96, v98, v96 :: v_dual_fmac_f32 v99, 0xb102e308, v95
	v_add_f32_e32 v17, v17, v96
	s_delay_alu instid0(VALU_DEP_1) | instskip(NEXT) | instid1(VALU_DEP_1)
	v_dual_add_f32 v95, v100, v99 :: v_dual_add_f32 v96, v97, v17
	v_sub_f32_e32 v100, v95, v100
	s_delay_alu instid0(VALU_DEP_2) | instskip(NEXT) | instid1(VALU_DEP_2)
	v_dual_add_f32 v98, v95, v96 :: v_dual_sub_f32 v97, v96, v97
	v_sub_f32_e32 v99, v99, v100
	s_delay_alu instid0(VALU_DEP_2) | instskip(NEXT) | instid1(VALU_DEP_1)
	v_sub_f32_e32 v101, v98, v95
	v_sub_f32_e32 v102, v98, v101
	;; [unrolled: 1-line block ×4, first 2 shown]
	s_delay_alu instid0(VALU_DEP_1) | instskip(NEXT) | instid1(VALU_DEP_4)
	v_add_f32_e32 v97, v99, v17
	v_sub_f32_e32 v95, v95, v102
	s_delay_alu instid0(VALU_DEP_1) | instskip(NEXT) | instid1(VALU_DEP_3)
	v_add_f32_e32 v95, v96, v95
	v_sub_f32_e32 v96, v97, v99
	s_delay_alu instid0(VALU_DEP_2) | instskip(NEXT) | instid1(VALU_DEP_2)
	v_add_f32_e32 v95, v97, v95
	v_sub_f32_e32 v97, v97, v96
	s_delay_alu instid0(VALU_DEP_2) | instskip(NEXT) | instid1(VALU_DEP_1)
	v_dual_sub_f32 v17, v17, v96 :: v_dual_add_f32 v100, v98, v95
	v_dual_sub_f32 v96, v100, v98 :: v_dual_sub_f32 v97, v99, v97
	s_delay_alu instid0(VALU_DEP_1) | instskip(NEXT) | instid1(VALU_DEP_2)
	v_sub_f32_e32 v95, v95, v96
	v_add_f32_e32 v17, v17, v97
	s_delay_alu instid0(VALU_DEP_1) | instskip(NEXT) | instid1(VALU_DEP_1)
	v_add_f32_e32 v17, v17, v95
	v_add_f32_e32 v17, v100, v17
	s_delay_alu instid0(VALU_DEP_1)
	v_cndmask_b32_e32 v95, v17, v12, vcc_lo
.LBB124_78:                             ;   in Loop: Header=BB124_12 Depth=1
	s_or_b32 exec_lo, exec_lo, s30
	v_cvt_f32_f16_e32 v12, v13
	s_delay_alu instid0(VALU_DEP_1) | instskip(NEXT) | instid1(VALU_DEP_1)
	v_add_f32_e32 v96, s67, v12
	v_cmp_ge_f32_e32 vcc_lo, 0x41a00000, v96
	s_and_b32 s29, s80, vcc_lo
	s_delay_alu instid0(SALU_CYCLE_1)
	s_and_saveexec_b32 s30, s29
	s_cbranch_execz .LBB124_80
; %bb.79:                               ;   in Loop: Header=BB124_12 Depth=1
	v_mul_f32_e32 v12, 0x3fb8aa3b, v96
	v_cmp_ngt_f32_e32 vcc_lo, 0xc2ce8ed0, v96
	s_delay_alu instid0(VALU_DEP_2) | instskip(SKIP_1) | instid1(VALU_DEP_1)
	v_rndne_f32_e32 v17, v12
	v_fma_f32 v97, 0x3fb8aa3b, v96, -v12
	v_dual_sub_f32 v12, v12, v17 :: v_dual_fmac_f32 v97, 0x32a5705f, v96
	v_cvt_i32_f32_e32 v17, v17
	s_delay_alu instid0(VALU_DEP_2) | instskip(NEXT) | instid1(VALU_DEP_1)
	v_add_f32_e32 v12, v12, v97
	v_exp_f32_e32 v12, v12
	s_waitcnt_depctr 0xfff
	v_ldexp_f32 v12, v12, v17
	s_delay_alu instid0(VALU_DEP_1) | instskip(SKIP_1) | instid1(VALU_DEP_2)
	v_cndmask_b32_e32 v12, 0, v12, vcc_lo
	v_cmp_nlt_f32_e32 vcc_lo, 0x42b17218, v96
	v_cndmask_b32_e32 v12, 0x7f800000, v12, vcc_lo
	s_delay_alu instid0(VALU_DEP_1) | instskip(NEXT) | instid1(VALU_DEP_1)
	v_add_f32_e32 v17, 1.0, v12
	v_cvt_f64_f32_e32 v[96:97], v17
	s_delay_alu instid0(VALU_DEP_1) | instskip(SKIP_1) | instid1(VALU_DEP_1)
	v_frexp_exp_i32_f64_e32 v96, v[96:97]
	v_frexp_mant_f32_e32 v97, v17
	v_cmp_gt_f32_e32 vcc_lo, 0x3f2aaaab, v97
	v_add_f32_e32 v97, -1.0, v17
	s_delay_alu instid0(VALU_DEP_1) | instskip(SKIP_1) | instid1(VALU_DEP_2)
	v_sub_f32_e32 v99, v97, v17
	v_sub_f32_e32 v97, v12, v97
	v_add_f32_e32 v99, 1.0, v99
	s_delay_alu instid0(VALU_DEP_1) | instskip(SKIP_3) | instid1(VALU_DEP_2)
	v_add_f32_e32 v97, v97, v99
	v_cmp_gt_f32_e64 s29, 0x33800000, v12
	v_subrev_co_ci_u32_e32 v96, vcc_lo, 0, v96, vcc_lo
	v_cmp_eq_f32_e32 vcc_lo, 0x7f800000, v12
	v_sub_nc_u32_e32 v98, 0, v96
	v_cvt_f32_i32_e32 v96, v96
	s_or_b32 vcc_lo, s29, vcc_lo
	s_delay_alu instid0(VALU_DEP_2) | instskip(SKIP_1) | instid1(VALU_DEP_2)
	v_ldexp_f32 v17, v17, v98
	v_ldexp_f32 v97, v97, v98
	v_add_f32_e32 v100, 1.0, v17
	s_delay_alu instid0(VALU_DEP_1) | instskip(NEXT) | instid1(VALU_DEP_1)
	v_dual_add_f32 v98, -1.0, v17 :: v_dual_add_f32 v99, -1.0, v100
	v_add_f32_e32 v101, 1.0, v98
	s_delay_alu instid0(VALU_DEP_2) | instskip(NEXT) | instid1(VALU_DEP_2)
	v_sub_f32_e32 v99, v17, v99
	v_sub_f32_e32 v17, v17, v101
	s_delay_alu instid0(VALU_DEP_1) | instskip(NEXT) | instid1(VALU_DEP_1)
	v_add_f32_e32 v17, v97, v17
	v_dual_add_f32 v102, v98, v17 :: v_dual_add_f32 v99, v97, v99
	s_delay_alu instid0(VALU_DEP_1) | instskip(NEXT) | instid1(VALU_DEP_1)
	v_dual_sub_f32 v98, v98, v102 :: v_dual_add_f32 v101, v100, v99
	v_rcp_f32_e32 v97, v101
	v_sub_f32_e32 v100, v100, v101
	s_delay_alu instid0(VALU_DEP_1) | instskip(SKIP_2) | instid1(VALU_DEP_1)
	v_add_f32_e32 v99, v99, v100
	s_waitcnt_depctr 0xfff
	v_mul_f32_e32 v103, v102, v97
	v_mul_f32_e32 v104, v101, v103
	s_delay_alu instid0(VALU_DEP_1) | instskip(NEXT) | instid1(VALU_DEP_1)
	v_fma_f32 v100, v103, v101, -v104
	v_fmac_f32_e32 v100, v103, v99
	s_delay_alu instid0(VALU_DEP_1) | instskip(NEXT) | instid1(VALU_DEP_1)
	v_add_f32_e32 v105, v104, v100
	v_sub_f32_e32 v106, v102, v105
	s_delay_alu instid0(VALU_DEP_1) | instskip(SKIP_2) | instid1(VALU_DEP_3)
	v_sub_f32_e32 v102, v102, v106
	v_add_f32_e32 v17, v17, v98
	v_sub_f32_e32 v98, v105, v104
	v_sub_f32_e32 v102, v102, v105
	s_delay_alu instid0(VALU_DEP_1) | instskip(NEXT) | instid1(VALU_DEP_1)
	v_dual_sub_f32 v98, v98, v100 :: v_dual_add_f32 v17, v17, v102
	v_add_f32_e32 v17, v98, v17
	s_delay_alu instid0(VALU_DEP_1) | instskip(NEXT) | instid1(VALU_DEP_1)
	v_add_f32_e32 v98, v106, v17
	v_mul_f32_e32 v100, v97, v98
	s_delay_alu instid0(VALU_DEP_1) | instskip(NEXT) | instid1(VALU_DEP_1)
	v_dual_sub_f32 v105, v106, v98 :: v_dual_mul_f32 v102, v101, v100
	v_add_f32_e32 v17, v17, v105
	s_delay_alu instid0(VALU_DEP_2) | instskip(NEXT) | instid1(VALU_DEP_1)
	v_fma_f32 v101, v100, v101, -v102
	v_fmac_f32_e32 v101, v100, v99
	s_delay_alu instid0(VALU_DEP_1) | instskip(NEXT) | instid1(VALU_DEP_1)
	v_add_f32_e32 v99, v102, v101
	v_sub_f32_e32 v104, v98, v99
	s_delay_alu instid0(VALU_DEP_1) | instskip(NEXT) | instid1(VALU_DEP_1)
	v_sub_f32_e32 v98, v98, v104
	v_sub_f32_e32 v98, v98, v99
	s_delay_alu instid0(VALU_DEP_1) | instskip(SKIP_1) | instid1(VALU_DEP_1)
	v_dual_add_f32 v17, v17, v98 :: v_dual_add_f32 v98, v103, v100
	v_sub_f32_e32 v102, v99, v102
	v_sub_f32_e32 v99, v102, v101
	s_delay_alu instid0(VALU_DEP_1) | instskip(NEXT) | instid1(VALU_DEP_4)
	v_add_f32_e32 v17, v99, v17
	v_sub_f32_e32 v99, v98, v103
	s_delay_alu instid0(VALU_DEP_2) | instskip(NEXT) | instid1(VALU_DEP_2)
	v_add_f32_e32 v17, v104, v17
	v_sub_f32_e32 v99, v100, v99
	s_delay_alu instid0(VALU_DEP_2) | instskip(NEXT) | instid1(VALU_DEP_1)
	v_mul_f32_e32 v17, v97, v17
	v_add_f32_e32 v17, v99, v17
	s_delay_alu instid0(VALU_DEP_1) | instskip(NEXT) | instid1(VALU_DEP_1)
	v_add_f32_e32 v97, v98, v17
	v_mul_f32_e32 v99, v97, v97
	s_delay_alu instid0(VALU_DEP_1) | instskip(SKIP_1) | instid1(VALU_DEP_2)
	v_fmaak_f32 v100, s84, v99, 0x3ecc95a3
	v_mul_f32_e32 v101, v97, v99
	v_fmaak_f32 v99, v99, v100, 0x3f2aaada
	v_ldexp_f32 v100, v97, 1
	v_sub_f32_e32 v97, v97, v98
	s_delay_alu instid0(VALU_DEP_3) | instskip(SKIP_1) | instid1(VALU_DEP_2)
	v_mul_f32_e32 v99, v101, v99
	v_mul_f32_e32 v101, 0x3f317218, v96
	v_dual_sub_f32 v17, v17, v97 :: v_dual_add_f32 v98, v100, v99
	s_delay_alu instid0(VALU_DEP_1) | instskip(NEXT) | instid1(VALU_DEP_2)
	v_ldexp_f32 v17, v17, 1
	v_sub_f32_e32 v97, v98, v100
	s_delay_alu instid0(VALU_DEP_4) | instskip(NEXT) | instid1(VALU_DEP_1)
	v_fma_f32 v100, 0x3f317218, v96, -v101
	v_dual_sub_f32 v97, v99, v97 :: v_dual_fmac_f32 v100, 0xb102e308, v96
	s_delay_alu instid0(VALU_DEP_1) | instskip(NEXT) | instid1(VALU_DEP_1)
	v_add_f32_e32 v17, v17, v97
	v_dual_add_f32 v96, v101, v100 :: v_dual_add_f32 v97, v98, v17
	s_delay_alu instid0(VALU_DEP_1) | instskip(NEXT) | instid1(VALU_DEP_2)
	v_sub_f32_e32 v101, v96, v101
	v_dual_add_f32 v99, v96, v97 :: v_dual_sub_f32 v98, v97, v98
	s_delay_alu instid0(VALU_DEP_2) | instskip(NEXT) | instid1(VALU_DEP_2)
	v_sub_f32_e32 v100, v100, v101
	v_dual_sub_f32 v102, v99, v96 :: v_dual_sub_f32 v17, v17, v98
	s_delay_alu instid0(VALU_DEP_1) | instskip(NEXT) | instid1(VALU_DEP_2)
	v_sub_f32_e32 v103, v99, v102
	v_dual_sub_f32 v97, v97, v102 :: v_dual_add_f32 v98, v100, v17
	s_delay_alu instid0(VALU_DEP_2) | instskip(NEXT) | instid1(VALU_DEP_1)
	v_sub_f32_e32 v96, v96, v103
	v_add_f32_e32 v96, v97, v96
	s_delay_alu instid0(VALU_DEP_3) | instskip(NEXT) | instid1(VALU_DEP_2)
	v_sub_f32_e32 v97, v98, v100
	v_add_f32_e32 v96, v98, v96
	s_delay_alu instid0(VALU_DEP_2) | instskip(SKIP_1) | instid1(VALU_DEP_2)
	v_sub_f32_e32 v98, v98, v97
	v_sub_f32_e32 v17, v17, v97
	v_dual_add_f32 v101, v99, v96 :: v_dual_sub_f32 v98, v100, v98
	s_delay_alu instid0(VALU_DEP_1) | instskip(NEXT) | instid1(VALU_DEP_1)
	v_sub_f32_e32 v97, v101, v99
	v_dual_add_f32 v17, v17, v98 :: v_dual_sub_f32 v96, v96, v97
	s_delay_alu instid0(VALU_DEP_1) | instskip(NEXT) | instid1(VALU_DEP_1)
	v_add_f32_e32 v17, v17, v96
	v_add_f32_e32 v17, v101, v17
	s_delay_alu instid0(VALU_DEP_1)
	v_cndmask_b32_e32 v96, v17, v12, vcc_lo
.LBB124_80:                             ;   in Loop: Header=BB124_12 Depth=1
	s_or_b32 exec_lo, exec_lo, s30
	v_lshrrev_b32_e32 v12, 16, v13
	s_delay_alu instid0(VALU_DEP_1) | instskip(NEXT) | instid1(VALU_DEP_1)
	v_cvt_f32_f16_e32 v12, v12
	v_add_f32_e32 v97, s67, v12
	s_delay_alu instid0(VALU_DEP_1) | instskip(SKIP_1) | instid1(SALU_CYCLE_1)
	v_cmp_ge_f32_e32 vcc_lo, 0x41a00000, v97
	s_and_b32 s29, s80, vcc_lo
	s_and_saveexec_b32 s30, s29
	s_cbranch_execz .LBB124_82
; %bb.81:                               ;   in Loop: Header=BB124_12 Depth=1
	v_mul_f32_e32 v12, 0x3fb8aa3b, v97
	v_cmp_ngt_f32_e32 vcc_lo, 0xc2ce8ed0, v97
	s_delay_alu instid0(VALU_DEP_2) | instskip(SKIP_1) | instid1(VALU_DEP_2)
	v_rndne_f32_e32 v13, v12
	v_fma_f32 v17, 0x3fb8aa3b, v97, -v12
	v_sub_f32_e32 v12, v12, v13
	s_delay_alu instid0(VALU_DEP_2) | instskip(SKIP_1) | instid1(VALU_DEP_2)
	v_fmac_f32_e32 v17, 0x32a5705f, v97
	v_cvt_i32_f32_e32 v13, v13
	v_add_f32_e32 v12, v12, v17
	s_delay_alu instid0(VALU_DEP_1) | instskip(SKIP_2) | instid1(VALU_DEP_1)
	v_exp_f32_e32 v12, v12
	s_waitcnt_depctr 0xfff
	v_ldexp_f32 v12, v12, v13
	v_cndmask_b32_e32 v12, 0, v12, vcc_lo
	v_cmp_nlt_f32_e32 vcc_lo, 0x42b17218, v97
	s_delay_alu instid0(VALU_DEP_2) | instskip(NEXT) | instid1(VALU_DEP_1)
	v_cndmask_b32_e32 v17, 0x7f800000, v12, vcc_lo
	v_add_f32_e32 v97, 1.0, v17
	s_delay_alu instid0(VALU_DEP_1) | instskip(NEXT) | instid1(VALU_DEP_1)
	v_cvt_f64_f32_e32 v[12:13], v97
	v_frexp_exp_i32_f64_e32 v12, v[12:13]
	v_frexp_mant_f32_e32 v13, v97
	s_delay_alu instid0(VALU_DEP_1) | instskip(SKIP_1) | instid1(VALU_DEP_1)
	v_cmp_gt_f32_e32 vcc_lo, 0x3f2aaaab, v13
	v_add_f32_e32 v13, -1.0, v97
	v_sub_f32_e32 v99, v13, v97
	s_delay_alu instid0(VALU_DEP_1) | instskip(SKIP_1) | instid1(VALU_DEP_1)
	v_add_f32_e32 v99, 1.0, v99
	v_subrev_co_ci_u32_e32 v12, vcc_lo, 0, v12, vcc_lo
	v_sub_nc_u32_e32 v98, 0, v12
	v_cvt_f32_i32_e32 v12, v12
	s_delay_alu instid0(VALU_DEP_2) | instskip(NEXT) | instid1(VALU_DEP_1)
	v_ldexp_f32 v97, v97, v98
	v_add_f32_e32 v100, 1.0, v97
	v_sub_f32_e32 v13, v17, v13
	v_cmp_eq_f32_e32 vcc_lo, 0x7f800000, v17
	v_cmp_gt_f32_e64 s29, 0x33800000, v17
	s_delay_alu instid0(VALU_DEP_3) | instskip(SKIP_1) | instid1(VALU_DEP_3)
	v_add_f32_e32 v13, v13, v99
	v_add_f32_e32 v99, -1.0, v100
	s_or_b32 vcc_lo, s29, vcc_lo
	s_delay_alu instid0(VALU_DEP_2) | instskip(NEXT) | instid1(VALU_DEP_2)
	v_ldexp_f32 v13, v13, v98
	v_dual_add_f32 v98, -1.0, v97 :: v_dual_sub_f32 v99, v97, v99
	s_delay_alu instid0(VALU_DEP_1) | instskip(NEXT) | instid1(VALU_DEP_2)
	v_add_f32_e32 v101, 1.0, v98
	v_add_f32_e32 v99, v13, v99
	s_delay_alu instid0(VALU_DEP_2) | instskip(NEXT) | instid1(VALU_DEP_1)
	v_sub_f32_e32 v97, v97, v101
	v_add_f32_e32 v13, v13, v97
	s_delay_alu instid0(VALU_DEP_1) | instskip(NEXT) | instid1(VALU_DEP_1)
	v_dual_add_f32 v102, v98, v13 :: v_dual_add_f32 v101, v100, v99
	v_sub_f32_e32 v98, v98, v102
	s_delay_alu instid0(VALU_DEP_2) | instskip(NEXT) | instid1(VALU_DEP_1)
	v_rcp_f32_e32 v97, v101
	v_dual_sub_f32 v100, v100, v101 :: v_dual_add_f32 v13, v13, v98
	s_delay_alu instid0(VALU_DEP_1) | instskip(SKIP_2) | instid1(VALU_DEP_1)
	v_add_f32_e32 v99, v99, v100
	s_waitcnt_depctr 0xfff
	v_mul_f32_e32 v103, v102, v97
	v_mul_f32_e32 v104, v101, v103
	s_delay_alu instid0(VALU_DEP_1) | instskip(NEXT) | instid1(VALU_DEP_1)
	v_fma_f32 v100, v103, v101, -v104
	v_fmac_f32_e32 v100, v103, v99
	s_delay_alu instid0(VALU_DEP_1) | instskip(NEXT) | instid1(VALU_DEP_1)
	v_add_f32_e32 v105, v104, v100
	v_sub_f32_e32 v106, v102, v105
	v_sub_f32_e32 v98, v105, v104
	s_delay_alu instid0(VALU_DEP_2) | instskip(NEXT) | instid1(VALU_DEP_2)
	v_sub_f32_e32 v102, v102, v106
	v_sub_f32_e32 v98, v98, v100
	s_delay_alu instid0(VALU_DEP_2) | instskip(NEXT) | instid1(VALU_DEP_1)
	v_sub_f32_e32 v102, v102, v105
	v_add_f32_e32 v13, v13, v102
	s_delay_alu instid0(VALU_DEP_1) | instskip(NEXT) | instid1(VALU_DEP_1)
	v_add_f32_e32 v13, v98, v13
	v_add_f32_e32 v98, v106, v13
	s_delay_alu instid0(VALU_DEP_1) | instskip(NEXT) | instid1(VALU_DEP_1)
	v_mul_f32_e32 v100, v97, v98
	v_dual_sub_f32 v105, v106, v98 :: v_dual_mul_f32 v102, v101, v100
	s_delay_alu instid0(VALU_DEP_1) | instskip(NEXT) | instid1(VALU_DEP_1)
	v_fma_f32 v101, v100, v101, -v102
	v_fmac_f32_e32 v101, v100, v99
	s_delay_alu instid0(VALU_DEP_1) | instskip(NEXT) | instid1(VALU_DEP_1)
	v_add_f32_e32 v99, v102, v101
	v_dual_add_f32 v13, v13, v105 :: v_dual_sub_f32 v104, v98, v99
	s_delay_alu instid0(VALU_DEP_1) | instskip(NEXT) | instid1(VALU_DEP_1)
	v_sub_f32_e32 v98, v98, v104
	v_sub_f32_e32 v98, v98, v99
	s_delay_alu instid0(VALU_DEP_1) | instskip(SKIP_1) | instid1(VALU_DEP_1)
	v_dual_add_f32 v13, v13, v98 :: v_dual_add_f32 v98, v103, v100
	v_sub_f32_e32 v102, v99, v102
	v_sub_f32_e32 v99, v102, v101
	s_delay_alu instid0(VALU_DEP_1) | instskip(NEXT) | instid1(VALU_DEP_4)
	v_add_f32_e32 v13, v99, v13
	v_sub_f32_e32 v99, v98, v103
	s_delay_alu instid0(VALU_DEP_2) | instskip(NEXT) | instid1(VALU_DEP_2)
	v_add_f32_e32 v13, v104, v13
	v_sub_f32_e32 v99, v100, v99
	s_delay_alu instid0(VALU_DEP_2) | instskip(NEXT) | instid1(VALU_DEP_1)
	v_mul_f32_e32 v13, v97, v13
	v_add_f32_e32 v13, v99, v13
	s_delay_alu instid0(VALU_DEP_1) | instskip(NEXT) | instid1(VALU_DEP_1)
	v_add_f32_e32 v97, v98, v13
	v_mul_f32_e32 v99, v97, v97
	s_delay_alu instid0(VALU_DEP_1) | instskip(SKIP_1) | instid1(VALU_DEP_2)
	v_fmaak_f32 v100, s84, v99, 0x3ecc95a3
	v_mul_f32_e32 v101, v97, v99
	v_fmaak_f32 v99, v99, v100, 0x3f2aaada
	v_ldexp_f32 v100, v97, 1
	v_sub_f32_e32 v97, v97, v98
	s_delay_alu instid0(VALU_DEP_3) | instskip(SKIP_1) | instid1(VALU_DEP_2)
	v_mul_f32_e32 v99, v101, v99
	v_mul_f32_e32 v101, 0x3f317218, v12
	v_dual_sub_f32 v13, v13, v97 :: v_dual_add_f32 v98, v100, v99
	s_delay_alu instid0(VALU_DEP_1) | instskip(NEXT) | instid1(VALU_DEP_2)
	v_ldexp_f32 v13, v13, 1
	v_sub_f32_e32 v97, v98, v100
	s_delay_alu instid0(VALU_DEP_4) | instskip(NEXT) | instid1(VALU_DEP_1)
	v_fma_f32 v100, 0x3f317218, v12, -v101
	v_dual_sub_f32 v97, v99, v97 :: v_dual_fmac_f32 v100, 0xb102e308, v12
	s_delay_alu instid0(VALU_DEP_1) | instskip(NEXT) | instid1(VALU_DEP_2)
	v_add_f32_e32 v12, v13, v97
	v_add_f32_e32 v13, v101, v100
	s_delay_alu instid0(VALU_DEP_2) | instskip(NEXT) | instid1(VALU_DEP_2)
	v_add_f32_e32 v97, v98, v12
	v_sub_f32_e32 v101, v13, v101
	s_delay_alu instid0(VALU_DEP_2) | instskip(SKIP_1) | instid1(VALU_DEP_3)
	v_add_f32_e32 v99, v13, v97
	v_sub_f32_e32 v98, v97, v98
	v_sub_f32_e32 v100, v100, v101
	s_delay_alu instid0(VALU_DEP_3) | instskip(NEXT) | instid1(VALU_DEP_3)
	v_sub_f32_e32 v102, v99, v13
	v_sub_f32_e32 v12, v12, v98
	s_delay_alu instid0(VALU_DEP_2) | instskip(NEXT) | instid1(VALU_DEP_2)
	v_sub_f32_e32 v103, v99, v102
	v_dual_sub_f32 v97, v97, v102 :: v_dual_add_f32 v98, v100, v12
	s_delay_alu instid0(VALU_DEP_2) | instskip(NEXT) | instid1(VALU_DEP_1)
	v_sub_f32_e32 v13, v13, v103
	v_add_f32_e32 v13, v97, v13
	s_delay_alu instid0(VALU_DEP_3) | instskip(NEXT) | instid1(VALU_DEP_2)
	v_sub_f32_e32 v97, v98, v100
	v_add_f32_e32 v13, v98, v13
	s_delay_alu instid0(VALU_DEP_2) | instskip(SKIP_1) | instid1(VALU_DEP_1)
	v_sub_f32_e32 v12, v12, v97
	v_sub_f32_e32 v98, v98, v97
	v_dual_add_f32 v101, v99, v13 :: v_dual_sub_f32 v98, v100, v98
	s_delay_alu instid0(VALU_DEP_1) | instskip(NEXT) | instid1(VALU_DEP_1)
	v_dual_sub_f32 v97, v101, v99 :: v_dual_add_f32 v12, v12, v98
	v_sub_f32_e32 v13, v13, v97
	s_delay_alu instid0(VALU_DEP_1) | instskip(NEXT) | instid1(VALU_DEP_1)
	v_add_f32_e32 v12, v12, v13
	v_add_f32_e32 v12, v101, v12
	s_delay_alu instid0(VALU_DEP_1)
	v_cndmask_b32_e32 v97, v12, v17, vcc_lo
.LBB124_82:                             ;   in Loop: Header=BB124_12 Depth=1
	s_or_b32 exec_lo, exec_lo, s30
	v_cvt_f32_f16_e32 v12, v14
	s_delay_alu instid0(VALU_DEP_1) | instskip(NEXT) | instid1(VALU_DEP_1)
	v_add_f32_e32 v98, s67, v12
	v_cmp_ge_f32_e32 vcc_lo, 0x41a00000, v98
	s_and_b32 s29, s80, vcc_lo
	s_delay_alu instid0(SALU_CYCLE_1)
	s_and_saveexec_b32 s30, s29
	s_cbranch_execz .LBB124_84
; %bb.83:                               ;   in Loop: Header=BB124_12 Depth=1
	v_mul_f32_e32 v12, 0x3fb8aa3b, v98
	v_cmp_ngt_f32_e32 vcc_lo, 0xc2ce8ed0, v98
	s_delay_alu instid0(VALU_DEP_2) | instskip(SKIP_1) | instid1(VALU_DEP_1)
	v_rndne_f32_e32 v13, v12
	v_fma_f32 v17, 0x3fb8aa3b, v98, -v12
	v_dual_sub_f32 v12, v12, v13 :: v_dual_fmac_f32 v17, 0x32a5705f, v98
	v_cvt_i32_f32_e32 v13, v13
	s_delay_alu instid0(VALU_DEP_2) | instskip(NEXT) | instid1(VALU_DEP_1)
	v_add_f32_e32 v12, v12, v17
	v_exp_f32_e32 v12, v12
	s_waitcnt_depctr 0xfff
	v_ldexp_f32 v12, v12, v13
	s_delay_alu instid0(VALU_DEP_1) | instskip(SKIP_1) | instid1(VALU_DEP_2)
	v_cndmask_b32_e32 v12, 0, v12, vcc_lo
	v_cmp_nlt_f32_e32 vcc_lo, 0x42b17218, v98
	v_cndmask_b32_e32 v17, 0x7f800000, v12, vcc_lo
	s_delay_alu instid0(VALU_DEP_1) | instskip(NEXT) | instid1(VALU_DEP_1)
	v_add_f32_e32 v98, 1.0, v17
	v_cvt_f64_f32_e32 v[12:13], v98
	s_delay_alu instid0(VALU_DEP_1) | instskip(SKIP_1) | instid1(VALU_DEP_1)
	v_frexp_exp_i32_f64_e32 v12, v[12:13]
	v_frexp_mant_f32_e32 v13, v98
	v_cmp_gt_f32_e32 vcc_lo, 0x3f2aaaab, v13
	v_add_f32_e32 v13, -1.0, v98
	s_delay_alu instid0(VALU_DEP_1) | instskip(SKIP_2) | instid1(VALU_DEP_3)
	v_sub_f32_e32 v100, v13, v98
	v_sub_f32_e32 v13, v17, v13
	v_cmp_gt_f32_e64 s29, 0x33800000, v17
	v_add_f32_e32 v100, 1.0, v100
	s_delay_alu instid0(VALU_DEP_1) | instskip(SKIP_2) | instid1(VALU_DEP_2)
	v_add_f32_e32 v13, v13, v100
	v_subrev_co_ci_u32_e32 v12, vcc_lo, 0, v12, vcc_lo
	v_cmp_eq_f32_e32 vcc_lo, 0x7f800000, v17
	v_sub_nc_u32_e32 v99, 0, v12
	v_cvt_f32_i32_e32 v12, v12
	s_or_b32 vcc_lo, s29, vcc_lo
	s_delay_alu instid0(VALU_DEP_2) | instskip(SKIP_1) | instid1(VALU_DEP_2)
	v_ldexp_f32 v98, v98, v99
	v_ldexp_f32 v13, v13, v99
	v_add_f32_e32 v99, -1.0, v98
	s_delay_alu instid0(VALU_DEP_1) | instskip(NEXT) | instid1(VALU_DEP_1)
	v_dual_add_f32 v101, 1.0, v98 :: v_dual_add_f32 v102, 1.0, v99
	v_add_f32_e32 v100, -1.0, v101
	s_delay_alu instid0(VALU_DEP_1) | instskip(NEXT) | instid1(VALU_DEP_3)
	v_sub_f32_e32 v100, v98, v100
	v_sub_f32_e32 v98, v98, v102
	s_delay_alu instid0(VALU_DEP_2) | instskip(NEXT) | instid1(VALU_DEP_2)
	v_add_f32_e32 v100, v13, v100
	v_add_f32_e32 v13, v13, v98
	s_delay_alu instid0(VALU_DEP_1) | instskip(NEXT) | instid1(VALU_DEP_1)
	v_dual_add_f32 v103, v99, v13 :: v_dual_add_f32 v102, v101, v100
	v_sub_f32_e32 v99, v99, v103
	s_delay_alu instid0(VALU_DEP_2) | instskip(SKIP_1) | instid1(VALU_DEP_1)
	v_rcp_f32_e32 v98, v102
	v_sub_f32_e32 v101, v101, v102
	v_dual_add_f32 v13, v13, v99 :: v_dual_add_f32 v100, v100, v101
	s_waitcnt_depctr 0xfff
	v_mul_f32_e32 v104, v103, v98
	s_delay_alu instid0(VALU_DEP_1) | instskip(NEXT) | instid1(VALU_DEP_1)
	v_mul_f32_e32 v105, v102, v104
	v_fma_f32 v101, v104, v102, -v105
	s_delay_alu instid0(VALU_DEP_1) | instskip(NEXT) | instid1(VALU_DEP_1)
	v_fmac_f32_e32 v101, v104, v100
	v_add_f32_e32 v106, v105, v101
	s_delay_alu instid0(VALU_DEP_1) | instskip(SKIP_1) | instid1(VALU_DEP_2)
	v_sub_f32_e32 v107, v103, v106
	v_sub_f32_e32 v99, v106, v105
	;; [unrolled: 1-line block ×3, first 2 shown]
	s_delay_alu instid0(VALU_DEP_2) | instskip(NEXT) | instid1(VALU_DEP_2)
	v_sub_f32_e32 v99, v99, v101
	v_sub_f32_e32 v103, v103, v106
	s_delay_alu instid0(VALU_DEP_1) | instskip(NEXT) | instid1(VALU_DEP_1)
	v_add_f32_e32 v13, v13, v103
	v_add_f32_e32 v13, v99, v13
	s_delay_alu instid0(VALU_DEP_1) | instskip(NEXT) | instid1(VALU_DEP_1)
	v_add_f32_e32 v99, v107, v13
	v_mul_f32_e32 v101, v98, v99
	s_delay_alu instid0(VALU_DEP_1) | instskip(NEXT) | instid1(VALU_DEP_1)
	v_dual_sub_f32 v106, v107, v99 :: v_dual_mul_f32 v103, v102, v101
	v_add_f32_e32 v13, v13, v106
	s_delay_alu instid0(VALU_DEP_2) | instskip(NEXT) | instid1(VALU_DEP_1)
	v_fma_f32 v102, v101, v102, -v103
	v_fmac_f32_e32 v102, v101, v100
	s_delay_alu instid0(VALU_DEP_1) | instskip(NEXT) | instid1(VALU_DEP_1)
	v_add_f32_e32 v100, v103, v102
	v_sub_f32_e32 v105, v99, v100
	s_delay_alu instid0(VALU_DEP_1) | instskip(NEXT) | instid1(VALU_DEP_1)
	v_sub_f32_e32 v99, v99, v105
	v_sub_f32_e32 v99, v99, v100
	s_delay_alu instid0(VALU_DEP_1) | instskip(SKIP_2) | instid1(VALU_DEP_1)
	v_add_f32_e32 v13, v13, v99
	v_add_f32_e32 v99, v104, v101
	v_sub_f32_e32 v103, v100, v103
	v_sub_f32_e32 v100, v103, v102
	s_delay_alu instid0(VALU_DEP_1) | instskip(NEXT) | instid1(VALU_DEP_1)
	v_dual_add_f32 v13, v100, v13 :: v_dual_sub_f32 v100, v99, v104
	v_add_f32_e32 v13, v105, v13
	s_delay_alu instid0(VALU_DEP_1) | instskip(NEXT) | instid1(VALU_DEP_1)
	v_dual_sub_f32 v100, v101, v100 :: v_dual_mul_f32 v13, v98, v13
	v_add_f32_e32 v13, v100, v13
	s_delay_alu instid0(VALU_DEP_1) | instskip(NEXT) | instid1(VALU_DEP_1)
	v_add_f32_e32 v98, v99, v13
	v_mul_f32_e32 v100, v98, v98
	s_delay_alu instid0(VALU_DEP_1) | instskip(SKIP_1) | instid1(VALU_DEP_2)
	v_fmaak_f32 v101, s84, v100, 0x3ecc95a3
	v_mul_f32_e32 v102, v98, v100
	v_fmaak_f32 v100, v100, v101, 0x3f2aaada
	v_ldexp_f32 v101, v98, 1
	v_sub_f32_e32 v98, v98, v99
	s_delay_alu instid0(VALU_DEP_3) | instskip(NEXT) | instid1(VALU_DEP_2)
	v_mul_f32_e32 v100, v102, v100
	v_dual_mul_f32 v102, 0x3f317218, v12 :: v_dual_sub_f32 v13, v13, v98
	s_delay_alu instid0(VALU_DEP_2) | instskip(NEXT) | instid1(VALU_DEP_2)
	v_add_f32_e32 v99, v101, v100
	v_ldexp_f32 v13, v13, 1
	s_delay_alu instid0(VALU_DEP_2) | instskip(NEXT) | instid1(VALU_DEP_4)
	v_sub_f32_e32 v98, v99, v101
	v_fma_f32 v101, 0x3f317218, v12, -v102
	s_delay_alu instid0(VALU_DEP_1) | instskip(NEXT) | instid1(VALU_DEP_1)
	v_dual_sub_f32 v98, v100, v98 :: v_dual_fmac_f32 v101, 0xb102e308, v12
	v_add_f32_e32 v12, v13, v98
	s_delay_alu instid0(VALU_DEP_1) | instskip(NEXT) | instid1(VALU_DEP_1)
	v_add_f32_e32 v98, v99, v12
	v_sub_f32_e32 v99, v98, v99
	s_delay_alu instid0(VALU_DEP_1) | instskip(NEXT) | instid1(VALU_DEP_1)
	v_dual_sub_f32 v12, v12, v99 :: v_dual_add_f32 v13, v102, v101
	v_add_f32_e32 v100, v13, v98
	s_delay_alu instid0(VALU_DEP_1) | instskip(NEXT) | instid1(VALU_DEP_1)
	v_dual_sub_f32 v102, v13, v102 :: v_dual_sub_f32 v103, v100, v13
	v_dual_sub_f32 v101, v101, v102 :: v_dual_sub_f32 v104, v100, v103
	s_delay_alu instid0(VALU_DEP_1) | instskip(NEXT) | instid1(VALU_DEP_2)
	v_dual_sub_f32 v98, v98, v103 :: v_dual_add_f32 v99, v101, v12
	v_sub_f32_e32 v13, v13, v104
	s_delay_alu instid0(VALU_DEP_1) | instskip(NEXT) | instid1(VALU_DEP_3)
	v_add_f32_e32 v13, v98, v13
	v_sub_f32_e32 v98, v99, v101
	s_delay_alu instid0(VALU_DEP_2) | instskip(NEXT) | instid1(VALU_DEP_2)
	v_add_f32_e32 v13, v99, v13
	v_sub_f32_e32 v99, v99, v98
	v_sub_f32_e32 v12, v12, v98
	s_delay_alu instid0(VALU_DEP_2) | instskip(NEXT) | instid1(VALU_DEP_1)
	v_dual_add_f32 v102, v100, v13 :: v_dual_sub_f32 v99, v101, v99
	v_sub_f32_e32 v98, v102, v100
	s_delay_alu instid0(VALU_DEP_1) | instskip(NEXT) | instid1(VALU_DEP_1)
	v_dual_add_f32 v12, v12, v99 :: v_dual_sub_f32 v13, v13, v98
	v_add_f32_e32 v12, v12, v13
	s_delay_alu instid0(VALU_DEP_1) | instskip(NEXT) | instid1(VALU_DEP_1)
	v_add_f32_e32 v12, v102, v12
	v_cndmask_b32_e32 v98, v12, v17, vcc_lo
.LBB124_84:                             ;   in Loop: Header=BB124_12 Depth=1
	s_or_b32 exec_lo, exec_lo, s30
	v_lshrrev_b32_e32 v12, 16, v14
	s_delay_alu instid0(VALU_DEP_1) | instskip(NEXT) | instid1(VALU_DEP_1)
	v_cvt_f32_f16_e32 v12, v12
	v_add_f32_e32 v99, s67, v12
	s_delay_alu instid0(VALU_DEP_1) | instskip(SKIP_1) | instid1(SALU_CYCLE_1)
	v_cmp_ge_f32_e32 vcc_lo, 0x41a00000, v99
	s_and_b32 s29, s80, vcc_lo
	s_and_saveexec_b32 s30, s29
	s_cbranch_execz .LBB124_86
; %bb.85:                               ;   in Loop: Header=BB124_12 Depth=1
	v_mul_f32_e32 v12, 0x3fb8aa3b, v99
	v_cmp_ngt_f32_e32 vcc_lo, 0xc2ce8ed0, v99
	s_delay_alu instid0(VALU_DEP_2) | instskip(SKIP_1) | instid1(VALU_DEP_2)
	v_rndne_f32_e32 v13, v12
	v_fma_f32 v14, 0x3fb8aa3b, v99, -v12
	v_sub_f32_e32 v12, v12, v13
	s_delay_alu instid0(VALU_DEP_2) | instskip(SKIP_1) | instid1(VALU_DEP_2)
	v_fmac_f32_e32 v14, 0x32a5705f, v99
	v_cvt_i32_f32_e32 v13, v13
	v_add_f32_e32 v12, v12, v14
	s_delay_alu instid0(VALU_DEP_1) | instskip(SKIP_2) | instid1(VALU_DEP_1)
	v_exp_f32_e32 v12, v12
	s_waitcnt_depctr 0xfff
	v_ldexp_f32 v12, v12, v13
	v_cndmask_b32_e32 v12, 0, v12, vcc_lo
	v_cmp_nlt_f32_e32 vcc_lo, 0x42b17218, v99
	s_delay_alu instid0(VALU_DEP_2) | instskip(NEXT) | instid1(VALU_DEP_1)
	v_cndmask_b32_e32 v14, 0x7f800000, v12, vcc_lo
	v_add_f32_e32 v17, 1.0, v14
	s_delay_alu instid0(VALU_DEP_1) | instskip(NEXT) | instid1(VALU_DEP_1)
	v_cvt_f64_f32_e32 v[12:13], v17
	v_frexp_exp_i32_f64_e32 v12, v[12:13]
	v_frexp_mant_f32_e32 v13, v17
	s_delay_alu instid0(VALU_DEP_1) | instskip(SKIP_1) | instid1(VALU_DEP_1)
	v_cmp_gt_f32_e32 vcc_lo, 0x3f2aaaab, v13
	v_add_f32_e32 v13, -1.0, v17
	v_sub_f32_e32 v100, v13, v17
	v_sub_f32_e32 v13, v14, v13
	v_subrev_co_ci_u32_e32 v12, vcc_lo, 0, v12, vcc_lo
	s_delay_alu instid0(VALU_DEP_1) | instskip(SKIP_1) | instid1(VALU_DEP_2)
	v_sub_nc_u32_e32 v99, 0, v12
	v_cvt_f32_i32_e32 v12, v12
	v_ldexp_f32 v17, v17, v99
	s_delay_alu instid0(VALU_DEP_1) | instskip(NEXT) | instid1(VALU_DEP_1)
	v_dual_add_f32 v100, 1.0, v100 :: v_dual_add_f32 v101, 1.0, v17
	v_dual_add_f32 v13, v13, v100 :: v_dual_add_f32 v100, -1.0, v101
	s_delay_alu instid0(VALU_DEP_1) | instskip(SKIP_4) | instid1(VALU_DEP_4)
	v_ldexp_f32 v13, v13, v99
	v_add_f32_e32 v99, -1.0, v17
	v_cmp_eq_f32_e32 vcc_lo, 0x7f800000, v14
	v_cmp_gt_f32_e64 s29, 0x33800000, v14
	v_sub_f32_e32 v100, v17, v100
	v_add_f32_e32 v102, 1.0, v99
	s_delay_alu instid0(VALU_DEP_3) | instskip(NEXT) | instid1(VALU_DEP_2)
	s_or_b32 vcc_lo, s29, vcc_lo
	v_add_f32_e32 v100, v13, v100
	s_delay_alu instid0(VALU_DEP_2) | instskip(NEXT) | instid1(VALU_DEP_1)
	v_sub_f32_e32 v17, v17, v102
	v_add_f32_e32 v13, v13, v17
	s_delay_alu instid0(VALU_DEP_1) | instskip(NEXT) | instid1(VALU_DEP_1)
	v_dual_add_f32 v103, v99, v13 :: v_dual_add_f32 v102, v101, v100
	v_sub_f32_e32 v99, v99, v103
	s_delay_alu instid0(VALU_DEP_2) | instskip(SKIP_1) | instid1(VALU_DEP_1)
	v_rcp_f32_e32 v17, v102
	v_sub_f32_e32 v101, v101, v102
	v_dual_add_f32 v13, v13, v99 :: v_dual_add_f32 v100, v100, v101
	s_waitcnt_depctr 0xfff
	v_mul_f32_e32 v104, v103, v17
	s_delay_alu instid0(VALU_DEP_1) | instskip(NEXT) | instid1(VALU_DEP_1)
	v_mul_f32_e32 v105, v102, v104
	v_fma_f32 v101, v104, v102, -v105
	s_delay_alu instid0(VALU_DEP_1) | instskip(NEXT) | instid1(VALU_DEP_1)
	v_fmac_f32_e32 v101, v104, v100
	v_add_f32_e32 v106, v105, v101
	s_delay_alu instid0(VALU_DEP_1) | instskip(NEXT) | instid1(VALU_DEP_1)
	v_sub_f32_e32 v107, v103, v106
	v_sub_f32_e32 v103, v103, v107
	;; [unrolled: 1-line block ×3, first 2 shown]
	s_delay_alu instid0(VALU_DEP_2) | instskip(NEXT) | instid1(VALU_DEP_2)
	v_sub_f32_e32 v103, v103, v106
	v_sub_f32_e32 v99, v99, v101
	s_delay_alu instid0(VALU_DEP_2) | instskip(NEXT) | instid1(VALU_DEP_1)
	v_add_f32_e32 v13, v13, v103
	v_add_f32_e32 v13, v99, v13
	s_delay_alu instid0(VALU_DEP_1) | instskip(NEXT) | instid1(VALU_DEP_1)
	v_add_f32_e32 v99, v107, v13
	v_mul_f32_e32 v101, v17, v99
	s_delay_alu instid0(VALU_DEP_1) | instskip(NEXT) | instid1(VALU_DEP_1)
	v_dual_sub_f32 v106, v107, v99 :: v_dual_mul_f32 v103, v102, v101
	v_add_f32_e32 v13, v13, v106
	s_delay_alu instid0(VALU_DEP_2) | instskip(NEXT) | instid1(VALU_DEP_1)
	v_fma_f32 v102, v101, v102, -v103
	v_fmac_f32_e32 v102, v101, v100
	s_delay_alu instid0(VALU_DEP_1) | instskip(NEXT) | instid1(VALU_DEP_1)
	v_add_f32_e32 v100, v103, v102
	v_sub_f32_e32 v105, v99, v100
	v_sub_f32_e32 v103, v100, v103
	s_delay_alu instid0(VALU_DEP_2) | instskip(NEXT) | instid1(VALU_DEP_1)
	v_sub_f32_e32 v99, v99, v105
	v_sub_f32_e32 v99, v99, v100
	s_delay_alu instid0(VALU_DEP_1) | instskip(SKIP_1) | instid1(VALU_DEP_1)
	v_dual_sub_f32 v100, v103, v102 :: v_dual_add_f32 v13, v13, v99
	v_add_f32_e32 v99, v104, v101
	v_dual_add_f32 v13, v100, v13 :: v_dual_sub_f32 v100, v99, v104
	s_delay_alu instid0(VALU_DEP_1) | instskip(NEXT) | instid1(VALU_DEP_2)
	v_add_f32_e32 v13, v105, v13
	v_sub_f32_e32 v100, v101, v100
	s_delay_alu instid0(VALU_DEP_2) | instskip(NEXT) | instid1(VALU_DEP_1)
	v_mul_f32_e32 v13, v17, v13
	v_add_f32_e32 v13, v100, v13
	s_delay_alu instid0(VALU_DEP_1) | instskip(NEXT) | instid1(VALU_DEP_1)
	v_add_f32_e32 v17, v99, v13
	v_mul_f32_e32 v100, v17, v17
	s_delay_alu instid0(VALU_DEP_1) | instskip(SKIP_1) | instid1(VALU_DEP_2)
	v_fmaak_f32 v101, s84, v100, 0x3ecc95a3
	v_mul_f32_e32 v102, v17, v100
	v_fmaak_f32 v100, v100, v101, 0x3f2aaada
	v_ldexp_f32 v101, v17, 1
	s_delay_alu instid0(VALU_DEP_2) | instskip(NEXT) | instid1(VALU_DEP_1)
	v_dual_sub_f32 v17, v17, v99 :: v_dual_mul_f32 v100, v102, v100
	v_dual_mul_f32 v102, 0x3f317218, v12 :: v_dual_sub_f32 v13, v13, v17
	s_delay_alu instid0(VALU_DEP_2) | instskip(NEXT) | instid1(VALU_DEP_2)
	v_add_f32_e32 v99, v101, v100
	v_ldexp_f32 v13, v13, 1
	s_delay_alu instid0(VALU_DEP_2) | instskip(NEXT) | instid1(VALU_DEP_4)
	v_sub_f32_e32 v17, v99, v101
	v_fma_f32 v101, 0x3f317218, v12, -v102
	s_delay_alu instid0(VALU_DEP_2) | instskip(NEXT) | instid1(VALU_DEP_1)
	v_sub_f32_e32 v17, v100, v17
	v_dual_fmac_f32 v101, 0xb102e308, v12 :: v_dual_add_f32 v12, v13, v17
	s_delay_alu instid0(VALU_DEP_1) | instskip(NEXT) | instid1(VALU_DEP_1)
	v_add_f32_e32 v13, v102, v101
	v_dual_add_f32 v17, v99, v12 :: v_dual_sub_f32 v102, v13, v102
	s_delay_alu instid0(VALU_DEP_1) | instskip(SKIP_1) | instid1(VALU_DEP_3)
	v_add_f32_e32 v100, v13, v17
	v_sub_f32_e32 v99, v17, v99
	v_sub_f32_e32 v101, v101, v102
	s_delay_alu instid0(VALU_DEP_3) | instskip(NEXT) | instid1(VALU_DEP_3)
	v_sub_f32_e32 v103, v100, v13
	v_sub_f32_e32 v12, v12, v99
	s_delay_alu instid0(VALU_DEP_2) | instskip(SKIP_1) | instid1(VALU_DEP_3)
	v_sub_f32_e32 v104, v100, v103
	v_sub_f32_e32 v17, v17, v103
	v_add_f32_e32 v99, v101, v12
	s_delay_alu instid0(VALU_DEP_3) | instskip(NEXT) | instid1(VALU_DEP_1)
	v_sub_f32_e32 v13, v13, v104
	v_add_f32_e32 v13, v17, v13
	s_delay_alu instid0(VALU_DEP_3) | instskip(NEXT) | instid1(VALU_DEP_2)
	v_sub_f32_e32 v17, v99, v101
	v_add_f32_e32 v13, v99, v13
	s_delay_alu instid0(VALU_DEP_2) | instskip(SKIP_1) | instid1(VALU_DEP_2)
	v_sub_f32_e32 v99, v99, v17
	v_sub_f32_e32 v12, v12, v17
	v_dual_add_f32 v102, v100, v13 :: v_dual_sub_f32 v99, v101, v99
	s_delay_alu instid0(VALU_DEP_1) | instskip(NEXT) | instid1(VALU_DEP_1)
	v_dual_sub_f32 v17, v102, v100 :: v_dual_add_f32 v12, v12, v99
	v_sub_f32_e32 v13, v13, v17
	s_delay_alu instid0(VALU_DEP_1) | instskip(NEXT) | instid1(VALU_DEP_1)
	v_add_f32_e32 v12, v12, v13
	v_add_f32_e32 v12, v102, v12
	s_delay_alu instid0(VALU_DEP_1)
	v_cndmask_b32_e32 v99, v12, v14, vcc_lo
.LBB124_86:                             ;   in Loop: Header=BB124_12 Depth=1
	s_or_b32 exec_lo, exec_lo, s30
	v_cvt_f32_f16_e32 v12, v15
	s_delay_alu instid0(VALU_DEP_1) | instskip(NEXT) | instid1(VALU_DEP_1)
	v_add_f32_e32 v100, s67, v12
	v_cmp_ge_f32_e32 vcc_lo, 0x41a00000, v100
	s_and_b32 s29, s80, vcc_lo
	s_delay_alu instid0(SALU_CYCLE_1)
	s_and_saveexec_b32 s30, s29
	s_cbranch_execz .LBB124_88
; %bb.87:                               ;   in Loop: Header=BB124_12 Depth=1
	v_mul_f32_e32 v12, 0x3fb8aa3b, v100
	v_cmp_ngt_f32_e32 vcc_lo, 0xc2ce8ed0, v100
	s_delay_alu instid0(VALU_DEP_2) | instskip(SKIP_1) | instid1(VALU_DEP_2)
	v_rndne_f32_e32 v13, v12
	v_fma_f32 v14, 0x3fb8aa3b, v100, -v12
	v_sub_f32_e32 v12, v12, v13
	s_delay_alu instid0(VALU_DEP_2) | instskip(SKIP_1) | instid1(VALU_DEP_2)
	v_fmac_f32_e32 v14, 0x32a5705f, v100
	v_cvt_i32_f32_e32 v13, v13
	v_add_f32_e32 v12, v12, v14
	s_delay_alu instid0(VALU_DEP_1) | instskip(SKIP_2) | instid1(VALU_DEP_1)
	v_exp_f32_e32 v12, v12
	s_waitcnt_depctr 0xfff
	v_ldexp_f32 v12, v12, v13
	v_cndmask_b32_e32 v12, 0, v12, vcc_lo
	v_cmp_nlt_f32_e32 vcc_lo, 0x42b17218, v100
	s_delay_alu instid0(VALU_DEP_2) | instskip(NEXT) | instid1(VALU_DEP_1)
	v_cndmask_b32_e32 v14, 0x7f800000, v12, vcc_lo
	v_add_f32_e32 v17, 1.0, v14
	s_delay_alu instid0(VALU_DEP_1) | instskip(NEXT) | instid1(VALU_DEP_1)
	v_cvt_f64_f32_e32 v[12:13], v17
	v_frexp_exp_i32_f64_e32 v12, v[12:13]
	v_frexp_mant_f32_e32 v13, v17
	s_delay_alu instid0(VALU_DEP_1) | instskip(SKIP_1) | instid1(VALU_DEP_1)
	v_cmp_gt_f32_e32 vcc_lo, 0x3f2aaaab, v13
	v_add_f32_e32 v13, -1.0, v17
	v_sub_f32_e32 v101, v13, v17
	s_delay_alu instid0(VALU_DEP_1) | instskip(SKIP_2) | instid1(VALU_DEP_2)
	v_add_f32_e32 v101, 1.0, v101
	v_sub_f32_e32 v13, v14, v13
	v_cmp_gt_f32_e64 s29, 0x33800000, v14
	v_add_f32_e32 v13, v13, v101
	v_subrev_co_ci_u32_e32 v12, vcc_lo, 0, v12, vcc_lo
	v_cmp_eq_f32_e32 vcc_lo, 0x7f800000, v14
	s_delay_alu instid0(VALU_DEP_2) | instskip(SKIP_2) | instid1(VALU_DEP_2)
	v_sub_nc_u32_e32 v100, 0, v12
	v_cvt_f32_i32_e32 v12, v12
	s_or_b32 vcc_lo, s29, vcc_lo
	v_ldexp_f32 v17, v17, v100
	v_ldexp_f32 v13, v13, v100
	s_delay_alu instid0(VALU_DEP_2) | instskip(NEXT) | instid1(VALU_DEP_1)
	v_add_f32_e32 v100, -1.0, v17
	v_dual_add_f32 v102, 1.0, v17 :: v_dual_add_f32 v103, 1.0, v100
	s_delay_alu instid0(VALU_DEP_1) | instskip(NEXT) | instid1(VALU_DEP_1)
	v_add_f32_e32 v101, -1.0, v102
	v_sub_f32_e32 v101, v17, v101
	s_delay_alu instid0(VALU_DEP_3) | instskip(NEXT) | instid1(VALU_DEP_2)
	v_sub_f32_e32 v17, v17, v103
	v_add_f32_e32 v101, v13, v101
	s_delay_alu instid0(VALU_DEP_2) | instskip(NEXT) | instid1(VALU_DEP_1)
	v_add_f32_e32 v13, v13, v17
	v_add_f32_e32 v104, v100, v13
	s_delay_alu instid0(VALU_DEP_1) | instskip(NEXT) | instid1(VALU_DEP_1)
	v_dual_sub_f32 v100, v100, v104 :: v_dual_add_f32 v103, v102, v101
	v_add_f32_e32 v13, v13, v100
	s_delay_alu instid0(VALU_DEP_2) | instskip(SKIP_1) | instid1(VALU_DEP_1)
	v_rcp_f32_e32 v17, v103
	v_sub_f32_e32 v102, v102, v103
	v_add_f32_e32 v101, v101, v102
	s_waitcnt_depctr 0xfff
	v_mul_f32_e32 v105, v104, v17
	s_delay_alu instid0(VALU_DEP_1) | instskip(NEXT) | instid1(VALU_DEP_1)
	v_mul_f32_e32 v106, v103, v105
	v_fma_f32 v102, v105, v103, -v106
	s_delay_alu instid0(VALU_DEP_1) | instskip(NEXT) | instid1(VALU_DEP_1)
	v_fmac_f32_e32 v102, v105, v101
	v_add_f32_e32 v107, v106, v102
	s_delay_alu instid0(VALU_DEP_1) | instskip(SKIP_1) | instid1(VALU_DEP_2)
	v_sub_f32_e32 v108, v104, v107
	v_sub_f32_e32 v100, v107, v106
	;; [unrolled: 1-line block ×3, first 2 shown]
	s_delay_alu instid0(VALU_DEP_1) | instskip(NEXT) | instid1(VALU_DEP_1)
	v_sub_f32_e32 v104, v104, v107
	v_dual_sub_f32 v100, v100, v102 :: v_dual_add_f32 v13, v13, v104
	s_delay_alu instid0(VALU_DEP_1) | instskip(NEXT) | instid1(VALU_DEP_1)
	v_add_f32_e32 v13, v100, v13
	v_add_f32_e32 v100, v108, v13
	s_delay_alu instid0(VALU_DEP_1) | instskip(NEXT) | instid1(VALU_DEP_1)
	v_mul_f32_e32 v102, v17, v100
	v_dual_sub_f32 v107, v108, v100 :: v_dual_mul_f32 v104, v103, v102
	s_delay_alu instid0(VALU_DEP_1) | instskip(NEXT) | instid1(VALU_DEP_2)
	v_add_f32_e32 v13, v13, v107
	v_fma_f32 v103, v102, v103, -v104
	s_delay_alu instid0(VALU_DEP_1) | instskip(NEXT) | instid1(VALU_DEP_1)
	v_fmac_f32_e32 v103, v102, v101
	v_add_f32_e32 v101, v104, v103
	s_delay_alu instid0(VALU_DEP_1) | instskip(NEXT) | instid1(VALU_DEP_1)
	v_sub_f32_e32 v106, v100, v101
	v_sub_f32_e32 v100, v100, v106
	s_delay_alu instid0(VALU_DEP_1) | instskip(NEXT) | instid1(VALU_DEP_1)
	v_sub_f32_e32 v100, v100, v101
	v_add_f32_e32 v13, v13, v100
	v_add_f32_e32 v100, v105, v102
	v_sub_f32_e32 v104, v101, v104
	s_delay_alu instid0(VALU_DEP_1) | instskip(NEXT) | instid1(VALU_DEP_1)
	v_sub_f32_e32 v101, v104, v103
	v_add_f32_e32 v13, v101, v13
	s_delay_alu instid0(VALU_DEP_4) | instskip(NEXT) | instid1(VALU_DEP_2)
	v_sub_f32_e32 v101, v100, v105
	v_add_f32_e32 v13, v106, v13
	s_delay_alu instid0(VALU_DEP_2) | instskip(NEXT) | instid1(VALU_DEP_2)
	v_sub_f32_e32 v101, v102, v101
	v_mul_f32_e32 v13, v17, v13
	s_delay_alu instid0(VALU_DEP_1) | instskip(NEXT) | instid1(VALU_DEP_1)
	v_add_f32_e32 v13, v101, v13
	v_add_f32_e32 v17, v100, v13
	s_delay_alu instid0(VALU_DEP_1) | instskip(NEXT) | instid1(VALU_DEP_1)
	v_mul_f32_e32 v101, v17, v17
	v_fmaak_f32 v102, s84, v101, 0x3ecc95a3
	v_mul_f32_e32 v103, v17, v101
	s_delay_alu instid0(VALU_DEP_2) | instskip(SKIP_1) | instid1(VALU_DEP_2)
	v_fmaak_f32 v101, v101, v102, 0x3f2aaada
	v_ldexp_f32 v102, v17, 1
	v_mul_f32_e32 v101, v103, v101
	s_delay_alu instid0(VALU_DEP_1) | instskip(NEXT) | instid1(VALU_DEP_1)
	v_dual_sub_f32 v17, v17, v100 :: v_dual_add_f32 v100, v102, v101
	v_sub_f32_e32 v13, v13, v17
	s_delay_alu instid0(VALU_DEP_2) | instskip(NEXT) | instid1(VALU_DEP_2)
	v_sub_f32_e32 v17, v100, v102
	v_ldexp_f32 v13, v13, 1
	s_delay_alu instid0(VALU_DEP_2) | instskip(SKIP_1) | instid1(VALU_DEP_1)
	v_sub_f32_e32 v17, v101, v17
	v_mul_f32_e32 v103, 0x3f317218, v12
	v_fma_f32 v102, 0x3f317218, v12, -v103
	s_delay_alu instid0(VALU_DEP_1) | instskip(NEXT) | instid1(VALU_DEP_1)
	v_fmac_f32_e32 v102, 0xb102e308, v12
	v_dual_add_f32 v12, v13, v17 :: v_dual_add_f32 v13, v103, v102
	s_delay_alu instid0(VALU_DEP_1) | instskip(NEXT) | instid1(VALU_DEP_1)
	v_add_f32_e32 v17, v100, v12
	v_add_f32_e32 v101, v13, v17
	v_sub_f32_e32 v100, v17, v100
	s_delay_alu instid0(VALU_DEP_2) | instskip(NEXT) | instid1(VALU_DEP_2)
	v_sub_f32_e32 v104, v101, v13
	v_dual_sub_f32 v12, v12, v100 :: v_dual_sub_f32 v103, v13, v103
	s_delay_alu instid0(VALU_DEP_2) | instskip(NEXT) | instid1(VALU_DEP_2)
	v_sub_f32_e32 v105, v101, v104
	v_dual_sub_f32 v17, v17, v104 :: v_dual_sub_f32 v102, v102, v103
	s_delay_alu instid0(VALU_DEP_1) | instskip(NEXT) | instid1(VALU_DEP_1)
	v_dual_sub_f32 v13, v13, v105 :: v_dual_add_f32 v100, v102, v12
	v_add_f32_e32 v13, v17, v13
	s_delay_alu instid0(VALU_DEP_2) | instskip(NEXT) | instid1(VALU_DEP_2)
	v_sub_f32_e32 v17, v100, v102
	v_add_f32_e32 v13, v100, v13
	s_delay_alu instid0(VALU_DEP_2) | instskip(SKIP_1) | instid1(VALU_DEP_2)
	v_sub_f32_e32 v100, v100, v17
	v_sub_f32_e32 v12, v12, v17
	v_dual_add_f32 v103, v101, v13 :: v_dual_sub_f32 v100, v102, v100
	s_delay_alu instid0(VALU_DEP_1) | instskip(NEXT) | instid1(VALU_DEP_1)
	v_dual_sub_f32 v17, v103, v101 :: v_dual_add_f32 v12, v12, v100
	v_sub_f32_e32 v13, v13, v17
	s_delay_alu instid0(VALU_DEP_1) | instskip(NEXT) | instid1(VALU_DEP_1)
	v_add_f32_e32 v12, v12, v13
	v_add_f32_e32 v12, v103, v12
	s_delay_alu instid0(VALU_DEP_1)
	v_cndmask_b32_e32 v100, v12, v14, vcc_lo
.LBB124_88:                             ;   in Loop: Header=BB124_12 Depth=1
	s_or_b32 exec_lo, exec_lo, s30
	v_lshrrev_b32_e32 v12, 16, v15
	s_delay_alu instid0(VALU_DEP_1) | instskip(NEXT) | instid1(VALU_DEP_1)
	v_cvt_f32_f16_e32 v12, v12
	v_add_f32_e32 v101, s67, v12
	s_delay_alu instid0(VALU_DEP_1) | instskip(SKIP_1) | instid1(SALU_CYCLE_1)
	v_cmp_ge_f32_e32 vcc_lo, 0x41a00000, v101
	s_and_b32 s29, s80, vcc_lo
	s_and_saveexec_b32 s30, s29
	s_cbranch_execz .LBB124_90
; %bb.89:                               ;   in Loop: Header=BB124_12 Depth=1
	v_mul_f32_e32 v12, 0x3fb8aa3b, v101
	v_cmp_ngt_f32_e32 vcc_lo, 0xc2ce8ed0, v101
	s_delay_alu instid0(VALU_DEP_2) | instskip(SKIP_1) | instid1(VALU_DEP_2)
	v_rndne_f32_e32 v13, v12
	v_fma_f32 v14, 0x3fb8aa3b, v101, -v12
	v_sub_f32_e32 v12, v12, v13
	s_delay_alu instid0(VALU_DEP_2) | instskip(SKIP_1) | instid1(VALU_DEP_2)
	v_fmac_f32_e32 v14, 0x32a5705f, v101
	v_cvt_i32_f32_e32 v13, v13
	v_add_f32_e32 v12, v12, v14
	s_delay_alu instid0(VALU_DEP_1) | instskip(SKIP_2) | instid1(VALU_DEP_1)
	v_exp_f32_e32 v12, v12
	s_waitcnt_depctr 0xfff
	v_ldexp_f32 v12, v12, v13
	v_cndmask_b32_e32 v12, 0, v12, vcc_lo
	v_cmp_nlt_f32_e32 vcc_lo, 0x42b17218, v101
	s_delay_alu instid0(VALU_DEP_2) | instskip(NEXT) | instid1(VALU_DEP_1)
	v_cndmask_b32_e32 v14, 0x7f800000, v12, vcc_lo
	v_add_f32_e32 v15, 1.0, v14
	s_delay_alu instid0(VALU_DEP_1) | instskip(NEXT) | instid1(VALU_DEP_1)
	v_cvt_f64_f32_e32 v[12:13], v15
	v_frexp_exp_i32_f64_e32 v12, v[12:13]
	v_frexp_mant_f32_e32 v13, v15
	s_delay_alu instid0(VALU_DEP_1) | instskip(SKIP_1) | instid1(VALU_DEP_1)
	v_cmp_gt_f32_e32 vcc_lo, 0x3f2aaaab, v13
	v_add_f32_e32 v13, -1.0, v15
	v_sub_f32_e32 v101, v13, v15
	v_sub_f32_e32 v13, v14, v13
	s_delay_alu instid0(VALU_DEP_2) | instskip(NEXT) | instid1(VALU_DEP_1)
	v_add_f32_e32 v101, 1.0, v101
	v_add_f32_e32 v13, v13, v101
	v_cmp_gt_f32_e64 s29, 0x33800000, v14
	v_subrev_co_ci_u32_e32 v12, vcc_lo, 0, v12, vcc_lo
	v_cmp_eq_f32_e32 vcc_lo, 0x7f800000, v14
	s_delay_alu instid0(VALU_DEP_2) | instskip(SKIP_2) | instid1(VALU_DEP_2)
	v_sub_nc_u32_e32 v17, 0, v12
	v_cvt_f32_i32_e32 v12, v12
	s_or_b32 vcc_lo, s29, vcc_lo
	v_ldexp_f32 v15, v15, v17
	v_ldexp_f32 v13, v13, v17
	s_delay_alu instid0(VALU_DEP_2) | instskip(SKIP_1) | instid1(VALU_DEP_2)
	v_add_f32_e32 v102, 1.0, v15
	v_add_f32_e32 v17, -1.0, v15
	v_add_f32_e32 v101, -1.0, v102
	s_delay_alu instid0(VALU_DEP_2) | instskip(NEXT) | instid1(VALU_DEP_2)
	v_add_f32_e32 v103, 1.0, v17
	v_sub_f32_e32 v101, v15, v101
	s_delay_alu instid0(VALU_DEP_2) | instskip(NEXT) | instid1(VALU_DEP_2)
	v_sub_f32_e32 v15, v15, v103
	v_add_f32_e32 v101, v13, v101
	s_delay_alu instid0(VALU_DEP_2) | instskip(NEXT) | instid1(VALU_DEP_1)
	v_add_f32_e32 v13, v13, v15
	v_add_f32_e32 v104, v17, v13
	s_delay_alu instid0(VALU_DEP_3) | instskip(NEXT) | instid1(VALU_DEP_1)
	v_add_f32_e32 v103, v102, v101
	v_rcp_f32_e32 v15, v103
	v_sub_f32_e32 v102, v102, v103
	s_delay_alu instid0(VALU_DEP_1) | instskip(SKIP_2) | instid1(VALU_DEP_1)
	v_add_f32_e32 v101, v101, v102
	s_waitcnt_depctr 0xfff
	v_mul_f32_e32 v105, v104, v15
	v_dual_mul_f32 v106, v103, v105 :: v_dual_sub_f32 v17, v17, v104
	s_delay_alu instid0(VALU_DEP_1) | instskip(NEXT) | instid1(VALU_DEP_2)
	v_fma_f32 v102, v105, v103, -v106
	v_add_f32_e32 v13, v13, v17
	s_delay_alu instid0(VALU_DEP_2) | instskip(NEXT) | instid1(VALU_DEP_1)
	v_fmac_f32_e32 v102, v105, v101
	v_add_f32_e32 v107, v106, v102
	s_delay_alu instid0(VALU_DEP_1) | instskip(NEXT) | instid1(VALU_DEP_1)
	v_dual_sub_f32 v108, v104, v107 :: v_dual_sub_f32 v17, v107, v106
	v_dual_sub_f32 v104, v104, v108 :: v_dual_sub_f32 v17, v17, v102
	s_delay_alu instid0(VALU_DEP_1) | instskip(NEXT) | instid1(VALU_DEP_1)
	v_sub_f32_e32 v104, v104, v107
	v_add_f32_e32 v13, v13, v104
	s_delay_alu instid0(VALU_DEP_1) | instskip(NEXT) | instid1(VALU_DEP_1)
	v_add_f32_e32 v13, v17, v13
	v_add_f32_e32 v17, v108, v13
	s_delay_alu instid0(VALU_DEP_1) | instskip(NEXT) | instid1(VALU_DEP_1)
	v_mul_f32_e32 v102, v15, v17
	v_dual_sub_f32 v107, v108, v17 :: v_dual_mul_f32 v104, v103, v102
	s_delay_alu instid0(VALU_DEP_1) | instskip(NEXT) | instid1(VALU_DEP_2)
	v_add_f32_e32 v13, v13, v107
	v_fma_f32 v103, v102, v103, -v104
	s_delay_alu instid0(VALU_DEP_1) | instskip(NEXT) | instid1(VALU_DEP_1)
	v_fmac_f32_e32 v103, v102, v101
	v_add_f32_e32 v101, v104, v103
	s_delay_alu instid0(VALU_DEP_1) | instskip(SKIP_1) | instid1(VALU_DEP_2)
	v_sub_f32_e32 v106, v17, v101
	v_sub_f32_e32 v104, v101, v104
	;; [unrolled: 1-line block ×3, first 2 shown]
	s_delay_alu instid0(VALU_DEP_1) | instskip(NEXT) | instid1(VALU_DEP_3)
	v_sub_f32_e32 v17, v17, v101
	v_sub_f32_e32 v101, v104, v103
	s_delay_alu instid0(VALU_DEP_2) | instskip(SKIP_1) | instid1(VALU_DEP_2)
	v_add_f32_e32 v13, v13, v17
	v_add_f32_e32 v17, v105, v102
	;; [unrolled: 1-line block ×3, first 2 shown]
	s_delay_alu instid0(VALU_DEP_2) | instskip(NEXT) | instid1(VALU_DEP_2)
	v_sub_f32_e32 v101, v17, v105
	v_add_f32_e32 v13, v106, v13
	s_delay_alu instid0(VALU_DEP_2) | instskip(NEXT) | instid1(VALU_DEP_2)
	v_sub_f32_e32 v101, v102, v101
	v_mul_f32_e32 v13, v15, v13
	s_delay_alu instid0(VALU_DEP_1) | instskip(NEXT) | instid1(VALU_DEP_1)
	v_add_f32_e32 v13, v101, v13
	v_add_f32_e32 v15, v17, v13
	s_delay_alu instid0(VALU_DEP_1) | instskip(NEXT) | instid1(VALU_DEP_1)
	v_mul_f32_e32 v101, v15, v15
	v_fmaak_f32 v102, s84, v101, 0x3ecc95a3
	v_mul_f32_e32 v103, v15, v101
	s_delay_alu instid0(VALU_DEP_2) | instskip(SKIP_2) | instid1(VALU_DEP_3)
	v_fmaak_f32 v101, v101, v102, 0x3f2aaada
	v_ldexp_f32 v102, v15, 1
	v_sub_f32_e32 v15, v15, v17
	v_mul_f32_e32 v101, v103, v101
	v_mul_f32_e32 v103, 0x3f317218, v12
	s_delay_alu instid0(VALU_DEP_3) | instskip(NEXT) | instid1(VALU_DEP_3)
	v_sub_f32_e32 v13, v13, v15
	v_add_f32_e32 v17, v102, v101
	s_delay_alu instid0(VALU_DEP_2) | instskip(NEXT) | instid1(VALU_DEP_2)
	v_ldexp_f32 v13, v13, 1
	v_sub_f32_e32 v15, v17, v102
	v_fma_f32 v102, 0x3f317218, v12, -v103
	s_delay_alu instid0(VALU_DEP_1) | instskip(NEXT) | instid1(VALU_DEP_1)
	v_dual_sub_f32 v15, v101, v15 :: v_dual_fmac_f32 v102, 0xb102e308, v12
	v_dual_add_f32 v12, v13, v15 :: v_dual_add_f32 v13, v103, v102
	s_delay_alu instid0(VALU_DEP_1) | instskip(NEXT) | instid1(VALU_DEP_1)
	v_add_f32_e32 v15, v17, v12
	v_add_f32_e32 v101, v13, v15
	v_sub_f32_e32 v17, v15, v17
	s_delay_alu instid0(VALU_DEP_2) | instskip(NEXT) | instid1(VALU_DEP_2)
	v_sub_f32_e32 v104, v101, v13
	v_dual_sub_f32 v103, v13, v103 :: v_dual_sub_f32 v12, v12, v17
	s_delay_alu instid0(VALU_DEP_1) | instskip(SKIP_1) | instid1(VALU_DEP_2)
	v_dual_sub_f32 v105, v101, v104 :: v_dual_sub_f32 v102, v102, v103
	v_sub_f32_e32 v15, v15, v104
	v_sub_f32_e32 v13, v13, v105
	s_delay_alu instid0(VALU_DEP_3) | instskip(NEXT) | instid1(VALU_DEP_2)
	v_add_f32_e32 v17, v102, v12
	v_add_f32_e32 v13, v15, v13
	s_delay_alu instid0(VALU_DEP_2) | instskip(NEXT) | instid1(VALU_DEP_2)
	v_sub_f32_e32 v15, v17, v102
	v_add_f32_e32 v13, v17, v13
	s_delay_alu instid0(VALU_DEP_2) | instskip(NEXT) | instid1(VALU_DEP_2)
	v_sub_f32_e32 v17, v17, v15
	v_dual_sub_f32 v12, v12, v15 :: v_dual_add_f32 v103, v101, v13
	s_delay_alu instid0(VALU_DEP_2) | instskip(NEXT) | instid1(VALU_DEP_2)
	v_sub_f32_e32 v17, v102, v17
	v_sub_f32_e32 v15, v103, v101
	s_delay_alu instid0(VALU_DEP_1) | instskip(NEXT) | instid1(VALU_DEP_1)
	v_dual_add_f32 v12, v12, v17 :: v_dual_sub_f32 v13, v13, v15
	v_add_f32_e32 v12, v12, v13
	s_delay_alu instid0(VALU_DEP_1) | instskip(NEXT) | instid1(VALU_DEP_1)
	v_add_f32_e32 v12, v103, v12
	v_cndmask_b32_e32 v101, v12, v14, vcc_lo
.LBB124_90:                             ;   in Loop: Header=BB124_12 Depth=1
	s_or_b32 exec_lo, exec_lo, s30
	s_waitcnt lgkmcnt(0)
	v_cvt_f32_f16_e32 v12, v8
	s_delay_alu instid0(VALU_DEP_1) | instskip(NEXT) | instid1(VALU_DEP_1)
	v_add_f32_e32 v104, s67, v12
	v_cmp_ge_f32_e32 vcc_lo, 0x41a00000, v104
	s_and_b32 s29, s80, vcc_lo
	s_delay_alu instid0(SALU_CYCLE_1)
	s_and_saveexec_b32 s30, s29
	s_cbranch_execz .LBB124_92
; %bb.91:                               ;   in Loop: Header=BB124_12 Depth=1
	v_mul_f32_e32 v12, 0x3fb8aa3b, v104
	v_cmp_ngt_f32_e32 vcc_lo, 0xc2ce8ed0, v104
	s_delay_alu instid0(VALU_DEP_2) | instskip(SKIP_1) | instid1(VALU_DEP_2)
	v_rndne_f32_e32 v13, v12
	v_fma_f32 v14, 0x3fb8aa3b, v104, -v12
	v_sub_f32_e32 v12, v12, v13
	s_delay_alu instid0(VALU_DEP_2) | instskip(SKIP_1) | instid1(VALU_DEP_2)
	v_fmac_f32_e32 v14, 0x32a5705f, v104
	v_cvt_i32_f32_e32 v13, v13
	v_add_f32_e32 v12, v12, v14
	s_delay_alu instid0(VALU_DEP_1) | instskip(SKIP_2) | instid1(VALU_DEP_1)
	v_exp_f32_e32 v12, v12
	s_waitcnt_depctr 0xfff
	v_ldexp_f32 v12, v12, v13
	v_cndmask_b32_e32 v12, 0, v12, vcc_lo
	v_cmp_nlt_f32_e32 vcc_lo, 0x42b17218, v104
	s_delay_alu instid0(VALU_DEP_2) | instskip(NEXT) | instid1(VALU_DEP_1)
	v_cndmask_b32_e32 v14, 0x7f800000, v12, vcc_lo
	v_add_f32_e32 v15, 1.0, v14
	s_delay_alu instid0(VALU_DEP_1) | instskip(NEXT) | instid1(VALU_DEP_1)
	v_cvt_f64_f32_e32 v[12:13], v15
	v_frexp_exp_i32_f64_e32 v12, v[12:13]
	v_frexp_mant_f32_e32 v13, v15
	s_delay_alu instid0(VALU_DEP_1) | instskip(SKIP_1) | instid1(VALU_DEP_1)
	v_cmp_gt_f32_e32 vcc_lo, 0x3f2aaaab, v13
	v_add_f32_e32 v13, -1.0, v15
	v_dual_sub_f32 v102, v13, v15 :: v_dual_sub_f32 v13, v14, v13
	s_delay_alu instid0(VALU_DEP_1) | instskip(NEXT) | instid1(VALU_DEP_1)
	v_add_f32_e32 v102, 1.0, v102
	v_add_f32_e32 v13, v13, v102
	v_subrev_co_ci_u32_e32 v12, vcc_lo, 0, v12, vcc_lo
	s_delay_alu instid0(VALU_DEP_1) | instskip(SKIP_1) | instid1(VALU_DEP_2)
	v_sub_nc_u32_e32 v17, 0, v12
	v_cvt_f32_i32_e32 v12, v12
	v_ldexp_f32 v15, v15, v17
	v_ldexp_f32 v13, v13, v17
	s_delay_alu instid0(VALU_DEP_2) | instskip(SKIP_3) | instid1(VALU_DEP_4)
	v_add_f32_e32 v103, 1.0, v15
	v_add_f32_e32 v17, -1.0, v15
	v_cmp_eq_f32_e32 vcc_lo, 0x7f800000, v14
	v_cmp_gt_f32_e64 s29, 0x33800000, v14
	v_add_f32_e32 v102, -1.0, v103
	s_delay_alu instid0(VALU_DEP_4) | instskip(NEXT) | instid1(VALU_DEP_3)
	v_add_f32_e32 v104, 1.0, v17
	s_or_b32 vcc_lo, s29, vcc_lo
	s_delay_alu instid0(VALU_DEP_2) | instskip(NEXT) | instid1(VALU_DEP_1)
	v_sub_f32_e32 v102, v15, v102
	v_dual_sub_f32 v15, v15, v104 :: v_dual_add_f32 v102, v13, v102
	s_delay_alu instid0(VALU_DEP_1) | instskip(NEXT) | instid1(VALU_DEP_1)
	v_add_f32_e32 v13, v13, v15
	v_dual_add_f32 v105, v17, v13 :: v_dual_add_f32 v104, v103, v102
	s_delay_alu instid0(VALU_DEP_1) | instskip(NEXT) | instid1(VALU_DEP_2)
	v_sub_f32_e32 v17, v17, v105
	v_rcp_f32_e32 v15, v104
	v_sub_f32_e32 v103, v103, v104
	s_delay_alu instid0(VALU_DEP_1) | instskip(SKIP_2) | instid1(VALU_DEP_1)
	v_dual_add_f32 v102, v102, v103 :: v_dual_add_f32 v13, v13, v17
	s_waitcnt_depctr 0xfff
	v_mul_f32_e32 v106, v105, v15
	v_mul_f32_e32 v107, v104, v106
	s_delay_alu instid0(VALU_DEP_1) | instskip(NEXT) | instid1(VALU_DEP_1)
	v_fma_f32 v103, v106, v104, -v107
	v_fmac_f32_e32 v103, v106, v102
	s_delay_alu instid0(VALU_DEP_1) | instskip(NEXT) | instid1(VALU_DEP_1)
	v_add_f32_e32 v108, v107, v103
	v_sub_f32_e32 v109, v105, v108
	s_delay_alu instid0(VALU_DEP_1) | instskip(SKIP_1) | instid1(VALU_DEP_2)
	v_sub_f32_e32 v105, v105, v109
	v_sub_f32_e32 v17, v108, v107
	;; [unrolled: 1-line block ×3, first 2 shown]
	s_delay_alu instid0(VALU_DEP_2) | instskip(NEXT) | instid1(VALU_DEP_2)
	v_sub_f32_e32 v17, v17, v103
	v_add_f32_e32 v13, v13, v105
	s_delay_alu instid0(VALU_DEP_1) | instskip(NEXT) | instid1(VALU_DEP_1)
	v_add_f32_e32 v13, v17, v13
	v_add_f32_e32 v17, v109, v13
	s_delay_alu instid0(VALU_DEP_1) | instskip(NEXT) | instid1(VALU_DEP_1)
	v_mul_f32_e32 v103, v15, v17
	v_dual_sub_f32 v108, v109, v17 :: v_dual_mul_f32 v105, v104, v103
	s_delay_alu instid0(VALU_DEP_1) | instskip(NEXT) | instid1(VALU_DEP_2)
	v_add_f32_e32 v13, v13, v108
	v_fma_f32 v104, v103, v104, -v105
	s_delay_alu instid0(VALU_DEP_1) | instskip(NEXT) | instid1(VALU_DEP_1)
	v_fmac_f32_e32 v104, v103, v102
	v_add_f32_e32 v102, v105, v104
	s_delay_alu instid0(VALU_DEP_1) | instskip(NEXT) | instid1(VALU_DEP_1)
	v_sub_f32_e32 v107, v17, v102
	v_sub_f32_e32 v17, v17, v107
	s_delay_alu instid0(VALU_DEP_1) | instskip(NEXT) | instid1(VALU_DEP_1)
	v_sub_f32_e32 v17, v17, v102
	v_add_f32_e32 v13, v13, v17
	v_add_f32_e32 v17, v106, v103
	v_sub_f32_e32 v105, v102, v105
	s_delay_alu instid0(VALU_DEP_1) | instskip(NEXT) | instid1(VALU_DEP_1)
	v_sub_f32_e32 v102, v105, v104
	v_dual_add_f32 v13, v102, v13 :: v_dual_sub_f32 v102, v17, v106
	s_delay_alu instid0(VALU_DEP_1) | instskip(NEXT) | instid1(VALU_DEP_2)
	v_add_f32_e32 v13, v107, v13
	v_sub_f32_e32 v102, v103, v102
	s_delay_alu instid0(VALU_DEP_2) | instskip(NEXT) | instid1(VALU_DEP_1)
	v_mul_f32_e32 v13, v15, v13
	v_add_f32_e32 v13, v102, v13
	s_delay_alu instid0(VALU_DEP_1) | instskip(NEXT) | instid1(VALU_DEP_1)
	v_add_f32_e32 v15, v17, v13
	v_mul_f32_e32 v102, v15, v15
	s_delay_alu instid0(VALU_DEP_1) | instskip(SKIP_1) | instid1(VALU_DEP_2)
	v_fmaak_f32 v103, s84, v102, 0x3ecc95a3
	v_mul_f32_e32 v104, v15, v102
	v_fmaak_f32 v102, v102, v103, 0x3f2aaada
	v_ldexp_f32 v103, v15, 1
	s_delay_alu instid0(VALU_DEP_2) | instskip(NEXT) | instid1(VALU_DEP_1)
	v_dual_sub_f32 v15, v15, v17 :: v_dual_mul_f32 v102, v104, v102
	v_dual_mul_f32 v104, 0x3f317218, v12 :: v_dual_sub_f32 v13, v13, v15
	s_delay_alu instid0(VALU_DEP_2) | instskip(NEXT) | instid1(VALU_DEP_2)
	v_add_f32_e32 v17, v103, v102
	v_ldexp_f32 v13, v13, 1
	s_delay_alu instid0(VALU_DEP_2) | instskip(NEXT) | instid1(VALU_DEP_4)
	v_sub_f32_e32 v15, v17, v103
	v_fma_f32 v103, 0x3f317218, v12, -v104
	s_delay_alu instid0(VALU_DEP_2) | instskip(NEXT) | instid1(VALU_DEP_1)
	v_sub_f32_e32 v15, v102, v15
	v_dual_fmac_f32 v103, 0xb102e308, v12 :: v_dual_add_f32 v12, v13, v15
	s_delay_alu instid0(VALU_DEP_1) | instskip(NEXT) | instid1(VALU_DEP_2)
	v_add_f32_e32 v13, v104, v103
	v_add_f32_e32 v15, v17, v12
	s_delay_alu instid0(VALU_DEP_2) | instskip(NEXT) | instid1(VALU_DEP_2)
	v_sub_f32_e32 v104, v13, v104
	v_dual_add_f32 v102, v13, v15 :: v_dual_sub_f32 v17, v15, v17
	s_delay_alu instid0(VALU_DEP_2) | instskip(NEXT) | instid1(VALU_DEP_2)
	v_sub_f32_e32 v103, v103, v104
	v_sub_f32_e32 v105, v102, v13
	s_delay_alu instid0(VALU_DEP_3) | instskip(NEXT) | instid1(VALU_DEP_2)
	v_sub_f32_e32 v12, v12, v17
	v_sub_f32_e32 v106, v102, v105
	;; [unrolled: 1-line block ×3, first 2 shown]
	s_delay_alu instid0(VALU_DEP_3) | instskip(NEXT) | instid1(VALU_DEP_3)
	v_add_f32_e32 v17, v103, v12
	v_sub_f32_e32 v13, v13, v106
	s_delay_alu instid0(VALU_DEP_1) | instskip(NEXT) | instid1(VALU_DEP_3)
	v_add_f32_e32 v13, v15, v13
	v_sub_f32_e32 v15, v17, v103
	s_delay_alu instid0(VALU_DEP_2) | instskip(NEXT) | instid1(VALU_DEP_2)
	v_add_f32_e32 v13, v17, v13
	v_sub_f32_e32 v17, v17, v15
	v_sub_f32_e32 v12, v12, v15
	s_delay_alu instid0(VALU_DEP_3) | instskip(NEXT) | instid1(VALU_DEP_3)
	v_add_f32_e32 v104, v102, v13
	v_sub_f32_e32 v17, v103, v17
	s_delay_alu instid0(VALU_DEP_2) | instskip(NEXT) | instid1(VALU_DEP_1)
	v_sub_f32_e32 v15, v104, v102
	v_dual_add_f32 v12, v12, v17 :: v_dual_sub_f32 v13, v13, v15
	s_delay_alu instid0(VALU_DEP_1) | instskip(NEXT) | instid1(VALU_DEP_1)
	v_add_f32_e32 v12, v12, v13
	v_add_f32_e32 v12, v104, v12
	s_delay_alu instid0(VALU_DEP_1)
	v_cndmask_b32_e32 v104, v12, v14, vcc_lo
.LBB124_92:                             ;   in Loop: Header=BB124_12 Depth=1
	s_or_b32 exec_lo, exec_lo, s30
	v_lshrrev_b32_e32 v8, 16, v8
	s_delay_alu instid0(VALU_DEP_1) | instskip(NEXT) | instid1(VALU_DEP_1)
	v_cvt_f32_f16_e32 v8, v8
	v_add_f32_e32 v115, s67, v8
	s_delay_alu instid0(VALU_DEP_1) | instskip(SKIP_1) | instid1(SALU_CYCLE_1)
	v_cmp_ge_f32_e32 vcc_lo, 0x41a00000, v115
	s_and_b32 s29, s80, vcc_lo
	s_and_saveexec_b32 s30, s29
	s_cbranch_execz .LBB124_94
; %bb.93:                               ;   in Loop: Header=BB124_12 Depth=1
	v_mul_f32_e32 v8, 0x3fb8aa3b, v115
	v_cmp_ngt_f32_e32 vcc_lo, 0xc2ce8ed0, v115
	s_delay_alu instid0(VALU_DEP_2) | instskip(SKIP_1) | instid1(VALU_DEP_1)
	v_rndne_f32_e32 v12, v8
	v_fma_f32 v13, 0x3fb8aa3b, v115, -v8
	v_dual_sub_f32 v8, v8, v12 :: v_dual_fmac_f32 v13, 0x32a5705f, v115
	v_cvt_i32_f32_e32 v12, v12
	s_delay_alu instid0(VALU_DEP_2) | instskip(NEXT) | instid1(VALU_DEP_1)
	v_add_f32_e32 v8, v8, v13
	v_exp_f32_e32 v8, v8
	s_waitcnt_depctr 0xfff
	v_ldexp_f32 v8, v8, v12
	s_delay_alu instid0(VALU_DEP_1) | instskip(SKIP_1) | instid1(VALU_DEP_2)
	v_cndmask_b32_e32 v8, 0, v8, vcc_lo
	v_cmp_nlt_f32_e32 vcc_lo, 0x42b17218, v115
	v_cndmask_b32_e32 v8, 0x7f800000, v8, vcc_lo
	s_delay_alu instid0(VALU_DEP_1) | instskip(NEXT) | instid1(VALU_DEP_1)
	v_add_f32_e32 v14, 1.0, v8
	v_cvt_f64_f32_e32 v[12:13], v14
	s_delay_alu instid0(VALU_DEP_1) | instskip(SKIP_1) | instid1(VALU_DEP_1)
	v_frexp_exp_i32_f64_e32 v12, v[12:13]
	v_frexp_mant_f32_e32 v13, v14
	v_cmp_gt_f32_e32 vcc_lo, 0x3f2aaaab, v13
	v_add_f32_e32 v13, -1.0, v14
	s_delay_alu instid0(VALU_DEP_1) | instskip(SKIP_1) | instid1(VALU_DEP_2)
	v_sub_f32_e32 v17, v13, v14
	v_sub_f32_e32 v13, v8, v13
	v_add_f32_e32 v17, 1.0, v17
	s_delay_alu instid0(VALU_DEP_1) | instskip(SKIP_3) | instid1(VALU_DEP_2)
	v_add_f32_e32 v13, v13, v17
	v_cmp_gt_f32_e64 s29, 0x33800000, v8
	v_subrev_co_ci_u32_e32 v12, vcc_lo, 0, v12, vcc_lo
	v_cmp_eq_f32_e32 vcc_lo, 0x7f800000, v8
	v_sub_nc_u32_e32 v15, 0, v12
	v_cvt_f32_i32_e32 v12, v12
	s_or_b32 vcc_lo, s29, vcc_lo
	s_delay_alu instid0(VALU_DEP_2) | instskip(SKIP_1) | instid1(VALU_DEP_2)
	v_ldexp_f32 v14, v14, v15
	v_ldexp_f32 v13, v13, v15
	v_add_f32_e32 v102, 1.0, v14
	v_add_f32_e32 v15, -1.0, v14
	s_delay_alu instid0(VALU_DEP_1) | instskip(NEXT) | instid1(VALU_DEP_3)
	v_add_f32_e32 v103, 1.0, v15
	v_add_f32_e32 v17, -1.0, v102
	s_delay_alu instid0(VALU_DEP_1) | instskip(NEXT) | instid1(VALU_DEP_1)
	v_sub_f32_e32 v17, v14, v17
	v_dual_sub_f32 v14, v14, v103 :: v_dual_add_f32 v17, v13, v17
	s_delay_alu instid0(VALU_DEP_1) | instskip(NEXT) | instid1(VALU_DEP_1)
	v_add_f32_e32 v103, v102, v17
	v_sub_f32_e32 v102, v102, v103
	s_delay_alu instid0(VALU_DEP_1) | instskip(NEXT) | instid1(VALU_DEP_4)
	v_add_f32_e32 v17, v17, v102
	v_add_f32_e32 v13, v13, v14
	v_rcp_f32_e32 v14, v103
	s_delay_alu instid0(VALU_DEP_1) | instskip(SKIP_2) | instid1(VALU_DEP_1)
	v_add_f32_e32 v105, v15, v13
	s_waitcnt_depctr 0xfff
	v_dual_sub_f32 v15, v15, v105 :: v_dual_mul_f32 v106, v105, v14
	v_mul_f32_e32 v107, v103, v106
	s_delay_alu instid0(VALU_DEP_1) | instskip(NEXT) | instid1(VALU_DEP_1)
	v_fma_f32 v102, v106, v103, -v107
	v_dual_fmac_f32 v102, v106, v17 :: v_dual_add_f32 v13, v13, v15
	s_delay_alu instid0(VALU_DEP_1) | instskip(NEXT) | instid1(VALU_DEP_1)
	v_add_f32_e32 v108, v107, v102
	v_sub_f32_e32 v109, v105, v108
	v_sub_f32_e32 v15, v108, v107
	s_delay_alu instid0(VALU_DEP_2) | instskip(NEXT) | instid1(VALU_DEP_2)
	v_sub_f32_e32 v105, v105, v109
	v_sub_f32_e32 v15, v15, v102
	s_delay_alu instid0(VALU_DEP_2) | instskip(NEXT) | instid1(VALU_DEP_1)
	v_sub_f32_e32 v105, v105, v108
	v_add_f32_e32 v13, v13, v105
	s_delay_alu instid0(VALU_DEP_1) | instskip(NEXT) | instid1(VALU_DEP_1)
	v_add_f32_e32 v13, v15, v13
	v_add_f32_e32 v15, v109, v13
	s_delay_alu instid0(VALU_DEP_1) | instskip(NEXT) | instid1(VALU_DEP_1)
	v_mul_f32_e32 v102, v14, v15
	v_dual_sub_f32 v108, v109, v15 :: v_dual_mul_f32 v105, v103, v102
	s_delay_alu instid0(VALU_DEP_1) | instskip(NEXT) | instid1(VALU_DEP_2)
	v_add_f32_e32 v13, v13, v108
	v_fma_f32 v103, v102, v103, -v105
	s_delay_alu instid0(VALU_DEP_1) | instskip(NEXT) | instid1(VALU_DEP_1)
	v_fmac_f32_e32 v103, v102, v17
	v_add_f32_e32 v17, v105, v103
	s_delay_alu instid0(VALU_DEP_1) | instskip(SKIP_1) | instid1(VALU_DEP_2)
	v_sub_f32_e32 v107, v15, v17
	v_sub_f32_e32 v105, v17, v105
	;; [unrolled: 1-line block ×3, first 2 shown]
	s_delay_alu instid0(VALU_DEP_1) | instskip(NEXT) | instid1(VALU_DEP_3)
	v_sub_f32_e32 v15, v15, v17
	v_sub_f32_e32 v17, v105, v103
	s_delay_alu instid0(VALU_DEP_2) | instskip(SKIP_1) | instid1(VALU_DEP_2)
	v_add_f32_e32 v13, v13, v15
	v_add_f32_e32 v15, v106, v102
	;; [unrolled: 1-line block ×3, first 2 shown]
	s_delay_alu instid0(VALU_DEP_2) | instskip(NEXT) | instid1(VALU_DEP_2)
	v_sub_f32_e32 v17, v15, v106
	v_add_f32_e32 v13, v107, v13
	s_delay_alu instid0(VALU_DEP_2) | instskip(NEXT) | instid1(VALU_DEP_2)
	v_sub_f32_e32 v17, v102, v17
	v_mul_f32_e32 v13, v14, v13
	s_delay_alu instid0(VALU_DEP_1) | instskip(NEXT) | instid1(VALU_DEP_1)
	v_add_f32_e32 v13, v17, v13
	v_add_f32_e32 v14, v15, v13
	s_delay_alu instid0(VALU_DEP_1) | instskip(NEXT) | instid1(VALU_DEP_1)
	v_mul_f32_e32 v17, v14, v14
	v_fmaak_f32 v102, s84, v17, 0x3ecc95a3
	v_mul_f32_e32 v103, v14, v17
	s_delay_alu instid0(VALU_DEP_2) | instskip(SKIP_1) | instid1(VALU_DEP_2)
	v_fmaak_f32 v17, v17, v102, 0x3f2aaada
	v_ldexp_f32 v102, v14, 1
	v_dual_sub_f32 v14, v14, v15 :: v_dual_mul_f32 v17, v103, v17
	v_mul_f32_e32 v103, 0x3f317218, v12
	s_delay_alu instid0(VALU_DEP_2) | instskip(NEXT) | instid1(VALU_DEP_3)
	v_sub_f32_e32 v13, v13, v14
	v_add_f32_e32 v15, v102, v17
	s_delay_alu instid0(VALU_DEP_2) | instskip(NEXT) | instid1(VALU_DEP_2)
	v_ldexp_f32 v13, v13, 1
	v_sub_f32_e32 v14, v15, v102
	v_fma_f32 v102, 0x3f317218, v12, -v103
	s_delay_alu instid0(VALU_DEP_2) | instskip(NEXT) | instid1(VALU_DEP_2)
	v_sub_f32_e32 v14, v17, v14
	v_fmac_f32_e32 v102, 0xb102e308, v12
	s_delay_alu instid0(VALU_DEP_2) | instskip(NEXT) | instid1(VALU_DEP_2)
	v_add_f32_e32 v12, v13, v14
	v_add_f32_e32 v13, v103, v102
	s_delay_alu instid0(VALU_DEP_1) | instskip(NEXT) | instid1(VALU_DEP_1)
	v_dual_add_f32 v14, v15, v12 :: v_dual_sub_f32 v103, v13, v103
	v_add_f32_e32 v17, v13, v14
	v_sub_f32_e32 v15, v14, v15
	s_delay_alu instid0(VALU_DEP_2) | instskip(NEXT) | instid1(VALU_DEP_2)
	v_dual_sub_f32 v102, v102, v103 :: v_dual_sub_f32 v105, v17, v13
	v_sub_f32_e32 v12, v12, v15
	s_delay_alu instid0(VALU_DEP_2) | instskip(SKIP_1) | instid1(VALU_DEP_3)
	v_sub_f32_e32 v106, v17, v105
	v_sub_f32_e32 v14, v14, v105
	v_add_f32_e32 v15, v102, v12
	s_delay_alu instid0(VALU_DEP_3) | instskip(NEXT) | instid1(VALU_DEP_1)
	v_sub_f32_e32 v13, v13, v106
	v_dual_add_f32 v13, v14, v13 :: v_dual_sub_f32 v14, v15, v102
	s_delay_alu instid0(VALU_DEP_1) | instskip(NEXT) | instid1(VALU_DEP_2)
	v_add_f32_e32 v13, v15, v13
	v_sub_f32_e32 v15, v15, v14
	s_delay_alu instid0(VALU_DEP_2) | instskip(NEXT) | instid1(VALU_DEP_1)
	v_dual_sub_f32 v12, v12, v14 :: v_dual_add_f32 v103, v17, v13
	v_dual_sub_f32 v15, v102, v15 :: v_dual_sub_f32 v14, v103, v17
	s_delay_alu instid0(VALU_DEP_1) | instskip(NEXT) | instid1(VALU_DEP_1)
	v_dual_add_f32 v12, v12, v15 :: v_dual_sub_f32 v13, v13, v14
	v_add_f32_e32 v12, v12, v13
	s_delay_alu instid0(VALU_DEP_1) | instskip(NEXT) | instid1(VALU_DEP_1)
	v_add_f32_e32 v12, v103, v12
	v_cndmask_b32_e32 v115, v12, v8, vcc_lo
.LBB124_94:                             ;   in Loop: Header=BB124_12 Depth=1
	s_or_b32 exec_lo, exec_lo, s30
	v_cvt_f32_f16_e32 v8, v9
	s_delay_alu instid0(VALU_DEP_1) | instskip(NEXT) | instid1(VALU_DEP_1)
	v_add_f32_e32 v118, s67, v8
	v_cmp_ge_f32_e32 vcc_lo, 0x41a00000, v118
	s_and_b32 s29, s80, vcc_lo
	s_delay_alu instid0(SALU_CYCLE_1)
	s_and_saveexec_b32 s30, s29
	s_cbranch_execz .LBB124_96
; %bb.95:                               ;   in Loop: Header=BB124_12 Depth=1
	v_mul_f32_e32 v8, 0x3fb8aa3b, v118
	v_cmp_ngt_f32_e32 vcc_lo, 0xc2ce8ed0, v118
	s_delay_alu instid0(VALU_DEP_2) | instskip(SKIP_1) | instid1(VALU_DEP_1)
	v_rndne_f32_e32 v12, v8
	v_fma_f32 v13, 0x3fb8aa3b, v118, -v8
	v_dual_sub_f32 v8, v8, v12 :: v_dual_fmac_f32 v13, 0x32a5705f, v118
	v_cvt_i32_f32_e32 v12, v12
	s_delay_alu instid0(VALU_DEP_2) | instskip(NEXT) | instid1(VALU_DEP_1)
	v_add_f32_e32 v8, v8, v13
	v_exp_f32_e32 v8, v8
	s_waitcnt_depctr 0xfff
	v_ldexp_f32 v8, v8, v12
	s_delay_alu instid0(VALU_DEP_1) | instskip(SKIP_1) | instid1(VALU_DEP_2)
	v_cndmask_b32_e32 v8, 0, v8, vcc_lo
	v_cmp_nlt_f32_e32 vcc_lo, 0x42b17218, v118
	v_cndmask_b32_e32 v8, 0x7f800000, v8, vcc_lo
	s_delay_alu instid0(VALU_DEP_1) | instskip(NEXT) | instid1(VALU_DEP_1)
	v_add_f32_e32 v14, 1.0, v8
	v_cvt_f64_f32_e32 v[12:13], v14
	s_delay_alu instid0(VALU_DEP_1) | instskip(SKIP_1) | instid1(VALU_DEP_1)
	v_frexp_exp_i32_f64_e32 v12, v[12:13]
	v_frexp_mant_f32_e32 v13, v14
	v_cmp_gt_f32_e32 vcc_lo, 0x3f2aaaab, v13
	v_add_f32_e32 v13, -1.0, v14
	s_delay_alu instid0(VALU_DEP_1) | instskip(SKIP_1) | instid1(VALU_DEP_2)
	v_sub_f32_e32 v17, v13, v14
	v_sub_f32_e32 v13, v8, v13
	v_add_f32_e32 v17, 1.0, v17
	s_delay_alu instid0(VALU_DEP_1) | instskip(SKIP_3) | instid1(VALU_DEP_2)
	v_add_f32_e32 v13, v13, v17
	v_cmp_gt_f32_e64 s29, 0x33800000, v8
	v_subrev_co_ci_u32_e32 v12, vcc_lo, 0, v12, vcc_lo
	v_cmp_eq_f32_e32 vcc_lo, 0x7f800000, v8
	v_sub_nc_u32_e32 v15, 0, v12
	v_cvt_f32_i32_e32 v12, v12
	s_or_b32 vcc_lo, s29, vcc_lo
	s_delay_alu instid0(VALU_DEP_2) | instskip(SKIP_1) | instid1(VALU_DEP_2)
	v_ldexp_f32 v14, v14, v15
	v_ldexp_f32 v13, v13, v15
	v_add_f32_e32 v102, 1.0, v14
	v_add_f32_e32 v15, -1.0, v14
	s_delay_alu instid0(VALU_DEP_1) | instskip(NEXT) | instid1(VALU_DEP_3)
	v_add_f32_e32 v103, 1.0, v15
	v_add_f32_e32 v17, -1.0, v102
	s_delay_alu instid0(VALU_DEP_1) | instskip(NEXT) | instid1(VALU_DEP_1)
	v_sub_f32_e32 v17, v14, v17
	v_dual_sub_f32 v14, v14, v103 :: v_dual_add_f32 v17, v13, v17
	s_delay_alu instid0(VALU_DEP_1) | instskip(NEXT) | instid1(VALU_DEP_1)
	v_add_f32_e32 v103, v102, v17
	v_sub_f32_e32 v102, v102, v103
	s_delay_alu instid0(VALU_DEP_1) | instskip(NEXT) | instid1(VALU_DEP_4)
	v_add_f32_e32 v17, v17, v102
	v_add_f32_e32 v13, v13, v14
	v_rcp_f32_e32 v14, v103
	s_delay_alu instid0(VALU_DEP_1) | instskip(SKIP_2) | instid1(VALU_DEP_1)
	v_add_f32_e32 v105, v15, v13
	s_waitcnt_depctr 0xfff
	v_dual_sub_f32 v15, v15, v105 :: v_dual_mul_f32 v106, v105, v14
	v_mul_f32_e32 v107, v103, v106
	s_delay_alu instid0(VALU_DEP_1) | instskip(NEXT) | instid1(VALU_DEP_1)
	v_fma_f32 v102, v106, v103, -v107
	v_dual_fmac_f32 v102, v106, v17 :: v_dual_add_f32 v13, v13, v15
	s_delay_alu instid0(VALU_DEP_1) | instskip(NEXT) | instid1(VALU_DEP_1)
	v_add_f32_e32 v108, v107, v102
	v_sub_f32_e32 v109, v105, v108
	v_sub_f32_e32 v15, v108, v107
	s_delay_alu instid0(VALU_DEP_2) | instskip(NEXT) | instid1(VALU_DEP_2)
	v_sub_f32_e32 v105, v105, v109
	v_sub_f32_e32 v15, v15, v102
	s_delay_alu instid0(VALU_DEP_2) | instskip(NEXT) | instid1(VALU_DEP_1)
	v_sub_f32_e32 v105, v105, v108
	v_add_f32_e32 v13, v13, v105
	s_delay_alu instid0(VALU_DEP_1) | instskip(NEXT) | instid1(VALU_DEP_1)
	v_add_f32_e32 v13, v15, v13
	v_add_f32_e32 v15, v109, v13
	s_delay_alu instid0(VALU_DEP_1) | instskip(NEXT) | instid1(VALU_DEP_1)
	v_mul_f32_e32 v102, v14, v15
	v_dual_sub_f32 v108, v109, v15 :: v_dual_mul_f32 v105, v103, v102
	s_delay_alu instid0(VALU_DEP_1) | instskip(NEXT) | instid1(VALU_DEP_2)
	v_add_f32_e32 v13, v13, v108
	v_fma_f32 v103, v102, v103, -v105
	s_delay_alu instid0(VALU_DEP_1) | instskip(NEXT) | instid1(VALU_DEP_1)
	v_fmac_f32_e32 v103, v102, v17
	v_add_f32_e32 v17, v105, v103
	s_delay_alu instid0(VALU_DEP_1) | instskip(SKIP_1) | instid1(VALU_DEP_2)
	v_sub_f32_e32 v107, v15, v17
	v_sub_f32_e32 v105, v17, v105
	v_sub_f32_e32 v15, v15, v107
	s_delay_alu instid0(VALU_DEP_1) | instskip(NEXT) | instid1(VALU_DEP_3)
	v_sub_f32_e32 v15, v15, v17
	v_sub_f32_e32 v17, v105, v103
	s_delay_alu instid0(VALU_DEP_2) | instskip(SKIP_1) | instid1(VALU_DEP_2)
	v_add_f32_e32 v13, v13, v15
	v_add_f32_e32 v15, v106, v102
	;; [unrolled: 1-line block ×3, first 2 shown]
	s_delay_alu instid0(VALU_DEP_2) | instskip(NEXT) | instid1(VALU_DEP_2)
	v_sub_f32_e32 v17, v15, v106
	v_add_f32_e32 v13, v107, v13
	s_delay_alu instid0(VALU_DEP_2) | instskip(NEXT) | instid1(VALU_DEP_2)
	v_sub_f32_e32 v17, v102, v17
	v_mul_f32_e32 v13, v14, v13
	s_delay_alu instid0(VALU_DEP_1) | instskip(NEXT) | instid1(VALU_DEP_1)
	v_add_f32_e32 v13, v17, v13
	v_add_f32_e32 v14, v15, v13
	s_delay_alu instid0(VALU_DEP_1) | instskip(NEXT) | instid1(VALU_DEP_1)
	v_mul_f32_e32 v17, v14, v14
	v_fmaak_f32 v102, s84, v17, 0x3ecc95a3
	v_mul_f32_e32 v103, v14, v17
	s_delay_alu instid0(VALU_DEP_2) | instskip(SKIP_1) | instid1(VALU_DEP_2)
	v_fmaak_f32 v17, v17, v102, 0x3f2aaada
	v_ldexp_f32 v102, v14, 1
	v_dual_sub_f32 v14, v14, v15 :: v_dual_mul_f32 v17, v103, v17
	v_mul_f32_e32 v103, 0x3f317218, v12
	s_delay_alu instid0(VALU_DEP_2) | instskip(NEXT) | instid1(VALU_DEP_3)
	v_sub_f32_e32 v13, v13, v14
	v_add_f32_e32 v15, v102, v17
	s_delay_alu instid0(VALU_DEP_2) | instskip(NEXT) | instid1(VALU_DEP_2)
	v_ldexp_f32 v13, v13, 1
	v_sub_f32_e32 v14, v15, v102
	v_fma_f32 v102, 0x3f317218, v12, -v103
	s_delay_alu instid0(VALU_DEP_2) | instskip(NEXT) | instid1(VALU_DEP_2)
	v_sub_f32_e32 v14, v17, v14
	v_fmac_f32_e32 v102, 0xb102e308, v12
	s_delay_alu instid0(VALU_DEP_2) | instskip(NEXT) | instid1(VALU_DEP_2)
	v_add_f32_e32 v12, v13, v14
	v_add_f32_e32 v13, v103, v102
	s_delay_alu instid0(VALU_DEP_1) | instskip(NEXT) | instid1(VALU_DEP_1)
	v_dual_add_f32 v14, v15, v12 :: v_dual_sub_f32 v103, v13, v103
	v_add_f32_e32 v17, v13, v14
	v_sub_f32_e32 v15, v14, v15
	s_delay_alu instid0(VALU_DEP_2) | instskip(NEXT) | instid1(VALU_DEP_2)
	v_dual_sub_f32 v102, v102, v103 :: v_dual_sub_f32 v105, v17, v13
	v_sub_f32_e32 v12, v12, v15
	s_delay_alu instid0(VALU_DEP_2) | instskip(SKIP_1) | instid1(VALU_DEP_3)
	v_sub_f32_e32 v106, v17, v105
	v_sub_f32_e32 v14, v14, v105
	v_add_f32_e32 v15, v102, v12
	s_delay_alu instid0(VALU_DEP_3) | instskip(NEXT) | instid1(VALU_DEP_1)
	v_sub_f32_e32 v13, v13, v106
	v_dual_add_f32 v13, v14, v13 :: v_dual_sub_f32 v14, v15, v102
	s_delay_alu instid0(VALU_DEP_1) | instskip(NEXT) | instid1(VALU_DEP_2)
	v_add_f32_e32 v13, v15, v13
	v_sub_f32_e32 v15, v15, v14
	s_delay_alu instid0(VALU_DEP_2) | instskip(NEXT) | instid1(VALU_DEP_1)
	v_dual_sub_f32 v12, v12, v14 :: v_dual_add_f32 v103, v17, v13
	v_dual_sub_f32 v15, v102, v15 :: v_dual_sub_f32 v14, v103, v17
	s_delay_alu instid0(VALU_DEP_1) | instskip(NEXT) | instid1(VALU_DEP_1)
	v_dual_add_f32 v12, v12, v15 :: v_dual_sub_f32 v13, v13, v14
	v_add_f32_e32 v12, v12, v13
	s_delay_alu instid0(VALU_DEP_1) | instskip(NEXT) | instid1(VALU_DEP_1)
	v_add_f32_e32 v12, v103, v12
	v_cndmask_b32_e32 v118, v12, v8, vcc_lo
.LBB124_96:                             ;   in Loop: Header=BB124_12 Depth=1
	s_or_b32 exec_lo, exec_lo, s30
	v_lshrrev_b32_e32 v8, 16, v9
	s_delay_alu instid0(VALU_DEP_1) | instskip(NEXT) | instid1(VALU_DEP_1)
	v_cvt_f32_f16_e32 v8, v8
	v_add_f32_e32 v121, s67, v8
	s_delay_alu instid0(VALU_DEP_1) | instskip(SKIP_1) | instid1(SALU_CYCLE_1)
	v_cmp_ge_f32_e32 vcc_lo, 0x41a00000, v121
	s_and_b32 s29, s80, vcc_lo
	s_and_saveexec_b32 s30, s29
	s_cbranch_execz .LBB124_98
; %bb.97:                               ;   in Loop: Header=BB124_12 Depth=1
	v_mul_f32_e32 v8, 0x3fb8aa3b, v121
	v_cmp_ngt_f32_e32 vcc_lo, 0xc2ce8ed0, v121
	s_delay_alu instid0(VALU_DEP_2) | instskip(SKIP_1) | instid1(VALU_DEP_2)
	v_rndne_f32_e32 v9, v8
	v_fma_f32 v12, 0x3fb8aa3b, v121, -v8
	v_sub_f32_e32 v8, v8, v9
	s_delay_alu instid0(VALU_DEP_2) | instskip(SKIP_1) | instid1(VALU_DEP_2)
	v_fmac_f32_e32 v12, 0x32a5705f, v121
	v_cvt_i32_f32_e32 v9, v9
	v_add_f32_e32 v8, v8, v12
	s_delay_alu instid0(VALU_DEP_1) | instskip(SKIP_2) | instid1(VALU_DEP_1)
	v_exp_f32_e32 v8, v8
	s_waitcnt_depctr 0xfff
	v_ldexp_f32 v8, v8, v9
	v_cndmask_b32_e32 v8, 0, v8, vcc_lo
	v_cmp_nlt_f32_e32 vcc_lo, 0x42b17218, v121
	s_delay_alu instid0(VALU_DEP_2) | instskip(NEXT) | instid1(VALU_DEP_1)
	v_cndmask_b32_e32 v12, 0x7f800000, v8, vcc_lo
	v_add_f32_e32 v13, 1.0, v12
	s_delay_alu instid0(VALU_DEP_1) | instskip(NEXT) | instid1(VALU_DEP_1)
	v_cvt_f64_f32_e32 v[8:9], v13
	v_frexp_exp_i32_f64_e32 v8, v[8:9]
	v_frexp_mant_f32_e32 v9, v13
	s_delay_alu instid0(VALU_DEP_1) | instskip(SKIP_1) | instid1(VALU_DEP_1)
	v_cmp_gt_f32_e32 vcc_lo, 0x3f2aaaab, v9
	v_add_f32_e32 v9, -1.0, v13
	v_sub_f32_e32 v15, v9, v13
	s_delay_alu instid0(VALU_DEP_1) | instskip(SKIP_1) | instid1(VALU_DEP_1)
	v_add_f32_e32 v15, 1.0, v15
	v_subrev_co_ci_u32_e32 v8, vcc_lo, 0, v8, vcc_lo
	v_sub_nc_u32_e32 v14, 0, v8
	v_cvt_f32_i32_e32 v8, v8
	s_delay_alu instid0(VALU_DEP_2) | instskip(NEXT) | instid1(VALU_DEP_1)
	v_ldexp_f32 v13, v13, v14
	v_add_f32_e32 v17, 1.0, v13
	v_sub_f32_e32 v9, v12, v9
	v_cmp_eq_f32_e32 vcc_lo, 0x7f800000, v12
	v_cmp_gt_f32_e64 s29, 0x33800000, v12
	s_delay_alu instid0(VALU_DEP_3) | instskip(SKIP_1) | instid1(VALU_DEP_3)
	v_add_f32_e32 v9, v9, v15
	v_add_f32_e32 v15, -1.0, v17
	s_or_b32 vcc_lo, s29, vcc_lo
	s_delay_alu instid0(VALU_DEP_2) | instskip(NEXT) | instid1(VALU_DEP_2)
	v_ldexp_f32 v9, v9, v14
	v_dual_add_f32 v14, -1.0, v13 :: v_dual_sub_f32 v15, v13, v15
	s_delay_alu instid0(VALU_DEP_1) | instskip(NEXT) | instid1(VALU_DEP_1)
	v_dual_add_f32 v102, 1.0, v14 :: v_dual_add_f32 v15, v9, v15
	v_sub_f32_e32 v13, v13, v102
	s_delay_alu instid0(VALU_DEP_1) | instskip(NEXT) | instid1(VALU_DEP_1)
	v_add_f32_e32 v9, v9, v13
	v_dual_add_f32 v102, v17, v15 :: v_dual_add_f32 v103, v14, v9
	s_delay_alu instid0(VALU_DEP_1) | instskip(NEXT) | instid1(VALU_DEP_1)
	v_rcp_f32_e32 v13, v102
	v_dual_sub_f32 v17, v17, v102 :: v_dual_sub_f32 v14, v14, v103
	s_delay_alu instid0(VALU_DEP_1) | instskip(SKIP_2) | instid1(VALU_DEP_1)
	v_add_f32_e32 v9, v9, v14
	s_waitcnt_depctr 0xfff
	v_mul_f32_e32 v105, v103, v13
	v_mul_f32_e32 v106, v102, v105
	v_add_f32_e32 v15, v15, v17
	s_delay_alu instid0(VALU_DEP_2) | instskip(NEXT) | instid1(VALU_DEP_1)
	v_fma_f32 v17, v105, v102, -v106
	v_fmac_f32_e32 v17, v105, v15
	s_delay_alu instid0(VALU_DEP_1) | instskip(NEXT) | instid1(VALU_DEP_1)
	v_add_f32_e32 v107, v106, v17
	v_sub_f32_e32 v108, v103, v107
	v_sub_f32_e32 v14, v107, v106
	s_delay_alu instid0(VALU_DEP_1) | instskip(NEXT) | instid1(VALU_DEP_1)
	v_dual_sub_f32 v103, v103, v108 :: v_dual_sub_f32 v14, v14, v17
	v_sub_f32_e32 v103, v103, v107
	s_delay_alu instid0(VALU_DEP_1) | instskip(NEXT) | instid1(VALU_DEP_1)
	v_add_f32_e32 v9, v9, v103
	v_add_f32_e32 v9, v14, v9
	s_delay_alu instid0(VALU_DEP_1) | instskip(NEXT) | instid1(VALU_DEP_1)
	v_add_f32_e32 v14, v108, v9
	v_mul_f32_e32 v17, v13, v14
	v_sub_f32_e32 v107, v108, v14
	s_delay_alu instid0(VALU_DEP_2) | instskip(NEXT) | instid1(VALU_DEP_2)
	v_mul_f32_e32 v103, v102, v17
	v_add_f32_e32 v9, v9, v107
	s_delay_alu instid0(VALU_DEP_2) | instskip(NEXT) | instid1(VALU_DEP_1)
	v_fma_f32 v102, v17, v102, -v103
	v_fmac_f32_e32 v102, v17, v15
	s_delay_alu instid0(VALU_DEP_1) | instskip(NEXT) | instid1(VALU_DEP_1)
	v_add_f32_e32 v15, v103, v102
	v_sub_f32_e32 v106, v14, v15
	s_delay_alu instid0(VALU_DEP_1) | instskip(NEXT) | instid1(VALU_DEP_1)
	v_dual_sub_f32 v103, v15, v103 :: v_dual_sub_f32 v14, v14, v106
	v_dual_sub_f32 v14, v14, v15 :: v_dual_sub_f32 v15, v103, v102
	s_delay_alu instid0(VALU_DEP_1) | instskip(SKIP_1) | instid1(VALU_DEP_2)
	v_add_f32_e32 v9, v9, v14
	v_add_f32_e32 v14, v105, v17
	;; [unrolled: 1-line block ×3, first 2 shown]
	s_delay_alu instid0(VALU_DEP_2) | instskip(NEXT) | instid1(VALU_DEP_2)
	v_sub_f32_e32 v15, v14, v105
	v_add_f32_e32 v9, v106, v9
	s_delay_alu instid0(VALU_DEP_2) | instskip(NEXT) | instid1(VALU_DEP_2)
	v_sub_f32_e32 v15, v17, v15
	v_mul_f32_e32 v9, v13, v9
	s_delay_alu instid0(VALU_DEP_1) | instskip(NEXT) | instid1(VALU_DEP_1)
	v_add_f32_e32 v9, v15, v9
	v_add_f32_e32 v13, v14, v9
	s_delay_alu instid0(VALU_DEP_1) | instskip(NEXT) | instid1(VALU_DEP_1)
	v_mul_f32_e32 v15, v13, v13
	v_fmaak_f32 v17, s84, v15, 0x3ecc95a3
	s_delay_alu instid0(VALU_DEP_1) | instskip(SKIP_2) | instid1(VALU_DEP_3)
	v_dual_mul_f32 v102, v13, v15 :: v_dual_fmaak_f32 v15, v15, v17, 0x3f2aaada
	v_ldexp_f32 v17, v13, 1
	v_sub_f32_e32 v13, v13, v14
	v_dual_mul_f32 v15, v102, v15 :: v_dual_mul_f32 v102, 0x3f317218, v8
	s_delay_alu instid0(VALU_DEP_2) | instskip(NEXT) | instid1(VALU_DEP_2)
	v_sub_f32_e32 v9, v9, v13
	v_add_f32_e32 v14, v17, v15
	s_delay_alu instid0(VALU_DEP_2) | instskip(NEXT) | instid1(VALU_DEP_2)
	v_ldexp_f32 v9, v9, 1
	v_sub_f32_e32 v13, v14, v17
	v_fma_f32 v17, 0x3f317218, v8, -v102
	s_delay_alu instid0(VALU_DEP_2) | instskip(NEXT) | instid1(VALU_DEP_1)
	v_sub_f32_e32 v13, v15, v13
	v_dual_fmac_f32 v17, 0xb102e308, v8 :: v_dual_add_f32 v8, v9, v13
	s_delay_alu instid0(VALU_DEP_1) | instskip(NEXT) | instid1(VALU_DEP_1)
	v_add_f32_e32 v9, v102, v17
	v_dual_add_f32 v13, v14, v8 :: v_dual_sub_f32 v102, v9, v102
	s_delay_alu instid0(VALU_DEP_1) | instskip(SKIP_1) | instid1(VALU_DEP_3)
	v_add_f32_e32 v15, v9, v13
	v_sub_f32_e32 v14, v13, v14
	v_sub_f32_e32 v17, v17, v102
	s_delay_alu instid0(VALU_DEP_2) | instskip(NEXT) | instid1(VALU_DEP_1)
	v_dual_sub_f32 v103, v15, v9 :: v_dual_sub_f32 v8, v8, v14
	v_sub_f32_e32 v105, v15, v103
	v_sub_f32_e32 v13, v13, v103
	s_delay_alu instid0(VALU_DEP_3) | instskip(NEXT) | instid1(VALU_DEP_3)
	v_add_f32_e32 v14, v17, v8
	v_sub_f32_e32 v9, v9, v105
	s_delay_alu instid0(VALU_DEP_1) | instskip(NEXT) | instid1(VALU_DEP_3)
	v_add_f32_e32 v9, v13, v9
	v_sub_f32_e32 v13, v14, v17
	s_delay_alu instid0(VALU_DEP_2) | instskip(NEXT) | instid1(VALU_DEP_2)
	v_add_f32_e32 v9, v14, v9
	v_sub_f32_e32 v14, v14, v13
	v_sub_f32_e32 v8, v8, v13
	s_delay_alu instid0(VALU_DEP_3) | instskip(NEXT) | instid1(VALU_DEP_1)
	v_add_f32_e32 v102, v15, v9
	v_dual_sub_f32 v14, v17, v14 :: v_dual_sub_f32 v13, v102, v15
	s_delay_alu instid0(VALU_DEP_1) | instskip(NEXT) | instid1(VALU_DEP_1)
	v_dual_add_f32 v8, v8, v14 :: v_dual_sub_f32 v9, v9, v13
	v_add_f32_e32 v8, v8, v9
	s_delay_alu instid0(VALU_DEP_1) | instskip(NEXT) | instid1(VALU_DEP_1)
	v_add_f32_e32 v8, v102, v8
	v_cndmask_b32_e32 v121, v8, v12, vcc_lo
.LBB124_98:                             ;   in Loop: Header=BB124_12 Depth=1
	s_or_b32 exec_lo, exec_lo, s30
	v_cvt_f32_f16_e32 v8, v10
	s_delay_alu instid0(VALU_DEP_1) | instskip(NEXT) | instid1(VALU_DEP_1)
	v_add_f32_e32 v122, s67, v8
	v_cmp_ge_f32_e32 vcc_lo, 0x41a00000, v122
	s_and_b32 s29, s80, vcc_lo
	s_delay_alu instid0(SALU_CYCLE_1)
	s_and_saveexec_b32 s30, s29
	s_cbranch_execz .LBB124_100
; %bb.99:                               ;   in Loop: Header=BB124_12 Depth=1
	v_mul_f32_e32 v8, 0x3fb8aa3b, v122
	v_cmp_ngt_f32_e32 vcc_lo, 0xc2ce8ed0, v122
	s_delay_alu instid0(VALU_DEP_2) | instskip(SKIP_1) | instid1(VALU_DEP_2)
	v_rndne_f32_e32 v9, v8
	v_fma_f32 v12, 0x3fb8aa3b, v122, -v8
	v_sub_f32_e32 v8, v8, v9
	s_delay_alu instid0(VALU_DEP_2) | instskip(SKIP_1) | instid1(VALU_DEP_2)
	v_fmac_f32_e32 v12, 0x32a5705f, v122
	v_cvt_i32_f32_e32 v9, v9
	v_add_f32_e32 v8, v8, v12
	s_delay_alu instid0(VALU_DEP_1) | instskip(SKIP_2) | instid1(VALU_DEP_1)
	v_exp_f32_e32 v8, v8
	s_waitcnt_depctr 0xfff
	v_ldexp_f32 v8, v8, v9
	v_cndmask_b32_e32 v8, 0, v8, vcc_lo
	v_cmp_nlt_f32_e32 vcc_lo, 0x42b17218, v122
	s_delay_alu instid0(VALU_DEP_2) | instskip(NEXT) | instid1(VALU_DEP_1)
	v_cndmask_b32_e32 v12, 0x7f800000, v8, vcc_lo
	v_add_f32_e32 v13, 1.0, v12
	s_delay_alu instid0(VALU_DEP_1) | instskip(NEXT) | instid1(VALU_DEP_1)
	v_cvt_f64_f32_e32 v[8:9], v13
	v_frexp_exp_i32_f64_e32 v8, v[8:9]
	v_frexp_mant_f32_e32 v9, v13
	s_delay_alu instid0(VALU_DEP_1) | instskip(SKIP_1) | instid1(VALU_DEP_1)
	v_cmp_gt_f32_e32 vcc_lo, 0x3f2aaaab, v9
	v_add_f32_e32 v9, -1.0, v13
	v_sub_f32_e32 v15, v9, v13
	s_delay_alu instid0(VALU_DEP_1) | instskip(SKIP_1) | instid1(VALU_DEP_1)
	v_add_f32_e32 v15, 1.0, v15
	v_subrev_co_ci_u32_e32 v8, vcc_lo, 0, v8, vcc_lo
	v_sub_nc_u32_e32 v14, 0, v8
	v_cvt_f32_i32_e32 v8, v8
	s_delay_alu instid0(VALU_DEP_2) | instskip(NEXT) | instid1(VALU_DEP_1)
	v_ldexp_f32 v13, v13, v14
	v_add_f32_e32 v17, 1.0, v13
	v_sub_f32_e32 v9, v12, v9
	v_cmp_eq_f32_e32 vcc_lo, 0x7f800000, v12
	v_cmp_gt_f32_e64 s29, 0x33800000, v12
	s_delay_alu instid0(VALU_DEP_3) | instskip(NEXT) | instid1(VALU_DEP_2)
	v_add_f32_e32 v9, v9, v15
	s_or_b32 vcc_lo, s29, vcc_lo
	s_delay_alu instid0(VALU_DEP_1) | instskip(SKIP_1) | instid1(VALU_DEP_1)
	v_ldexp_f32 v9, v9, v14
	v_add_f32_e32 v14, -1.0, v13
	v_dual_add_f32 v15, -1.0, v17 :: v_dual_add_f32 v102, 1.0, v14
	s_delay_alu instid0(VALU_DEP_1) | instskip(NEXT) | instid1(VALU_DEP_2)
	v_sub_f32_e32 v15, v13, v15
	v_sub_f32_e32 v13, v13, v102
	s_delay_alu instid0(VALU_DEP_2) | instskip(NEXT) | instid1(VALU_DEP_2)
	v_add_f32_e32 v15, v9, v15
	v_add_f32_e32 v9, v9, v13
	s_delay_alu instid0(VALU_DEP_1) | instskip(NEXT) | instid1(VALU_DEP_1)
	v_dual_add_f32 v102, v17, v15 :: v_dual_add_f32 v103, v14, v9
	v_rcp_f32_e32 v13, v102
	s_delay_alu instid0(VALU_DEP_1) | instskip(NEXT) | instid1(VALU_DEP_1)
	v_dual_sub_f32 v17, v17, v102 :: v_dual_sub_f32 v14, v14, v103
	v_add_f32_e32 v15, v15, v17
	s_delay_alu instid0(VALU_DEP_2) | instskip(SKIP_2) | instid1(VALU_DEP_1)
	v_add_f32_e32 v9, v9, v14
	s_waitcnt_depctr 0xfff
	v_mul_f32_e32 v105, v103, v13
	v_mul_f32_e32 v106, v102, v105
	s_delay_alu instid0(VALU_DEP_1) | instskip(NEXT) | instid1(VALU_DEP_1)
	v_fma_f32 v17, v105, v102, -v106
	v_fmac_f32_e32 v17, v105, v15
	s_delay_alu instid0(VALU_DEP_1) | instskip(NEXT) | instid1(VALU_DEP_1)
	v_add_f32_e32 v107, v106, v17
	v_sub_f32_e32 v108, v103, v107
	v_sub_f32_e32 v14, v107, v106
	s_delay_alu instid0(VALU_DEP_1) | instskip(NEXT) | instid1(VALU_DEP_1)
	v_dual_sub_f32 v103, v103, v108 :: v_dual_sub_f32 v14, v14, v17
	v_sub_f32_e32 v103, v103, v107
	s_delay_alu instid0(VALU_DEP_1) | instskip(NEXT) | instid1(VALU_DEP_1)
	v_add_f32_e32 v9, v9, v103
	v_add_f32_e32 v9, v14, v9
	s_delay_alu instid0(VALU_DEP_1) | instskip(NEXT) | instid1(VALU_DEP_1)
	v_add_f32_e32 v14, v108, v9
	v_mul_f32_e32 v17, v13, v14
	v_sub_f32_e32 v107, v108, v14
	s_delay_alu instid0(VALU_DEP_2) | instskip(NEXT) | instid1(VALU_DEP_2)
	v_mul_f32_e32 v103, v102, v17
	v_add_f32_e32 v9, v9, v107
	s_delay_alu instid0(VALU_DEP_2) | instskip(NEXT) | instid1(VALU_DEP_1)
	v_fma_f32 v102, v17, v102, -v103
	v_fmac_f32_e32 v102, v17, v15
	s_delay_alu instid0(VALU_DEP_1) | instskip(NEXT) | instid1(VALU_DEP_1)
	v_add_f32_e32 v15, v103, v102
	v_sub_f32_e32 v106, v14, v15
	s_delay_alu instid0(VALU_DEP_1) | instskip(NEXT) | instid1(VALU_DEP_1)
	v_dual_sub_f32 v103, v15, v103 :: v_dual_sub_f32 v14, v14, v106
	v_dual_sub_f32 v14, v14, v15 :: v_dual_sub_f32 v15, v103, v102
	s_delay_alu instid0(VALU_DEP_1) | instskip(SKIP_1) | instid1(VALU_DEP_2)
	v_add_f32_e32 v9, v9, v14
	v_add_f32_e32 v14, v105, v17
	;; [unrolled: 1-line block ×3, first 2 shown]
	s_delay_alu instid0(VALU_DEP_2) | instskip(NEXT) | instid1(VALU_DEP_2)
	v_sub_f32_e32 v15, v14, v105
	v_add_f32_e32 v9, v106, v9
	s_delay_alu instid0(VALU_DEP_2) | instskip(NEXT) | instid1(VALU_DEP_2)
	v_sub_f32_e32 v15, v17, v15
	v_mul_f32_e32 v9, v13, v9
	s_delay_alu instid0(VALU_DEP_1) | instskip(NEXT) | instid1(VALU_DEP_1)
	v_add_f32_e32 v9, v15, v9
	v_add_f32_e32 v13, v14, v9
	s_delay_alu instid0(VALU_DEP_1) | instskip(NEXT) | instid1(VALU_DEP_1)
	v_mul_f32_e32 v15, v13, v13
	v_fmaak_f32 v17, s84, v15, 0x3ecc95a3
	s_delay_alu instid0(VALU_DEP_1) | instskip(SKIP_2) | instid1(VALU_DEP_3)
	v_dual_mul_f32 v102, v13, v15 :: v_dual_fmaak_f32 v15, v15, v17, 0x3f2aaada
	v_ldexp_f32 v17, v13, 1
	v_sub_f32_e32 v13, v13, v14
	v_dual_mul_f32 v15, v102, v15 :: v_dual_mul_f32 v102, 0x3f317218, v8
	s_delay_alu instid0(VALU_DEP_2) | instskip(NEXT) | instid1(VALU_DEP_2)
	v_sub_f32_e32 v9, v9, v13
	v_add_f32_e32 v14, v17, v15
	s_delay_alu instid0(VALU_DEP_2) | instskip(NEXT) | instid1(VALU_DEP_2)
	v_ldexp_f32 v9, v9, 1
	v_sub_f32_e32 v13, v14, v17
	v_fma_f32 v17, 0x3f317218, v8, -v102
	s_delay_alu instid0(VALU_DEP_2) | instskip(NEXT) | instid1(VALU_DEP_1)
	v_sub_f32_e32 v13, v15, v13
	v_dual_fmac_f32 v17, 0xb102e308, v8 :: v_dual_add_f32 v8, v9, v13
	s_delay_alu instid0(VALU_DEP_1) | instskip(NEXT) | instid1(VALU_DEP_1)
	v_add_f32_e32 v9, v102, v17
	v_dual_add_f32 v13, v14, v8 :: v_dual_sub_f32 v102, v9, v102
	s_delay_alu instid0(VALU_DEP_1) | instskip(SKIP_1) | instid1(VALU_DEP_3)
	v_add_f32_e32 v15, v9, v13
	v_sub_f32_e32 v14, v13, v14
	v_sub_f32_e32 v17, v17, v102
	s_delay_alu instid0(VALU_DEP_2) | instskip(NEXT) | instid1(VALU_DEP_1)
	v_dual_sub_f32 v103, v15, v9 :: v_dual_sub_f32 v8, v8, v14
	v_sub_f32_e32 v105, v15, v103
	v_sub_f32_e32 v13, v13, v103
	s_delay_alu instid0(VALU_DEP_3) | instskip(NEXT) | instid1(VALU_DEP_3)
	v_add_f32_e32 v14, v17, v8
	v_sub_f32_e32 v9, v9, v105
	s_delay_alu instid0(VALU_DEP_1) | instskip(NEXT) | instid1(VALU_DEP_3)
	v_add_f32_e32 v9, v13, v9
	v_sub_f32_e32 v13, v14, v17
	s_delay_alu instid0(VALU_DEP_2) | instskip(NEXT) | instid1(VALU_DEP_2)
	v_add_f32_e32 v9, v14, v9
	v_sub_f32_e32 v14, v14, v13
	v_sub_f32_e32 v8, v8, v13
	s_delay_alu instid0(VALU_DEP_3) | instskip(NEXT) | instid1(VALU_DEP_1)
	v_add_f32_e32 v102, v15, v9
	v_dual_sub_f32 v14, v17, v14 :: v_dual_sub_f32 v13, v102, v15
	s_delay_alu instid0(VALU_DEP_1) | instskip(NEXT) | instid1(VALU_DEP_1)
	v_dual_add_f32 v8, v8, v14 :: v_dual_sub_f32 v9, v9, v13
	v_add_f32_e32 v8, v8, v9
	s_delay_alu instid0(VALU_DEP_1) | instskip(NEXT) | instid1(VALU_DEP_1)
	v_add_f32_e32 v8, v102, v8
	v_cndmask_b32_e32 v122, v8, v12, vcc_lo
.LBB124_100:                            ;   in Loop: Header=BB124_12 Depth=1
	s_or_b32 exec_lo, exec_lo, s30
	v_lshrrev_b32_e32 v8, 16, v10
	s_delay_alu instid0(VALU_DEP_1) | instskip(NEXT) | instid1(VALU_DEP_1)
	v_cvt_f32_f16_e32 v8, v8
	v_add_f32_e32 v123, s67, v8
	s_delay_alu instid0(VALU_DEP_1) | instskip(SKIP_1) | instid1(SALU_CYCLE_1)
	v_cmp_ge_f32_e32 vcc_lo, 0x41a00000, v123
	s_and_b32 s29, s80, vcc_lo
	s_and_saveexec_b32 s30, s29
	s_cbranch_execz .LBB124_102
; %bb.101:                              ;   in Loop: Header=BB124_12 Depth=1
	v_mul_f32_e32 v8, 0x3fb8aa3b, v123
	v_cmp_ngt_f32_e32 vcc_lo, 0xc2ce8ed0, v123
	s_delay_alu instid0(VALU_DEP_2) | instskip(SKIP_1) | instid1(VALU_DEP_2)
	v_rndne_f32_e32 v9, v8
	v_fma_f32 v10, 0x3fb8aa3b, v123, -v8
	v_sub_f32_e32 v8, v8, v9
	s_delay_alu instid0(VALU_DEP_2) | instskip(SKIP_1) | instid1(VALU_DEP_2)
	v_fmac_f32_e32 v10, 0x32a5705f, v123
	v_cvt_i32_f32_e32 v9, v9
	v_add_f32_e32 v8, v8, v10
	s_delay_alu instid0(VALU_DEP_1) | instskip(SKIP_2) | instid1(VALU_DEP_1)
	v_exp_f32_e32 v8, v8
	s_waitcnt_depctr 0xfff
	v_ldexp_f32 v8, v8, v9
	v_cndmask_b32_e32 v8, 0, v8, vcc_lo
	v_cmp_nlt_f32_e32 vcc_lo, 0x42b17218, v123
	s_delay_alu instid0(VALU_DEP_2) | instskip(NEXT) | instid1(VALU_DEP_1)
	v_cndmask_b32_e32 v10, 0x7f800000, v8, vcc_lo
	v_add_f32_e32 v12, 1.0, v10
	s_delay_alu instid0(VALU_DEP_1) | instskip(NEXT) | instid1(VALU_DEP_1)
	v_cvt_f64_f32_e32 v[8:9], v12
	v_frexp_exp_i32_f64_e32 v8, v[8:9]
	v_frexp_mant_f32_e32 v9, v12
	s_delay_alu instid0(VALU_DEP_1) | instskip(SKIP_1) | instid1(VALU_DEP_1)
	v_cmp_gt_f32_e32 vcc_lo, 0x3f2aaaab, v9
	v_add_f32_e32 v9, -1.0, v12
	v_dual_sub_f32 v14, v9, v12 :: v_dual_sub_f32 v9, v10, v9
	v_subrev_co_ci_u32_e32 v8, vcc_lo, 0, v8, vcc_lo
	s_delay_alu instid0(VALU_DEP_1) | instskip(SKIP_1) | instid1(VALU_DEP_2)
	v_sub_nc_u32_e32 v13, 0, v8
	v_cvt_f32_i32_e32 v8, v8
	v_ldexp_f32 v12, v12, v13
	s_delay_alu instid0(VALU_DEP_1) | instskip(NEXT) | instid1(VALU_DEP_1)
	v_dual_add_f32 v14, 1.0, v14 :: v_dual_add_f32 v15, 1.0, v12
	v_add_f32_e32 v9, v9, v14
	s_delay_alu instid0(VALU_DEP_1) | instskip(NEXT) | instid1(VALU_DEP_3)
	v_ldexp_f32 v9, v9, v13
	v_dual_add_f32 v13, -1.0, v12 :: v_dual_add_f32 v14, -1.0, v15
	s_delay_alu instid0(VALU_DEP_1) | instskip(NEXT) | instid1(VALU_DEP_1)
	v_dual_add_f32 v17, 1.0, v13 :: v_dual_sub_f32 v14, v12, v14
	v_sub_f32_e32 v12, v12, v17
	s_delay_alu instid0(VALU_DEP_2) | instskip(NEXT) | instid1(VALU_DEP_2)
	v_add_f32_e32 v14, v9, v14
	v_add_f32_e32 v9, v9, v12
	s_delay_alu instid0(VALU_DEP_2) | instskip(SKIP_2) | instid1(VALU_DEP_3)
	v_add_f32_e32 v17, v15, v14
	v_cmp_eq_f32_e32 vcc_lo, 0x7f800000, v10
	v_cmp_gt_f32_e64 s29, 0x33800000, v10
	v_rcp_f32_e32 v12, v17
	v_sub_f32_e32 v15, v15, v17
	s_delay_alu instid0(VALU_DEP_2) | instskip(NEXT) | instid1(VALU_DEP_1)
	s_or_b32 vcc_lo, s29, vcc_lo
	v_add_f32_e32 v14, v14, v15
	v_add_f32_e32 v102, v13, v9
	s_waitcnt_depctr 0xfff
	v_mul_f32_e32 v103, v102, v12
	s_delay_alu instid0(VALU_DEP_1) | instskip(NEXT) | instid1(VALU_DEP_1)
	v_mul_f32_e32 v105, v17, v103
	v_fma_f32 v15, v103, v17, -v105
	s_delay_alu instid0(VALU_DEP_1) | instskip(SKIP_1) | instid1(VALU_DEP_2)
	v_fmac_f32_e32 v15, v103, v14
	v_sub_f32_e32 v13, v13, v102
	v_add_f32_e32 v106, v105, v15
	s_delay_alu instid0(VALU_DEP_2) | instskip(NEXT) | instid1(VALU_DEP_2)
	v_add_f32_e32 v9, v9, v13
	v_sub_f32_e32 v107, v102, v106
	v_sub_f32_e32 v13, v106, v105
	s_delay_alu instid0(VALU_DEP_2) | instskip(NEXT) | instid1(VALU_DEP_1)
	v_sub_f32_e32 v102, v102, v107
	v_dual_sub_f32 v13, v13, v15 :: v_dual_sub_f32 v102, v102, v106
	s_delay_alu instid0(VALU_DEP_1) | instskip(NEXT) | instid1(VALU_DEP_1)
	v_add_f32_e32 v9, v9, v102
	v_add_f32_e32 v9, v13, v9
	s_delay_alu instid0(VALU_DEP_1) | instskip(NEXT) | instid1(VALU_DEP_1)
	v_add_f32_e32 v13, v107, v9
	v_mul_f32_e32 v15, v12, v13
	v_sub_f32_e32 v106, v107, v13
	s_delay_alu instid0(VALU_DEP_2) | instskip(NEXT) | instid1(VALU_DEP_1)
	v_mul_f32_e32 v102, v17, v15
	v_fma_f32 v17, v15, v17, -v102
	s_delay_alu instid0(VALU_DEP_1) | instskip(NEXT) | instid1(VALU_DEP_1)
	v_fmac_f32_e32 v17, v15, v14
	v_add_f32_e32 v14, v102, v17
	s_delay_alu instid0(VALU_DEP_1) | instskip(SKIP_2) | instid1(VALU_DEP_3)
	v_sub_f32_e32 v105, v13, v14
	v_sub_f32_e32 v102, v14, v102
	v_add_f32_e32 v9, v9, v106
	v_sub_f32_e32 v13, v13, v105
	s_delay_alu instid0(VALU_DEP_1) | instskip(NEXT) | instid1(VALU_DEP_1)
	v_dual_sub_f32 v13, v13, v14 :: v_dual_sub_f32 v14, v102, v17
	v_add_f32_e32 v9, v9, v13
	v_add_f32_e32 v13, v103, v15
	s_delay_alu instid0(VALU_DEP_1) | instskip(NEXT) | instid1(VALU_DEP_1)
	v_dual_add_f32 v9, v14, v9 :: v_dual_sub_f32 v14, v13, v103
	v_dual_add_f32 v9, v105, v9 :: v_dual_sub_f32 v14, v15, v14
	s_delay_alu instid0(VALU_DEP_1) | instskip(NEXT) | instid1(VALU_DEP_1)
	v_mul_f32_e32 v9, v12, v9
	v_add_f32_e32 v9, v14, v9
	s_delay_alu instid0(VALU_DEP_1) | instskip(NEXT) | instid1(VALU_DEP_1)
	v_add_f32_e32 v12, v13, v9
	v_mul_f32_e32 v14, v12, v12
	s_delay_alu instid0(VALU_DEP_1) | instskip(NEXT) | instid1(VALU_DEP_1)
	v_fmaak_f32 v15, s84, v14, 0x3ecc95a3
	v_dual_mul_f32 v17, v12, v14 :: v_dual_fmaak_f32 v14, v14, v15, 0x3f2aaada
	v_ldexp_f32 v15, v12, 1
	s_delay_alu instid0(VALU_DEP_2) | instskip(SKIP_1) | instid1(VALU_DEP_2)
	v_mul_f32_e32 v14, v17, v14
	v_dual_sub_f32 v12, v12, v13 :: v_dual_mul_f32 v17, 0x3f317218, v8
	v_add_f32_e32 v13, v15, v14
	s_delay_alu instid0(VALU_DEP_2) | instskip(NEXT) | instid1(VALU_DEP_2)
	v_sub_f32_e32 v9, v9, v12
	v_sub_f32_e32 v12, v13, v15
	s_delay_alu instid0(VALU_DEP_4) | instskip(NEXT) | instid1(VALU_DEP_3)
	v_fma_f32 v15, 0x3f317218, v8, -v17
	v_ldexp_f32 v9, v9, 1
	s_delay_alu instid0(VALU_DEP_3) | instskip(NEXT) | instid1(VALU_DEP_3)
	v_sub_f32_e32 v12, v14, v12
	v_fmac_f32_e32 v15, 0xb102e308, v8
	s_delay_alu instid0(VALU_DEP_2) | instskip(NEXT) | instid1(VALU_DEP_1)
	v_add_f32_e32 v8, v9, v12
	v_add_f32_e32 v12, v13, v8
	s_delay_alu instid0(VALU_DEP_1) | instskip(NEXT) | instid1(VALU_DEP_1)
	v_sub_f32_e32 v13, v12, v13
	v_dual_sub_f32 v8, v8, v13 :: v_dual_add_f32 v9, v17, v15
	s_delay_alu instid0(VALU_DEP_1) | instskip(NEXT) | instid1(VALU_DEP_1)
	v_add_f32_e32 v14, v9, v12
	v_sub_f32_e32 v102, v14, v9
	s_delay_alu instid0(VALU_DEP_1) | instskip(NEXT) | instid1(VALU_DEP_1)
	v_dual_sub_f32 v17, v9, v17 :: v_dual_sub_f32 v12, v12, v102
	v_sub_f32_e32 v15, v15, v17
	s_delay_alu instid0(VALU_DEP_1) | instskip(SKIP_1) | instid1(VALU_DEP_1)
	v_add_f32_e32 v13, v15, v8
	v_sub_f32_e32 v103, v14, v102
	v_sub_f32_e32 v9, v9, v103
	s_delay_alu instid0(VALU_DEP_1) | instskip(NEXT) | instid1(VALU_DEP_1)
	v_dual_add_f32 v9, v12, v9 :: v_dual_sub_f32 v12, v13, v15
	v_add_f32_e32 v9, v13, v9
	s_delay_alu instid0(VALU_DEP_2) | instskip(NEXT) | instid1(VALU_DEP_2)
	v_sub_f32_e32 v13, v13, v12
	v_dual_sub_f32 v8, v8, v12 :: v_dual_add_f32 v17, v14, v9
	s_delay_alu instid0(VALU_DEP_1) | instskip(NEXT) | instid1(VALU_DEP_1)
	v_dual_sub_f32 v13, v15, v13 :: v_dual_sub_f32 v12, v17, v14
	v_dual_add_f32 v8, v8, v13 :: v_dual_sub_f32 v9, v9, v12
	s_delay_alu instid0(VALU_DEP_1) | instskip(NEXT) | instid1(VALU_DEP_1)
	v_add_f32_e32 v8, v8, v9
	v_add_f32_e32 v8, v17, v8
	s_delay_alu instid0(VALU_DEP_1)
	v_cndmask_b32_e32 v123, v8, v10, vcc_lo
.LBB124_102:                            ;   in Loop: Header=BB124_12 Depth=1
	s_or_b32 exec_lo, exec_lo, s30
	v_cvt_f32_f16_e32 v8, v11
	s_delay_alu instid0(VALU_DEP_1) | instskip(NEXT) | instid1(VALU_DEP_1)
	v_add_f32_e32 v124, s67, v8
	v_cmp_ge_f32_e32 vcc_lo, 0x41a00000, v124
	s_and_b32 s29, s80, vcc_lo
	s_delay_alu instid0(SALU_CYCLE_1)
	s_and_saveexec_b32 s30, s29
	s_cbranch_execz .LBB124_104
; %bb.103:                              ;   in Loop: Header=BB124_12 Depth=1
	v_mul_f32_e32 v8, 0x3fb8aa3b, v124
	v_cmp_ngt_f32_e32 vcc_lo, 0xc2ce8ed0, v124
	s_delay_alu instid0(VALU_DEP_2) | instskip(SKIP_1) | instid1(VALU_DEP_2)
	v_rndne_f32_e32 v9, v8
	v_fma_f32 v10, 0x3fb8aa3b, v124, -v8
	v_sub_f32_e32 v8, v8, v9
	s_delay_alu instid0(VALU_DEP_2) | instskip(SKIP_1) | instid1(VALU_DEP_2)
	v_fmac_f32_e32 v10, 0x32a5705f, v124
	v_cvt_i32_f32_e32 v9, v9
	v_add_f32_e32 v8, v8, v10
	s_delay_alu instid0(VALU_DEP_1) | instskip(SKIP_2) | instid1(VALU_DEP_1)
	v_exp_f32_e32 v8, v8
	s_waitcnt_depctr 0xfff
	v_ldexp_f32 v8, v8, v9
	v_cndmask_b32_e32 v8, 0, v8, vcc_lo
	v_cmp_nlt_f32_e32 vcc_lo, 0x42b17218, v124
	s_delay_alu instid0(VALU_DEP_2) | instskip(NEXT) | instid1(VALU_DEP_1)
	v_cndmask_b32_e32 v10, 0x7f800000, v8, vcc_lo
	v_add_f32_e32 v12, 1.0, v10
	s_delay_alu instid0(VALU_DEP_1) | instskip(NEXT) | instid1(VALU_DEP_1)
	v_cvt_f64_f32_e32 v[8:9], v12
	v_frexp_exp_i32_f64_e32 v8, v[8:9]
	v_frexp_mant_f32_e32 v9, v12
	s_delay_alu instid0(VALU_DEP_1) | instskip(SKIP_1) | instid1(VALU_DEP_1)
	v_cmp_gt_f32_e32 vcc_lo, 0x3f2aaaab, v9
	v_add_f32_e32 v9, -1.0, v12
	v_dual_sub_f32 v14, v9, v12 :: v_dual_sub_f32 v9, v10, v9
	v_subrev_co_ci_u32_e32 v8, vcc_lo, 0, v8, vcc_lo
	s_delay_alu instid0(VALU_DEP_1) | instskip(SKIP_1) | instid1(VALU_DEP_2)
	v_sub_nc_u32_e32 v13, 0, v8
	v_cvt_f32_i32_e32 v8, v8
	v_ldexp_f32 v12, v12, v13
	s_delay_alu instid0(VALU_DEP_1) | instskip(NEXT) | instid1(VALU_DEP_1)
	v_dual_add_f32 v14, 1.0, v14 :: v_dual_add_f32 v15, 1.0, v12
	v_add_f32_e32 v9, v9, v14
	s_delay_alu instid0(VALU_DEP_1) | instskip(NEXT) | instid1(VALU_DEP_3)
	v_ldexp_f32 v9, v9, v13
	v_dual_add_f32 v13, -1.0, v12 :: v_dual_add_f32 v14, -1.0, v15
	s_delay_alu instid0(VALU_DEP_1) | instskip(NEXT) | instid1(VALU_DEP_1)
	v_dual_add_f32 v17, 1.0, v13 :: v_dual_sub_f32 v14, v12, v14
	v_sub_f32_e32 v12, v12, v17
	s_delay_alu instid0(VALU_DEP_2) | instskip(NEXT) | instid1(VALU_DEP_2)
	v_add_f32_e32 v14, v9, v14
	v_add_f32_e32 v9, v9, v12
	s_delay_alu instid0(VALU_DEP_2) | instskip(SKIP_2) | instid1(VALU_DEP_3)
	v_add_f32_e32 v17, v15, v14
	v_cmp_eq_f32_e32 vcc_lo, 0x7f800000, v10
	v_cmp_gt_f32_e64 s29, 0x33800000, v10
	v_rcp_f32_e32 v12, v17
	v_sub_f32_e32 v15, v15, v17
	s_delay_alu instid0(VALU_DEP_2) | instskip(NEXT) | instid1(VALU_DEP_1)
	s_or_b32 vcc_lo, s29, vcc_lo
	v_add_f32_e32 v14, v14, v15
	v_add_f32_e32 v102, v13, v9
	s_waitcnt_depctr 0xfff
	v_mul_f32_e32 v103, v102, v12
	s_delay_alu instid0(VALU_DEP_1) | instskip(NEXT) | instid1(VALU_DEP_1)
	v_mul_f32_e32 v105, v17, v103
	v_fma_f32 v15, v103, v17, -v105
	s_delay_alu instid0(VALU_DEP_1) | instskip(SKIP_1) | instid1(VALU_DEP_2)
	v_fmac_f32_e32 v15, v103, v14
	v_sub_f32_e32 v13, v13, v102
	v_add_f32_e32 v106, v105, v15
	s_delay_alu instid0(VALU_DEP_2) | instskip(NEXT) | instid1(VALU_DEP_2)
	v_add_f32_e32 v9, v9, v13
	v_sub_f32_e32 v107, v102, v106
	v_sub_f32_e32 v13, v106, v105
	s_delay_alu instid0(VALU_DEP_2) | instskip(NEXT) | instid1(VALU_DEP_1)
	v_sub_f32_e32 v102, v102, v107
	v_dual_sub_f32 v13, v13, v15 :: v_dual_sub_f32 v102, v102, v106
	s_delay_alu instid0(VALU_DEP_1) | instskip(NEXT) | instid1(VALU_DEP_1)
	v_add_f32_e32 v9, v9, v102
	v_add_f32_e32 v9, v13, v9
	s_delay_alu instid0(VALU_DEP_1) | instskip(NEXT) | instid1(VALU_DEP_1)
	v_add_f32_e32 v13, v107, v9
	v_mul_f32_e32 v15, v12, v13
	v_sub_f32_e32 v106, v107, v13
	s_delay_alu instid0(VALU_DEP_2) | instskip(NEXT) | instid1(VALU_DEP_1)
	v_mul_f32_e32 v102, v17, v15
	v_fma_f32 v17, v15, v17, -v102
	s_delay_alu instid0(VALU_DEP_1) | instskip(NEXT) | instid1(VALU_DEP_1)
	v_fmac_f32_e32 v17, v15, v14
	v_add_f32_e32 v14, v102, v17
	s_delay_alu instid0(VALU_DEP_1) | instskip(SKIP_2) | instid1(VALU_DEP_3)
	v_sub_f32_e32 v105, v13, v14
	v_sub_f32_e32 v102, v14, v102
	v_add_f32_e32 v9, v9, v106
	v_sub_f32_e32 v13, v13, v105
	s_delay_alu instid0(VALU_DEP_1) | instskip(NEXT) | instid1(VALU_DEP_1)
	v_dual_sub_f32 v13, v13, v14 :: v_dual_sub_f32 v14, v102, v17
	v_add_f32_e32 v9, v9, v13
	v_add_f32_e32 v13, v103, v15
	s_delay_alu instid0(VALU_DEP_1) | instskip(NEXT) | instid1(VALU_DEP_1)
	v_dual_add_f32 v9, v14, v9 :: v_dual_sub_f32 v14, v13, v103
	v_dual_add_f32 v9, v105, v9 :: v_dual_sub_f32 v14, v15, v14
	s_delay_alu instid0(VALU_DEP_1) | instskip(NEXT) | instid1(VALU_DEP_1)
	v_mul_f32_e32 v9, v12, v9
	v_add_f32_e32 v9, v14, v9
	s_delay_alu instid0(VALU_DEP_1) | instskip(NEXT) | instid1(VALU_DEP_1)
	v_add_f32_e32 v12, v13, v9
	v_mul_f32_e32 v14, v12, v12
	s_delay_alu instid0(VALU_DEP_1) | instskip(NEXT) | instid1(VALU_DEP_1)
	v_fmaak_f32 v15, s84, v14, 0x3ecc95a3
	v_dual_mul_f32 v17, v12, v14 :: v_dual_fmaak_f32 v14, v14, v15, 0x3f2aaada
	v_ldexp_f32 v15, v12, 1
	s_delay_alu instid0(VALU_DEP_2) | instskip(SKIP_1) | instid1(VALU_DEP_2)
	v_mul_f32_e32 v14, v17, v14
	v_dual_sub_f32 v12, v12, v13 :: v_dual_mul_f32 v17, 0x3f317218, v8
	v_add_f32_e32 v13, v15, v14
	s_delay_alu instid0(VALU_DEP_2) | instskip(NEXT) | instid1(VALU_DEP_2)
	v_sub_f32_e32 v9, v9, v12
	v_sub_f32_e32 v12, v13, v15
	s_delay_alu instid0(VALU_DEP_4) | instskip(NEXT) | instid1(VALU_DEP_3)
	v_fma_f32 v15, 0x3f317218, v8, -v17
	v_ldexp_f32 v9, v9, 1
	s_delay_alu instid0(VALU_DEP_3) | instskip(NEXT) | instid1(VALU_DEP_3)
	v_sub_f32_e32 v12, v14, v12
	v_fmac_f32_e32 v15, 0xb102e308, v8
	s_delay_alu instid0(VALU_DEP_2) | instskip(NEXT) | instid1(VALU_DEP_1)
	v_add_f32_e32 v8, v9, v12
	v_add_f32_e32 v12, v13, v8
	s_delay_alu instid0(VALU_DEP_1) | instskip(NEXT) | instid1(VALU_DEP_1)
	v_sub_f32_e32 v13, v12, v13
	v_dual_sub_f32 v8, v8, v13 :: v_dual_add_f32 v9, v17, v15
	s_delay_alu instid0(VALU_DEP_1) | instskip(NEXT) | instid1(VALU_DEP_1)
	v_add_f32_e32 v14, v9, v12
	v_sub_f32_e32 v102, v14, v9
	s_delay_alu instid0(VALU_DEP_1) | instskip(NEXT) | instid1(VALU_DEP_1)
	v_dual_sub_f32 v17, v9, v17 :: v_dual_sub_f32 v12, v12, v102
	v_sub_f32_e32 v15, v15, v17
	s_delay_alu instid0(VALU_DEP_1) | instskip(SKIP_1) | instid1(VALU_DEP_1)
	v_add_f32_e32 v13, v15, v8
	v_sub_f32_e32 v103, v14, v102
	v_sub_f32_e32 v9, v9, v103
	s_delay_alu instid0(VALU_DEP_1) | instskip(NEXT) | instid1(VALU_DEP_1)
	v_dual_add_f32 v9, v12, v9 :: v_dual_sub_f32 v12, v13, v15
	v_add_f32_e32 v9, v13, v9
	s_delay_alu instid0(VALU_DEP_2) | instskip(NEXT) | instid1(VALU_DEP_2)
	v_sub_f32_e32 v13, v13, v12
	v_dual_sub_f32 v8, v8, v12 :: v_dual_add_f32 v17, v14, v9
	s_delay_alu instid0(VALU_DEP_1) | instskip(NEXT) | instid1(VALU_DEP_1)
	v_dual_sub_f32 v13, v15, v13 :: v_dual_sub_f32 v12, v17, v14
	v_dual_add_f32 v8, v8, v13 :: v_dual_sub_f32 v9, v9, v12
	s_delay_alu instid0(VALU_DEP_1) | instskip(NEXT) | instid1(VALU_DEP_1)
	v_add_f32_e32 v8, v8, v9
	v_add_f32_e32 v8, v17, v8
	s_delay_alu instid0(VALU_DEP_1)
	v_cndmask_b32_e32 v124, v8, v10, vcc_lo
.LBB124_104:                            ;   in Loop: Header=BB124_12 Depth=1
	s_or_b32 exec_lo, exec_lo, s30
	v_lshrrev_b32_e32 v8, 16, v11
	s_delay_alu instid0(VALU_DEP_1) | instskip(NEXT) | instid1(VALU_DEP_1)
	v_cvt_f32_f16_e32 v8, v8
	v_add_f32_e32 v125, s67, v8
	s_delay_alu instid0(VALU_DEP_1) | instskip(SKIP_1) | instid1(SALU_CYCLE_1)
	v_cmp_ge_f32_e32 vcc_lo, 0x41a00000, v125
	s_and_b32 s29, s80, vcc_lo
	s_and_saveexec_b32 s30, s29
	s_cbranch_execz .LBB124_106
; %bb.105:                              ;   in Loop: Header=BB124_12 Depth=1
	v_mul_f32_e32 v8, 0x3fb8aa3b, v125
	v_cmp_ngt_f32_e32 vcc_lo, 0xc2ce8ed0, v125
	s_delay_alu instid0(VALU_DEP_2) | instskip(SKIP_1) | instid1(VALU_DEP_2)
	v_rndne_f32_e32 v9, v8
	v_fma_f32 v10, 0x3fb8aa3b, v125, -v8
	v_sub_f32_e32 v8, v8, v9
	s_delay_alu instid0(VALU_DEP_2) | instskip(SKIP_1) | instid1(VALU_DEP_2)
	v_fmac_f32_e32 v10, 0x32a5705f, v125
	v_cvt_i32_f32_e32 v9, v9
	v_add_f32_e32 v8, v8, v10
	s_delay_alu instid0(VALU_DEP_1) | instskip(SKIP_2) | instid1(VALU_DEP_1)
	v_exp_f32_e32 v8, v8
	s_waitcnt_depctr 0xfff
	v_ldexp_f32 v8, v8, v9
	v_cndmask_b32_e32 v8, 0, v8, vcc_lo
	v_cmp_nlt_f32_e32 vcc_lo, 0x42b17218, v125
	s_delay_alu instid0(VALU_DEP_2) | instskip(NEXT) | instid1(VALU_DEP_1)
	v_cndmask_b32_e32 v10, 0x7f800000, v8, vcc_lo
	v_add_f32_e32 v11, 1.0, v10
	s_delay_alu instid0(VALU_DEP_1) | instskip(NEXT) | instid1(VALU_DEP_1)
	v_cvt_f64_f32_e32 v[8:9], v11
	v_frexp_exp_i32_f64_e32 v8, v[8:9]
	v_frexp_mant_f32_e32 v9, v11
	s_delay_alu instid0(VALU_DEP_1) | instskip(SKIP_1) | instid1(VALU_DEP_1)
	v_cmp_gt_f32_e32 vcc_lo, 0x3f2aaaab, v9
	v_add_f32_e32 v9, -1.0, v11
	v_sub_f32_e32 v13, v9, v11
	v_sub_f32_e32 v9, v10, v9
	s_delay_alu instid0(VALU_DEP_2) | instskip(NEXT) | instid1(VALU_DEP_1)
	v_add_f32_e32 v13, 1.0, v13
	v_add_f32_e32 v9, v9, v13
	v_cmp_gt_f32_e64 s29, 0x33800000, v10
	v_subrev_co_ci_u32_e32 v8, vcc_lo, 0, v8, vcc_lo
	v_cmp_eq_f32_e32 vcc_lo, 0x7f800000, v10
	s_delay_alu instid0(VALU_DEP_2) | instskip(SKIP_2) | instid1(VALU_DEP_2)
	v_sub_nc_u32_e32 v12, 0, v8
	v_cvt_f32_i32_e32 v8, v8
	s_or_b32 vcc_lo, s29, vcc_lo
	v_ldexp_f32 v11, v11, v12
	v_ldexp_f32 v9, v9, v12
	s_delay_alu instid0(VALU_DEP_2) | instskip(NEXT) | instid1(VALU_DEP_1)
	v_add_f32_e32 v14, 1.0, v11
	v_dual_add_f32 v12, -1.0, v11 :: v_dual_add_f32 v13, -1.0, v14
	s_delay_alu instid0(VALU_DEP_1) | instskip(NEXT) | instid1(VALU_DEP_2)
	v_add_f32_e32 v15, 1.0, v12
	v_sub_f32_e32 v13, v11, v13
	s_delay_alu instid0(VALU_DEP_2) | instskip(NEXT) | instid1(VALU_DEP_2)
	v_sub_f32_e32 v11, v11, v15
	v_add_f32_e32 v13, v9, v13
	s_delay_alu instid0(VALU_DEP_2) | instskip(NEXT) | instid1(VALU_DEP_2)
	v_add_f32_e32 v9, v9, v11
	v_add_f32_e32 v15, v14, v13
	s_delay_alu instid0(VALU_DEP_1) | instskip(NEXT) | instid1(VALU_DEP_2)
	v_rcp_f32_e32 v11, v15
	v_dual_add_f32 v17, v12, v9 :: v_dual_sub_f32 v14, v14, v15
	s_delay_alu instid0(VALU_DEP_1) | instskip(SKIP_2) | instid1(VALU_DEP_1)
	v_dual_sub_f32 v12, v12, v17 :: v_dual_add_f32 v13, v13, v14
	s_waitcnt_depctr 0xfff
	v_mul_f32_e32 v102, v17, v11
	v_mul_f32_e32 v103, v15, v102
	s_delay_alu instid0(VALU_DEP_1) | instskip(NEXT) | instid1(VALU_DEP_1)
	v_fma_f32 v14, v102, v15, -v103
	v_dual_fmac_f32 v14, v102, v13 :: v_dual_add_f32 v9, v9, v12
	s_delay_alu instid0(VALU_DEP_1) | instskip(NEXT) | instid1(VALU_DEP_1)
	v_add_f32_e32 v105, v103, v14
	v_sub_f32_e32 v106, v17, v105
	v_sub_f32_e32 v12, v105, v103
	s_delay_alu instid0(VALU_DEP_2) | instskip(NEXT) | instid1(VALU_DEP_1)
	v_sub_f32_e32 v17, v17, v106
	v_dual_sub_f32 v12, v12, v14 :: v_dual_sub_f32 v17, v17, v105
	s_delay_alu instid0(VALU_DEP_1) | instskip(NEXT) | instid1(VALU_DEP_1)
	v_add_f32_e32 v9, v9, v17
	v_add_f32_e32 v9, v12, v9
	s_delay_alu instid0(VALU_DEP_1) | instskip(NEXT) | instid1(VALU_DEP_1)
	v_add_f32_e32 v12, v106, v9
	v_mul_f32_e32 v14, v11, v12
	v_sub_f32_e32 v105, v106, v12
	s_delay_alu instid0(VALU_DEP_2) | instskip(NEXT) | instid1(VALU_DEP_2)
	v_mul_f32_e32 v17, v15, v14
	v_add_f32_e32 v9, v9, v105
	s_delay_alu instid0(VALU_DEP_2) | instskip(NEXT) | instid1(VALU_DEP_1)
	v_fma_f32 v15, v14, v15, -v17
	v_fmac_f32_e32 v15, v14, v13
	s_delay_alu instid0(VALU_DEP_1) | instskip(NEXT) | instid1(VALU_DEP_1)
	v_add_f32_e32 v13, v17, v15
	v_sub_f32_e32 v103, v12, v13
	s_delay_alu instid0(VALU_DEP_1) | instskip(NEXT) | instid1(VALU_DEP_1)
	v_dual_sub_f32 v17, v13, v17 :: v_dual_sub_f32 v12, v12, v103
	v_dual_sub_f32 v12, v12, v13 :: v_dual_sub_f32 v13, v17, v15
	s_delay_alu instid0(VALU_DEP_1) | instskip(NEXT) | instid1(VALU_DEP_1)
	v_dual_add_f32 v9, v9, v12 :: v_dual_add_f32 v12, v102, v14
	v_add_f32_e32 v9, v13, v9
	s_delay_alu instid0(VALU_DEP_2) | instskip(NEXT) | instid1(VALU_DEP_2)
	v_sub_f32_e32 v13, v12, v102
	v_add_f32_e32 v9, v103, v9
	s_delay_alu instid0(VALU_DEP_2) | instskip(NEXT) | instid1(VALU_DEP_2)
	v_sub_f32_e32 v13, v14, v13
	v_mul_f32_e32 v9, v11, v9
	s_delay_alu instid0(VALU_DEP_1) | instskip(NEXT) | instid1(VALU_DEP_1)
	v_add_f32_e32 v9, v13, v9
	v_add_f32_e32 v11, v12, v9
	s_delay_alu instid0(VALU_DEP_1) | instskip(NEXT) | instid1(VALU_DEP_1)
	v_mul_f32_e32 v13, v11, v11
	v_fmaak_f32 v14, s84, v13, 0x3ecc95a3
	v_mul_f32_e32 v15, v11, v13
	s_delay_alu instid0(VALU_DEP_2) | instskip(SKIP_2) | instid1(VALU_DEP_3)
	v_fmaak_f32 v13, v13, v14, 0x3f2aaada
	v_ldexp_f32 v14, v11, 1
	v_sub_f32_e32 v11, v11, v12
	v_mul_f32_e32 v13, v15, v13
	v_mul_f32_e32 v15, 0x3f317218, v8
	s_delay_alu instid0(VALU_DEP_2) | instskip(NEXT) | instid1(VALU_DEP_1)
	v_dual_sub_f32 v9, v9, v11 :: v_dual_add_f32 v12, v14, v13
	v_ldexp_f32 v9, v9, 1
	s_delay_alu instid0(VALU_DEP_2) | instskip(NEXT) | instid1(VALU_DEP_4)
	v_sub_f32_e32 v11, v12, v14
	v_fma_f32 v14, 0x3f317218, v8, -v15
	s_delay_alu instid0(VALU_DEP_1) | instskip(NEXT) | instid1(VALU_DEP_1)
	v_dual_sub_f32 v11, v13, v11 :: v_dual_fmac_f32 v14, 0xb102e308, v8
	v_dual_add_f32 v8, v9, v11 :: v_dual_add_f32 v9, v15, v14
	s_delay_alu instid0(VALU_DEP_1) | instskip(NEXT) | instid1(VALU_DEP_2)
	v_add_f32_e32 v11, v12, v8
	v_sub_f32_e32 v15, v9, v15
	s_delay_alu instid0(VALU_DEP_2) | instskip(NEXT) | instid1(VALU_DEP_1)
	v_dual_add_f32 v13, v9, v11 :: v_dual_sub_f32 v12, v11, v12
	v_dual_sub_f32 v14, v14, v15 :: v_dual_sub_f32 v17, v13, v9
	s_delay_alu instid0(VALU_DEP_2) | instskip(NEXT) | instid1(VALU_DEP_2)
	v_sub_f32_e32 v8, v8, v12
	v_sub_f32_e32 v102, v13, v17
	s_delay_alu instid0(VALU_DEP_2) | instskip(NEXT) | instid1(VALU_DEP_2)
	v_dual_sub_f32 v11, v11, v17 :: v_dual_add_f32 v12, v14, v8
	v_sub_f32_e32 v9, v9, v102
	s_delay_alu instid0(VALU_DEP_1) | instskip(NEXT) | instid1(VALU_DEP_3)
	v_add_f32_e32 v9, v11, v9
	v_sub_f32_e32 v11, v12, v14
	s_delay_alu instid0(VALU_DEP_2) | instskip(NEXT) | instid1(VALU_DEP_2)
	v_add_f32_e32 v9, v12, v9
	v_sub_f32_e32 v12, v12, v11
	s_delay_alu instid0(VALU_DEP_2) | instskip(NEXT) | instid1(VALU_DEP_1)
	v_dual_sub_f32 v8, v8, v11 :: v_dual_add_f32 v15, v13, v9
	v_dual_sub_f32 v12, v14, v12 :: v_dual_sub_f32 v11, v15, v13
	s_delay_alu instid0(VALU_DEP_1) | instskip(NEXT) | instid1(VALU_DEP_1)
	v_dual_add_f32 v8, v8, v12 :: v_dual_sub_f32 v9, v9, v11
	v_add_f32_e32 v8, v8, v9
	s_delay_alu instid0(VALU_DEP_1) | instskip(NEXT) | instid1(VALU_DEP_1)
	v_add_f32_e32 v8, v15, v8
	v_cndmask_b32_e32 v125, v8, v10, vcc_lo
.LBB124_106:                            ;   in Loop: Header=BB124_12 Depth=1
	s_or_b32 exec_lo, exec_lo, s30
	v_lshrrev_b32_e32 v9, 16, v6
	v_lshrrev_b32_e32 v10, 16, v7
	;; [unrolled: 1-line block ×6, first 2 shown]
	v_cvt_f32_f16_e32 v8, v7
	v_cvt_f32_f16_e32 v7, v9
	v_cvt_f32_f16_e32 v9, v11
	v_cvt_f32_f16_e32 v11, v10
	v_cvt_f32_f16_e32 v10, v12
	v_cvt_f32_f16_e32 v12, v13
	v_cvt_f32_f16_e32 v13, v14
	v_lshrrev_b32_e32 v14, 16, v1
	v_lshrrev_b32_e32 v15, 16, v0
	v_cvt_f32_f16_e32 v6, v6
	v_cvt_f32_f16_e32 v5, v5
	;; [unrolled: 1-line block ×9, first 2 shown]
	v_dual_mul_f32 v106, s68, v8 :: v_dual_mul_f32 v107, s68, v6
	v_dual_mul_f32 v102, s68, v7 :: v_dual_mul_f32 v103, s68, v9
	v_dual_mul_f32 v108, s68, v5 :: v_dual_mul_f32 v105, s68, v10
	v_dual_mul_f32 v111, s68, v4 :: v_dual_mul_f32 v116, s68, v3
	v_dual_mul_f32 v109, s68, v12 :: v_dual_mul_f32 v110, s68, v13
	v_dual_mul_f32 v117, s68, v2 :: v_dual_mul_f32 v120, s68, v0
	v_dual_mul_f32 v114, s68, v14 :: v_dual_mul_f32 v119, s68, v1
	v_mul_f32_e32 v113, s68, v15
	v_mul_f32_e32 v112, s68, v11
	s_and_b32 vcc_lo, exec_lo, s81
	s_barrier
	buffer_gl0_inv
	s_cbranch_vccz .LBB124_204
; %bb.107:                              ;   in Loop: Header=BB124_12 Depth=1
	v_dual_mul_f32 v126, v125, v11 :: v_dual_mul_f32 v131, v124, v8
	v_add_co_u32 v11, s29, s61, v16
	s_delay_alu instid0(VALU_DEP_1) | instskip(SKIP_1) | instid1(VALU_DEP_1)
	v_add_co_ci_u32_e64 v17, null, s62, 0, s29
	v_add_co_u32 v16, s29, s49, v16
	v_add_co_ci_u32_e64 v130, null, s74, 0, s29
	s_delay_alu instid0(VALU_DEP_4) | instskip(NEXT) | instid1(VALU_DEP_4)
	v_add_co_u32 v127, vcc_lo, v11, v93
	v_add_co_ci_u32_e32 v128, vcc_lo, 0, v17, vcc_lo
	s_delay_alu instid0(VALU_DEP_4) | instskip(NEXT) | instid1(VALU_DEP_4)
	v_add_co_u32 v129, vcc_lo, v16, v93
	v_add_co_ci_u32_e32 v130, vcc_lo, 0, v130, vcc_lo
	v_cmp_gt_u32_e32 vcc_lo, s41, v18
	s_cmp_lg_u32 s88, 0
	v_cmp_gt_u32_e64 s31, s41, v79
	s_cselect_b32 s51, -1, 0
	s_cmp_eq_u32 s88, s83
	v_cmp_gt_u32_e64 s33, s41, v80
	s_cselect_b32 s89, -1, 0
	s_or_b32 s29, s82, vcc_lo
	v_cmp_gt_u32_e32 vcc_lo, s41, v78
	v_cmp_gt_u32_e64 s34, s41, v81
	v_cmp_gt_u32_e64 s35, s41, v82
	;; [unrolled: 1-line block ×4, first 2 shown]
	s_or_b32 s30, s82, vcc_lo
	v_cmp_gt_u32_e32 vcc_lo, s41, v83
	v_cmp_gt_u32_e64 s39, s41, v86
	v_cmp_gt_u32_e64 s40, s41, v87
	;; [unrolled: 1-line block ×4, first 2 shown]
	s_or_b32 s36, s82, vcc_lo
	v_cmp_gt_u32_e32 vcc_lo, s41, v88
	v_cmp_gt_u32_e64 s44, s41, v91
	v_cmp_gt_u32_e64 s45, s41, v92
	v_dual_mul_f32 v132, v123, v7 :: v_dual_mul_f32 v133, v122, v6
	v_dual_mul_f32 v134, v121, v9 :: v_dual_mul_f32 v137, v104, v4
	;; [unrolled: 1-line block ×7, first 2 shown]
	s_mov_b32 s64, 0
	s_or_b32 s31, s82, s31
	s_or_b32 s33, s82, s33
	;; [unrolled: 1-line block ×8, first 2 shown]
	s_or_b32 s41, s82, vcc_lo
	s_or_b32 s42, s82, s42
	s_or_b32 s43, s82, s43
	;; [unrolled: 1-line block ×4, first 2 shown]
	s_mov_b32 s52, s64
	s_mov_b32 s54, s64
	;; [unrolled: 1-line block ×5, first 2 shown]
	s_branch .LBB124_109
.LBB124_108:                            ;   in Loop: Header=BB124_109 Depth=2
	s_or_b32 exec_lo, exec_lo, s46
	v_cndmask_b32_e64 v9, v175, v11, s12
	v_cndmask_b32_e64 v10, v174, v10, s12
	s_add_i32 s90, s90, -1
	s_add_i32 s91, s91, 8
	s_add_i32 s58, s58, s75
	v_fma_f32 v9, v9, v146, v15
	v_mul_f32_e32 v10, v10, v146
	s_add_i32 s54, s54, s48
	s_add_i32 s52, s52, s60
	;; [unrolled: 1-line block ×3, first 2 shown]
	v_cndmask_b32_e64 v9, v9, v15, s11
	v_cndmask_b32_e64 v10, v10, v146, s11
	s_cmp_eq_u32 s90, 0
	s_waitcnt lgkmcnt(0)
	s_delay_alu instid0(VALU_DEP_1) | instskip(NEXT) | instid1(VALU_DEP_1)
	v_fmac_f32_e32 v9, v8, v10
	v_fmac_f32_e32 v12, v9, v148
	s_delay_alu instid0(VALU_DEP_1) | instskip(NEXT) | instid1(VALU_DEP_1)
	v_fmac_f32_e32 v13, v12, v150
	v_fmac_f32_e32 v14, v13, v152
	v_fma_mix_f32 v120, v9, v4, v120 op_sel_hi:[0,1,0]
	s_delay_alu instid0(VALU_DEP_2) | instskip(SKIP_2) | instid1(VALU_DEP_3)
	v_fmac_f32_e32 v147, v14, v154
	v_fma_mix_f32 v113, v12, v4, v113 op_sel:[0,1,0] op_sel_hi:[0,1,0]
	v_fma_mix_f32 v114, v14, v5, v114 op_sel:[0,1,0] op_sel_hi:[0,1,0]
	v_fmac_f32_e32 v149, v147, v155
	v_fma_mix_f32 v117, v147, v6, v117 op_sel_hi:[0,1,0]
	s_delay_alu instid0(VALU_DEP_2) | instskip(SKIP_1) | instid1(VALU_DEP_2)
	v_fmac_f32_e32 v151, v149, v157
	v_fma_mix_f32 v110, v149, v6, v110 op_sel:[0,1,0] op_sel_hi:[0,1,0]
	v_fmac_f32_e32 v153, v151, v160
	s_delay_alu instid0(VALU_DEP_1) | instskip(SKIP_1) | instid1(VALU_DEP_2)
	v_fmac_f32_e32 v156, v153, v161
	v_fma_mix_f32 v119, v13, v5, v119 op_sel_hi:[0,1,0]
	v_fmac_f32_e32 v158, v156, v162
	v_fma_mix_f32 v116, v151, v7, v116 op_sel_hi:[0,1,0]
	v_fma_mix_f32 v111, v156, v0, v111 op_sel_hi:[0,1,0]
	s_delay_alu instid0(VALU_DEP_3) | instskip(SKIP_1) | instid1(VALU_DEP_2)
	v_fmac_f32_e32 v159, v158, v163
	v_fma_mix_f32 v105, v158, v0, v105 op_sel:[0,1,0] op_sel_hi:[0,1,0]
	v_fmac_f32_e32 v164, v159, v170
	v_fma_mix_f32 v108, v159, v1, v108 op_sel_hi:[0,1,0]
	s_delay_alu instid0(VALU_DEP_2) | instskip(NEXT) | instid1(VALU_DEP_1)
	v_fmac_f32_e32 v165, v164, v167
	v_fmac_f32_e32 v166, v165, v169
	v_fma_mix_f32 v109, v153, v7, v109 op_sel:[0,1,0] op_sel_hi:[0,1,0]
	s_delay_alu instid0(VALU_DEP_2) | instskip(SKIP_2) | instid1(VALU_DEP_3)
	v_fmac_f32_e32 v168, v166, v172
	v_fma_mix_f32 v107, v165, v2, v107 op_sel_hi:[0,1,0]
	v_fma_mix_f32 v102, v166, v2, v102 op_sel:[0,1,0] op_sel_hi:[0,1,0]
	v_fmac_f32_e32 v171, v168, v173
	v_fma_mix_f32 v103, v164, v1, v103 op_sel:[0,1,0] op_sel_hi:[0,1,0]
	v_fma_mix_f32 v106, v168, v3, v106 op_sel_hi:[0,1,0]
	s_delay_alu instid0(VALU_DEP_3)
	v_fma_mix_f32 v112, v171, v3, v112 op_sel:[0,1,0] op_sel_hi:[0,1,0]
	s_cbranch_scc1 .LBB124_204
.LBB124_109:                            ;   Parent Loop BB124_12 Depth=1
                                        ; =>  This Inner Loop Header: Depth=2
	s_lshl_b64 s[46:47], s[64:65], 2
	s_mov_b32 s53, s65
	s_add_u32 s46, s72, s46
	s_addc_u32 s47, s73, s47
	v_dual_mov_b32 v2, 0 :: v_dual_mov_b32 v3, 0
	global_load_b32 v146, v21, s[46:47]
	s_lshl_b64 s[46:47], s[52:53], 1
	s_delay_alu instid0(SALU_CYCLE_1)
	v_add_co_u32 v0, vcc_lo, v127, s46
	v_add_co_ci_u32_e32 v1, vcc_lo, s47, v128, vcc_lo
	s_and_saveexec_b32 s46, s13
	s_cbranch_execnz .LBB124_145
; %bb.110:                              ;   in Loop: Header=BB124_109 Depth=2
	s_or_b32 exec_lo, exec_lo, s46
	s_and_saveexec_b32 s46, s14
	s_cbranch_execnz .LBB124_146
.LBB124_111:                            ;   in Loop: Header=BB124_109 Depth=2
	s_or_b32 exec_lo, exec_lo, s46
	v_mov_b32_e32 v4, 0
	s_and_saveexec_b32 s46, s15
	s_cbranch_execnz .LBB124_147
.LBB124_112:                            ;   in Loop: Header=BB124_109 Depth=2
	s_or_b32 exec_lo, exec_lo, s46
	s_and_saveexec_b32 s46, s16
	s_cbranch_execnz .LBB124_148
.LBB124_113:                            ;   in Loop: Header=BB124_109 Depth=2
	s_or_b32 exec_lo, exec_lo, s46
	v_mov_b32_e32 v5, 0
	s_and_saveexec_b32 s46, s17
	s_cbranch_execnz .LBB124_149
.LBB124_114:                            ;   in Loop: Header=BB124_109 Depth=2
	s_or_b32 exec_lo, exec_lo, s46
	s_and_saveexec_b32 s46, s18
	s_cbranch_execnz .LBB124_150
.LBB124_115:                            ;   in Loop: Header=BB124_109 Depth=2
	s_or_b32 exec_lo, exec_lo, s46
	v_mov_b32_e32 v6, 0
	s_and_saveexec_b32 s46, s19
	s_cbranch_execnz .LBB124_151
.LBB124_116:                            ;   in Loop: Header=BB124_109 Depth=2
	s_or_b32 exec_lo, exec_lo, s46
	s_and_saveexec_b32 s46, s20
	s_cbranch_execnz .LBB124_152
.LBB124_117:                            ;   in Loop: Header=BB124_109 Depth=2
	s_or_b32 exec_lo, exec_lo, s46
	v_mov_b32_e32 v7, 0
	s_and_saveexec_b32 s46, s21
	s_cbranch_execnz .LBB124_153
.LBB124_118:                            ;   in Loop: Header=BB124_109 Depth=2
	s_or_b32 exec_lo, exec_lo, s46
	s_and_saveexec_b32 s46, s22
	s_cbranch_execnz .LBB124_154
.LBB124_119:                            ;   in Loop: Header=BB124_109 Depth=2
	s_or_b32 exec_lo, exec_lo, s46
	v_mov_b32_e32 v8, 0
	s_and_saveexec_b32 s46, s23
	s_cbranch_execnz .LBB124_155
.LBB124_120:                            ;   in Loop: Header=BB124_109 Depth=2
	s_or_b32 exec_lo, exec_lo, s46
	s_and_saveexec_b32 s46, s24
	s_cbranch_execnz .LBB124_156
.LBB124_121:                            ;   in Loop: Header=BB124_109 Depth=2
	s_or_b32 exec_lo, exec_lo, s46
	v_mov_b32_e32 v9, 0
	s_and_saveexec_b32 s46, s25
	s_cbranch_execnz .LBB124_157
.LBB124_122:                            ;   in Loop: Header=BB124_109 Depth=2
	s_or_b32 exec_lo, exec_lo, s46
	s_and_saveexec_b32 s46, s26
	s_cbranch_execnz .LBB124_158
.LBB124_123:                            ;   in Loop: Header=BB124_109 Depth=2
	s_or_b32 exec_lo, exec_lo, s46
	v_mov_b32_e32 v10, 0
	s_and_saveexec_b32 s46, s27
	s_cbranch_execnz .LBB124_159
.LBB124_124:                            ;   in Loop: Header=BB124_109 Depth=2
	s_or_b32 exec_lo, exec_lo, s46
	s_and_saveexec_b32 s46, s28
	s_cbranch_execz .LBB124_126
.LBB124_125:                            ;   in Loop: Header=BB124_109 Depth=2
	global_load_u16 v0, v[0:1], off offset:960
	s_waitcnt vmcnt(0)
	v_lshl_or_b32 v10, v0, 16, v10
.LBB124_126:                            ;   in Loop: Header=BB124_109 Depth=2
	s_or_b32 exec_lo, exec_lo, s46
	s_waitcnt vmcnt(0)
	ds_store_b16 v37, v3
	ds_store_b16 v37, v2 offset:64
	ds_store_b16 v38, v4 offset:128
	ds_store_b16_d16_hi v39, v4 offset:192
	ds_store_b16 v40, v5 offset:256
	ds_store_b16_d16_hi v41, v5 offset:320
	;; [unrolled: 2-line block ×7, first 2 shown]
	; wave barrier
	ds_load_b128 v[12:15], v52
	ds_load_b128 v[8:11], v52 offset:16
	s_mov_b32 s55, s65
	v_dual_mov_b32 v2, 0 :: v_dual_mov_b32 v3, 0
	s_lshl_b64 s[46:47], s[54:55], 1
	s_delay_alu instid0(SALU_CYCLE_1)
	v_add_co_u32 v0, vcc_lo, v129, s46
	v_add_co_ci_u32_e32 v1, vcc_lo, s47, v130, vcc_lo
	s_and_saveexec_b32 s46, s13
	s_cbranch_execnz .LBB124_160
; %bb.127:                              ;   in Loop: Header=BB124_109 Depth=2
	s_or_b32 exec_lo, exec_lo, s46
	s_and_saveexec_b32 s46, s14
	s_cbranch_execnz .LBB124_161
.LBB124_128:                            ;   in Loop: Header=BB124_109 Depth=2
	s_or_b32 exec_lo, exec_lo, s46
	v_mov_b32_e32 v4, 0
	s_and_saveexec_b32 s46, s15
	s_cbranch_execnz .LBB124_162
.LBB124_129:                            ;   in Loop: Header=BB124_109 Depth=2
	s_or_b32 exec_lo, exec_lo, s46
	s_and_saveexec_b32 s46, s16
	s_cbranch_execnz .LBB124_163
.LBB124_130:                            ;   in Loop: Header=BB124_109 Depth=2
	s_or_b32 exec_lo, exec_lo, s46
	v_mov_b32_e32 v5, 0
	s_and_saveexec_b32 s46, s17
	s_cbranch_execnz .LBB124_164
.LBB124_131:                            ;   in Loop: Header=BB124_109 Depth=2
	s_or_b32 exec_lo, exec_lo, s46
	s_and_saveexec_b32 s46, s18
	s_cbranch_execnz .LBB124_165
.LBB124_132:                            ;   in Loop: Header=BB124_109 Depth=2
	s_or_b32 exec_lo, exec_lo, s46
	v_mov_b32_e32 v6, 0
	s_and_saveexec_b32 s46, s19
	s_cbranch_execnz .LBB124_166
.LBB124_133:                            ;   in Loop: Header=BB124_109 Depth=2
	s_or_b32 exec_lo, exec_lo, s46
	s_and_saveexec_b32 s46, s20
	s_cbranch_execnz .LBB124_167
.LBB124_134:                            ;   in Loop: Header=BB124_109 Depth=2
	s_or_b32 exec_lo, exec_lo, s46
	v_mov_b32_e32 v7, 0
	s_and_saveexec_b32 s46, s21
	s_cbranch_execnz .LBB124_168
.LBB124_135:                            ;   in Loop: Header=BB124_109 Depth=2
	s_or_b32 exec_lo, exec_lo, s46
	s_and_saveexec_b32 s46, s22
	s_cbranch_execnz .LBB124_169
.LBB124_136:                            ;   in Loop: Header=BB124_109 Depth=2
	s_or_b32 exec_lo, exec_lo, s46
	v_mov_b32_e32 v16, 0
	s_and_saveexec_b32 s46, s23
	s_cbranch_execnz .LBB124_170
.LBB124_137:                            ;   in Loop: Header=BB124_109 Depth=2
	s_or_b32 exec_lo, exec_lo, s46
	s_and_saveexec_b32 s46, s24
	s_cbranch_execnz .LBB124_171
.LBB124_138:                            ;   in Loop: Header=BB124_109 Depth=2
	s_or_b32 exec_lo, exec_lo, s46
	v_mov_b32_e32 v17, 0
	s_and_saveexec_b32 s46, s25
	s_cbranch_execnz .LBB124_172
.LBB124_139:                            ;   in Loop: Header=BB124_109 Depth=2
	s_or_b32 exec_lo, exec_lo, s46
	s_and_saveexec_b32 s46, s26
	s_cbranch_execnz .LBB124_173
.LBB124_140:                            ;   in Loop: Header=BB124_109 Depth=2
	s_or_b32 exec_lo, exec_lo, s46
	v_mov_b32_e32 v147, 0
	s_and_saveexec_b32 s46, s27
	s_cbranch_execnz .LBB124_174
.LBB124_141:                            ;   in Loop: Header=BB124_109 Depth=2
	s_or_b32 exec_lo, exec_lo, s46
	s_and_saveexec_b32 s46, s28
	s_cbranch_execz .LBB124_143
.LBB124_142:                            ;   in Loop: Header=BB124_109 Depth=2
	global_load_u16 v0, v[0:1], off offset:960
	s_waitcnt vmcnt(0)
	v_lshl_or_b32 v147, v0, 16, v147
.LBB124_143:                            ;   in Loop: Header=BB124_109 Depth=2
	s_or_b32 exec_lo, exec_lo, s46
	s_waitcnt vmcnt(0)
	ds_store_b16 v37, v3 offset:4224
	ds_store_b16 v53, v2 offset:64
	ds_store_b16 v54, v4 offset:128
	ds_store_b16_d16_hi v55, v4 offset:192
	ds_store_b16 v56, v5 offset:256
	ds_store_b16_d16_hi v57, v5 offset:320
	ds_store_b16 v58, v6 offset:384
	;; [unrolled: 2-line block ×6, first 2 shown]
	ds_store_b16_d16_hi v67, v147 offset:960
	; wave barrier
	ds_load_b128 v[4:7], v52 offset:4224
	ds_load_b128 v[0:3], v68 offset:16
	s_and_not1_b32 vcc_lo, exec_lo, s51
	s_cbranch_vccnz .LBB124_175
; %bb.144:                              ;   in Loop: Header=BB124_109 Depth=2
	v_mov_b32_e32 v16, s91
	ds_load_b64 v[16:17], v16
	s_cbranch_execz .LBB124_176
	s_branch .LBB124_179
.LBB124_145:                            ;   in Loop: Header=BB124_109 Depth=2
	global_load_u16 v3, v[0:1], off
	s_or_b32 exec_lo, exec_lo, s46
	s_and_saveexec_b32 s46, s14
	s_cbranch_execz .LBB124_111
.LBB124_146:                            ;   in Loop: Header=BB124_109 Depth=2
	global_load_u16 v2, v[0:1], off offset:64
	s_or_b32 exec_lo, exec_lo, s46
	v_mov_b32_e32 v4, 0
	s_and_saveexec_b32 s46, s15
	s_cbranch_execz .LBB124_112
.LBB124_147:                            ;   in Loop: Header=BB124_109 Depth=2
	global_load_u16 v4, v[0:1], off offset:128
	s_or_b32 exec_lo, exec_lo, s46
	s_and_saveexec_b32 s46, s16
	s_cbranch_execz .LBB124_113
.LBB124_148:                            ;   in Loop: Header=BB124_109 Depth=2
	global_load_u16 v5, v[0:1], off offset:192
	s_waitcnt vmcnt(0)
	v_lshl_or_b32 v4, v5, 16, v4
	s_or_b32 exec_lo, exec_lo, s46
	v_mov_b32_e32 v5, 0
	s_and_saveexec_b32 s46, s17
	s_cbranch_execz .LBB124_114
.LBB124_149:                            ;   in Loop: Header=BB124_109 Depth=2
	global_load_u16 v5, v[0:1], off offset:256
	s_or_b32 exec_lo, exec_lo, s46
	s_and_saveexec_b32 s46, s18
	s_cbranch_execz .LBB124_115
.LBB124_150:                            ;   in Loop: Header=BB124_109 Depth=2
	global_load_u16 v6, v[0:1], off offset:320
	s_waitcnt vmcnt(0)
	v_lshl_or_b32 v5, v6, 16, v5
	s_or_b32 exec_lo, exec_lo, s46
	v_mov_b32_e32 v6, 0
	s_and_saveexec_b32 s46, s19
	s_cbranch_execz .LBB124_116
.LBB124_151:                            ;   in Loop: Header=BB124_109 Depth=2
	global_load_u16 v6, v[0:1], off offset:384
	s_or_b32 exec_lo, exec_lo, s46
	s_and_saveexec_b32 s46, s20
	s_cbranch_execz .LBB124_117
.LBB124_152:                            ;   in Loop: Header=BB124_109 Depth=2
	global_load_u16 v7, v[0:1], off offset:448
	s_waitcnt vmcnt(0)
	v_lshl_or_b32 v6, v7, 16, v6
	s_or_b32 exec_lo, exec_lo, s46
	v_mov_b32_e32 v7, 0
	s_and_saveexec_b32 s46, s21
	s_cbranch_execz .LBB124_118
.LBB124_153:                            ;   in Loop: Header=BB124_109 Depth=2
	global_load_u16 v7, v[0:1], off offset:512
	s_or_b32 exec_lo, exec_lo, s46
	s_and_saveexec_b32 s46, s22
	s_cbranch_execz .LBB124_119
.LBB124_154:                            ;   in Loop: Header=BB124_109 Depth=2
	global_load_u16 v8, v[0:1], off offset:576
	s_waitcnt vmcnt(0)
	v_lshl_or_b32 v7, v8, 16, v7
	s_or_b32 exec_lo, exec_lo, s46
	v_mov_b32_e32 v8, 0
	s_and_saveexec_b32 s46, s23
	s_cbranch_execz .LBB124_120
.LBB124_155:                            ;   in Loop: Header=BB124_109 Depth=2
	global_load_u16 v8, v[0:1], off offset:640
	s_or_b32 exec_lo, exec_lo, s46
	s_and_saveexec_b32 s46, s24
	s_cbranch_execz .LBB124_121
.LBB124_156:                            ;   in Loop: Header=BB124_109 Depth=2
	global_load_u16 v9, v[0:1], off offset:704
	s_waitcnt vmcnt(0)
	v_lshl_or_b32 v8, v9, 16, v8
	s_or_b32 exec_lo, exec_lo, s46
	v_mov_b32_e32 v9, 0
	s_and_saveexec_b32 s46, s25
	s_cbranch_execz .LBB124_122
.LBB124_157:                            ;   in Loop: Header=BB124_109 Depth=2
	global_load_u16 v9, v[0:1], off offset:768
	s_or_b32 exec_lo, exec_lo, s46
	s_and_saveexec_b32 s46, s26
	s_cbranch_execz .LBB124_123
.LBB124_158:                            ;   in Loop: Header=BB124_109 Depth=2
	global_load_u16 v10, v[0:1], off offset:832
	s_waitcnt vmcnt(0)
	v_lshl_or_b32 v9, v10, 16, v9
	s_or_b32 exec_lo, exec_lo, s46
	v_mov_b32_e32 v10, 0
	s_and_saveexec_b32 s46, s27
	s_cbranch_execz .LBB124_124
.LBB124_159:                            ;   in Loop: Header=BB124_109 Depth=2
	global_load_u16 v10, v[0:1], off offset:896
	s_or_b32 exec_lo, exec_lo, s46
	s_and_saveexec_b32 s46, s28
	s_cbranch_execnz .LBB124_125
	s_branch .LBB124_126
.LBB124_160:                            ;   in Loop: Header=BB124_109 Depth=2
	global_load_u16 v3, v[0:1], off
	s_or_b32 exec_lo, exec_lo, s46
	s_and_saveexec_b32 s46, s14
	s_cbranch_execz .LBB124_128
.LBB124_161:                            ;   in Loop: Header=BB124_109 Depth=2
	global_load_u16 v2, v[0:1], off offset:64
	s_or_b32 exec_lo, exec_lo, s46
	v_mov_b32_e32 v4, 0
	s_and_saveexec_b32 s46, s15
	s_cbranch_execz .LBB124_129
.LBB124_162:                            ;   in Loop: Header=BB124_109 Depth=2
	global_load_u16 v4, v[0:1], off offset:128
	s_or_b32 exec_lo, exec_lo, s46
	s_and_saveexec_b32 s46, s16
	s_cbranch_execz .LBB124_130
.LBB124_163:                            ;   in Loop: Header=BB124_109 Depth=2
	global_load_u16 v5, v[0:1], off offset:192
	s_waitcnt vmcnt(0)
	v_lshl_or_b32 v4, v5, 16, v4
	s_or_b32 exec_lo, exec_lo, s46
	v_mov_b32_e32 v5, 0
	s_and_saveexec_b32 s46, s17
	s_cbranch_execz .LBB124_131
.LBB124_164:                            ;   in Loop: Header=BB124_109 Depth=2
	global_load_u16 v5, v[0:1], off offset:256
	s_or_b32 exec_lo, exec_lo, s46
	s_and_saveexec_b32 s46, s18
	s_cbranch_execz .LBB124_132
.LBB124_165:                            ;   in Loop: Header=BB124_109 Depth=2
	global_load_u16 v6, v[0:1], off offset:320
	s_waitcnt vmcnt(0)
	v_lshl_or_b32 v5, v6, 16, v5
	s_or_b32 exec_lo, exec_lo, s46
	v_mov_b32_e32 v6, 0
	s_and_saveexec_b32 s46, s19
	s_cbranch_execz .LBB124_133
.LBB124_166:                            ;   in Loop: Header=BB124_109 Depth=2
	global_load_u16 v6, v[0:1], off offset:384
	s_or_b32 exec_lo, exec_lo, s46
	s_and_saveexec_b32 s46, s20
	s_cbranch_execz .LBB124_134
.LBB124_167:                            ;   in Loop: Header=BB124_109 Depth=2
	global_load_u16 v7, v[0:1], off offset:448
	s_waitcnt vmcnt(0)
	v_lshl_or_b32 v6, v7, 16, v6
	s_or_b32 exec_lo, exec_lo, s46
	v_mov_b32_e32 v7, 0
	s_and_saveexec_b32 s46, s21
	s_cbranch_execz .LBB124_135
.LBB124_168:                            ;   in Loop: Header=BB124_109 Depth=2
	global_load_u16 v7, v[0:1], off offset:512
	s_or_b32 exec_lo, exec_lo, s46
	s_and_saveexec_b32 s46, s22
	s_cbranch_execz .LBB124_136
.LBB124_169:                            ;   in Loop: Header=BB124_109 Depth=2
	global_load_u16 v16, v[0:1], off offset:576
	s_waitcnt vmcnt(0)
	v_lshl_or_b32 v7, v16, 16, v7
	s_or_b32 exec_lo, exec_lo, s46
	v_mov_b32_e32 v16, 0
	s_and_saveexec_b32 s46, s23
	s_cbranch_execz .LBB124_137
.LBB124_170:                            ;   in Loop: Header=BB124_109 Depth=2
	global_load_u16 v16, v[0:1], off offset:640
	s_or_b32 exec_lo, exec_lo, s46
	s_and_saveexec_b32 s46, s24
	s_cbranch_execz .LBB124_138
.LBB124_171:                            ;   in Loop: Header=BB124_109 Depth=2
	global_load_u16 v17, v[0:1], off offset:704
	s_waitcnt vmcnt(0)
	v_lshl_or_b32 v16, v17, 16, v16
	s_or_b32 exec_lo, exec_lo, s46
	v_mov_b32_e32 v17, 0
	s_and_saveexec_b32 s46, s25
	s_cbranch_execz .LBB124_139
.LBB124_172:                            ;   in Loop: Header=BB124_109 Depth=2
	global_load_u16 v17, v[0:1], off offset:768
	s_or_b32 exec_lo, exec_lo, s46
	s_and_saveexec_b32 s46, s26
	s_cbranch_execz .LBB124_140
.LBB124_173:                            ;   in Loop: Header=BB124_109 Depth=2
	global_load_u16 v147, v[0:1], off offset:832
	s_waitcnt vmcnt(0)
	v_lshl_or_b32 v17, v147, 16, v17
	s_or_b32 exec_lo, exec_lo, s46
	v_mov_b32_e32 v147, 0
	s_and_saveexec_b32 s46, s27
	s_cbranch_execz .LBB124_141
.LBB124_174:                            ;   in Loop: Header=BB124_109 Depth=2
	global_load_u16 v147, v[0:1], off offset:896
	s_or_b32 exec_lo, exec_lo, s46
	s_and_saveexec_b32 s46, s28
	s_cbranch_execnz .LBB124_142
	s_branch .LBB124_143
.LBB124_175:                            ;   in Loop: Header=BB124_109 Depth=2
                                        ; implicit-def: $vgpr16
.LBB124_176:                            ;   in Loop: Header=BB124_109 Depth=2
	s_waitcnt lgkmcnt(0)
	v_mov_b32_e32 v17, 0
	s_and_not1_b32 vcc_lo, exec_lo, s66
	s_cbranch_vccnz .LBB124_178
; %bb.177:                              ;   in Loop: Header=BB124_109 Depth=2
	s_mov_b32 s59, s65
	s_delay_alu instid0(SALU_CYCLE_1) | instskip(NEXT) | instid1(SALU_CYCLE_1)
	s_lshl_b64 s[46:47], s[58:59], 2
	s_add_u32 s46, s76, s46
	s_addc_u32 s47, s77, s47
	global_load_b32 v17, v21, s[46:47]
.LBB124_178:                            ;   in Loop: Header=BB124_109 Depth=2
	v_mov_b32_e32 v16, 1.0
.LBB124_179:                            ;   in Loop: Header=BB124_109 Depth=2
	v_mul_f32_e32 v168, 0x3fb8aa3b, v146
	s_waitcnt lgkmcnt(19)
	v_lshrrev_b32_e32 v148, 16, v13
	v_lshrrev_b32_e32 v149, 16, v14
	v_cvt_f32_f16_e32 v13, v13
	v_cvt_f32_f16_e64 v156, v14
	v_mul_f32_e32 v14, v168, v94
	v_lshrrev_b32_e32 v147, 16, v12
	v_lshrrev_b32_e32 v150, 16, v15
	v_mul_f32_e32 v13, v143, v13
	v_cvt_f32_f16_e32 v12, v12
	v_cmp_gt_f32_e32 vcc_lo, 0xc2fc0000, v14
	v_cvt_f32_f16_e64 v157, v15
	v_mul_f32_e32 v15, v168, v95
	v_cvt_f32_f16_e64 v155, v148
	v_mul_f32_e32 v12, v145, v12
	v_cndmask_b32_e64 v14, 0, 0x42800000, vcc_lo
	v_mul_f32_e32 v146, v168, v96
	v_cmp_gt_f32_e64 s46, 0xc2fc0000, v15
	v_cndmask_b32_e64 v148, 1.0, 0x1f800000, vcc_lo
	s_waitcnt lgkmcnt(18)
	v_lshrrev_b32_e32 v151, 16, v8
	v_fmac_f32_e32 v14, v168, v94
	v_cvt_f32_f16_e64 v147, v147
	v_cndmask_b32_e64 v15, 0, 0x42800000, s46
	v_cvt_f32_f16_e64 v158, v150
	v_cmp_gt_f32_e32 vcc_lo, 0xc2fc0000, v146
	v_exp_f32_e32 v14, v14
	v_mul_f32_e32 v146, v168, v97
	v_fmac_f32_e32 v15, v168, v95
	v_cvt_f32_f16_e64 v159, v151
	v_cndmask_b32_e64 v151, 0, 0x42800000, vcc_lo
	v_lshrrev_b32_e32 v152, 16, v9
	v_lshrrev_b32_e32 v153, 16, v10
	;; [unrolled: 1-line block ×3, first 2 shown]
	v_cvt_f32_f16_e32 v9, v9
	v_cvt_f32_f16_e32 v8, v8
	v_mul_f32_e32 v14, v14, v148
	v_exp_f32_e32 v150, v15
	v_cndmask_b32_e64 v15, 0, v12, s29
	v_cndmask_b32_e64 v12, 1.0, 0x1f800000, s46
	v_cmp_gt_f32_e64 s46, 0xc2fc0000, v146
	v_cndmask_b32_e64 v146, 1.0, v14, s29
	v_mul_f32_e32 v14, v144, v147
	v_cvt_f32_f16_e64 v164, v152
	v_cvt_f32_f16_e64 v166, v153
	v_cndmask_b32_e64 v148, 0, 0x42800000, s46
	v_cvt_f32_f16_e64 v171, v154
	v_mul_f32_e32 v147, v150, v12
	v_cndmask_b32_e64 v12, 0, v14, s30
	v_cndmask_b32_e64 v14, 1.0, 0x1f800000, vcc_lo
	v_fmac_f32_e32 v151, v168, v96
	v_fmac_f32_e32 v148, v168, v97
	v_dual_mul_f32 v153, v168, v99 :: v_dual_mul_f32 v158, v138, v158
	v_dual_mul_f32 v154, v168, v100 :: v_dual_mul_f32 v9, v135, v9
	s_delay_alu instid0(VALU_DEP_4)
	v_exp_f32_e32 v150, v151
	v_mul_f32_e32 v151, v168, v98
	v_exp_f32_e32 v152, v148
	v_cndmask_b32_e64 v148, 1.0, v147, s30
	v_cndmask_b32_e64 v147, 1.0, 0x1f800000, s46
	v_cmp_gt_f32_e64 s46, 0xc2fc0000, v153
	v_cvt_f32_f16_e32 v10, v10
	v_cvt_f32_f16_e32 v11, v11
	v_mul_f32_e32 v169, v168, v122
	s_delay_alu instid0(TRANS32_DEP_2) | instskip(SKIP_1) | instid1(TRANS32_DEP_1)
	v_dual_mul_f32 v159, v136, v159 :: v_dual_mul_f32 v14, v150, v14
	v_cndmask_b32_e64 v153, 0, 0x42800000, s46
	v_dual_mul_f32 v147, v152, v147 :: v_dual_mul_f32 v10, v133, v10
	v_cndmask_b32_e64 v13, 0, v13, s31
	s_delay_alu instid0(VALU_DEP_4)
	v_cndmask_b32_e64 v150, 1.0, v14, s31
	v_mul_f32_e32 v14, v142, v155
	v_cmp_gt_f32_e32 vcc_lo, 0xc2fc0000, v151
	v_cndmask_b32_e64 v152, 1.0, v147, s33
	v_dual_fmac_f32 v153, v168, v99 :: v_dual_mul_f32 v8, v137, v8
	v_mul_f32_e32 v155, v168, v101
	v_cndmask_b32_e64 v151, 0, 0x42800000, vcc_lo
	v_cndmask_b32_e64 v147, 1.0, 0x1f800000, vcc_lo
	v_cmp_gt_f32_e32 vcc_lo, 0xc2fc0000, v154
	v_exp_f32_e32 v153, v153
	v_cmp_gt_f32_e64 s47, 0xc2fc0000, v155
	v_fmac_f32_e32 v151, v168, v98
	v_mul_f32_e32 v162, v168, v115
	v_cndmask_b32_e64 v154, 0, 0x42800000, vcc_lo
	v_cvt_f32_f16_e64 v149, v149
	v_cndmask_b32_e64 v155, 0, 0x42800000, s47
	v_exp_f32_e32 v151, v151
	v_cndmask_b32_e64 v14, 0, v14, s33
	v_dual_fmac_f32 v154, v168, v100 :: v_dual_mul_f32 v11, v131, v11
	s_delay_alu instid0(VALU_DEP_3) | instskip(SKIP_2) | instid1(VALU_DEP_4)
	v_fmac_f32_e32 v155, v168, v101
	v_mul_f32_e32 v170, v168, v123
	v_mul_f32_e32 v166, v132, v166
	v_exp_f32_e32 v160, v154
	s_delay_alu instid0(TRANS32_DEP_2)
	v_mul_f32_e32 v151, v151, v147
	v_mul_f32_e32 v147, v141, v156
	v_cndmask_b32_e64 v156, 1.0, 0x1f800000, s46
	v_cmp_gt_f32_e64 s46, 0xc2fc0000, v162
	v_mul_f32_e32 v162, v168, v121
	v_cndmask_b32_e64 v154, 1.0, v151, s34
	v_cndmask_b32_e64 v147, 0, v147, s34
	v_mul_f32_e32 v151, v153, v156
	v_cndmask_b32_e64 v153, 1.0, 0x1f800000, vcc_lo
	v_exp_f32_e32 v156, v155
	v_cndmask_b32_e64 v166, 0, v166, s43
	s_delay_alu instid0(VALU_DEP_3) | instskip(NEXT) | instid1(VALU_DEP_3)
	v_cndmask_b32_e64 v155, 1.0, v151, s35
	v_mul_f32_e32 v153, v160, v153
	v_mul_f32_e32 v151, v139, v157
	v_cndmask_b32_e64 v160, 1.0, 0x1f800000, s47
	s_delay_alu instid0(VALU_DEP_3)
	v_cndmask_b32_e64 v157, 1.0, v153, s36
	v_mul_f32_e32 v161, v168, v104
	v_cndmask_b32_e64 v153, 0, v158, s37
	v_mul_f32_e32 v158, v168, v118
	v_mul_f32_e32 v156, v156, v160
	v_cndmask_b32_e64 v151, 0, v151, s36
	v_cmp_gt_f32_e32 vcc_lo, 0xc2fc0000, v161
	s_delay_alu instid0(VALU_DEP_4) | instskip(NEXT) | instid1(VALU_DEP_4)
	v_cmp_gt_f32_e64 s47, 0xc2fc0000, v158
	v_cndmask_b32_e64 v160, 1.0, v156, s37
	v_cndmask_b32_e64 v161, 0, 0x42800000, vcc_lo
	v_cndmask_b32_e64 v163, 1.0, 0x1f800000, vcc_lo
	s_delay_alu instid0(VALU_DEP_4) | instskip(SKIP_1) | instid1(VALU_DEP_4)
	v_cndmask_b32_e64 v158, 0, 0x42800000, s47
	v_cmp_gt_f32_e32 vcc_lo, 0xc2fc0000, v162
	v_fmac_f32_e32 v161, v168, v104
	s_delay_alu instid0(VALU_DEP_3) | instskip(SKIP_1) | instid1(VALU_DEP_3)
	v_fmac_f32_e32 v158, v168, v118
	v_cndmask_b32_e64 v162, 0, 0x42800000, vcc_lo
	v_exp_f32_e32 v156, v161
	v_cndmask_b32_e64 v161, 0, 0x42800000, s46
	s_delay_alu instid0(VALU_DEP_2) | instskip(NEXT) | instid1(VALU_DEP_2)
	v_fmac_f32_e32 v162, v168, v121
	v_fmac_f32_e32 v161, v168, v115
	s_delay_alu instid0(VALU_DEP_2) | instskip(NEXT) | instid1(VALU_DEP_1)
	v_exp_f32_e32 v167, v162
	v_exp_f32_e32 v165, v161
	s_delay_alu instid0(TRANS32_DEP_3)
	v_mul_f32_e32 v161, v156, v163
	v_cndmask_b32_e64 v156, 0, v8, s38
	v_exp_f32_e32 v8, v158
	v_cndmask_b32_e64 v158, 1.0, 0x1f800000, s46
	v_cndmask_b32_e64 v163, 1.0, 0x1f800000, s47
	v_cmp_gt_f32_e64 s46, 0xc2fc0000, v170
	v_cndmask_b32_e64 v161, 1.0, v161, s38
	s_delay_alu instid0(TRANS32_DEP_2) | instid1(VALU_DEP_4)
	v_mul_f32_e32 v162, v165, v158
	v_cndmask_b32_e64 v165, 1.0, 0x1f800000, vcc_lo
	v_cmp_gt_f32_e32 vcc_lo, 0xc2fc0000, v169
	s_delay_alu instid0(TRANS32_DEP_1)
	v_mul_f32_e32 v8, v8, v163
	v_cndmask_b32_e64 v158, 0, v159, s39
	v_cndmask_b32_e64 v159, 0, v9, s40
	v_mul_f32_e32 v9, v134, v164
	v_fma_f32 v169, v148, v15, v12
	v_cndmask_b32_e64 v163, 1.0, v8, s40
	v_mul_f32_e32 v8, v167, v165
	v_cndmask_b32_e64 v165, 0, 0x42800000, vcc_lo
	v_mul_f32_e32 v167, v148, v146
	v_cndmask_b32_e64 v164, 0, v9, s41
	v_cndmask_b32_e64 v162, 1.0, v162, s39
	v_cndmask_b32_e64 v170, 1.0, v8, s41
	v_fmac_f32_e32 v165, v168, v122
	v_mul_f32_e32 v9, v167, v150
	v_fma_f32 v167, v169, v150, v13
	v_cndmask_b32_e64 v8, 1.0, 0x1f800000, vcc_lo
	v_cndmask_b32_e64 v169, 0, 0x42800000, s46
	v_exp_f32_e32 v165, v165
	v_mul_f32_e32 v149, v140, v149
	v_mul_f32_e32 v9, v9, v152
	v_fma_f32 v167, v167, v152, v14
	v_fmac_f32_e32 v169, v168, v123
	s_delay_alu instid0(VALU_DEP_3) | instskip(NEXT) | instid1(VALU_DEP_3)
	v_mul_f32_e32 v9, v9, v154
	v_fma_f32 v167, v167, v154, v147
	s_delay_alu instid0(VALU_DEP_3) | instskip(NEXT) | instid1(TRANS32_DEP_2)
	v_exp_f32_e32 v169, v169
	v_mul_f32_e32 v8, v165, v8
	v_cndmask_b32_e64 v149, 0, v149, s35
	v_mul_f32_e32 v9, v9, v155
	v_cndmask_b32_e64 v165, 0, v10, s42
	v_cndmask_b32_e64 v10, 1.0, 0x1f800000, s46
	s_delay_alu instid0(VALU_DEP_4)
	v_fma_f32 v172, v167, v155, v149
	v_cndmask_b32_e64 v167, 1.0, v8, s42
	v_mul_f32_e32 v8, v9, v157
	s_delay_alu instid0(TRANS32_DEP_1) | instid1(VALU_DEP_4)
	v_mul_f32_e32 v10, v169, v10
	s_delay_alu instid0(VALU_DEP_4) | instskip(SKIP_1) | instid1(VALU_DEP_4)
	v_fma_f32 v9, v172, v157, v151
	v_mul_f32_e32 v172, v168, v124
	v_mul_f32_e32 v8, v8, v160
	s_delay_alu instid0(VALU_DEP_3) | instskip(NEXT) | instid1(VALU_DEP_3)
	v_fma_f32 v9, v9, v160, v153
	v_cmp_gt_f32_e32 vcc_lo, 0xc2fc0000, v172
	v_mul_f32_e32 v172, v168, v125
	s_delay_alu instid0(VALU_DEP_4) | instskip(NEXT) | instid1(VALU_DEP_4)
	v_mul_f32_e32 v8, v8, v161
	v_fma_f32 v9, v9, v161, v156
	v_cndmask_b32_e64 v169, 0, 0x42800000, vcc_lo
	s_delay_alu instid0(VALU_DEP_4) | instskip(NEXT) | instid1(VALU_DEP_4)
	v_cmp_gt_f32_e64 s46, 0xc2fc0000, v172
	v_mul_f32_e32 v8, v8, v162
	s_delay_alu instid0(VALU_DEP_4) | instskip(NEXT) | instid1(VALU_DEP_4)
	v_fma_f32 v9, v9, v162, v158
	v_fmac_f32_e32 v169, v168, v124
	s_delay_alu instid0(VALU_DEP_4) | instskip(NEXT) | instid1(VALU_DEP_4)
	v_cndmask_b32_e64 v172, 0, 0x42800000, s46
	v_mul_f32_e32 v8, v8, v163
	s_delay_alu instid0(VALU_DEP_4) | instskip(NEXT) | instid1(VALU_DEP_4)
	v_fma_f32 v9, v9, v163, v159
	v_exp_f32_e32 v173, v169
	s_delay_alu instid0(VALU_DEP_3)
	v_fmac_f32_e32 v172, v168, v125
	v_cndmask_b32_e64 v169, 1.0, v10, s43
	v_cndmask_b32_e64 v10, 1.0, 0x1f800000, vcc_lo
	v_mul_f32_e32 v8, v8, v170
	v_fma_f32 v9, v9, v170, v164
	v_exp_f32_e32 v174, v172
	v_cndmask_b32_e64 v168, 0, v11, s44
	v_cndmask_b32_e64 v11, 1.0, 0x1f800000, s46
	v_mul_f32_e32 v8, v8, v167
	v_mul_f32_e32 v10, v173, v10
	v_fma_f32 v9, v9, v167, v165
	s_delay_alu instid0(VALU_DEP_3) | instskip(NEXT) | instid1(VALU_DEP_3)
	v_mul_f32_e32 v8, v8, v169
	v_cndmask_b32_e64 v172, 1.0, v10, s44
	v_mul_f32_e32 v10, v126, v171
	s_delay_alu instid0(TRANS32_DEP_1) | instskip(SKIP_1) | instid1(VALU_DEP_4)
	v_mul_f32_e32 v11, v174, v11
	v_fma_f32 v9, v9, v169, v166
	v_mul_f32_e32 v8, v8, v172
	s_delay_alu instid0(VALU_DEP_4) | instskip(NEXT) | instid1(VALU_DEP_4)
	v_cndmask_b32_e64 v171, 0, v10, s45
	v_cndmask_b32_e64 v173, 1.0, v11, s45
	s_delay_alu instid0(VALU_DEP_4) | instskip(NEXT) | instid1(VALU_DEP_2)
	v_fma_f32 v9, v9, v172, v168
	v_mul_f32_e32 v8, v8, v173
	s_delay_alu instid0(VALU_DEP_2) | instskip(NEXT) | instid1(VALU_DEP_2)
	v_fma_f32 v9, v9, v173, v171
	v_mov_b32_dpp v11, v8 row_shr:1 row_mask:0xf bank_mask:0xf
	s_delay_alu instid0(VALU_DEP_2)
	v_mov_b32_dpp v10, v9 row_shr:1 row_mask:0xf bank_mask:0xf
	s_and_saveexec_b32 s46, s0
; %bb.180:                              ;   in Loop: Header=BB124_109 Depth=2
	s_delay_alu instid0(VALU_DEP_2) | instskip(NEXT) | instid1(VALU_DEP_1)
	v_mul_f32_e32 v11, v8, v11
	v_dual_fmac_f32 v9, v8, v10 :: v_dual_mov_b32 v8, v11
; %bb.181:                              ;   in Loop: Header=BB124_109 Depth=2
	s_or_b32 exec_lo, exec_lo, s46
	s_delay_alu instid0(VALU_DEP_1) | instskip(NEXT) | instid1(VALU_DEP_2)
	v_mov_b32_dpp v10, v8 row_shr:2 row_mask:0xf bank_mask:0xf
	v_mov_b32_dpp v11, v9 row_shr:2 row_mask:0xf bank_mask:0xf
	s_and_saveexec_b32 s46, s1
; %bb.182:                              ;   in Loop: Header=BB124_109 Depth=2
	s_delay_alu instid0(VALU_DEP_1) | instskip(NEXT) | instid1(VALU_DEP_3)
	v_fmac_f32_e32 v9, v8, v11
	v_mul_f32_e32 v8, v8, v10
; %bb.183:                              ;   in Loop: Header=BB124_109 Depth=2
	s_or_b32 exec_lo, exec_lo, s46
	s_delay_alu instid0(VALU_DEP_1) | instskip(NEXT) | instid1(VALU_DEP_3)
	v_mov_b32_dpp v10, v8 row_shr:4 row_mask:0xf bank_mask:0xf
	v_mov_b32_dpp v11, v9 row_shr:4 row_mask:0xf bank_mask:0xf
	s_and_saveexec_b32 s46, s2
; %bb.184:                              ;   in Loop: Header=BB124_109 Depth=2
	s_delay_alu instid0(VALU_DEP_1) | instskip(NEXT) | instid1(VALU_DEP_3)
	v_fmac_f32_e32 v9, v8, v11
	v_mul_f32_e32 v8, v8, v10
; %bb.185:                              ;   in Loop: Header=BB124_109 Depth=2
	s_or_b32 exec_lo, exec_lo, s46
	s_delay_alu instid0(VALU_DEP_1) | instskip(NEXT) | instid1(VALU_DEP_3)
	v_mov_b32_dpp v10, v8 row_shr:8 row_mask:0xf bank_mask:0xf
	v_mov_b32_dpp v11, v9 row_shr:8 row_mask:0xf bank_mask:0xf
	s_and_saveexec_b32 s46, s3
; %bb.186:                              ;   in Loop: Header=BB124_109 Depth=2
	s_delay_alu instid0(VALU_DEP_1) | instskip(NEXT) | instid1(VALU_DEP_3)
	v_fmac_f32_e32 v9, v8, v11
	v_mul_f32_e32 v8, v8, v10
; %bb.187:                              ;   in Loop: Header=BB124_109 Depth=2
	s_or_b32 exec_lo, exec_lo, s46
	ds_swizzle_b32 v11, v8 offset:swizzle(BROADCAST,32,15)
	ds_swizzle_b32 v10, v9 offset:swizzle(BROADCAST,32,15)
	s_and_saveexec_b32 s46, s4
	s_cbranch_execz .LBB124_189
; %bb.188:                              ;   in Loop: Header=BB124_109 Depth=2
	s_waitcnt lgkmcnt(1)
	v_mul_f32_e32 v11, v8, v11
	s_waitcnt lgkmcnt(0)
	s_delay_alu instid0(VALU_DEP_1)
	v_dual_fmac_f32 v9, v8, v10 :: v_dual_mov_b32 v8, v11
.LBB124_189:                            ;   in Loop: Header=BB124_109 Depth=2
	s_or_b32 exec_lo, exec_lo, s46
	s_and_saveexec_b32 s46, s5
	s_cbranch_execz .LBB124_191
; %bb.190:                              ;   in Loop: Header=BB124_109 Depth=2
	ds_store_b64 v69, v[8:9] offset:8448
.LBB124_191:                            ;   in Loop: Header=BB124_109 Depth=2
	s_or_b32 exec_lo, exec_lo, s46
	s_waitcnt vmcnt(0) lgkmcnt(0)
	s_waitcnt_vscnt null, 0x0
	s_barrier
	buffer_gl0_inv
	s_and_saveexec_b32 s46, s6
	s_cbranch_execz .LBB124_195
; %bb.192:                              ;   in Loop: Header=BB124_109 Depth=2
	ds_load_b64 v[10:11], v70 offset:8448
	s_waitcnt lgkmcnt(0)
	v_mov_b32_dpp v176, v10 row_shr:1 row_mask:0xf bank_mask:0xf
	v_mov_b32_dpp v175, v11 row_shr:1 row_mask:0xf bank_mask:0xf
	v_mov_b32_e32 v174, v10
	s_and_saveexec_b32 s47, s7
; %bb.193:                              ;   in Loop: Header=BB124_109 Depth=2
	s_delay_alu instid0(VALU_DEP_3) | instskip(NEXT) | instid1(VALU_DEP_3)
	v_mul_f32_e32 v174, v10, v176
	v_fmac_f32_e32 v11, v10, v175
	s_delay_alu instid0(VALU_DEP_2)
	v_mov_b32_e32 v10, v174
; %bb.194:                              ;   in Loop: Header=BB124_109 Depth=2
	s_or_b32 exec_lo, exec_lo, s47
	v_mov_b32_dpp v174, v174 row_shr:2 row_mask:0xf bank_mask:0xf
	s_delay_alu instid0(VALU_DEP_3) | instskip(NEXT) | instid1(VALU_DEP_2)
	v_mov_b32_dpp v175, v11 row_shr:2 row_mask:0xf bank_mask:0xf
	v_mul_f32_e32 v174, v10, v174
	s_delay_alu instid0(VALU_DEP_2) | instskip(NEXT) | instid1(VALU_DEP_2)
	v_fma_f32 v175, v10, v175, v11
	v_cndmask_b32_e64 v10, v10, v174, s8
	s_delay_alu instid0(VALU_DEP_2)
	v_cndmask_b32_e64 v11, v11, v175, s8
	ds_store_b64 v70, v[10:11] offset:8448
.LBB124_195:                            ;   in Loop: Header=BB124_109 Depth=2
	s_or_b32 exec_lo, exec_lo, s46
	s_waitcnt lgkmcnt(0)
	s_barrier
	buffer_gl0_inv
                                        ; implicit-def: $vgpr11
	s_and_saveexec_b32 s46, s10
	s_cbranch_execz .LBB124_197
; %bb.196:                              ;   in Loop: Header=BB124_109 Depth=2
	ds_load_b64 v[10:11], v69 offset:8440
	s_waitcnt lgkmcnt(0)
	v_mul_f32_e32 v174, v8, v10
	s_delay_alu instid0(VALU_DEP_1)
	v_dual_fmac_f32 v9, v8, v11 :: v_dual_mov_b32 v8, v174
.LBB124_197:                            ;   in Loop: Header=BB124_109 Depth=2
	s_or_b32 exec_lo, exec_lo, s46
	ds_bpermute_b32 v174, v71, v8
	ds_bpermute_b32 v175, v71, v9
	s_and_saveexec_b32 s46, s9
	s_cbranch_execz .LBB124_201
; %bb.198:                              ;   in Loop: Header=BB124_109 Depth=2
	ds_load_b64 v[8:9], v21 offset:8472
	s_and_saveexec_b32 s47, s11
	s_cbranch_execz .LBB124_200
; %bb.199:                              ;   in Loop: Header=BB124_109 Depth=2
	ds_store_b64 v21, v[16:17] offset:8472
.LBB124_200:                            ;   in Loop: Header=BB124_109 Depth=2
	s_or_b32 exec_lo, exec_lo, s47
	s_waitcnt lgkmcnt(0)
	v_fmac_f32_e32 v9, v17, v8
	s_delay_alu instid0(VALU_DEP_1)
	v_dual_mul_f32 v16, v16, v8 :: v_dual_mov_b32 v17, v9
.LBB124_201:                            ;   in Loop: Header=BB124_109 Depth=2
	s_or_b32 exec_lo, exec_lo, s46
	s_waitcnt lgkmcnt(0)
	s_barrier
	buffer_gl0_inv
	ds_load_b32 v8, v21 offset:8476
	s_and_saveexec_b32 s46, s11
	s_cbranch_execz .LBB124_108
; %bb.202:                              ;   in Loop: Header=BB124_109 Depth=2
	v_mov_b32_e32 v9, s91
	s_and_not1_b32 vcc_lo, exec_lo, s89
	ds_store_b64 v9, v[16:17]
	s_cbranch_vccnz .LBB124_108
; %bb.203:                              ;   in Loop: Header=BB124_109 Depth=2
	s_mov_b32 s59, s65
	s_delay_alu instid0(SALU_CYCLE_1) | instskip(NEXT) | instid1(SALU_CYCLE_1)
	s_lshl_b64 s[92:93], s[58:59], 2
	s_add_u32 s92, s76, s92
	s_addc_u32 s93, s77, s93
	global_store_b32 v21, v17, s[92:93]
	s_branch .LBB124_108
.LBB124_204:                            ;   in Loop: Header=BB124_12 Depth=1
	v_cvt_f16_f32_e32 v0, v120
	v_cvt_f16_f32_e32 v4, v113
	;; [unrolled: 1-line block ×16, first 2 shown]
	v_pack_b32_f16 v3, v3, v7
	v_pack_b32_f16 v2, v2, v6
	;; [unrolled: 1-line block ×8, first 2 shown]
	s_waitcnt_vscnt null, 0x0
	s_barrier
	buffer_gl0_inv
	ds_store_b128 v52, v[0:3]
	ds_store_b128 v52, v[4:7] offset:16
	; wave barrier
	ds_load_u16 v16, v37 offset:64
	ds_load_u16 v15, v38 offset:128
	ds_load_u16 v14, v39 offset:192
	ds_load_u16 v13, v40 offset:256
	ds_load_u16 v12, v41 offset:320
	ds_load_u16 v11, v42 offset:384
	ds_load_u16 v10, v43 offset:448
	ds_load_u16 v9, v44 offset:512
	ds_load_u16 v8, v45 offset:576
	ds_load_u16 v7, v46 offset:640
	ds_load_u16 v6, v47 offset:704
	ds_load_u16 v5, v48 offset:768
	ds_load_u16 v4, v49 offset:832
	ds_load_u16 v3, v50 offset:896
	ds_load_u16 v2, v51 offset:960
	s_mov_b32 s51, s65
	s_delay_alu instid0(SALU_CYCLE_1) | instskip(NEXT) | instid1(SALU_CYCLE_1)
	s_lshl_b64 s[34:35], s[50:51], 1
	v_add_co_u32 v0, vcc_lo, v72, s34
	v_add_co_ci_u32_e32 v1, vcc_lo, s35, v73, vcc_lo
	s_and_saveexec_b32 s29, s13
	s_cbranch_execnz .LBB124_271
; %bb.205:                              ;   in Loop: Header=BB124_12 Depth=1
	s_or_b32 exec_lo, exec_lo, s29
	s_and_saveexec_b32 s29, s14
	s_cbranch_execnz .LBB124_272
.LBB124_206:                            ;   in Loop: Header=BB124_12 Depth=1
	s_or_b32 exec_lo, exec_lo, s29
	s_and_saveexec_b32 s29, s15
	s_cbranch_execnz .LBB124_273
.LBB124_207:                            ;   in Loop: Header=BB124_12 Depth=1
	s_or_b32 exec_lo, exec_lo, s29
	s_and_saveexec_b32 s29, s16
	s_cbranch_execnz .LBB124_274
.LBB124_208:                            ;   in Loop: Header=BB124_12 Depth=1
	s_or_b32 exec_lo, exec_lo, s29
	s_and_saveexec_b32 s29, s17
	s_cbranch_execnz .LBB124_275
.LBB124_209:                            ;   in Loop: Header=BB124_12 Depth=1
	s_or_b32 exec_lo, exec_lo, s29
	s_and_saveexec_b32 s29, s18
	s_cbranch_execnz .LBB124_276
.LBB124_210:                            ;   in Loop: Header=BB124_12 Depth=1
	s_or_b32 exec_lo, exec_lo, s29
	s_and_saveexec_b32 s29, s19
	s_cbranch_execnz .LBB124_277
.LBB124_211:                            ;   in Loop: Header=BB124_12 Depth=1
	s_or_b32 exec_lo, exec_lo, s29
	s_and_saveexec_b32 s29, s20
	s_cbranch_execnz .LBB124_278
.LBB124_212:                            ;   in Loop: Header=BB124_12 Depth=1
	s_or_b32 exec_lo, exec_lo, s29
	s_and_saveexec_b32 s29, s21
	s_cbranch_execnz .LBB124_279
.LBB124_213:                            ;   in Loop: Header=BB124_12 Depth=1
	s_or_b32 exec_lo, exec_lo, s29
	s_and_saveexec_b32 s29, s22
	s_cbranch_execnz .LBB124_280
.LBB124_214:                            ;   in Loop: Header=BB124_12 Depth=1
	s_or_b32 exec_lo, exec_lo, s29
	s_and_saveexec_b32 s29, s23
	s_cbranch_execnz .LBB124_281
.LBB124_215:                            ;   in Loop: Header=BB124_12 Depth=1
	s_or_b32 exec_lo, exec_lo, s29
	s_and_saveexec_b32 s29, s24
	s_cbranch_execnz .LBB124_282
.LBB124_216:                            ;   in Loop: Header=BB124_12 Depth=1
	s_or_b32 exec_lo, exec_lo, s29
	s_and_saveexec_b32 s29, s25
	s_cbranch_execnz .LBB124_283
.LBB124_217:                            ;   in Loop: Header=BB124_12 Depth=1
	s_or_b32 exec_lo, exec_lo, s29
	s_and_saveexec_b32 s29, s26
	s_cbranch_execnz .LBB124_284
.LBB124_218:                            ;   in Loop: Header=BB124_12 Depth=1
	s_or_b32 exec_lo, exec_lo, s29
	s_and_saveexec_b32 s29, s27
	s_cbranch_execnz .LBB124_285
.LBB124_219:                            ;   in Loop: Header=BB124_12 Depth=1
	s_or_b32 exec_lo, exec_lo, s29
	s_and_saveexec_b32 s29, s28
	s_cbranch_execz .LBB124_221
.LBB124_220:                            ;   in Loop: Header=BB124_12 Depth=1
	s_waitcnt lgkmcnt(0)
	global_store_b16 v[0:1], v2, off offset:960
.LBB124_221:                            ;   in Loop: Header=BB124_12 Depth=1
	s_or_b32 exec_lo, exec_lo, s29
	v_add_co_u32 v0, vcc_lo, v74, s34
	v_add_co_ci_u32_e32 v1, vcc_lo, s35, v75, vcc_lo
	s_waitcnt lgkmcnt(0)
	v_dual_mov_b32 v2, 0 :: v_dual_mov_b32 v3, 0
	s_waitcnt_vscnt null, 0x0
	s_barrier
	buffer_gl0_inv
	s_and_saveexec_b32 s29, s13
	s_cbranch_execz .LBB124_223
; %bb.222:                              ;   in Loop: Header=BB124_12 Depth=1
	global_load_u16 v3, v[0:1], off
.LBB124_223:                            ;   in Loop: Header=BB124_12 Depth=1
	s_or_b32 exec_lo, exec_lo, s29
	s_and_saveexec_b32 s29, s14
	s_cbranch_execz .LBB124_225
; %bb.224:                              ;   in Loop: Header=BB124_12 Depth=1
	global_load_u16 v2, v[0:1], off offset:64
.LBB124_225:                            ;   in Loop: Header=BB124_12 Depth=1
	s_or_b32 exec_lo, exec_lo, s29
	v_dual_mov_b32 v4, 0 :: v_dual_mov_b32 v5, 0
	s_and_saveexec_b32 s29, s15
	s_cbranch_execz .LBB124_227
; %bb.226:                              ;   in Loop: Header=BB124_12 Depth=1
	global_load_u16 v5, v[0:1], off offset:128
.LBB124_227:                            ;   in Loop: Header=BB124_12 Depth=1
	s_or_b32 exec_lo, exec_lo, s29
	s_and_saveexec_b32 s29, s16
	s_cbranch_execz .LBB124_229
; %bb.228:                              ;   in Loop: Header=BB124_12 Depth=1
	global_load_u16 v4, v[0:1], off offset:192
.LBB124_229:                            ;   in Loop: Header=BB124_12 Depth=1
	s_or_b32 exec_lo, exec_lo, s29
	v_dual_mov_b32 v6, 0 :: v_dual_mov_b32 v7, 0
	s_and_saveexec_b32 s29, s17
	s_cbranch_execz .LBB124_231
; %bb.230:                              ;   in Loop: Header=BB124_12 Depth=1
	global_load_u16 v7, v[0:1], off offset:256
.LBB124_231:                            ;   in Loop: Header=BB124_12 Depth=1
	;; [unrolled: 13-line block ×7, first 2 shown]
	s_or_b32 exec_lo, exec_lo, s29
	s_and_saveexec_b32 s29, s28
	s_cbranch_execz .LBB124_253
; %bb.252:                              ;   in Loop: Header=BB124_12 Depth=1
	global_load_u16 v16, v[0:1], off offset:960
.LBB124_253:                            ;   in Loop: Header=BB124_12 Depth=1
	s_or_b32 exec_lo, exec_lo, s29
	s_waitcnt vmcnt(0)
	ds_store_b16 v37, v3
	ds_store_b16 v37, v2 offset:64
	ds_store_b16 v38, v5 offset:128
	;; [unrolled: 1-line block ×15, first 2 shown]
	; wave barrier
	ds_load_b128 v[4:7], v52
	ds_load_b128 v[0:3], v52 offset:16
	s_waitcnt lgkmcnt(0)
	s_barrier
	buffer_gl0_inv
	v_lshrrev_b32_e32 v8, 16, v4
	v_lshrrev_b32_e32 v9, 16, v5
	v_cvt_f32_f16_e32 v10, v5
	v_cvt_f32_f16_e32 v11, v4
	v_lshrrev_b32_e32 v104, 16, v6
	v_cvt_f32_f16_e32 v8, v8
	v_cvt_f32_f16_e32 v9, v9
	v_mul_f32_e32 v12, 0xbfb8aa3b, v10
	v_mul_f32_e32 v14, 0xbfb8aa3b, v11
	v_cvt_f32_f16_e32 v104, v104
	v_mul_f32_e32 v13, 0xbfb8aa3b, v8
	v_mul_f32_e32 v15, 0xbfb8aa3b, v9
	v_rndne_f32_e32 v16, v12
	v_fma_mix_f32 v17, v5, s86, -v12 op_sel_hi:[1,0,0]
	v_cmp_nlt_f32_e32 vcc_lo, 0x42ce8ed0, v8
	v_rndne_f32_e32 v94, v13
	v_fma_mix_f32 v95, v4, s86, -v13 op_sel:[1,0,0] op_sel_hi:[1,0,0]
	v_fma_mix_f32 v97, v5, s86, -v15 op_sel:[1,0,0] op_sel_hi:[1,0,0]
	v_rndne_f32_e32 v96, v15
	s_delay_alu instid0(VALU_DEP_4) | instskip(NEXT) | instid1(VALU_DEP_4)
	v_dual_sub_f32 v12, v12, v16 :: v_dual_sub_f32 v13, v13, v94
	v_fma_mix_f32 v95, v4, s87, v95 op_sel:[1,0,0] op_sel_hi:[1,0,0]
	s_delay_alu instid0(VALU_DEP_4) | instskip(SKIP_4) | instid1(VALU_DEP_4)
	v_fma_mix_f32 v97, v5, s87, v97 op_sel:[1,0,0] op_sel_hi:[1,0,0]
	v_fma_mix_f32 v5, v5, s87, v17 op_sel_hi:[1,0,0]
	v_rndne_f32_e32 v17, v14
	v_sub_f32_e32 v15, v15, v96
	v_cvt_i32_f32_e32 v16, v16
	v_add_f32_e32 v5, v12, v5
	s_delay_alu instid0(VALU_DEP_4) | instskip(SKIP_2) | instid1(VALU_DEP_4)
	v_dual_sub_f32 v12, v14, v17 :: v_dual_add_f32 v13, v13, v95
	v_fma_mix_f32 v95, v4, s86, -v14 op_sel_hi:[1,0,0]
	v_add_f32_e32 v15, v15, v97
	v_exp_f32_e32 v5, v5
	v_cvt_i32_f32_e32 v17, v17
	s_delay_alu instid0(VALU_DEP_3) | instskip(NEXT) | instid1(VALU_DEP_3)
	v_fma_mix_f32 v4, v4, s87, v95 op_sel_hi:[1,0,0]
	v_exp_f32_e32 v14, v15
	v_cvt_i32_f32_e32 v15, v94
	s_delay_alu instid0(VALU_DEP_2) | instskip(SKIP_2) | instid1(TRANS32_DEP_3)
	v_add_f32_e32 v4, v12, v4
	v_exp_f32_e32 v13, v13
	v_cvt_i32_f32_e32 v12, v96
	v_ldexp_f32 v5, v5, v16
	s_delay_alu instid0(VALU_DEP_3)
	v_exp_f32_e32 v4, v4
	s_delay_alu instid0(TRANS32_DEP_3) | instid1(VALU_DEP_2)
	v_ldexp_f32 v12, v14, v12
	s_waitcnt_depctr 0xfff
	v_ldexp_f32 v13, v13, v15
	v_ldexp_f32 v4, v4, v17
	s_delay_alu instid0(VALU_DEP_2)
	v_cndmask_b32_e32 v13, 0, v13, vcc_lo
	v_cmp_nlt_f32_e32 vcc_lo, 0x42ce8ed0, v9
	v_cndmask_b32_e32 v12, 0, v12, vcc_lo
	v_cmp_nlt_f32_e32 vcc_lo, 0x42ce8ed0, v10
	v_cndmask_b32_e32 v5, 0, v5, vcc_lo
	v_cmp_ngt_f32_e32 vcc_lo, 0xc2b17218, v8
	v_cndmask_b32_e32 v13, 0x7f800000, v13, vcc_lo
	v_cmp_ngt_f32_e32 vcc_lo, 0xc2b17218, v9
	;; [unrolled: 2-line block ×3, first 2 shown]
	s_delay_alu instid0(VALU_DEP_2) | instskip(NEXT) | instid1(VALU_DEP_1)
	v_add_f32_e32 v12, 1.0, v12
	v_div_scale_f32 v15, null, v12, v12, v9
	v_div_scale_f32 v99, s29, v9, v12, v9
	s_delay_alu instid0(VALU_DEP_2) | instskip(SKIP_4) | instid1(VALU_DEP_3)
	v_rcp_f32_e32 v94, v15
	s_waitcnt_depctr 0xfff
	v_fma_f32 v98, -v15, v94, 1.0
	v_cndmask_b32_e32 v5, 0x7f800000, v5, vcc_lo
	v_cmp_nlt_f32_e32 vcc_lo, 0x42ce8ed0, v11
	v_fmac_f32_e32 v94, v98, v94
	s_delay_alu instid0(VALU_DEP_3) | instskip(SKIP_2) | instid1(VALU_DEP_3)
	v_add_f32_e32 v14, 1.0, v5
	v_cndmask_b32_e32 v4, 0, v4, vcc_lo
	v_cmp_ngt_f32_e32 vcc_lo, 0xc2b17218, v11
	v_div_scale_f32 v16, null, v14, v14, v10
	s_delay_alu instid0(VALU_DEP_3) | instskip(NEXT) | instid1(VALU_DEP_2)
	v_cndmask_b32_e32 v4, 0x7f800000, v4, vcc_lo
	v_rcp_f32_e32 v95, v16
	s_delay_alu instid0(VALU_DEP_1) | instskip(NEXT) | instid1(VALU_DEP_1)
	v_dual_add_f32 v96, 1.0, v4 :: v_dual_add_f32 v13, 1.0, v13
	v_div_scale_f32 v101, null, v96, v96, v11
	s_waitcnt_depctr 0xfff
	v_fma_f32 v100, -v16, v95, 1.0
	v_rcp_f32_e32 v122, v101
	s_delay_alu instid0(VALU_DEP_1) | instskip(SKIP_2) | instid1(VALU_DEP_3)
	v_dual_fmac_f32 v95, v100, v95 :: v_dual_mul_f32 v100, v99, v94
	v_div_scale_f32 v5, null, v13, v13, v8
	v_div_scale_f32 v4, vcc_lo, v8, v13, v8
	v_fma_f32 v121, -v15, v100, v99
	s_delay_alu instid0(VALU_DEP_3) | instskip(SKIP_2) | instid1(VALU_DEP_1)
	v_rcp_f32_e32 v17, v5
	s_waitcnt_depctr 0xfff
	v_fma_f32 v97, -v5, v17, 1.0
	v_fmac_f32_e32 v17, v97, v17
	v_div_scale_f32 v97, s30, v10, v14, v10
	s_delay_alu instid0(VALU_DEP_1) | instskip(NEXT) | instid1(VALU_DEP_1)
	v_dual_mul_f32 v98, v4, v17 :: v_dual_mul_f32 v115, v97, v95
	v_fma_f32 v118, -v5, v98, v4
	s_delay_alu instid0(VALU_DEP_2) | instskip(SKIP_1) | instid1(VALU_DEP_3)
	v_fma_f32 v123, -v16, v115, v97
	v_dual_fmac_f32 v100, v121, v94 :: v_dual_mul_f32 v121, 0xbfb8aa3b, v104
	v_fmac_f32_e32 v98, v118, v17
	v_lshrrev_b32_e32 v118, 16, v7
	s_delay_alu instid0(VALU_DEP_4) | instskip(NEXT) | instid1(VALU_DEP_3)
	v_fmac_f32_e32 v115, v123, v95
	v_fma_f32 v4, -v5, v98, v4
	v_fma_f32 v5, -v15, v100, v99
	v_fma_f32 v15, -v101, v122, 1.0
	v_cvt_f32_f16_e32 v99, v118
	v_rndne_f32_e32 v118, v121
	v_div_fmas_f32 v4, v4, v17, v98
	s_mov_b32 vcc_lo, s29
	v_fma_mix_f32 v17, v6, s86, -v121 op_sel:[1,0,0] op_sel_hi:[1,0,0]
	v_div_fmas_f32 v5, v5, v94, v100
	v_fmac_f32_e32 v122, v15, v122
	v_div_fixup_f32 v4, v4, v13, v8
	v_mul_f32_e32 v13, 0xbfb8aa3b, v99
	v_div_scale_f32 v8, s29, v11, v96, v11
	v_div_fixup_f32 v5, v5, v12, v9
	v_sub_f32_e32 v9, v121, v118
	v_fma_mix_f32 v12, v6, s87, v17 op_sel:[1,0,0] op_sel_hi:[1,0,0]
	v_fma_f32 v15, -v16, v115, v97
	v_mul_f32_e32 v16, v8, v122
	s_mov_b32 vcc_lo, s30
	v_rndne_f32_e32 v17, v13
	v_add_f32_e32 v9, v9, v12
	v_cvt_f32_f16_e32 v12, v7
	v_div_fmas_f32 v15, v15, v95, v115
	v_fma_mix_f32 v94, v7, s86, -v13 op_sel:[1,0,0] op_sel_hi:[1,0,0]
	v_fma_f32 v97, -v101, v16, v8
	v_sub_f32_e32 v13, v13, v17
	v_mul_f32_e32 v95, 0xbfb8aa3b, v12
	v_exp_f32_e32 v9, v9
	v_fma_mix_f32 v94, v7, s87, v94 op_sel:[1,0,0] op_sel_hi:[1,0,0]
	v_fmac_f32_e32 v16, v97, v122
	v_cvt_i32_f32_e32 v98, v118
	v_rndne_f32_e32 v100, v95
	v_fma_mix_f32 v115, v7, s86, -v95 op_sel_hi:[1,0,0]
	v_add_f32_e32 v13, v13, v94
	v_cmp_nlt_f32_e32 vcc_lo, 0x42ce8ed0, v104
	v_cvt_i32_f32_e32 v17, v17
	v_sub_f32_e32 v94, v95, v100
	v_fma_mix_f32 v7, v7, s87, v115 op_sel_hi:[1,0,0]
	v_cvt_f32_f16_e32 v95, v6
	v_ldexp_f32 v9, v9, v98
	v_fma_f32 v8, -v101, v16, v8
	v_div_fixup_f32 v10, v15, v14, v10
	v_add_f32_e32 v7, v94, v7
	v_mul_f32_e32 v94, 0xbfb8aa3b, v95
	s_delay_alu instid0(VALU_DEP_2) | instskip(NEXT) | instid1(VALU_DEP_1)
	v_exp_f32_e32 v7, v7
	v_rndne_f32_e32 v97, v94
	v_fma_mix_f32 v98, v6, s86, -v94 op_sel_hi:[1,0,0]
	s_delay_alu instid0(VALU_DEP_2) | instskip(SKIP_1) | instid1(VALU_DEP_2)
	v_sub_f32_e32 v94, v94, v97
	v_exp_f32_e32 v13, v13
	v_fma_mix_f32 v6, v6, s87, v98 op_sel_hi:[1,0,0]
	v_cndmask_b32_e32 v9, 0, v9, vcc_lo
	v_cmp_ngt_f32_e32 vcc_lo, 0xc2b17218, v104
	s_delay_alu instid0(VALU_DEP_3) | instskip(SKIP_1) | instid1(VALU_DEP_4)
	v_add_f32_e32 v6, v94, v6
	v_cvt_i32_f32_e32 v94, v97
	v_cndmask_b32_e32 v9, 0x7f800000, v9, vcc_lo
	v_cmp_nlt_f32_e32 vcc_lo, 0x42ce8ed0, v99
	s_delay_alu instid0(TRANS32_DEP_1) | instskip(SKIP_2) | instid1(VALU_DEP_2)
	v_ldexp_f32 v13, v13, v17
	v_cvt_i32_f32_e32 v17, v100
	v_exp_f32_e32 v6, v6
	v_cndmask_b32_e32 v13, 0, v13, vcc_lo
	v_cmp_ngt_f32_e32 vcc_lo, 0xc2b17218, v99
	s_delay_alu instid0(VALU_DEP_3) | instskip(NEXT) | instid1(VALU_DEP_3)
	v_ldexp_f32 v7, v7, v17
	v_cndmask_b32_e32 v13, 0x7f800000, v13, vcc_lo
	v_cmp_nlt_f32_e32 vcc_lo, 0x42ce8ed0, v12
	s_waitcnt_depctr 0xfff
	v_ldexp_f32 v6, v6, v94
	v_add_f32_e32 v13, 1.0, v13
	v_cndmask_b32_e32 v7, 0, v7, vcc_lo
	v_cmp_ngt_f32_e32 vcc_lo, 0xc2b17218, v12
	s_delay_alu instid0(VALU_DEP_3) | instskip(NEXT) | instid1(VALU_DEP_3)
	v_div_scale_f32 v100, null, v13, v13, v99
	v_cndmask_b32_e32 v7, 0x7f800000, v7, vcc_lo
	s_mov_b32 vcc_lo, s29
	v_cmp_nlt_f32_e64 s29, 0x42ce8ed0, v95
	v_div_fmas_f32 v8, v8, v122, v16
	v_rcp_f32_e32 v16, v100
	v_add_f32_e32 v94, 1.0, v7
	s_delay_alu instid0(VALU_DEP_3) | instskip(SKIP_2) | instid1(VALU_DEP_2)
	v_cndmask_b32_e64 v6, 0, v6, s29
	v_cmp_ngt_f32_e64 s29, 0xc2b17218, v95
	v_div_fixup_f32 v8, v8, v96, v11
	v_cndmask_b32_e64 v6, 0x7f800000, v6, s29
	s_waitcnt_depctr 0xfff
	v_fma_f32 v115, -v100, v16, 1.0
	s_delay_alu instid0(VALU_DEP_1) | instskip(SKIP_1) | instid1(VALU_DEP_1)
	v_dual_add_f32 v11, 1.0, v6 :: v_dual_fmac_f32 v16, v115, v16
	v_div_scale_f32 v115, s29, v99, v13, v99
	v_dual_add_f32 v9, 1.0, v9 :: v_dual_mul_f32 v14, v115, v16
	s_delay_alu instid0(VALU_DEP_1) | instskip(SKIP_1) | instid1(VALU_DEP_3)
	v_div_scale_f32 v98, null, v9, v9, v104
	v_div_scale_f32 v7, vcc_lo, v104, v9, v104
	v_fma_f32 v96, -v100, v14, v115
	s_delay_alu instid0(VALU_DEP_3) | instskip(NEXT) | instid1(VALU_DEP_1)
	v_rcp_f32_e32 v17, v98
	v_fmac_f32_e32 v14, v96, v16
	s_waitcnt_depctr 0xfff
	v_fma_f32 v97, -v98, v17, 1.0
	s_delay_alu instid0(VALU_DEP_1) | instskip(SKIP_1) | instid1(VALU_DEP_2)
	v_fmac_f32_e32 v17, v97, v17
	v_div_scale_f32 v97, null, v94, v94, v12
	v_mul_f32_e32 v101, v7, v17
	s_delay_alu instid0(VALU_DEP_2) | instskip(NEXT) | instid1(VALU_DEP_1)
	v_rcp_f32_e32 v118, v97
	v_fma_f32 v121, -v98, v101, v7
	s_delay_alu instid0(VALU_DEP_1) | instskip(SKIP_3) | instid1(VALU_DEP_2)
	v_fmac_f32_e32 v101, v121, v17
	s_waitcnt_depctr 0xfff
	v_fma_f32 v6, -v97, v118, 1.0
	v_fma_f32 v7, -v98, v101, v7
	v_fmac_f32_e32 v118, v6, v118
	v_div_scale_f32 v98, s30, v12, v94, v12
	v_fma_mixlo_f16 v6, v120, v8, 0
	s_delay_alu instid0(VALU_DEP_4) | instskip(SKIP_1) | instid1(VALU_DEP_4)
	v_div_fmas_f32 v17, v7, v17, v101
	v_fma_f32 v8, -v100, v14, v115
	v_mul_f32_e32 v96, v98, v118
	v_lshrrev_b32_e32 v101, 16, v0
	s_mov_b32 vcc_lo, s29
	v_fma_mixlo_f16 v7, v119, v10, 0
	v_div_fixup_f32 v10, v17, v9, v104
	v_fma_f32 v9, -v97, v96, v98
	v_div_fmas_f32 v8, v8, v16, v14
	v_cvt_f32_f16_e32 v14, v101
	v_lshrrev_b32_e32 v100, 16, v1
	s_mov_b32 vcc_lo, s30
	v_fmac_f32_e32 v96, v9, v118
	v_div_fixup_f32 v13, v8, v13, v99
	v_mul_f32_e32 v8, 0xbfb8aa3b, v14
	v_cvt_f32_f16_e32 v16, v100
	v_cvt_f32_f16_e32 v99, v1
	v_fma_mixhi_f16 v7, v114, v5, 0
	v_fma_mixhi_f16 v6, v113, v4, 0
	v_rndne_f32_e32 v100, v8
	v_fma_mix_f32 v101, v0, s86, -v8 op_sel:[1,0,0] op_sel_hi:[1,0,0]
	s_delay_alu instid0(VALU_DEP_2) | instskip(NEXT) | instid1(VALU_DEP_2)
	v_sub_f32_e32 v8, v8, v100
	v_fma_mix_f32 v101, v0, s87, v101 op_sel:[1,0,0] op_sel_hi:[1,0,0]
	v_cvt_i32_f32_e32 v100, v100
	s_delay_alu instid0(VALU_DEP_2) | instskip(SKIP_2) | instid1(VALU_DEP_3)
	v_add_f32_e32 v8, v8, v101
	v_div_scale_f32 v15, null, v11, v11, v95
	v_div_scale_f32 v9, s29, v95, v11, v95
	v_exp_f32_e32 v8, v8
	s_delay_alu instid0(VALU_DEP_2) | instskip(SKIP_3) | instid1(VALU_DEP_1)
	v_rcp_f32_e32 v121, v15
	s_waitcnt_depctr 0xfff
	v_ldexp_f32 v8, v8, v100
	v_fma_f32 v17, -v15, v121, 1.0
	v_fmac_f32_e32 v121, v17, v121
	v_fma_f32 v17, -v97, v96, v98
	v_mul_f32_e32 v97, 0xbfb8aa3b, v16
	s_delay_alu instid0(VALU_DEP_2) | instskip(NEXT) | instid1(VALU_DEP_2)
	v_div_fmas_f32 v17, v17, v118, v96
	v_rndne_f32_e32 v104, v97
	v_fma_mix_f32 v115, v1, s86, -v97 op_sel:[1,0,0] op_sel_hi:[1,0,0]
	v_cmp_nlt_f32_e32 vcc_lo, 0x42ce8ed0, v14
	s_delay_alu instid0(VALU_DEP_4) | instskip(NEXT) | instid1(VALU_DEP_4)
	v_div_fixup_f32 v12, v17, v94, v12
	v_sub_f32_e32 v97, v97, v104
	s_delay_alu instid0(VALU_DEP_4) | instskip(SKIP_3) | instid1(VALU_DEP_4)
	v_fma_mix_f32 v115, v1, s87, v115 op_sel:[1,0,0] op_sel_hi:[1,0,0]
	v_cndmask_b32_e32 v8, 0, v8, vcc_lo
	v_cvt_i32_f32_e32 v96, v104
	v_cmp_nlt_f32_e32 vcc_lo, 0x42ce8ed0, v16
	v_add_f32_e32 v97, v97, v115
	s_delay_alu instid0(VALU_DEP_1) | instskip(SKIP_2) | instid1(VALU_DEP_1)
	v_exp_f32_e32 v97, v97
	s_waitcnt_depctr 0xfff
	v_ldexp_f32 v96, v97, v96
	v_cndmask_b32_e32 v96, 0, v96, vcc_lo
	v_cmp_ngt_f32_e32 vcc_lo, 0xc2b17218, v14
	v_mul_f32_e32 v98, v9, v121
	v_cndmask_b32_e32 v8, 0x7f800000, v8, vcc_lo
	v_mul_f32_e32 v119, 0xbfb8aa3b, v99
	s_delay_alu instid0(VALU_DEP_3) | instskip(SKIP_1) | instid1(VALU_DEP_4)
	v_fma_f32 v101, -v15, v98, v9
	v_cmp_ngt_f32_e32 vcc_lo, 0xc2b17218, v16
	v_add_f32_e32 v100, 1.0, v8
	s_delay_alu instid0(VALU_DEP_4)
	v_rndne_f32_e32 v120, v119
	v_fma_mix_f32 v122, v1, s86, -v119 op_sel_hi:[1,0,0]
	v_fmac_f32_e32 v98, v101, v121
	v_cndmask_b32_e32 v96, 0x7f800000, v96, vcc_lo
	v_cmp_nlt_f32_e32 vcc_lo, 0x42ce8ed0, v99
	v_sub_f32_e32 v115, v119, v120
	v_fma_mix_f32 v1, v1, s87, v122 op_sel_hi:[1,0,0]
	v_fma_f32 v9, -v15, v98, v9
	v_cvt_f32_f16_e32 v15, v0
	v_cvt_i32_f32_e32 v97, v120
	s_delay_alu instid0(VALU_DEP_4) | instskip(SKIP_1) | instid1(VALU_DEP_4)
	v_dual_add_f32 v96, 1.0, v96 :: v_dual_add_f32 v1, v115, v1
	v_div_scale_f32 v101, null, v100, v100, v14
	v_cmp_nlt_f32_e64 s30, 0x42ce8ed0, v15
	v_cmp_ngt_f32_e64 s31, 0xc2b17218, v15
	s_delay_alu instid0(VALU_DEP_4) | instskip(NEXT) | instid1(VALU_DEP_3)
	v_exp_f32_e32 v1, v1
	v_rcp_f32_e32 v115, v101
	s_waitcnt_depctr 0xfff
	v_ldexp_f32 v1, v1, v97
	v_mul_f32_e32 v97, 0xbfb8aa3b, v15
	s_delay_alu instid0(VALU_DEP_1) | instskip(SKIP_1) | instid1(VALU_DEP_2)
	v_rndne_f32_e32 v8, v97
	v_fma_mix_f32 v104, v0, s86, -v97 op_sel_hi:[1,0,0]
	v_sub_f32_e32 v97, v97, v8
	s_delay_alu instid0(VALU_DEP_2) | instskip(SKIP_3) | instid1(VALU_DEP_4)
	v_fma_mix_f32 v0, v0, s87, v104 op_sel_hi:[1,0,0]
	v_cndmask_b32_e32 v1, 0, v1, vcc_lo
	v_cmp_ngt_f32_e32 vcc_lo, 0xc2b17218, v99
	v_div_scale_f32 v104, null, v96, v96, v16
	v_add_f32_e32 v0, v97, v0
	v_fma_f32 v97, -v101, v115, 1.0
	v_cndmask_b32_e32 v1, 0x7f800000, v1, vcc_lo
	s_mov_b32 vcc_lo, s29
	v_div_scale_f32 v17, s29, v16, v96, v16
	v_div_fmas_f32 v9, v9, v121, v98
	v_exp_f32_e32 v0, v0
	v_rcp_f32_e32 v98, v104
	v_fmac_f32_e32 v115, v97, v115
	v_div_scale_f32 v97, vcc_lo, v14, v100, v14
	v_div_fixup_f32 v9, v9, v11, v95
	v_cvt_i32_f32_e32 v11, v8
	s_delay_alu instid0(VALU_DEP_2)
	v_fma_mixlo_f16 v8, v117, v9, 0
	s_delay_alu instid0(TRANS32_DEP_2) | instid1(VALU_DEP_2)
	v_ldexp_f32 v0, v0, v11
	s_delay_alu instid0(TRANS32_DEP_1) | instskip(SKIP_1) | instid1(VALU_DEP_4)
	v_fma_f32 v119, -v104, v98, 1.0
	v_mul_f32_e32 v11, v97, v115
	v_fma_mixhi_f16 v8, v110, v10, 0
	s_delay_alu instid0(VALU_DEP_4) | instskip(NEXT) | instid1(VALU_DEP_4)
	v_cndmask_b32_e64 v0, 0, v0, s30
	v_fmac_f32_e32 v98, v119, v98
	s_delay_alu instid0(VALU_DEP_4) | instskip(NEXT) | instid1(VALU_DEP_3)
	v_fma_f32 v94, -v101, v11, v97
	v_cndmask_b32_e64 v0, 0x7f800000, v0, s31
	v_add_f32_e32 v1, 1.0, v1
	s_delay_alu instid0(VALU_DEP_4) | instskip(NEXT) | instid1(VALU_DEP_3)
	v_mul_f32_e32 v117, v17, v98
	v_dual_fmac_f32 v11, v94, v115 :: v_dual_add_f32 v0, 1.0, v0
	s_delay_alu instid0(VALU_DEP_3) | instskip(SKIP_1) | instid1(VALU_DEP_4)
	v_div_scale_f32 v118, null, v1, v1, v99
	v_div_scale_f32 v119, s30, v99, v1, v99
	v_fma_f32 v94, -v104, v117, v17
	s_delay_alu instid0(VALU_DEP_3) | instskip(NEXT) | instid1(VALU_DEP_1)
	v_rcp_f32_e32 v95, v118
	v_fmac_f32_e32 v117, v94, v98
	s_delay_alu instid0(VALU_DEP_1) | instskip(SKIP_3) | instid1(VALU_DEP_2)
	v_fma_f32 v17, -v104, v117, v17
	s_waitcnt_depctr 0xfff
	v_fma_f32 v9, -v118, v95, 1.0
	v_lshrrev_b32_e32 v104, 16, v3
	v_fmac_f32_e32 v95, v9, v95
	v_fma_mixlo_f16 v9, v116, v12, 0
	v_fma_f32 v12, -v101, v11, v97
	s_delay_alu instid0(VALU_DEP_4) | instskip(NEXT) | instid1(VALU_DEP_4)
	v_cvt_f32_f16_e32 v104, v104
	v_mul_f32_e32 v120, v119, v95
	s_delay_alu instid0(VALU_DEP_4) | instskip(NEXT) | instid1(VALU_DEP_4)
	v_fma_mixhi_f16 v9, v109, v13, 0
	v_div_fmas_f32 v11, v12, v115, v11
	v_lshrrev_b32_e32 v12, 16, v2
	s_mov_b32 vcc_lo, s29
	v_fma_f32 v94, -v118, v120, v119
	v_div_fmas_f32 v17, v17, v98, v117
	s_mov_b32 vcc_lo, s30
	v_cvt_f32_f16_e32 v12, v12
	v_cvt_f32_f16_e32 v117, v3
	v_fmac_f32_e32 v120, v94, v95
	v_div_scale_f32 v94, null, v0, v0, v15
	s_delay_alu instid0(VALU_DEP_4) | instskip(SKIP_1) | instid1(VALU_DEP_4)
	v_mul_f32_e32 v101, 0xbfb8aa3b, v12
	v_cmp_nlt_f32_e64 s29, 0x42ce8ed0, v12
	v_fma_f32 v98, -v118, v120, v119
	s_delay_alu instid0(VALU_DEP_4)
	v_rcp_f32_e32 v97, v94
	v_mul_f32_e32 v118, 0xbfb8aa3b, v104
	v_fma_mix_f32 v115, v2, s86, -v101 op_sel:[1,0,0] op_sel_hi:[1,0,0]
	v_cvt_f32_f16_e32 v119, v2
	v_div_fmas_f32 v95, v98, v95, v120
	v_rndne_f32_e32 v98, v101
	v_fma_mix_f32 v120, v3, s86, -v118 op_sel:[1,0,0] op_sel_hi:[1,0,0]
	v_fma_mix_f32 v115, v2, s87, v115 op_sel:[1,0,0] op_sel_hi:[1,0,0]
	v_div_scale_f32 v123, vcc_lo, v15, v0, v15
	s_delay_alu instid0(TRANS32_DEP_1)
	v_fma_f32 v116, -v94, v97, 1.0
	v_sub_f32_e32 v101, v101, v98
	v_fma_mix_f32 v120, v3, s87, v120 op_sel:[1,0,0] op_sel_hi:[1,0,0]
	v_cvt_i32_f32_e32 v98, v98
	v_div_fixup_f32 v1, v95, v1, v99
	v_fmac_f32_e32 v97, v116, v97
	v_dual_mul_f32 v116, 0xbfb8aa3b, v117 :: v_dual_add_f32 v101, v101, v115
	v_rndne_f32_e32 v115, v118
	v_div_fixup_f32 v11, v11, v100, v14
	v_div_fixup_f32 v14, v17, v96, v16
	s_delay_alu instid0(VALU_DEP_4)
	v_rndne_f32_e32 v121, v116
	v_fma_mix_f32 v122, v3, s86, -v116 op_sel_hi:[1,0,0]
	v_exp_f32_e32 v101, v101
	v_sub_f32_e32 v118, v118, v115
	v_cvt_i32_f32_e32 v115, v115
	v_sub_f32_e32 v116, v116, v121
	v_fma_mix_f32 v3, v3, s87, v122 op_sel_hi:[1,0,0]
	v_mul_f32_e32 v122, 0xbfb8aa3b, v119
	v_add_f32_e32 v118, v118, v120
	v_fma_mixlo_f16 v1, v108, v1, 0
	s_delay_alu instid0(VALU_DEP_4) | instskip(NEXT) | instid1(VALU_DEP_4)
	v_add_f32_e32 v3, v116, v3
	v_rndne_f32_e32 v116, v122
	v_fma_mix_f32 v120, v2, s86, -v122 op_sel_hi:[1,0,0]
	v_exp_f32_e32 v118, v118
	v_ldexp_f32 v98, v101, v98
	v_exp_f32_e32 v3, v3
	v_sub_f32_e32 v101, v122, v116
	v_fma_mix_f32 v2, v2, s87, v120 op_sel_hi:[1,0,0]
	v_cvt_i32_f32_e32 v120, v121
	v_cndmask_b32_e64 v98, 0, v98, s29
	v_cmp_ngt_f32_e64 s29, 0xc2b17218, v12
	v_fma_mixhi_f16 v1, v103, v14, 0
	v_add_f32_e32 v2, v101, v2
	v_ldexp_f32 v101, v118, v115
	v_cvt_i32_f32_e32 v115, v116
	v_cndmask_b32_e64 v98, 0x7f800000, v98, s29
	v_cmp_nlt_f32_e64 s29, 0x42ce8ed0, v104
	v_ldexp_f32 v3, v3, v120
	v_exp_f32_e32 v2, v2
	s_delay_alu instid0(VALU_DEP_3) | instskip(NEXT) | instid1(VALU_DEP_3)
	v_add_f32_e32 v98, 1.0, v98
	v_cndmask_b32_e64 v101, 0, v101, s29
	v_cmp_nlt_f32_e64 s29, 0x42ce8ed0, v117
	s_delay_alu instid0(VALU_DEP_1)
	v_cndmask_b32_e64 v3, 0, v3, s29
	v_cmp_ngt_f32_e64 s29, 0xc2b17218, v104
	s_waitcnt_depctr 0xfff
	v_ldexp_f32 v2, v2, v115
	v_div_scale_f32 v115, null, v98, v98, v12
	v_cndmask_b32_e64 v101, 0x7f800000, v101, s29
	v_cmp_ngt_f32_e64 s29, 0xc2b17218, v117
	s_delay_alu instid0(VALU_DEP_3) | instskip(NEXT) | instid1(VALU_DEP_2)
	v_rcp_f32_e32 v116, v115
	v_add_f32_e32 v101, 1.0, v101
	s_delay_alu instid0(VALU_DEP_2) | instskip(SKIP_1) | instid1(VALU_DEP_3)
	v_cndmask_b32_e64 v3, 0x7f800000, v3, s29
	v_cmp_nlt_f32_e64 s29, 0x42ce8ed0, v119
	v_div_scale_f32 v118, null, v101, v101, v104
	s_delay_alu instid0(VALU_DEP_2) | instskip(SKIP_1) | instid1(TRANS32_DEP_1)
	v_cndmask_b32_e64 v2, 0, v2, s29
	v_cmp_ngt_f32_e64 s29, 0xc2b17218, v119
	v_fma_f32 v124, -v115, v116, 1.0
	s_delay_alu instid0(VALU_DEP_4) | instskip(NEXT) | instid1(VALU_DEP_2)
	v_rcp_f32_e32 v122, v118
	v_cndmask_b32_e64 v2, 0x7f800000, v2, s29
	s_delay_alu instid0(VALU_DEP_2) | instskip(SKIP_1) | instid1(VALU_DEP_3)
	v_fmac_f32_e32 v116, v124, v116
	v_div_scale_f32 v124, s29, v12, v98, v12
	v_dual_add_f32 v2, 1.0, v2 :: v_dual_mul_f32 v121, v123, v97
	s_waitcnt_depctr 0xfff
	v_fma_f32 v128, -v118, v122, 1.0
	v_mul_f32_e32 v130, v124, v116
	v_div_scale_f32 v127, null, v2, v2, v119
	v_fma_f32 v126, -v94, v121, v123
	s_delay_alu instid0(VALU_DEP_4) | instskip(SKIP_1) | instid1(VALU_DEP_4)
	v_fmac_f32_e32 v122, v128, v122
	v_div_scale_f32 v128, s30, v104, v101, v104
	v_rcp_f32_e32 v129, v127
	s_delay_alu instid0(VALU_DEP_1) | instskip(NEXT) | instid1(VALU_DEP_1)
	v_dual_fmac_f32 v121, v126, v97 :: v_dual_mul_f32 v132, v128, v122
	v_fma_f32 v94, -v94, v121, v123
	v_fma_f32 v123, -v115, v130, v124
	s_waitcnt_depctr 0xfff
	v_fma_f32 v131, -v127, v129, 1.0
	v_div_fmas_f32 v94, v94, v97, v121
	v_fma_f32 v97, -v118, v132, v128
	v_dual_add_f32 v3, 1.0, v3 :: v_dual_fmac_f32 v130, v123, v116
	s_delay_alu instid0(VALU_DEP_4) | instskip(SKIP_1) | instid1(VALU_DEP_4)
	v_fmac_f32_e32 v129, v131, v129
	v_div_scale_f32 v131, s33, v119, v2, v119
	v_fmac_f32_e32 v132, v97, v122
	s_delay_alu instid0(VALU_DEP_4) | instskip(NEXT) | instid1(VALU_DEP_3)
	v_div_scale_f32 v120, null, v3, v3, v117
	v_mul_f32_e32 v123, v131, v129
	v_div_fixup_f32 v0, v94, v0, v15
	v_fma_f32 v15, -v115, v130, v124
	s_delay_alu instid0(VALU_DEP_4)
	v_rcp_f32_e32 v125, v120
	v_fma_f32 v97, -v118, v132, v128
	v_fma_f32 v94, -v127, v123, v131
	s_mov_b32 vcc_lo, s29
	v_fma_mixlo_f16 v0, v111, v0, 0
	v_div_fmas_f32 v15, v15, v116, v130
	s_mov_b32 vcc_lo, s30
	v_fmac_f32_e32 v123, v94, v129
	v_div_fmas_f32 v97, v97, v122, v132
	v_fma_mixhi_f16 v0, v105, v11, 0
	v_fma_f32 v126, -v120, v125, 1.0
	v_div_fixup_f32 v12, v15, v98, v12
	v_fma_f32 v115, -v127, v123, v131
	v_div_fixup_f32 v15, v97, v101, v104
	s_delay_alu instid0(VALU_DEP_4) | instskip(SKIP_1) | instid1(VALU_DEP_1)
	v_fmac_f32_e32 v125, v126, v125
	v_div_scale_f32 v126, s31, v117, v3, v117
	s_mov_b32 vcc_lo, s31
	s_delay_alu instid0(VALU_DEP_1) | instskip(NEXT) | instid1(VALU_DEP_1)
	v_mul_f32_e32 v133, v126, v125
	v_fma_f32 v121, -v120, v133, v126
	s_delay_alu instid0(VALU_DEP_1) | instskip(NEXT) | instid1(VALU_DEP_1)
	v_fmac_f32_e32 v133, v121, v125
	v_fma_f32 v94, -v120, v133, v126
	s_delay_alu instid0(VALU_DEP_1) | instskip(SKIP_2) | instid1(VALU_DEP_2)
	v_div_fmas_f32 v94, v94, v125, v133
	s_mov_b32 vcc_lo, s33
	v_div_fmas_f32 v115, v115, v129, v123
	v_div_fixup_f32 v3, v94, v3, v117
	s_delay_alu instid0(VALU_DEP_2) | instskip(NEXT) | instid1(VALU_DEP_2)
	v_div_fixup_f32 v2, v115, v2, v119
	v_fma_mixlo_f16 v3, v106, v3, 0
	s_delay_alu instid0(VALU_DEP_2) | instskip(NEXT) | instid1(VALU_DEP_2)
	v_fma_mixlo_f16 v2, v107, v2, 0
	v_fma_mixhi_f16 v3, v112, v15, 0
	s_delay_alu instid0(VALU_DEP_2)
	v_fma_mixhi_f16 v2, v102, v12, 0
	ds_store_b128 v52, v[6:9]
	ds_store_b128 v52, v[0:3] offset:16
	; wave barrier
	ds_load_u16 v16, v37 offset:64
	ds_load_u16 v15, v38 offset:128
	ds_load_u16 v14, v39 offset:192
	ds_load_u16 v13, v40 offset:256
	ds_load_u16 v12, v41 offset:320
	ds_load_u16 v11, v42 offset:384
	ds_load_u16 v10, v43 offset:448
	ds_load_u16 v9, v44 offset:512
	ds_load_u16 v8, v45 offset:576
	ds_load_u16 v7, v46 offset:640
	ds_load_u16 v6, v47 offset:704
	ds_load_u16 v5, v48 offset:768
	ds_load_u16 v4, v49 offset:832
	ds_load_u16 v3, v50 offset:896
	ds_load_u16 v2, v51 offset:960
	v_add_co_u32 v0, vcc_lo, v76, s34
	v_add_co_ci_u32_e32 v1, vcc_lo, s35, v77, vcc_lo
	s_and_saveexec_b32 s29, s13
	s_cbranch_execnz .LBB124_286
; %bb.254:                              ;   in Loop: Header=BB124_12 Depth=1
	s_or_b32 exec_lo, exec_lo, s29
	s_and_saveexec_b32 s13, s14
	s_cbranch_execnz .LBB124_287
.LBB124_255:                            ;   in Loop: Header=BB124_12 Depth=1
	s_or_b32 exec_lo, exec_lo, s13
	s_and_saveexec_b32 s13, s15
	s_cbranch_execnz .LBB124_288
.LBB124_256:                            ;   in Loop: Header=BB124_12 Depth=1
	s_or_b32 exec_lo, exec_lo, s13
	s_and_saveexec_b32 s13, s16
	s_cbranch_execnz .LBB124_289
.LBB124_257:                            ;   in Loop: Header=BB124_12 Depth=1
	s_or_b32 exec_lo, exec_lo, s13
	s_and_saveexec_b32 s13, s17
	s_cbranch_execnz .LBB124_290
.LBB124_258:                            ;   in Loop: Header=BB124_12 Depth=1
	s_or_b32 exec_lo, exec_lo, s13
	s_and_saveexec_b32 s13, s18
	s_cbranch_execnz .LBB124_291
.LBB124_259:                            ;   in Loop: Header=BB124_12 Depth=1
	s_or_b32 exec_lo, exec_lo, s13
	s_and_saveexec_b32 s13, s19
	s_cbranch_execnz .LBB124_292
.LBB124_260:                            ;   in Loop: Header=BB124_12 Depth=1
	s_or_b32 exec_lo, exec_lo, s13
	s_and_saveexec_b32 s13, s20
	s_cbranch_execnz .LBB124_293
.LBB124_261:                            ;   in Loop: Header=BB124_12 Depth=1
	s_or_b32 exec_lo, exec_lo, s13
	s_and_saveexec_b32 s13, s21
	s_cbranch_execnz .LBB124_294
.LBB124_262:                            ;   in Loop: Header=BB124_12 Depth=1
	s_or_b32 exec_lo, exec_lo, s13
	s_and_saveexec_b32 s13, s22
	s_cbranch_execnz .LBB124_295
.LBB124_263:                            ;   in Loop: Header=BB124_12 Depth=1
	s_or_b32 exec_lo, exec_lo, s13
	s_and_saveexec_b32 s13, s23
	s_cbranch_execnz .LBB124_296
.LBB124_264:                            ;   in Loop: Header=BB124_12 Depth=1
	s_or_b32 exec_lo, exec_lo, s13
	s_and_saveexec_b32 s13, s24
	s_cbranch_execnz .LBB124_297
.LBB124_265:                            ;   in Loop: Header=BB124_12 Depth=1
	s_or_b32 exec_lo, exec_lo, s13
	s_and_saveexec_b32 s13, s25
	s_cbranch_execnz .LBB124_298
.LBB124_266:                            ;   in Loop: Header=BB124_12 Depth=1
	s_or_b32 exec_lo, exec_lo, s13
	s_and_saveexec_b32 s13, s26
	s_cbranch_execnz .LBB124_299
.LBB124_267:                            ;   in Loop: Header=BB124_12 Depth=1
	s_or_b32 exec_lo, exec_lo, s13
	s_and_saveexec_b32 s13, s27
	s_cbranch_execnz .LBB124_300
.LBB124_268:                            ;   in Loop: Header=BB124_12 Depth=1
	s_or_b32 exec_lo, exec_lo, s13
	s_and_saveexec_b32 s13, s28
	s_cbranch_execz .LBB124_11
	s_branch .LBB124_301
.LBB124_269:                            ;   in Loop: Header=BB124_12 Depth=1
	global_load_u16 v101, v[8:9], off offset:832
	s_or_b32 exec_lo, exec_lo, s29
	s_and_saveexec_b32 s29, s27
	s_cbranch_execz .LBB124_72
.LBB124_270:                            ;   in Loop: Header=BB124_12 Depth=1
	global_load_u16 v100, v[8:9], off offset:896
	s_or_b32 exec_lo, exec_lo, s29
	v_mov_b32_e32 v102, 0
	s_and_saveexec_b32 s29, s28
	s_cbranch_execnz .LBB124_73
	s_branch .LBB124_74
.LBB124_271:                            ;   in Loop: Header=BB124_12 Depth=1
	ds_load_u16 v17, v37
	s_waitcnt lgkmcnt(0)
	global_store_b16 v[0:1], v17, off
	s_or_b32 exec_lo, exec_lo, s29
	s_and_saveexec_b32 s29, s14
	s_cbranch_execz .LBB124_206
.LBB124_272:                            ;   in Loop: Header=BB124_12 Depth=1
	s_waitcnt lgkmcnt(14)
	global_store_b16 v[0:1], v16, off offset:64
	s_or_b32 exec_lo, exec_lo, s29
	s_and_saveexec_b32 s29, s15
	s_cbranch_execz .LBB124_207
.LBB124_273:                            ;   in Loop: Header=BB124_12 Depth=1
	s_waitcnt lgkmcnt(13)
	global_store_b16 v[0:1], v15, off offset:128
	s_or_b32 exec_lo, exec_lo, s29
	s_and_saveexec_b32 s29, s16
	s_cbranch_execz .LBB124_208
.LBB124_274:                            ;   in Loop: Header=BB124_12 Depth=1
	s_waitcnt lgkmcnt(12)
	global_store_b16 v[0:1], v14, off offset:192
	s_or_b32 exec_lo, exec_lo, s29
	s_and_saveexec_b32 s29, s17
	s_cbranch_execz .LBB124_209
.LBB124_275:                            ;   in Loop: Header=BB124_12 Depth=1
	s_waitcnt lgkmcnt(11)
	global_store_b16 v[0:1], v13, off offset:256
	s_or_b32 exec_lo, exec_lo, s29
	s_and_saveexec_b32 s29, s18
	s_cbranch_execz .LBB124_210
.LBB124_276:                            ;   in Loop: Header=BB124_12 Depth=1
	s_waitcnt lgkmcnt(10)
	global_store_b16 v[0:1], v12, off offset:320
	s_or_b32 exec_lo, exec_lo, s29
	s_and_saveexec_b32 s29, s19
	s_cbranch_execz .LBB124_211
.LBB124_277:                            ;   in Loop: Header=BB124_12 Depth=1
	s_waitcnt lgkmcnt(9)
	global_store_b16 v[0:1], v11, off offset:384
	s_or_b32 exec_lo, exec_lo, s29
	s_and_saveexec_b32 s29, s20
	s_cbranch_execz .LBB124_212
.LBB124_278:                            ;   in Loop: Header=BB124_12 Depth=1
	s_waitcnt lgkmcnt(8)
	global_store_b16 v[0:1], v10, off offset:448
	s_or_b32 exec_lo, exec_lo, s29
	s_and_saveexec_b32 s29, s21
	s_cbranch_execz .LBB124_213
.LBB124_279:                            ;   in Loop: Header=BB124_12 Depth=1
	s_waitcnt lgkmcnt(7)
	global_store_b16 v[0:1], v9, off offset:512
	s_or_b32 exec_lo, exec_lo, s29
	s_and_saveexec_b32 s29, s22
	s_cbranch_execz .LBB124_214
.LBB124_280:                            ;   in Loop: Header=BB124_12 Depth=1
	s_waitcnt lgkmcnt(6)
	global_store_b16 v[0:1], v8, off offset:576
	s_or_b32 exec_lo, exec_lo, s29
	s_and_saveexec_b32 s29, s23
	s_cbranch_execz .LBB124_215
.LBB124_281:                            ;   in Loop: Header=BB124_12 Depth=1
	s_waitcnt lgkmcnt(5)
	global_store_b16 v[0:1], v7, off offset:640
	s_or_b32 exec_lo, exec_lo, s29
	s_and_saveexec_b32 s29, s24
	s_cbranch_execz .LBB124_216
.LBB124_282:                            ;   in Loop: Header=BB124_12 Depth=1
	s_waitcnt lgkmcnt(4)
	global_store_b16 v[0:1], v6, off offset:704
	s_or_b32 exec_lo, exec_lo, s29
	s_and_saveexec_b32 s29, s25
	s_cbranch_execz .LBB124_217
.LBB124_283:                            ;   in Loop: Header=BB124_12 Depth=1
	s_waitcnt lgkmcnt(3)
	global_store_b16 v[0:1], v5, off offset:768
	s_or_b32 exec_lo, exec_lo, s29
	s_and_saveexec_b32 s29, s26
	s_cbranch_execz .LBB124_218
.LBB124_284:                            ;   in Loop: Header=BB124_12 Depth=1
	s_waitcnt lgkmcnt(2)
	global_store_b16 v[0:1], v4, off offset:832
	s_or_b32 exec_lo, exec_lo, s29
	s_and_saveexec_b32 s29, s27
	s_cbranch_execz .LBB124_219
.LBB124_285:                            ;   in Loop: Header=BB124_12 Depth=1
	s_waitcnt lgkmcnt(1)
	global_store_b16 v[0:1], v3, off offset:896
	s_or_b32 exec_lo, exec_lo, s29
	s_and_saveexec_b32 s29, s28
	s_cbranch_execnz .LBB124_220
	s_branch .LBB124_221
.LBB124_286:                            ;   in Loop: Header=BB124_12 Depth=1
	ds_load_u16 v17, v37
	s_waitcnt lgkmcnt(0)
	global_store_b16 v[0:1], v17, off
	s_or_b32 exec_lo, exec_lo, s29
	s_and_saveexec_b32 s13, s14
	s_cbranch_execz .LBB124_255
.LBB124_287:                            ;   in Loop: Header=BB124_12 Depth=1
	s_waitcnt lgkmcnt(14)
	global_store_b16 v[0:1], v16, off offset:64
	s_or_b32 exec_lo, exec_lo, s13
	s_and_saveexec_b32 s13, s15
	s_cbranch_execz .LBB124_256
.LBB124_288:                            ;   in Loop: Header=BB124_12 Depth=1
	s_waitcnt lgkmcnt(13)
	global_store_b16 v[0:1], v15, off offset:128
	s_or_b32 exec_lo, exec_lo, s13
	s_and_saveexec_b32 s13, s16
	s_cbranch_execz .LBB124_257
.LBB124_289:                            ;   in Loop: Header=BB124_12 Depth=1
	s_waitcnt lgkmcnt(12)
	global_store_b16 v[0:1], v14, off offset:192
	s_or_b32 exec_lo, exec_lo, s13
	s_and_saveexec_b32 s13, s17
	s_cbranch_execz .LBB124_258
.LBB124_290:                            ;   in Loop: Header=BB124_12 Depth=1
	s_waitcnt lgkmcnt(11)
	global_store_b16 v[0:1], v13, off offset:256
	s_or_b32 exec_lo, exec_lo, s13
	s_and_saveexec_b32 s13, s18
	s_cbranch_execz .LBB124_259
.LBB124_291:                            ;   in Loop: Header=BB124_12 Depth=1
	s_waitcnt lgkmcnt(10)
	global_store_b16 v[0:1], v12, off offset:320
	s_or_b32 exec_lo, exec_lo, s13
	s_and_saveexec_b32 s13, s19
	s_cbranch_execz .LBB124_260
.LBB124_292:                            ;   in Loop: Header=BB124_12 Depth=1
	s_waitcnt lgkmcnt(9)
	global_store_b16 v[0:1], v11, off offset:384
	s_or_b32 exec_lo, exec_lo, s13
	s_and_saveexec_b32 s13, s20
	s_cbranch_execz .LBB124_261
.LBB124_293:                            ;   in Loop: Header=BB124_12 Depth=1
	s_waitcnt lgkmcnt(8)
	global_store_b16 v[0:1], v10, off offset:448
	s_or_b32 exec_lo, exec_lo, s13
	s_and_saveexec_b32 s13, s21
	s_cbranch_execz .LBB124_262
.LBB124_294:                            ;   in Loop: Header=BB124_12 Depth=1
	s_waitcnt lgkmcnt(7)
	global_store_b16 v[0:1], v9, off offset:512
	s_or_b32 exec_lo, exec_lo, s13
	s_and_saveexec_b32 s13, s22
	s_cbranch_execz .LBB124_263
.LBB124_295:                            ;   in Loop: Header=BB124_12 Depth=1
	s_waitcnt lgkmcnt(6)
	global_store_b16 v[0:1], v8, off offset:576
	s_or_b32 exec_lo, exec_lo, s13
	s_and_saveexec_b32 s13, s23
	s_cbranch_execz .LBB124_264
.LBB124_296:                            ;   in Loop: Header=BB124_12 Depth=1
	s_waitcnt lgkmcnt(5)
	global_store_b16 v[0:1], v7, off offset:640
	s_or_b32 exec_lo, exec_lo, s13
	s_and_saveexec_b32 s13, s24
	s_cbranch_execz .LBB124_265
.LBB124_297:                            ;   in Loop: Header=BB124_12 Depth=1
	s_waitcnt lgkmcnt(4)
	global_store_b16 v[0:1], v6, off offset:704
	s_or_b32 exec_lo, exec_lo, s13
	s_and_saveexec_b32 s13, s25
	s_cbranch_execz .LBB124_266
.LBB124_298:                            ;   in Loop: Header=BB124_12 Depth=1
	s_waitcnt lgkmcnt(3)
	global_store_b16 v[0:1], v5, off offset:768
	s_or_b32 exec_lo, exec_lo, s13
	s_and_saveexec_b32 s13, s26
	s_cbranch_execz .LBB124_267
.LBB124_299:                            ;   in Loop: Header=BB124_12 Depth=1
	s_waitcnt lgkmcnt(2)
	global_store_b16 v[0:1], v4, off offset:832
	s_or_b32 exec_lo, exec_lo, s13
	s_and_saveexec_b32 s13, s27
	s_cbranch_execz .LBB124_268
.LBB124_300:                            ;   in Loop: Header=BB124_12 Depth=1
	s_waitcnt lgkmcnt(1)
	global_store_b16 v[0:1], v3, off offset:896
	s_or_b32 exec_lo, exec_lo, s13
	s_and_saveexec_b32 s13, s28
	s_cbranch_execz .LBB124_11
.LBB124_301:                            ;   in Loop: Header=BB124_12 Depth=1
	s_waitcnt lgkmcnt(0)
	global_store_b16 v[0:1], v2, off offset:960
	s_branch .LBB124_11
.LBB124_302:
	s_nop 0
	s_sendmsg sendmsg(MSG_DEALLOC_VGPRS)
	s_endpgm
	.section	.rodata,"a",@progbits
	.p2align	6, 0x0
	.amdhsa_kernel _Z25selective_scan_fwd_kernelI32Selective_Scan_fwd_kernel_traitsILi128ELi16ELi1ELb0ELb1ELb1ELb1ELb1EN3c104HalfEffEEv13SSMParamsBase
		.amdhsa_group_segment_fixed_size 0
		.amdhsa_private_segment_fixed_size 0
		.amdhsa_kernarg_size 248
		.amdhsa_user_sgpr_count 14
		.amdhsa_user_sgpr_dispatch_ptr 0
		.amdhsa_user_sgpr_queue_ptr 0
		.amdhsa_user_sgpr_kernarg_segment_ptr 1
		.amdhsa_user_sgpr_dispatch_id 0
		.amdhsa_user_sgpr_private_segment_size 0
		.amdhsa_wavefront_size32 1
		.amdhsa_uses_dynamic_stack 0
		.amdhsa_enable_private_segment 0
		.amdhsa_system_sgpr_workgroup_id_x 1
		.amdhsa_system_sgpr_workgroup_id_y 1
		.amdhsa_system_sgpr_workgroup_id_z 0
		.amdhsa_system_sgpr_workgroup_info 0
		.amdhsa_system_vgpr_workitem_id 0
		.amdhsa_next_free_vgpr 177
		.amdhsa_next_free_sgpr 94
		.amdhsa_reserve_vcc 1
		.amdhsa_float_round_mode_32 0
		.amdhsa_float_round_mode_16_64 0
		.amdhsa_float_denorm_mode_32 3
		.amdhsa_float_denorm_mode_16_64 3
		.amdhsa_dx10_clamp 1
		.amdhsa_ieee_mode 1
		.amdhsa_fp16_overflow 0
		.amdhsa_workgroup_processor_mode 1
		.amdhsa_memory_ordered 1
		.amdhsa_forward_progress 0
		.amdhsa_shared_vgpr_count 0
		.amdhsa_exception_fp_ieee_invalid_op 0
		.amdhsa_exception_fp_denorm_src 0
		.amdhsa_exception_fp_ieee_div_zero 0
		.amdhsa_exception_fp_ieee_overflow 0
		.amdhsa_exception_fp_ieee_underflow 0
		.amdhsa_exception_fp_ieee_inexact 0
		.amdhsa_exception_int_div_zero 0
	.end_amdhsa_kernel
	.section	.text._Z25selective_scan_fwd_kernelI32Selective_Scan_fwd_kernel_traitsILi128ELi16ELi1ELb0ELb1ELb1ELb1ELb1EN3c104HalfEffEEv13SSMParamsBase,"axG",@progbits,_Z25selective_scan_fwd_kernelI32Selective_Scan_fwd_kernel_traitsILi128ELi16ELi1ELb0ELb1ELb1ELb1ELb1EN3c104HalfEffEEv13SSMParamsBase,comdat
.Lfunc_end124:
	.size	_Z25selective_scan_fwd_kernelI32Selective_Scan_fwd_kernel_traitsILi128ELi16ELi1ELb0ELb1ELb1ELb1ELb1EN3c104HalfEffEEv13SSMParamsBase, .Lfunc_end124-_Z25selective_scan_fwd_kernelI32Selective_Scan_fwd_kernel_traitsILi128ELi16ELi1ELb0ELb1ELb1ELb1ELb1EN3c104HalfEffEEv13SSMParamsBase
                                        ; -- End function
	.section	.AMDGPU.csdata,"",@progbits
; Kernel info:
; codeLenInByte = 26124
; NumSgprs: 96
; NumVgprs: 177
; ScratchSize: 0
; MemoryBound: 0
; FloatMode: 240
; IeeeMode: 1
; LDSByteSize: 0 bytes/workgroup (compile time only)
; SGPRBlocks: 11
; VGPRBlocks: 22
; NumSGPRsForWavesPerEU: 96
; NumVGPRsForWavesPerEU: 177
; Occupancy: 8
; WaveLimiterHint : 1
; COMPUTE_PGM_RSRC2:SCRATCH_EN: 0
; COMPUTE_PGM_RSRC2:USER_SGPR: 14
; COMPUTE_PGM_RSRC2:TRAP_HANDLER: 0
; COMPUTE_PGM_RSRC2:TGID_X_EN: 1
; COMPUTE_PGM_RSRC2:TGID_Y_EN: 1
; COMPUTE_PGM_RSRC2:TGID_Z_EN: 0
; COMPUTE_PGM_RSRC2:TIDIG_COMP_CNT: 0
	.section	.text._Z25selective_scan_fwd_kernelI32Selective_Scan_fwd_kernel_traitsILi128ELi16ELi1ELb0ELb1ELb1ELb1ELb0EN3c104HalfEffEEv13SSMParamsBase,"axG",@progbits,_Z25selective_scan_fwd_kernelI32Selective_Scan_fwd_kernel_traitsILi128ELi16ELi1ELb0ELb1ELb1ELb1ELb0EN3c104HalfEffEEv13SSMParamsBase,comdat
	.protected	_Z25selective_scan_fwd_kernelI32Selective_Scan_fwd_kernel_traitsILi128ELi16ELi1ELb0ELb1ELb1ELb1ELb0EN3c104HalfEffEEv13SSMParamsBase ; -- Begin function _Z25selective_scan_fwd_kernelI32Selective_Scan_fwd_kernel_traitsILi128ELi16ELi1ELb0ELb1ELb1ELb1ELb0EN3c104HalfEffEEv13SSMParamsBase
	.globl	_Z25selective_scan_fwd_kernelI32Selective_Scan_fwd_kernel_traitsILi128ELi16ELi1ELb0ELb1ELb1ELb1ELb0EN3c104HalfEffEEv13SSMParamsBase
	.p2align	8
	.type	_Z25selective_scan_fwd_kernelI32Selective_Scan_fwd_kernel_traitsILi128ELi16ELi1ELb0ELb1ELb1ELb1ELb0EN3c104HalfEffEEv13SSMParamsBase,@function
_Z25selective_scan_fwd_kernelI32Selective_Scan_fwd_kernel_traitsILi128ELi16ELi1ELb0ELb1ELb1ELb1ELb0EN3c104HalfEffEEv13SSMParamsBase: ; @_Z25selective_scan_fwd_kernelI32Selective_Scan_fwd_kernel_traitsILi128ELi16ELi1ELb0ELb1ELb1ELb1ELb0EN3c104HalfEffEEv13SSMParamsBase
; %bb.0:
	s_clause 0x1
	s_load_b32 s9, s[0:1], 0x18
	s_load_b128 s[4:7], s[0:1], 0xe8
	s_mov_b32 s34, s15
	s_mov_b32 s68, 0
	s_waitcnt lgkmcnt(0)
	s_abs_i32 s8, s9
	s_cmp_eq_u64 s[6:7], 0
	v_cvt_f32_u32_e32 v1, s8
	s_delay_alu instid0(VALU_DEP_1) | instskip(SKIP_2) | instid1(VALU_DEP_1)
	v_rcp_iflag_f32_e32 v1, v1
	s_waitcnt_depctr 0xfff
	v_mul_f32_e32 v1, 0x4f7ffffe, v1
	v_cvt_u32_f32_e32 v1, v1
	s_delay_alu instid0(VALU_DEP_1)
	v_readfirstlane_b32 s10, v1
	s_cbranch_scc1 .LBB125_2
; %bb.1:
	v_mov_b32_e32 v1, 0
	s_ashr_i32 s3, s14, 31
	s_add_u32 s2, s6, s14
	s_addc_u32 s3, s7, s3
	global_load_u8 v1, v1, s[2:3]
	s_waitcnt vmcnt(0)
	v_and_b32_e32 v1, 1, v1
	s_delay_alu instid0(VALU_DEP_1)
	v_cmp_eq_u32_e64 s68, 1, v1
.LBB125_2:
	s_load_b64 s[6:7], s[0:1], 0x20
	s_cmp_eq_u64 s[4:5], 0
	s_cbranch_scc1 .LBB125_4
; %bb.3:
	s_ashr_i32 s15, s14, 31
	s_delay_alu instid0(SALU_CYCLE_1) | instskip(NEXT) | instid1(SALU_CYCLE_1)
	s_lshl_b64 s[2:3], s[14:15], 2
	s_add_u32 s2, s4, s2
	s_addc_u32 s3, s5, s3
	s_load_b32 s2, s[2:3], 0x0
	s_waitcnt lgkmcnt(0)
	s_ashr_i32 s3, s2, 31
	s_delay_alu instid0(SALU_CYCLE_1)
	s_cmp_eq_u64 s[6:7], s[2:3]
	s_cbranch_scc0 .LBB125_5
	s_branch .LBB125_302
.LBB125_4:
	s_mov_b32 s2, s14
	s_delay_alu instid0(SALU_CYCLE_1)
	s_ashr_i32 s3, s2, 31
	s_waitcnt lgkmcnt(0)
	s_cmp_eq_u64 s[6:7], s[2:3]
	s_cbranch_scc1 .LBB125_302
.LBB125_5:
	s_clause 0x1
	s_load_b512 s[16:31], s[0:1], 0x88
	s_load_b64 s[64:65], s[0:1], 0x8
	s_mov_b32 s69, 0
	s_mov_b32 s70, 0
	s_waitcnt lgkmcnt(0)
	s_cmp_eq_u64 s[22:23], 0
	s_cbranch_scc1 .LBB125_7
; %bb.6:
	s_ashr_i32 s35, s34, 31
	s_delay_alu instid0(SALU_CYCLE_1) | instskip(NEXT) | instid1(SALU_CYCLE_1)
	s_lshl_b64 s[4:5], s[34:35], 2
	s_add_u32 s4, s22, s4
	s_addc_u32 s5, s23, s5
	s_load_b32 s70, s[4:5], 0x0
.LBB125_7:
	s_cmp_eq_u64 s[28:29], 0
	s_cbranch_scc1 .LBB125_9
; %bb.8:
	s_ashr_i32 s35, s34, 31
	s_delay_alu instid0(SALU_CYCLE_1) | instskip(NEXT) | instid1(SALU_CYCLE_1)
	s_lshl_b64 s[4:5], s[34:35], 2
	s_add_u32 s4, s28, s4
	s_addc_u32 s5, s29, s5
	s_load_b32 s69, s[4:5], 0x0
.LBB125_9:
	s_cmp_lt_i32 s64, 1
	s_cbranch_scc1 .LBB125_302
; %bb.10:
	s_sub_i32 s3, 0, s8
	s_load_b256 s[48:55], s[0:1], 0x4c
	s_mul_i32 s3, s3, s10
	s_abs_i32 s4, s34
	s_mul_hi_u32 s3, s10, s3
	s_ashr_i32 s6, s9, 31
	s_add_i32 s10, s10, s3
	s_ashr_i32 s3, s34, 31
	s_mul_hi_u32 s5, s4, s10
	s_xor_b32 s3, s3, s6
	s_mul_i32 s7, s5, s8
	s_add_i32 s6, s5, 1
	s_sub_i32 s4, s4, s7
	s_load_b256 s[56:63], s[0:1], 0x2c
	s_sub_i32 s7, s4, s8
	s_cmp_ge_u32 s4, s8
	s_mov_b32 s67, 0
	s_cselect_b32 s5, s6, s5
	s_cselect_b32 s4, s7, s4
	s_add_i32 s6, s5, 1
	s_cmp_ge_u32 s4, s8
	s_waitcnt lgkmcnt(0)
	s_mul_i32 s66, s50, s14
	s_cselect_b32 s6, s6, s5
	s_lshl_b64 s[4:5], s[66:67], 1
	s_xor_b32 s6, s6, s3
	s_mul_i32 s66, s51, s34
	s_sub_i32 s3, s6, s3
	s_add_u32 s6, s24, s4
	s_addc_u32 s7, s25, s5
	s_lshl_b64 s[4:5], s[66:67], 1
	s_mul_i32 s66, s52, s14
	s_add_u32 s63, s6, s4
	s_addc_u32 s71, s7, s5
	s_lshl_b64 s[4:5], s[66:67], 1
	s_mul_i32 s66, s53, s34
	;; [unrolled: 4-line block ×4, first 2 shown]
	s_load_b64 s[6:7], s[0:1], 0x7c
	s_add_u32 s73, s16, s4
	s_addc_u32 s74, s17, s5
	s_lshl_b64 s[4:5], s[66:67], 1
	v_dual_mov_b32 v21, 0 :: v_dual_lshlrev_b32 v18, 4, v0
	s_mul_i32 s66, s3, s61
	s_load_b128 s[24:27], s[0:1], 0xc8
	s_add_u32 s8, s18, s4
	s_addc_u32 s9, s19, s5
	s_lshl_b64 s[4:5], s[66:67], 1
	s_mul_i32 s66, s62, s14
	s_add_u32 s61, s8, s4
	v_mbcnt_lo_u32_b32 v19, -1, 0
	v_and_b32_e32 v1, 0x600, v18
	s_addc_u32 s62, s9, s5
	s_lshl_b64 s[4:5], s[66:67], 1
	s_load_b128 s[16:19], s[0:1], 0x6c
	s_add_u32 s8, s20, s4
	s_mul_i32 s66, s3, s49
	s_addc_u32 s3, s21, s5
	s_clause 0x2
	s_load_b32 s49, s[0:1], 0x84
	s_load_b64 s[20:21], s[0:1], 0xd8
	s_load_b32 s0, s[0:1], 0x28
	v_or_b32_e32 v20, v19, v1
	v_and_b32_e32 v14, 0x60, v0
	s_lshl_b64 s[4:5], s[66:67], 1
	s_waitcnt lgkmcnt(0)
	s_mul_i32 s66, s2, s6
	s_add_u32 s75, s8, s4
	v_or_b32_e32 v24, 0x60, v20
	s_addc_u32 s76, s3, s5
	s_lshl_b64 s[2:3], s[66:67], 2
	v_or_b32_e32 v26, 0xa0, v20
	v_or_b32_e32 v28, 0xe0, v20
	;; [unrolled: 1-line block ×5, first 2 shown]
	v_lshrrev_b32_e32 v2, 5, v24
	v_or_b32_e32 v36, 0x1e0, v20
	v_or_b32_e32 v16, v19, v14
	s_mul_i32 s66, s7, s34
	s_add_u32 s4, s24, s2
	s_addc_u32 s5, s25, s3
	s_lshl_b64 s[2:3], s[66:67], 2
	v_or_b32_e32 v23, 64, v20
	s_add_u32 s77, s4, s2
	v_or_b32_e32 v25, 0x80, v20
	v_or_b32_e32 v27, 0xc0, v20
	;; [unrolled: 1-line block ×6, first 2 shown]
	v_and_b32_e32 v2, 50, v2
	v_lshrrev_b32_e32 v5, 5, v26
	v_lshrrev_b32_e32 v8, 5, v28
	;; [unrolled: 1-line block ×6, first 2 shown]
	v_lshrrev_b16 v50, 1, v16
	s_addc_u32 s78, s5, s3
	s_add_i32 s2, s64, 0x7ff
	v_lshrrev_b32_e32 v3, 5, v1
	s_lshr_b32 s79, s2, 11
	s_bitcmp1_b32 s0, 0
	v_lshrrev_b32_e32 v4, 5, v23
	v_lshrrev_b32_e32 v6, 5, v25
	v_add_lshl_u32 v2, v2, v20, 1
	v_and_b32_e32 v5, 52, v5
	v_lshrrev_b32_e32 v7, 5, v27
	v_and_b32_e32 v8, 54, v8
	v_lshrrev_b32_e32 v10, 5, v29
	;; [unrolled: 2-line block ×5, first 2 shown]
	v_and_b32_e32 v51, 62, v49
	v_lshlrev_b32_e32 v16, 4, v16
	v_and_b32_e32 v52, 62, v50
	s_cselect_b32 s80, -1, 0
	s_cmp_gt_i32 s65, 0
	v_add_lshl_u32 v3, v3, v20, 1
	s_cselect_b32 s81, -1, 0
	s_add_i32 s0, 0, 0x1080
	v_add_lshl_u32 v4, v4, v20, 1
	v_add_lshl_u32 v6, v6, v20, 1
	v_add_nc_u32_e32 v39, 0, v2
	v_add_lshl_u32 v5, v5, v20, 1
	v_add_lshl_u32 v7, v7, v20, 1
	;; [unrolled: 1-line block ×12, first 2 shown]
	v_add_nc_u32_e32 v55, s0, v2
	v_and_b32_e32 v2, 15, v19
	s_and_b32 s1, s64, 0x7ff
	v_add_nc_u32_e32 v51, 0, v67
	v_add_nc_u32_e32 v53, s0, v3
	;; [unrolled: 1-line block ×15, first 2 shown]
	s_cmp_eq_u32 s1, 0
	v_add_nc_u32_e32 v68, s0, v16
	v_cmp_ne_u32_e64 s0, 0, v2
	v_cmp_lt_u32_e64 s1, 1, v2
	v_cmp_lt_u32_e64 s2, 3, v2
	;; [unrolled: 1-line block ×3, first 2 shown]
	v_add_nc_u32_e32 v2, -1, v19
	v_add_nc_u32_e32 v37, 0, v3
	v_lshrrev_b32_e32 v3, 2, v0
	s_mul_i32 s66, s16, s14
	v_add_nc_u32_e32 v41, 0, v5
	v_or_b32_e32 v5, 31, v14
	v_cmp_gt_i32_e32 vcc_lo, 0, v2
	s_cselect_b32 s82, -1, 0
	s_lshl_b64 s[12:13], s[66:67], 1
	v_and_b32_e32 v3, 24, v3
	s_add_i32 s83, s79, -1
	v_cndmask_b32_e32 v2, v2, v19, vcc_lo
	s_mul_i32 s66, s17, s34
	s_add_u32 s15, s30, s12
	s_addc_u32 s13, s31, s13
	s_lshl_b64 s[16:17], s[66:67], 1
	v_cmp_eq_u32_e64 s5, v5, v0
	v_cmp_gt_u32_e64 s6, 4, v0
	v_lshl_add_u32 v70, v0, 3, 0
	v_cmp_gt_u32_e64 s9, 32, v0
	v_cmp_lt_u32_e64 s10, 31, v0
	v_cmp_eq_u32_e64 s11, 0, v0
	s_mul_i32 s66, s54, s14
	v_lshlrev_b32_e32 v0, 1, v19
	s_add_u32 s15, s15, s16
	v_add_nc_u32_e32 v38, 0, v4
	v_and_b32_e32 v4, 16, v19
	v_add_nc_u32_e32 v69, 0, v3
	v_and_b32_e32 v3, 3, v19
	s_addc_u32 s13, s13, s17
	s_lshl_b64 s[16:17], s[66:67], 1
	s_mul_i32 s66, s55, s34
	s_add_u32 s22, s26, s16
	v_lshlrev_b32_e32 v71, 2, v2
	s_addc_u32 s23, s27, s17
	s_lshl_b64 s[16:17], s[66:67], 1
	v_add_co_u32 v2, s15, s15, v0
	s_mul_i32 s66, s18, s14
	v_cmp_ne_u32_e64 s4, 0, v4
	v_cmp_ne_u32_e64 s7, 0, v3
	v_cmp_lt_u32_e64 s8, 1, v3
	v_add_co_ci_u32_e64 v3, null, s13, 0, s15
	s_add_u32 s13, s22, s16
	v_lshlrev_b32_e32 v4, 1, v1
	s_addc_u32 s16, s23, s17
	s_lshl_b64 s[14:15], s[66:67], 1
	s_mul_i32 s66, s19, s34
	s_add_u32 s17, s20, s14
	s_addc_u32 s18, s21, s15
	s_lshl_b64 s[14:15], s[66:67], 1
	v_add_co_u32 v72, vcc_lo, v2, v4
	v_add_co_u32 v2, s13, s13, v0
	s_add_u32 s14, s17, s14
	v_add_co_ci_u32_e32 v73, vcc_lo, 0, v3, vcc_lo
	v_add_co_ci_u32_e64 v3, null, s16, 0, s13
	s_addc_u32 s15, s18, s15
	v_add_co_u32 v0, s13, s14, v0
	s_delay_alu instid0(VALU_DEP_1) | instskip(SKIP_2) | instid1(VALU_DEP_4)
	v_add_co_ci_u32_e64 v5, null, s15, 0, s13
	v_add_co_u32 v74, vcc_lo, v2, v4
	v_add_co_ci_u32_e32 v75, vcc_lo, 0, v3, vcc_lo
	v_add_co_u32 v76, vcc_lo, v0, v4
	v_or_b32_e32 v22, 32, v20
	v_add_nc_u32_e32 v40, 0, v6
	v_add_nc_u32_e32 v42, 0, v7
	;; [unrolled: 1-line block ×11, first 2 shown]
	v_cmp_eq_u32_e64 s12, 0, v19
	v_add_co_ci_u32_e32 v77, vcc_lo, 0, v5, vcc_lo
	v_or_b32_e32 v78, 1, v18
	v_or_b32_e32 v79, 2, v18
	;; [unrolled: 1-line block ×15, first 2 shown]
	v_lshlrev_b32_e32 v93, 1, v1
	s_mov_b32 s84, 0x3e9b6dac
	s_add_i32 s85, 0, 0x2120
	s_mov_b32 s86, 0xbfb8aa3b
	s_mov_b32 s87, 0xb2a5705f
	;; [unrolled: 1-line block ×3, first 2 shown]
	s_branch .LBB125_12
.LBB125_11:                             ;   in Loop: Header=BB125_12 Depth=1
	s_or_b32 exec_lo, exec_lo, s13
	s_add_u32 s72, s72, 0x1000
	s_addc_u32 s56, s56, 0
	s_add_u32 s63, s63, 0x1000
	s_addc_u32 s71, s71, 0
	;; [unrolled: 2-line block ×4, first 2 shown]
	s_add_i32 s88, s88, 1
	s_delay_alu instid0(SALU_CYCLE_1)
	s_cmp_lg_u32 s88, s79
	s_cbranch_scc0 .LBB125_302
.LBB125_12:                             ; =>This Loop Header: Depth=1
                                        ;     Child Loop BB125_109 Depth 2
	s_waitcnt lgkmcnt(14)
	v_lshlrev_b32_e32 v16, 1, v19
	s_lshl_b32 s50, s88, 11
	s_waitcnt lgkmcnt(0)
	v_mov_b32_e32 v2, 0
	s_sub_i32 s41, s64, s50
	v_add_co_u32 v0, s13, s63, v16
	s_delay_alu instid0(VALU_DEP_1) | instskip(SKIP_1) | instid1(VALU_DEP_3)
	v_add_co_ci_u32_e64 v1, null, s71, 0, s13
	v_cmp_gt_u32_e64 s13, s41, v20
	v_add_co_u32 v0, vcc_lo, v0, v93
	s_delay_alu instid0(VALU_DEP_3)
	v_add_co_ci_u32_e32 v1, vcc_lo, 0, v1, vcc_lo
	s_waitcnt_vscnt null, 0x0
	s_barrier
	buffer_gl0_inv
	s_and_saveexec_b32 s14, s13
	s_cbranch_execz .LBB125_14
; %bb.13:                               ;   in Loop: Header=BB125_12 Depth=1
	global_load_u16 v2, v[0:1], off
.LBB125_14:                             ;   in Loop: Header=BB125_12 Depth=1
	s_or_b32 exec_lo, exec_lo, s14
	v_cmp_gt_u32_e64 s14, s41, v22
	v_dual_mov_b32 v3, 0 :: v_dual_mov_b32 v4, 0
	s_delay_alu instid0(VALU_DEP_2)
	s_and_saveexec_b32 s15, s14
	s_cbranch_execz .LBB125_16
; %bb.15:                               ;   in Loop: Header=BB125_12 Depth=1
	global_load_u16 v4, v[0:1], off offset:64
.LBB125_16:                             ;   in Loop: Header=BB125_12 Depth=1
	s_or_b32 exec_lo, exec_lo, s15
	v_cmp_gt_u32_e64 s15, s41, v23
	s_delay_alu instid0(VALU_DEP_1)
	s_and_saveexec_b32 s16, s15
	s_cbranch_execz .LBB125_18
; %bb.17:                               ;   in Loop: Header=BB125_12 Depth=1
	global_load_u16 v3, v[0:1], off offset:128
.LBB125_18:                             ;   in Loop: Header=BB125_12 Depth=1
	s_or_b32 exec_lo, exec_lo, s16
	v_cmp_gt_u32_e64 s16, s41, v24
	v_dual_mov_b32 v5, 0 :: v_dual_mov_b32 v6, 0
	s_delay_alu instid0(VALU_DEP_2)
	s_and_saveexec_b32 s17, s16
	s_cbranch_execz .LBB125_20
; %bb.19:                               ;   in Loop: Header=BB125_12 Depth=1
	global_load_u16 v6, v[0:1], off offset:192
.LBB125_20:                             ;   in Loop: Header=BB125_12 Depth=1
	s_or_b32 exec_lo, exec_lo, s17
	v_cmp_gt_u32_e64 s17, s41, v25
	s_delay_alu instid0(VALU_DEP_1)
	s_and_saveexec_b32 s18, s17
	s_cbranch_execz .LBB125_22
; %bb.21:                               ;   in Loop: Header=BB125_12 Depth=1
	global_load_u16 v5, v[0:1], off offset:256
.LBB125_22:                             ;   in Loop: Header=BB125_12 Depth=1
	;; [unrolled: 17-line block ×3, first 2 shown]
	s_or_b32 exec_lo, exec_lo, s20
	v_cmp_gt_u32_e64 s20, s41, v28
	v_mov_b32_e32 v9, 0
	v_mov_b32_e32 v11, 0
	s_delay_alu instid0(VALU_DEP_3)
	s_and_saveexec_b32 s21, s20
	s_cbranch_execz .LBB125_28
; %bb.27:                               ;   in Loop: Header=BB125_12 Depth=1
	global_load_u16 v11, v[0:1], off offset:448
.LBB125_28:                             ;   in Loop: Header=BB125_12 Depth=1
	s_or_b32 exec_lo, exec_lo, s21
	v_cmp_gt_u32_e64 s21, s41, v29
	s_delay_alu instid0(VALU_DEP_1)
	s_and_saveexec_b32 s22, s21
	s_cbranch_execz .LBB125_30
; %bb.29:                               ;   in Loop: Header=BB125_12 Depth=1
	global_load_u16 v9, v[0:1], off offset:512
.LBB125_30:                             ;   in Loop: Header=BB125_12 Depth=1
	s_or_b32 exec_lo, exec_lo, s22
	v_cmp_gt_u32_e64 s22, s41, v30
	v_dual_mov_b32 v12, 0 :: v_dual_mov_b32 v13, 0
	s_delay_alu instid0(VALU_DEP_2)
	s_and_saveexec_b32 s23, s22
	s_cbranch_execz .LBB125_32
; %bb.31:                               ;   in Loop: Header=BB125_12 Depth=1
	global_load_u16 v13, v[0:1], off offset:576
.LBB125_32:                             ;   in Loop: Header=BB125_12 Depth=1
	s_or_b32 exec_lo, exec_lo, s23
	v_cmp_gt_u32_e64 s23, s41, v31
	s_delay_alu instid0(VALU_DEP_1)
	s_and_saveexec_b32 s24, s23
	s_cbranch_execz .LBB125_34
; %bb.33:                               ;   in Loop: Header=BB125_12 Depth=1
	global_load_u16 v12, v[0:1], off offset:640
.LBB125_34:                             ;   in Loop: Header=BB125_12 Depth=1
	s_or_b32 exec_lo, exec_lo, s24
	v_cmp_gt_u32_e64 s24, s41, v32
	v_dual_mov_b32 v14, 0 :: v_dual_mov_b32 v15, 0
	s_delay_alu instid0(VALU_DEP_2)
	;; [unrolled: 17-line block ×4, first 2 shown]
	s_and_saveexec_b32 s29, s28
	s_cbranch_execz .LBB125_44
; %bb.43:                               ;   in Loop: Header=BB125_12 Depth=1
	global_load_u16 v95, v[0:1], off offset:960
.LBB125_44:                             ;   in Loop: Header=BB125_12 Depth=1
	s_or_b32 exec_lo, exec_lo, s29
	s_waitcnt vmcnt(0)
	ds_store_b16 v37, v2
	ds_store_b16 v37, v4 offset:64
	ds_store_b16 v38, v3 offset:128
	ds_store_b16 v39, v6 offset:192
	ds_store_b16 v40, v5 offset:256
	ds_store_b16 v41, v8 offset:320
	ds_store_b16 v42, v7 offset:384
	ds_store_b16 v43, v11 offset:448
	ds_store_b16 v44, v9 offset:512
	ds_store_b16 v45, v13 offset:576
	ds_store_b16 v46, v12 offset:640
	ds_store_b16 v47, v15 offset:704
	ds_store_b16 v48, v14 offset:768
	ds_store_b16 v49, v94 offset:832
	ds_store_b16 v50, v17 offset:896
	ds_store_b16 v51, v95 offset:960
	; wave barrier
	ds_load_b128 v[0:3], v52
	ds_load_b128 v[4:7], v52 offset:16
	v_add_co_u32 v8, s29, s72, v16
	s_delay_alu instid0(VALU_DEP_1) | instskip(SKIP_1) | instid1(VALU_DEP_2)
	v_add_co_ci_u32_e64 v9, null, s56, 0, s29
	s_waitcnt lgkmcnt(0)
	v_add_co_u32 v8, vcc_lo, v8, v93
	s_delay_alu instid0(VALU_DEP_2)
	v_add_co_ci_u32_e32 v9, vcc_lo, 0, v9, vcc_lo
	s_barrier
	buffer_gl0_inv
	s_and_saveexec_b32 s29, s13
	s_cbranch_execz .LBB125_46
; %bb.45:                               ;   in Loop: Header=BB125_12 Depth=1
	global_load_u16 v10, v[8:9], off
.LBB125_46:                             ;   in Loop: Header=BB125_12 Depth=1
	s_or_b32 exec_lo, exec_lo, s29
	v_dual_mov_b32 v11, 0 :: v_dual_mov_b32 v12, 0
	s_and_saveexec_b32 s29, s14
	s_cbranch_execz .LBB125_48
; %bb.47:                               ;   in Loop: Header=BB125_12 Depth=1
	global_load_u16 v12, v[8:9], off offset:64
.LBB125_48:                             ;   in Loop: Header=BB125_12 Depth=1
	s_or_b32 exec_lo, exec_lo, s29
	s_and_saveexec_b32 s29, s15
	s_cbranch_execz .LBB125_50
; %bb.49:                               ;   in Loop: Header=BB125_12 Depth=1
	global_load_u16 v11, v[8:9], off offset:128
.LBB125_50:                             ;   in Loop: Header=BB125_12 Depth=1
	s_or_b32 exec_lo, exec_lo, s29
	v_dual_mov_b32 v13, 0 :: v_dual_mov_b32 v14, 0
	s_and_saveexec_b32 s29, s16
	s_cbranch_execz .LBB125_52
; %bb.51:                               ;   in Loop: Header=BB125_12 Depth=1
	global_load_u16 v14, v[8:9], off offset:192
.LBB125_52:                             ;   in Loop: Header=BB125_12 Depth=1
	s_or_b32 exec_lo, exec_lo, s29
	s_and_saveexec_b32 s29, s17
	s_cbranch_execz .LBB125_54
; %bb.53:                               ;   in Loop: Header=BB125_12 Depth=1
	global_load_u16 v13, v[8:9], off offset:256
.LBB125_54:                             ;   in Loop: Header=BB125_12 Depth=1
	s_or_b32 exec_lo, exec_lo, s29
	v_mov_b32_e32 v15, 0
	v_mov_b32_e32 v17, 0
	s_and_saveexec_b32 s29, s18
	s_cbranch_execz .LBB125_56
; %bb.55:                               ;   in Loop: Header=BB125_12 Depth=1
	global_load_u16 v17, v[8:9], off offset:320
.LBB125_56:                             ;   in Loop: Header=BB125_12 Depth=1
	s_or_b32 exec_lo, exec_lo, s29
	s_and_saveexec_b32 s29, s19
	s_cbranch_execz .LBB125_58
; %bb.57:                               ;   in Loop: Header=BB125_12 Depth=1
	global_load_u16 v15, v[8:9], off offset:384
.LBB125_58:                             ;   in Loop: Header=BB125_12 Depth=1
	s_or_b32 exec_lo, exec_lo, s29
	v_dual_mov_b32 v94, 0 :: v_dual_mov_b32 v95, 0
	s_and_saveexec_b32 s29, s20
	s_cbranch_execz .LBB125_60
; %bb.59:                               ;   in Loop: Header=BB125_12 Depth=1
	global_load_u16 v95, v[8:9], off offset:448
.LBB125_60:                             ;   in Loop: Header=BB125_12 Depth=1
	s_or_b32 exec_lo, exec_lo, s29
	s_and_saveexec_b32 s29, s21
	s_cbranch_execz .LBB125_62
; %bb.61:                               ;   in Loop: Header=BB125_12 Depth=1
	global_load_u16 v94, v[8:9], off offset:512
.LBB125_62:                             ;   in Loop: Header=BB125_12 Depth=1
	s_or_b32 exec_lo, exec_lo, s29
	v_dual_mov_b32 v96, 0 :: v_dual_mov_b32 v97, 0
	;; [unrolled: 13-line block ×4, first 2 shown]
	s_and_saveexec_b32 s29, s26
	s_cbranch_execnz .LBB125_269
; %bb.71:                               ;   in Loop: Header=BB125_12 Depth=1
	s_or_b32 exec_lo, exec_lo, s29
	s_and_saveexec_b32 s29, s27
	s_cbranch_execnz .LBB125_270
.LBB125_72:                             ;   in Loop: Header=BB125_12 Depth=1
	s_or_b32 exec_lo, exec_lo, s29
	v_mov_b32_e32 v102, 0
	s_and_saveexec_b32 s29, s28
	s_cbranch_execz .LBB125_74
.LBB125_73:                             ;   in Loop: Header=BB125_12 Depth=1
	global_load_u16 v102, v[8:9], off offset:960
.LBB125_74:                             ;   in Loop: Header=BB125_12 Depth=1
	s_or_b32 exec_lo, exec_lo, s29
	s_waitcnt vmcnt(0)
	ds_store_b16 v37, v10
	ds_store_b16 v37, v12 offset:64
	ds_store_b16 v38, v11 offset:128
	;; [unrolled: 1-line block ×15, first 2 shown]
	; wave barrier
	ds_load_b128 v[12:15], v52
	ds_load_b128 v[8:11], v52 offset:16
	s_waitcnt lgkmcnt(1)
	v_cvt_f32_f16_e32 v17, v12
	s_delay_alu instid0(VALU_DEP_1) | instskip(NEXT) | instid1(VALU_DEP_1)
	v_add_f32_e32 v94, s69, v17
	v_cmp_ge_f32_e32 vcc_lo, 0x41a00000, v94
	s_and_b32 s29, s80, vcc_lo
	s_delay_alu instid0(SALU_CYCLE_1)
	s_and_saveexec_b32 s30, s29
	s_cbranch_execz .LBB125_76
; %bb.75:                               ;   in Loop: Header=BB125_12 Depth=1
	v_mul_f32_e32 v17, 0x3fb8aa3b, v94
	v_cmp_ngt_f32_e32 vcc_lo, 0xc2ce8ed0, v94
	s_delay_alu instid0(VALU_DEP_2) | instskip(SKIP_1) | instid1(VALU_DEP_1)
	v_rndne_f32_e32 v95, v17
	v_fma_f32 v96, 0x3fb8aa3b, v94, -v17
	v_dual_sub_f32 v17, v17, v95 :: v_dual_fmac_f32 v96, 0x32a5705f, v94
	v_cvt_i32_f32_e32 v95, v95
	s_delay_alu instid0(VALU_DEP_2) | instskip(NEXT) | instid1(VALU_DEP_1)
	v_add_f32_e32 v17, v17, v96
	v_exp_f32_e32 v17, v17
	s_waitcnt_depctr 0xfff
	v_ldexp_f32 v17, v17, v95
	s_delay_alu instid0(VALU_DEP_1) | instskip(SKIP_1) | instid1(VALU_DEP_2)
	v_cndmask_b32_e32 v17, 0, v17, vcc_lo
	v_cmp_nlt_f32_e32 vcc_lo, 0x42b17218, v94
	v_cndmask_b32_e32 v17, 0x7f800000, v17, vcc_lo
	s_delay_alu instid0(VALU_DEP_1) | instskip(NEXT) | instid1(VALU_DEP_1)
	v_add_f32_e32 v96, 1.0, v17
	v_cvt_f64_f32_e32 v[94:95], v96
	s_delay_alu instid0(VALU_DEP_1) | instskip(SKIP_1) | instid1(VALU_DEP_1)
	v_frexp_exp_i32_f64_e32 v94, v[94:95]
	v_frexp_mant_f32_e32 v95, v96
	v_cmp_gt_f32_e32 vcc_lo, 0x3f2aaaab, v95
	v_add_f32_e32 v95, -1.0, v96
	s_delay_alu instid0(VALU_DEP_1) | instskip(NEXT) | instid1(VALU_DEP_1)
	v_dual_sub_f32 v98, v95, v96 :: v_dual_sub_f32 v95, v17, v95
	v_add_f32_e32 v98, 1.0, v98
	v_subrev_co_ci_u32_e32 v94, vcc_lo, 0, v94, vcc_lo
	s_delay_alu instid0(VALU_DEP_1) | instskip(SKIP_1) | instid1(VALU_DEP_2)
	v_sub_nc_u32_e32 v97, 0, v94
	v_cvt_f32_i32_e32 v94, v94
	v_ldexp_f32 v96, v96, v97
	v_add_f32_e32 v95, v95, v98
	s_delay_alu instid0(VALU_DEP_1) | instskip(NEXT) | instid1(VALU_DEP_3)
	v_ldexp_f32 v95, v95, v97
	v_add_f32_e32 v99, 1.0, v96
	s_delay_alu instid0(VALU_DEP_1) | instskip(NEXT) | instid1(VALU_DEP_1)
	v_add_f32_e32 v98, -1.0, v99
	v_sub_f32_e32 v98, v96, v98
	v_cmp_eq_f32_e32 vcc_lo, 0x7f800000, v17
	v_cmp_gt_f32_e64 s29, 0x33800000, v17
	s_delay_alu instid0(VALU_DEP_3) | instskip(NEXT) | instid1(VALU_DEP_2)
	v_dual_add_f32 v98, v95, v98 :: v_dual_add_f32 v97, -1.0, v96
	s_or_b32 vcc_lo, s29, vcc_lo
	s_delay_alu instid0(VALU_DEP_1) | instskip(NEXT) | instid1(VALU_DEP_1)
	v_add_f32_e32 v100, 1.0, v97
	v_sub_f32_e32 v96, v96, v100
	s_delay_alu instid0(VALU_DEP_3) | instskip(NEXT) | instid1(VALU_DEP_1)
	v_add_f32_e32 v100, v99, v98
	v_sub_f32_e32 v99, v99, v100
	s_delay_alu instid0(VALU_DEP_3) | instskip(SKIP_1) | instid1(VALU_DEP_2)
	v_add_f32_e32 v95, v95, v96
	v_rcp_f32_e32 v96, v100
	v_add_f32_e32 v98, v98, v99
	s_delay_alu instid0(VALU_DEP_2) | instskip(NEXT) | instid1(VALU_DEP_1)
	v_add_f32_e32 v101, v97, v95
	v_sub_f32_e32 v97, v97, v101
	s_waitcnt_depctr 0xfff
	v_dual_mul_f32 v102, v101, v96 :: v_dual_add_f32 v95, v95, v97
	s_delay_alu instid0(VALU_DEP_1) | instskip(NEXT) | instid1(VALU_DEP_1)
	v_mul_f32_e32 v103, v100, v102
	v_fma_f32 v99, v102, v100, -v103
	s_delay_alu instid0(VALU_DEP_1) | instskip(NEXT) | instid1(VALU_DEP_1)
	v_fmac_f32_e32 v99, v102, v98
	v_add_f32_e32 v104, v103, v99
	s_delay_alu instid0(VALU_DEP_1) | instskip(NEXT) | instid1(VALU_DEP_1)
	v_sub_f32_e32 v105, v101, v104
	v_sub_f32_e32 v101, v101, v105
	;; [unrolled: 1-line block ×3, first 2 shown]
	s_delay_alu instid0(VALU_DEP_2) | instskip(NEXT) | instid1(VALU_DEP_2)
	v_sub_f32_e32 v101, v101, v104
	v_sub_f32_e32 v97, v97, v99
	s_delay_alu instid0(VALU_DEP_2) | instskip(NEXT) | instid1(VALU_DEP_1)
	v_add_f32_e32 v95, v95, v101
	v_add_f32_e32 v95, v97, v95
	s_delay_alu instid0(VALU_DEP_1) | instskip(NEXT) | instid1(VALU_DEP_1)
	v_add_f32_e32 v97, v105, v95
	v_mul_f32_e32 v99, v96, v97
	s_delay_alu instid0(VALU_DEP_1) | instskip(NEXT) | instid1(VALU_DEP_1)
	v_dual_sub_f32 v104, v105, v97 :: v_dual_mul_f32 v101, v100, v99
	v_add_f32_e32 v95, v95, v104
	s_delay_alu instid0(VALU_DEP_2) | instskip(NEXT) | instid1(VALU_DEP_1)
	v_fma_f32 v100, v99, v100, -v101
	v_fmac_f32_e32 v100, v99, v98
	s_delay_alu instid0(VALU_DEP_1) | instskip(NEXT) | instid1(VALU_DEP_1)
	v_add_f32_e32 v98, v101, v100
	v_sub_f32_e32 v103, v97, v98
	v_sub_f32_e32 v101, v98, v101
	s_delay_alu instid0(VALU_DEP_2) | instskip(NEXT) | instid1(VALU_DEP_1)
	v_sub_f32_e32 v97, v97, v103
	v_sub_f32_e32 v97, v97, v98
	s_delay_alu instid0(VALU_DEP_1) | instskip(SKIP_1) | instid1(VALU_DEP_1)
	v_dual_sub_f32 v98, v101, v100 :: v_dual_add_f32 v95, v95, v97
	v_add_f32_e32 v97, v102, v99
	v_dual_add_f32 v95, v98, v95 :: v_dual_sub_f32 v98, v97, v102
	s_delay_alu instid0(VALU_DEP_1) | instskip(NEXT) | instid1(VALU_DEP_1)
	v_add_f32_e32 v95, v103, v95
	v_dual_sub_f32 v98, v99, v98 :: v_dual_mul_f32 v95, v96, v95
	s_delay_alu instid0(VALU_DEP_1) | instskip(NEXT) | instid1(VALU_DEP_1)
	v_add_f32_e32 v95, v98, v95
	v_add_f32_e32 v96, v97, v95
	s_delay_alu instid0(VALU_DEP_1) | instskip(NEXT) | instid1(VALU_DEP_1)
	v_mul_f32_e32 v98, v96, v96
	v_fmaak_f32 v99, s84, v98, 0x3ecc95a3
	v_mul_f32_e32 v100, v96, v98
	s_delay_alu instid0(VALU_DEP_2) | instskip(SKIP_2) | instid1(VALU_DEP_3)
	v_fmaak_f32 v98, v98, v99, 0x3f2aaada
	v_ldexp_f32 v99, v96, 1
	v_sub_f32_e32 v96, v96, v97
	v_mul_f32_e32 v98, v100, v98
	s_delay_alu instid0(VALU_DEP_2) | instskip(NEXT) | instid1(VALU_DEP_2)
	v_dual_mul_f32 v100, 0x3f317218, v94 :: v_dual_sub_f32 v95, v95, v96
	v_add_f32_e32 v97, v99, v98
	s_delay_alu instid0(VALU_DEP_2) | instskip(NEXT) | instid1(VALU_DEP_2)
	v_ldexp_f32 v95, v95, 1
	v_sub_f32_e32 v96, v97, v99
	s_delay_alu instid0(VALU_DEP_4) | instskip(NEXT) | instid1(VALU_DEP_1)
	v_fma_f32 v99, 0x3f317218, v94, -v100
	v_dual_sub_f32 v96, v98, v96 :: v_dual_fmac_f32 v99, 0xb102e308, v94
	s_delay_alu instid0(VALU_DEP_1) | instskip(NEXT) | instid1(VALU_DEP_1)
	v_dual_add_f32 v94, v95, v96 :: v_dual_add_f32 v95, v100, v99
	v_add_f32_e32 v96, v97, v94
	s_delay_alu instid0(VALU_DEP_2) | instskip(NEXT) | instid1(VALU_DEP_2)
	v_sub_f32_e32 v100, v95, v100
	v_dual_add_f32 v98, v95, v96 :: v_dual_sub_f32 v97, v96, v97
	s_delay_alu instid0(VALU_DEP_2) | instskip(NEXT) | instid1(VALU_DEP_2)
	v_sub_f32_e32 v99, v99, v100
	v_sub_f32_e32 v101, v98, v95
	s_delay_alu instid0(VALU_DEP_3) | instskip(NEXT) | instid1(VALU_DEP_2)
	v_sub_f32_e32 v94, v94, v97
	v_sub_f32_e32 v102, v98, v101
	s_delay_alu instid0(VALU_DEP_2) | instskip(NEXT) | instid1(VALU_DEP_2)
	v_dual_sub_f32 v96, v96, v101 :: v_dual_add_f32 v97, v99, v94
	v_sub_f32_e32 v95, v95, v102
	s_delay_alu instid0(VALU_DEP_1) | instskip(NEXT) | instid1(VALU_DEP_3)
	v_add_f32_e32 v95, v96, v95
	v_sub_f32_e32 v96, v97, v99
	s_delay_alu instid0(VALU_DEP_2) | instskip(NEXT) | instid1(VALU_DEP_2)
	v_add_f32_e32 v95, v97, v95
	v_sub_f32_e32 v97, v97, v96
	v_sub_f32_e32 v94, v94, v96
	s_delay_alu instid0(VALU_DEP_2) | instskip(NEXT) | instid1(VALU_DEP_1)
	v_dual_add_f32 v100, v98, v95 :: v_dual_sub_f32 v97, v99, v97
	v_sub_f32_e32 v96, v100, v98
	s_delay_alu instid0(VALU_DEP_1) | instskip(NEXT) | instid1(VALU_DEP_1)
	v_dual_add_f32 v94, v94, v97 :: v_dual_sub_f32 v95, v95, v96
	v_add_f32_e32 v94, v94, v95
	s_delay_alu instid0(VALU_DEP_1) | instskip(NEXT) | instid1(VALU_DEP_1)
	v_add_f32_e32 v94, v100, v94
	v_cndmask_b32_e32 v94, v94, v17, vcc_lo
.LBB125_76:                             ;   in Loop: Header=BB125_12 Depth=1
	s_or_b32 exec_lo, exec_lo, s30
	v_lshrrev_b32_e32 v12, 16, v12
	s_delay_alu instid0(VALU_DEP_1) | instskip(NEXT) | instid1(VALU_DEP_1)
	v_cvt_f32_f16_e32 v12, v12
	v_add_f32_e32 v95, s69, v12
	s_delay_alu instid0(VALU_DEP_1) | instskip(SKIP_1) | instid1(SALU_CYCLE_1)
	v_cmp_ge_f32_e32 vcc_lo, 0x41a00000, v95
	s_and_b32 s29, s80, vcc_lo
	s_and_saveexec_b32 s30, s29
	s_cbranch_execz .LBB125_78
; %bb.77:                               ;   in Loop: Header=BB125_12 Depth=1
	v_mul_f32_e32 v12, 0x3fb8aa3b, v95
	v_cmp_ngt_f32_e32 vcc_lo, 0xc2ce8ed0, v95
	s_delay_alu instid0(VALU_DEP_2) | instskip(SKIP_1) | instid1(VALU_DEP_2)
	v_rndne_f32_e32 v17, v12
	v_fma_f32 v96, 0x3fb8aa3b, v95, -v12
	v_sub_f32_e32 v12, v12, v17
	s_delay_alu instid0(VALU_DEP_2) | instskip(SKIP_1) | instid1(VALU_DEP_2)
	v_fmac_f32_e32 v96, 0x32a5705f, v95
	v_cvt_i32_f32_e32 v17, v17
	v_add_f32_e32 v12, v12, v96
	s_delay_alu instid0(VALU_DEP_1) | instskip(SKIP_2) | instid1(VALU_DEP_1)
	v_exp_f32_e32 v12, v12
	s_waitcnt_depctr 0xfff
	v_ldexp_f32 v12, v12, v17
	v_cndmask_b32_e32 v12, 0, v12, vcc_lo
	v_cmp_nlt_f32_e32 vcc_lo, 0x42b17218, v95
	s_delay_alu instid0(VALU_DEP_2) | instskip(NEXT) | instid1(VALU_DEP_1)
	v_cndmask_b32_e32 v12, 0x7f800000, v12, vcc_lo
	v_add_f32_e32 v17, 1.0, v12
	s_delay_alu instid0(VALU_DEP_1) | instskip(NEXT) | instid1(VALU_DEP_1)
	v_cvt_f64_f32_e32 v[95:96], v17
	v_frexp_exp_i32_f64_e32 v95, v[95:96]
	v_frexp_mant_f32_e32 v96, v17
	s_delay_alu instid0(VALU_DEP_1) | instskip(SKIP_1) | instid1(VALU_DEP_1)
	v_cmp_gt_f32_e32 vcc_lo, 0x3f2aaaab, v96
	v_add_f32_e32 v96, -1.0, v17
	v_sub_f32_e32 v98, v96, v17
	v_sub_f32_e32 v96, v12, v96
	s_delay_alu instid0(VALU_DEP_2) | instskip(NEXT) | instid1(VALU_DEP_1)
	v_add_f32_e32 v98, 1.0, v98
	v_add_f32_e32 v96, v96, v98
	v_subrev_co_ci_u32_e32 v95, vcc_lo, 0, v95, vcc_lo
	s_delay_alu instid0(VALU_DEP_1) | instskip(SKIP_1) | instid1(VALU_DEP_2)
	v_sub_nc_u32_e32 v97, 0, v95
	v_cvt_f32_i32_e32 v95, v95
	v_ldexp_f32 v17, v17, v97
	v_ldexp_f32 v96, v96, v97
	s_delay_alu instid0(VALU_DEP_2) | instskip(NEXT) | instid1(VALU_DEP_1)
	v_add_f32_e32 v99, 1.0, v17
	v_dual_add_f32 v97, -1.0, v17 :: v_dual_add_f32 v98, -1.0, v99
	s_delay_alu instid0(VALU_DEP_1) | instskip(NEXT) | instid1(VALU_DEP_2)
	v_add_f32_e32 v100, 1.0, v97
	v_sub_f32_e32 v98, v17, v98
	s_delay_alu instid0(VALU_DEP_2) | instskip(NEXT) | instid1(VALU_DEP_1)
	v_sub_f32_e32 v17, v17, v100
	v_add_f32_e32 v17, v96, v17
	s_delay_alu instid0(VALU_DEP_1) | instskip(SKIP_2) | instid1(VALU_DEP_3)
	v_add_f32_e32 v101, v97, v17
	v_cmp_eq_f32_e32 vcc_lo, 0x7f800000, v12
	v_cmp_gt_f32_e64 s29, 0x33800000, v12
	v_dual_sub_f32 v97, v97, v101 :: v_dual_add_f32 v98, v96, v98
	s_delay_alu instid0(VALU_DEP_2) | instskip(NEXT) | instid1(VALU_DEP_1)
	s_or_b32 vcc_lo, s29, vcc_lo
	v_dual_add_f32 v17, v17, v97 :: v_dual_add_f32 v100, v99, v98
	s_delay_alu instid0(VALU_DEP_1) | instskip(SKIP_1) | instid1(VALU_DEP_1)
	v_rcp_f32_e32 v96, v100
	v_sub_f32_e32 v99, v99, v100
	v_add_f32_e32 v98, v98, v99
	s_waitcnt_depctr 0xfff
	v_mul_f32_e32 v102, v101, v96
	s_delay_alu instid0(VALU_DEP_1) | instskip(NEXT) | instid1(VALU_DEP_1)
	v_mul_f32_e32 v103, v100, v102
	v_fma_f32 v99, v102, v100, -v103
	s_delay_alu instid0(VALU_DEP_1) | instskip(NEXT) | instid1(VALU_DEP_1)
	v_fmac_f32_e32 v99, v102, v98
	v_add_f32_e32 v104, v103, v99
	s_delay_alu instid0(VALU_DEP_1) | instskip(SKIP_1) | instid1(VALU_DEP_2)
	v_sub_f32_e32 v105, v101, v104
	v_sub_f32_e32 v97, v104, v103
	;; [unrolled: 1-line block ×3, first 2 shown]
	s_delay_alu instid0(VALU_DEP_2) | instskip(NEXT) | instid1(VALU_DEP_2)
	v_sub_f32_e32 v97, v97, v99
	v_sub_f32_e32 v101, v101, v104
	s_delay_alu instid0(VALU_DEP_1) | instskip(NEXT) | instid1(VALU_DEP_1)
	v_add_f32_e32 v17, v17, v101
	v_add_f32_e32 v17, v97, v17
	s_delay_alu instid0(VALU_DEP_1) | instskip(NEXT) | instid1(VALU_DEP_1)
	v_add_f32_e32 v97, v105, v17
	v_mul_f32_e32 v99, v96, v97
	s_delay_alu instid0(VALU_DEP_1) | instskip(NEXT) | instid1(VALU_DEP_1)
	v_mul_f32_e32 v101, v100, v99
	v_fma_f32 v100, v99, v100, -v101
	s_delay_alu instid0(VALU_DEP_1) | instskip(SKIP_1) | instid1(VALU_DEP_2)
	v_fmac_f32_e32 v100, v99, v98
	v_sub_f32_e32 v104, v105, v97
	v_add_f32_e32 v98, v101, v100
	s_delay_alu instid0(VALU_DEP_2) | instskip(NEXT) | instid1(VALU_DEP_2)
	v_add_f32_e32 v17, v17, v104
	v_sub_f32_e32 v103, v97, v98
	s_delay_alu instid0(VALU_DEP_1) | instskip(NEXT) | instid1(VALU_DEP_1)
	v_sub_f32_e32 v97, v97, v103
	v_sub_f32_e32 v97, v97, v98
	s_delay_alu instid0(VALU_DEP_1) | instskip(SKIP_2) | instid1(VALU_DEP_1)
	v_add_f32_e32 v17, v17, v97
	v_add_f32_e32 v97, v102, v99
	v_sub_f32_e32 v101, v98, v101
	v_sub_f32_e32 v98, v101, v100
	s_delay_alu instid0(VALU_DEP_1) | instskip(NEXT) | instid1(VALU_DEP_1)
	v_dual_add_f32 v17, v98, v17 :: v_dual_sub_f32 v98, v97, v102
	v_add_f32_e32 v17, v103, v17
	s_delay_alu instid0(VALU_DEP_1) | instskip(NEXT) | instid1(VALU_DEP_1)
	v_dual_sub_f32 v98, v99, v98 :: v_dual_mul_f32 v17, v96, v17
	v_add_f32_e32 v17, v98, v17
	s_delay_alu instid0(VALU_DEP_1) | instskip(NEXT) | instid1(VALU_DEP_1)
	v_add_f32_e32 v96, v97, v17
	v_mul_f32_e32 v98, v96, v96
	s_delay_alu instid0(VALU_DEP_1) | instskip(SKIP_1) | instid1(VALU_DEP_2)
	v_fmaak_f32 v99, s84, v98, 0x3ecc95a3
	v_mul_f32_e32 v100, v96, v98
	v_fmaak_f32 v98, v98, v99, 0x3f2aaada
	v_ldexp_f32 v99, v96, 1
	s_delay_alu instid0(VALU_DEP_2) | instskip(SKIP_1) | instid1(VALU_DEP_2)
	v_mul_f32_e32 v98, v100, v98
	v_sub_f32_e32 v96, v96, v97
	v_dual_mul_f32 v100, 0x3f317218, v95 :: v_dual_add_f32 v97, v99, v98
	s_delay_alu instid0(VALU_DEP_2) | instskip(NEXT) | instid1(VALU_DEP_2)
	v_sub_f32_e32 v17, v17, v96
	v_sub_f32_e32 v96, v97, v99
	s_delay_alu instid0(VALU_DEP_3) | instskip(NEXT) | instid1(VALU_DEP_3)
	v_fma_f32 v99, 0x3f317218, v95, -v100
	v_ldexp_f32 v17, v17, 1
	s_delay_alu instid0(VALU_DEP_2) | instskip(NEXT) | instid1(VALU_DEP_1)
	v_dual_sub_f32 v96, v98, v96 :: v_dual_fmac_f32 v99, 0xb102e308, v95
	v_add_f32_e32 v17, v17, v96
	s_delay_alu instid0(VALU_DEP_1) | instskip(NEXT) | instid1(VALU_DEP_1)
	v_dual_add_f32 v95, v100, v99 :: v_dual_add_f32 v96, v97, v17
	v_sub_f32_e32 v100, v95, v100
	s_delay_alu instid0(VALU_DEP_2) | instskip(NEXT) | instid1(VALU_DEP_2)
	v_dual_add_f32 v98, v95, v96 :: v_dual_sub_f32 v97, v96, v97
	v_sub_f32_e32 v99, v99, v100
	s_delay_alu instid0(VALU_DEP_2) | instskip(NEXT) | instid1(VALU_DEP_1)
	v_sub_f32_e32 v101, v98, v95
	v_sub_f32_e32 v102, v98, v101
	;; [unrolled: 1-line block ×4, first 2 shown]
	s_delay_alu instid0(VALU_DEP_1) | instskip(NEXT) | instid1(VALU_DEP_4)
	v_add_f32_e32 v97, v99, v17
	v_sub_f32_e32 v95, v95, v102
	s_delay_alu instid0(VALU_DEP_1) | instskip(NEXT) | instid1(VALU_DEP_3)
	v_add_f32_e32 v95, v96, v95
	v_sub_f32_e32 v96, v97, v99
	s_delay_alu instid0(VALU_DEP_2) | instskip(NEXT) | instid1(VALU_DEP_2)
	v_add_f32_e32 v95, v97, v95
	v_sub_f32_e32 v97, v97, v96
	s_delay_alu instid0(VALU_DEP_2) | instskip(NEXT) | instid1(VALU_DEP_1)
	v_dual_sub_f32 v17, v17, v96 :: v_dual_add_f32 v100, v98, v95
	v_dual_sub_f32 v96, v100, v98 :: v_dual_sub_f32 v97, v99, v97
	s_delay_alu instid0(VALU_DEP_1) | instskip(NEXT) | instid1(VALU_DEP_2)
	v_sub_f32_e32 v95, v95, v96
	v_add_f32_e32 v17, v17, v97
	s_delay_alu instid0(VALU_DEP_1) | instskip(NEXT) | instid1(VALU_DEP_1)
	v_add_f32_e32 v17, v17, v95
	v_add_f32_e32 v17, v100, v17
	s_delay_alu instid0(VALU_DEP_1)
	v_cndmask_b32_e32 v95, v17, v12, vcc_lo
.LBB125_78:                             ;   in Loop: Header=BB125_12 Depth=1
	s_or_b32 exec_lo, exec_lo, s30
	v_cvt_f32_f16_e32 v12, v13
	s_delay_alu instid0(VALU_DEP_1) | instskip(NEXT) | instid1(VALU_DEP_1)
	v_add_f32_e32 v96, s69, v12
	v_cmp_ge_f32_e32 vcc_lo, 0x41a00000, v96
	s_and_b32 s29, s80, vcc_lo
	s_delay_alu instid0(SALU_CYCLE_1)
	s_and_saveexec_b32 s30, s29
	s_cbranch_execz .LBB125_80
; %bb.79:                               ;   in Loop: Header=BB125_12 Depth=1
	v_mul_f32_e32 v12, 0x3fb8aa3b, v96
	v_cmp_ngt_f32_e32 vcc_lo, 0xc2ce8ed0, v96
	s_delay_alu instid0(VALU_DEP_2) | instskip(SKIP_1) | instid1(VALU_DEP_1)
	v_rndne_f32_e32 v17, v12
	v_fma_f32 v97, 0x3fb8aa3b, v96, -v12
	v_dual_sub_f32 v12, v12, v17 :: v_dual_fmac_f32 v97, 0x32a5705f, v96
	v_cvt_i32_f32_e32 v17, v17
	s_delay_alu instid0(VALU_DEP_2) | instskip(NEXT) | instid1(VALU_DEP_1)
	v_add_f32_e32 v12, v12, v97
	v_exp_f32_e32 v12, v12
	s_waitcnt_depctr 0xfff
	v_ldexp_f32 v12, v12, v17
	s_delay_alu instid0(VALU_DEP_1) | instskip(SKIP_1) | instid1(VALU_DEP_2)
	v_cndmask_b32_e32 v12, 0, v12, vcc_lo
	v_cmp_nlt_f32_e32 vcc_lo, 0x42b17218, v96
	v_cndmask_b32_e32 v12, 0x7f800000, v12, vcc_lo
	s_delay_alu instid0(VALU_DEP_1) | instskip(NEXT) | instid1(VALU_DEP_1)
	v_add_f32_e32 v17, 1.0, v12
	v_cvt_f64_f32_e32 v[96:97], v17
	s_delay_alu instid0(VALU_DEP_1) | instskip(SKIP_1) | instid1(VALU_DEP_1)
	v_frexp_exp_i32_f64_e32 v96, v[96:97]
	v_frexp_mant_f32_e32 v97, v17
	v_cmp_gt_f32_e32 vcc_lo, 0x3f2aaaab, v97
	v_add_f32_e32 v97, -1.0, v17
	s_delay_alu instid0(VALU_DEP_1) | instskip(SKIP_1) | instid1(VALU_DEP_2)
	v_sub_f32_e32 v99, v97, v17
	v_sub_f32_e32 v97, v12, v97
	v_add_f32_e32 v99, 1.0, v99
	s_delay_alu instid0(VALU_DEP_1) | instskip(SKIP_3) | instid1(VALU_DEP_2)
	v_add_f32_e32 v97, v97, v99
	v_cmp_gt_f32_e64 s29, 0x33800000, v12
	v_subrev_co_ci_u32_e32 v96, vcc_lo, 0, v96, vcc_lo
	v_cmp_eq_f32_e32 vcc_lo, 0x7f800000, v12
	v_sub_nc_u32_e32 v98, 0, v96
	v_cvt_f32_i32_e32 v96, v96
	s_or_b32 vcc_lo, s29, vcc_lo
	s_delay_alu instid0(VALU_DEP_2) | instskip(SKIP_1) | instid1(VALU_DEP_2)
	v_ldexp_f32 v17, v17, v98
	v_ldexp_f32 v97, v97, v98
	v_add_f32_e32 v100, 1.0, v17
	s_delay_alu instid0(VALU_DEP_1) | instskip(NEXT) | instid1(VALU_DEP_1)
	v_dual_add_f32 v98, -1.0, v17 :: v_dual_add_f32 v99, -1.0, v100
	v_add_f32_e32 v101, 1.0, v98
	s_delay_alu instid0(VALU_DEP_2) | instskip(NEXT) | instid1(VALU_DEP_2)
	v_sub_f32_e32 v99, v17, v99
	v_sub_f32_e32 v17, v17, v101
	s_delay_alu instid0(VALU_DEP_1) | instskip(NEXT) | instid1(VALU_DEP_1)
	v_add_f32_e32 v17, v97, v17
	v_dual_add_f32 v102, v98, v17 :: v_dual_add_f32 v99, v97, v99
	s_delay_alu instid0(VALU_DEP_1) | instskip(NEXT) | instid1(VALU_DEP_1)
	v_dual_sub_f32 v98, v98, v102 :: v_dual_add_f32 v101, v100, v99
	v_rcp_f32_e32 v97, v101
	v_sub_f32_e32 v100, v100, v101
	s_delay_alu instid0(VALU_DEP_1) | instskip(SKIP_2) | instid1(VALU_DEP_1)
	v_add_f32_e32 v99, v99, v100
	s_waitcnt_depctr 0xfff
	v_mul_f32_e32 v103, v102, v97
	v_mul_f32_e32 v104, v101, v103
	s_delay_alu instid0(VALU_DEP_1) | instskip(NEXT) | instid1(VALU_DEP_1)
	v_fma_f32 v100, v103, v101, -v104
	v_fmac_f32_e32 v100, v103, v99
	s_delay_alu instid0(VALU_DEP_1) | instskip(NEXT) | instid1(VALU_DEP_1)
	v_add_f32_e32 v105, v104, v100
	v_sub_f32_e32 v106, v102, v105
	s_delay_alu instid0(VALU_DEP_1) | instskip(SKIP_2) | instid1(VALU_DEP_3)
	v_sub_f32_e32 v102, v102, v106
	v_add_f32_e32 v17, v17, v98
	v_sub_f32_e32 v98, v105, v104
	v_sub_f32_e32 v102, v102, v105
	s_delay_alu instid0(VALU_DEP_1) | instskip(NEXT) | instid1(VALU_DEP_1)
	v_dual_sub_f32 v98, v98, v100 :: v_dual_add_f32 v17, v17, v102
	v_add_f32_e32 v17, v98, v17
	s_delay_alu instid0(VALU_DEP_1) | instskip(NEXT) | instid1(VALU_DEP_1)
	v_add_f32_e32 v98, v106, v17
	v_mul_f32_e32 v100, v97, v98
	s_delay_alu instid0(VALU_DEP_1) | instskip(NEXT) | instid1(VALU_DEP_1)
	v_dual_sub_f32 v105, v106, v98 :: v_dual_mul_f32 v102, v101, v100
	v_add_f32_e32 v17, v17, v105
	s_delay_alu instid0(VALU_DEP_2) | instskip(NEXT) | instid1(VALU_DEP_1)
	v_fma_f32 v101, v100, v101, -v102
	v_fmac_f32_e32 v101, v100, v99
	s_delay_alu instid0(VALU_DEP_1) | instskip(NEXT) | instid1(VALU_DEP_1)
	v_add_f32_e32 v99, v102, v101
	v_sub_f32_e32 v104, v98, v99
	s_delay_alu instid0(VALU_DEP_1) | instskip(NEXT) | instid1(VALU_DEP_1)
	v_sub_f32_e32 v98, v98, v104
	v_sub_f32_e32 v98, v98, v99
	s_delay_alu instid0(VALU_DEP_1) | instskip(SKIP_1) | instid1(VALU_DEP_1)
	v_dual_add_f32 v17, v17, v98 :: v_dual_add_f32 v98, v103, v100
	v_sub_f32_e32 v102, v99, v102
	v_sub_f32_e32 v99, v102, v101
	s_delay_alu instid0(VALU_DEP_1) | instskip(NEXT) | instid1(VALU_DEP_4)
	v_add_f32_e32 v17, v99, v17
	v_sub_f32_e32 v99, v98, v103
	s_delay_alu instid0(VALU_DEP_2) | instskip(NEXT) | instid1(VALU_DEP_2)
	v_add_f32_e32 v17, v104, v17
	v_sub_f32_e32 v99, v100, v99
	s_delay_alu instid0(VALU_DEP_2) | instskip(NEXT) | instid1(VALU_DEP_1)
	v_mul_f32_e32 v17, v97, v17
	v_add_f32_e32 v17, v99, v17
	s_delay_alu instid0(VALU_DEP_1) | instskip(NEXT) | instid1(VALU_DEP_1)
	v_add_f32_e32 v97, v98, v17
	v_mul_f32_e32 v99, v97, v97
	s_delay_alu instid0(VALU_DEP_1) | instskip(SKIP_1) | instid1(VALU_DEP_2)
	v_fmaak_f32 v100, s84, v99, 0x3ecc95a3
	v_mul_f32_e32 v101, v97, v99
	v_fmaak_f32 v99, v99, v100, 0x3f2aaada
	v_ldexp_f32 v100, v97, 1
	v_sub_f32_e32 v97, v97, v98
	s_delay_alu instid0(VALU_DEP_3) | instskip(SKIP_1) | instid1(VALU_DEP_2)
	v_mul_f32_e32 v99, v101, v99
	v_mul_f32_e32 v101, 0x3f317218, v96
	v_dual_sub_f32 v17, v17, v97 :: v_dual_add_f32 v98, v100, v99
	s_delay_alu instid0(VALU_DEP_1) | instskip(NEXT) | instid1(VALU_DEP_2)
	v_ldexp_f32 v17, v17, 1
	v_sub_f32_e32 v97, v98, v100
	s_delay_alu instid0(VALU_DEP_4) | instskip(NEXT) | instid1(VALU_DEP_1)
	v_fma_f32 v100, 0x3f317218, v96, -v101
	v_dual_sub_f32 v97, v99, v97 :: v_dual_fmac_f32 v100, 0xb102e308, v96
	s_delay_alu instid0(VALU_DEP_1) | instskip(NEXT) | instid1(VALU_DEP_1)
	v_add_f32_e32 v17, v17, v97
	v_dual_add_f32 v96, v101, v100 :: v_dual_add_f32 v97, v98, v17
	s_delay_alu instid0(VALU_DEP_1) | instskip(NEXT) | instid1(VALU_DEP_2)
	v_sub_f32_e32 v101, v96, v101
	v_dual_add_f32 v99, v96, v97 :: v_dual_sub_f32 v98, v97, v98
	s_delay_alu instid0(VALU_DEP_2) | instskip(NEXT) | instid1(VALU_DEP_2)
	v_sub_f32_e32 v100, v100, v101
	v_dual_sub_f32 v102, v99, v96 :: v_dual_sub_f32 v17, v17, v98
	s_delay_alu instid0(VALU_DEP_1) | instskip(NEXT) | instid1(VALU_DEP_2)
	v_sub_f32_e32 v103, v99, v102
	v_dual_sub_f32 v97, v97, v102 :: v_dual_add_f32 v98, v100, v17
	s_delay_alu instid0(VALU_DEP_2) | instskip(NEXT) | instid1(VALU_DEP_1)
	v_sub_f32_e32 v96, v96, v103
	v_add_f32_e32 v96, v97, v96
	s_delay_alu instid0(VALU_DEP_3) | instskip(NEXT) | instid1(VALU_DEP_2)
	v_sub_f32_e32 v97, v98, v100
	v_add_f32_e32 v96, v98, v96
	s_delay_alu instid0(VALU_DEP_2) | instskip(SKIP_1) | instid1(VALU_DEP_2)
	v_sub_f32_e32 v98, v98, v97
	v_sub_f32_e32 v17, v17, v97
	v_dual_add_f32 v101, v99, v96 :: v_dual_sub_f32 v98, v100, v98
	s_delay_alu instid0(VALU_DEP_1) | instskip(NEXT) | instid1(VALU_DEP_1)
	v_sub_f32_e32 v97, v101, v99
	v_dual_add_f32 v17, v17, v98 :: v_dual_sub_f32 v96, v96, v97
	s_delay_alu instid0(VALU_DEP_1) | instskip(NEXT) | instid1(VALU_DEP_1)
	v_add_f32_e32 v17, v17, v96
	v_add_f32_e32 v17, v101, v17
	s_delay_alu instid0(VALU_DEP_1)
	v_cndmask_b32_e32 v96, v17, v12, vcc_lo
.LBB125_80:                             ;   in Loop: Header=BB125_12 Depth=1
	s_or_b32 exec_lo, exec_lo, s30
	v_lshrrev_b32_e32 v12, 16, v13
	s_delay_alu instid0(VALU_DEP_1) | instskip(NEXT) | instid1(VALU_DEP_1)
	v_cvt_f32_f16_e32 v12, v12
	v_add_f32_e32 v97, s69, v12
	s_delay_alu instid0(VALU_DEP_1) | instskip(SKIP_1) | instid1(SALU_CYCLE_1)
	v_cmp_ge_f32_e32 vcc_lo, 0x41a00000, v97
	s_and_b32 s29, s80, vcc_lo
	s_and_saveexec_b32 s30, s29
	s_cbranch_execz .LBB125_82
; %bb.81:                               ;   in Loop: Header=BB125_12 Depth=1
	v_mul_f32_e32 v12, 0x3fb8aa3b, v97
	v_cmp_ngt_f32_e32 vcc_lo, 0xc2ce8ed0, v97
	s_delay_alu instid0(VALU_DEP_2) | instskip(SKIP_1) | instid1(VALU_DEP_2)
	v_rndne_f32_e32 v13, v12
	v_fma_f32 v17, 0x3fb8aa3b, v97, -v12
	v_sub_f32_e32 v12, v12, v13
	s_delay_alu instid0(VALU_DEP_2) | instskip(SKIP_1) | instid1(VALU_DEP_2)
	v_fmac_f32_e32 v17, 0x32a5705f, v97
	v_cvt_i32_f32_e32 v13, v13
	v_add_f32_e32 v12, v12, v17
	s_delay_alu instid0(VALU_DEP_1) | instskip(SKIP_2) | instid1(VALU_DEP_1)
	v_exp_f32_e32 v12, v12
	s_waitcnt_depctr 0xfff
	v_ldexp_f32 v12, v12, v13
	v_cndmask_b32_e32 v12, 0, v12, vcc_lo
	v_cmp_nlt_f32_e32 vcc_lo, 0x42b17218, v97
	s_delay_alu instid0(VALU_DEP_2) | instskip(NEXT) | instid1(VALU_DEP_1)
	v_cndmask_b32_e32 v17, 0x7f800000, v12, vcc_lo
	v_add_f32_e32 v97, 1.0, v17
	s_delay_alu instid0(VALU_DEP_1) | instskip(NEXT) | instid1(VALU_DEP_1)
	v_cvt_f64_f32_e32 v[12:13], v97
	v_frexp_exp_i32_f64_e32 v12, v[12:13]
	v_frexp_mant_f32_e32 v13, v97
	s_delay_alu instid0(VALU_DEP_1) | instskip(SKIP_1) | instid1(VALU_DEP_1)
	v_cmp_gt_f32_e32 vcc_lo, 0x3f2aaaab, v13
	v_add_f32_e32 v13, -1.0, v97
	v_sub_f32_e32 v99, v13, v97
	s_delay_alu instid0(VALU_DEP_1) | instskip(SKIP_1) | instid1(VALU_DEP_1)
	v_add_f32_e32 v99, 1.0, v99
	v_subrev_co_ci_u32_e32 v12, vcc_lo, 0, v12, vcc_lo
	v_sub_nc_u32_e32 v98, 0, v12
	v_cvt_f32_i32_e32 v12, v12
	s_delay_alu instid0(VALU_DEP_2) | instskip(NEXT) | instid1(VALU_DEP_1)
	v_ldexp_f32 v97, v97, v98
	v_add_f32_e32 v100, 1.0, v97
	v_sub_f32_e32 v13, v17, v13
	v_cmp_eq_f32_e32 vcc_lo, 0x7f800000, v17
	v_cmp_gt_f32_e64 s29, 0x33800000, v17
	s_delay_alu instid0(VALU_DEP_3) | instskip(SKIP_1) | instid1(VALU_DEP_3)
	v_add_f32_e32 v13, v13, v99
	v_add_f32_e32 v99, -1.0, v100
	s_or_b32 vcc_lo, s29, vcc_lo
	s_delay_alu instid0(VALU_DEP_2) | instskip(NEXT) | instid1(VALU_DEP_2)
	v_ldexp_f32 v13, v13, v98
	v_dual_add_f32 v98, -1.0, v97 :: v_dual_sub_f32 v99, v97, v99
	s_delay_alu instid0(VALU_DEP_1) | instskip(NEXT) | instid1(VALU_DEP_2)
	v_add_f32_e32 v101, 1.0, v98
	v_add_f32_e32 v99, v13, v99
	s_delay_alu instid0(VALU_DEP_2) | instskip(NEXT) | instid1(VALU_DEP_1)
	v_sub_f32_e32 v97, v97, v101
	v_add_f32_e32 v13, v13, v97
	s_delay_alu instid0(VALU_DEP_1) | instskip(NEXT) | instid1(VALU_DEP_1)
	v_dual_add_f32 v102, v98, v13 :: v_dual_add_f32 v101, v100, v99
	v_sub_f32_e32 v98, v98, v102
	s_delay_alu instid0(VALU_DEP_2) | instskip(NEXT) | instid1(VALU_DEP_1)
	v_rcp_f32_e32 v97, v101
	v_dual_sub_f32 v100, v100, v101 :: v_dual_add_f32 v13, v13, v98
	s_delay_alu instid0(VALU_DEP_1) | instskip(SKIP_2) | instid1(VALU_DEP_1)
	v_add_f32_e32 v99, v99, v100
	s_waitcnt_depctr 0xfff
	v_mul_f32_e32 v103, v102, v97
	v_mul_f32_e32 v104, v101, v103
	s_delay_alu instid0(VALU_DEP_1) | instskip(NEXT) | instid1(VALU_DEP_1)
	v_fma_f32 v100, v103, v101, -v104
	v_fmac_f32_e32 v100, v103, v99
	s_delay_alu instid0(VALU_DEP_1) | instskip(NEXT) | instid1(VALU_DEP_1)
	v_add_f32_e32 v105, v104, v100
	v_sub_f32_e32 v106, v102, v105
	v_sub_f32_e32 v98, v105, v104
	s_delay_alu instid0(VALU_DEP_2) | instskip(NEXT) | instid1(VALU_DEP_2)
	v_sub_f32_e32 v102, v102, v106
	v_sub_f32_e32 v98, v98, v100
	s_delay_alu instid0(VALU_DEP_2) | instskip(NEXT) | instid1(VALU_DEP_1)
	v_sub_f32_e32 v102, v102, v105
	v_add_f32_e32 v13, v13, v102
	s_delay_alu instid0(VALU_DEP_1) | instskip(NEXT) | instid1(VALU_DEP_1)
	v_add_f32_e32 v13, v98, v13
	v_add_f32_e32 v98, v106, v13
	s_delay_alu instid0(VALU_DEP_1) | instskip(NEXT) | instid1(VALU_DEP_1)
	v_mul_f32_e32 v100, v97, v98
	v_dual_sub_f32 v105, v106, v98 :: v_dual_mul_f32 v102, v101, v100
	s_delay_alu instid0(VALU_DEP_1) | instskip(NEXT) | instid1(VALU_DEP_1)
	v_fma_f32 v101, v100, v101, -v102
	v_fmac_f32_e32 v101, v100, v99
	s_delay_alu instid0(VALU_DEP_1) | instskip(NEXT) | instid1(VALU_DEP_1)
	v_add_f32_e32 v99, v102, v101
	v_dual_add_f32 v13, v13, v105 :: v_dual_sub_f32 v104, v98, v99
	s_delay_alu instid0(VALU_DEP_1) | instskip(NEXT) | instid1(VALU_DEP_1)
	v_sub_f32_e32 v98, v98, v104
	v_sub_f32_e32 v98, v98, v99
	s_delay_alu instid0(VALU_DEP_1) | instskip(SKIP_1) | instid1(VALU_DEP_1)
	v_dual_add_f32 v13, v13, v98 :: v_dual_add_f32 v98, v103, v100
	v_sub_f32_e32 v102, v99, v102
	v_sub_f32_e32 v99, v102, v101
	s_delay_alu instid0(VALU_DEP_1) | instskip(NEXT) | instid1(VALU_DEP_4)
	v_add_f32_e32 v13, v99, v13
	v_sub_f32_e32 v99, v98, v103
	s_delay_alu instid0(VALU_DEP_2) | instskip(NEXT) | instid1(VALU_DEP_2)
	v_add_f32_e32 v13, v104, v13
	v_sub_f32_e32 v99, v100, v99
	s_delay_alu instid0(VALU_DEP_2) | instskip(NEXT) | instid1(VALU_DEP_1)
	v_mul_f32_e32 v13, v97, v13
	v_add_f32_e32 v13, v99, v13
	s_delay_alu instid0(VALU_DEP_1) | instskip(NEXT) | instid1(VALU_DEP_1)
	v_add_f32_e32 v97, v98, v13
	v_mul_f32_e32 v99, v97, v97
	s_delay_alu instid0(VALU_DEP_1) | instskip(SKIP_1) | instid1(VALU_DEP_2)
	v_fmaak_f32 v100, s84, v99, 0x3ecc95a3
	v_mul_f32_e32 v101, v97, v99
	v_fmaak_f32 v99, v99, v100, 0x3f2aaada
	v_ldexp_f32 v100, v97, 1
	v_sub_f32_e32 v97, v97, v98
	s_delay_alu instid0(VALU_DEP_3) | instskip(SKIP_1) | instid1(VALU_DEP_2)
	v_mul_f32_e32 v99, v101, v99
	v_mul_f32_e32 v101, 0x3f317218, v12
	v_dual_sub_f32 v13, v13, v97 :: v_dual_add_f32 v98, v100, v99
	s_delay_alu instid0(VALU_DEP_1) | instskip(NEXT) | instid1(VALU_DEP_2)
	v_ldexp_f32 v13, v13, 1
	v_sub_f32_e32 v97, v98, v100
	s_delay_alu instid0(VALU_DEP_4) | instskip(NEXT) | instid1(VALU_DEP_1)
	v_fma_f32 v100, 0x3f317218, v12, -v101
	v_dual_sub_f32 v97, v99, v97 :: v_dual_fmac_f32 v100, 0xb102e308, v12
	s_delay_alu instid0(VALU_DEP_1) | instskip(NEXT) | instid1(VALU_DEP_2)
	v_add_f32_e32 v12, v13, v97
	v_add_f32_e32 v13, v101, v100
	s_delay_alu instid0(VALU_DEP_2) | instskip(NEXT) | instid1(VALU_DEP_2)
	v_add_f32_e32 v97, v98, v12
	v_sub_f32_e32 v101, v13, v101
	s_delay_alu instid0(VALU_DEP_2) | instskip(SKIP_1) | instid1(VALU_DEP_3)
	v_add_f32_e32 v99, v13, v97
	v_sub_f32_e32 v98, v97, v98
	v_sub_f32_e32 v100, v100, v101
	s_delay_alu instid0(VALU_DEP_3) | instskip(NEXT) | instid1(VALU_DEP_3)
	v_sub_f32_e32 v102, v99, v13
	v_sub_f32_e32 v12, v12, v98
	s_delay_alu instid0(VALU_DEP_2) | instskip(NEXT) | instid1(VALU_DEP_2)
	v_sub_f32_e32 v103, v99, v102
	v_dual_sub_f32 v97, v97, v102 :: v_dual_add_f32 v98, v100, v12
	s_delay_alu instid0(VALU_DEP_2) | instskip(NEXT) | instid1(VALU_DEP_1)
	v_sub_f32_e32 v13, v13, v103
	v_add_f32_e32 v13, v97, v13
	s_delay_alu instid0(VALU_DEP_3) | instskip(NEXT) | instid1(VALU_DEP_2)
	v_sub_f32_e32 v97, v98, v100
	v_add_f32_e32 v13, v98, v13
	s_delay_alu instid0(VALU_DEP_2) | instskip(SKIP_1) | instid1(VALU_DEP_1)
	v_sub_f32_e32 v12, v12, v97
	v_sub_f32_e32 v98, v98, v97
	v_dual_add_f32 v101, v99, v13 :: v_dual_sub_f32 v98, v100, v98
	s_delay_alu instid0(VALU_DEP_1) | instskip(NEXT) | instid1(VALU_DEP_1)
	v_dual_sub_f32 v97, v101, v99 :: v_dual_add_f32 v12, v12, v98
	v_sub_f32_e32 v13, v13, v97
	s_delay_alu instid0(VALU_DEP_1) | instskip(NEXT) | instid1(VALU_DEP_1)
	v_add_f32_e32 v12, v12, v13
	v_add_f32_e32 v12, v101, v12
	s_delay_alu instid0(VALU_DEP_1)
	v_cndmask_b32_e32 v97, v12, v17, vcc_lo
.LBB125_82:                             ;   in Loop: Header=BB125_12 Depth=1
	s_or_b32 exec_lo, exec_lo, s30
	v_cvt_f32_f16_e32 v12, v14
	s_delay_alu instid0(VALU_DEP_1) | instskip(NEXT) | instid1(VALU_DEP_1)
	v_add_f32_e32 v98, s69, v12
	v_cmp_ge_f32_e32 vcc_lo, 0x41a00000, v98
	s_and_b32 s29, s80, vcc_lo
	s_delay_alu instid0(SALU_CYCLE_1)
	s_and_saveexec_b32 s30, s29
	s_cbranch_execz .LBB125_84
; %bb.83:                               ;   in Loop: Header=BB125_12 Depth=1
	v_mul_f32_e32 v12, 0x3fb8aa3b, v98
	v_cmp_ngt_f32_e32 vcc_lo, 0xc2ce8ed0, v98
	s_delay_alu instid0(VALU_DEP_2) | instskip(SKIP_1) | instid1(VALU_DEP_1)
	v_rndne_f32_e32 v13, v12
	v_fma_f32 v17, 0x3fb8aa3b, v98, -v12
	v_dual_sub_f32 v12, v12, v13 :: v_dual_fmac_f32 v17, 0x32a5705f, v98
	v_cvt_i32_f32_e32 v13, v13
	s_delay_alu instid0(VALU_DEP_2) | instskip(NEXT) | instid1(VALU_DEP_1)
	v_add_f32_e32 v12, v12, v17
	v_exp_f32_e32 v12, v12
	s_waitcnt_depctr 0xfff
	v_ldexp_f32 v12, v12, v13
	s_delay_alu instid0(VALU_DEP_1) | instskip(SKIP_1) | instid1(VALU_DEP_2)
	v_cndmask_b32_e32 v12, 0, v12, vcc_lo
	v_cmp_nlt_f32_e32 vcc_lo, 0x42b17218, v98
	v_cndmask_b32_e32 v17, 0x7f800000, v12, vcc_lo
	s_delay_alu instid0(VALU_DEP_1) | instskip(NEXT) | instid1(VALU_DEP_1)
	v_add_f32_e32 v98, 1.0, v17
	v_cvt_f64_f32_e32 v[12:13], v98
	s_delay_alu instid0(VALU_DEP_1) | instskip(SKIP_1) | instid1(VALU_DEP_1)
	v_frexp_exp_i32_f64_e32 v12, v[12:13]
	v_frexp_mant_f32_e32 v13, v98
	v_cmp_gt_f32_e32 vcc_lo, 0x3f2aaaab, v13
	v_add_f32_e32 v13, -1.0, v98
	s_delay_alu instid0(VALU_DEP_1) | instskip(SKIP_2) | instid1(VALU_DEP_3)
	v_sub_f32_e32 v100, v13, v98
	v_sub_f32_e32 v13, v17, v13
	v_cmp_gt_f32_e64 s29, 0x33800000, v17
	v_add_f32_e32 v100, 1.0, v100
	s_delay_alu instid0(VALU_DEP_1) | instskip(SKIP_2) | instid1(VALU_DEP_2)
	v_add_f32_e32 v13, v13, v100
	v_subrev_co_ci_u32_e32 v12, vcc_lo, 0, v12, vcc_lo
	v_cmp_eq_f32_e32 vcc_lo, 0x7f800000, v17
	v_sub_nc_u32_e32 v99, 0, v12
	v_cvt_f32_i32_e32 v12, v12
	s_or_b32 vcc_lo, s29, vcc_lo
	s_delay_alu instid0(VALU_DEP_2) | instskip(SKIP_1) | instid1(VALU_DEP_2)
	v_ldexp_f32 v98, v98, v99
	v_ldexp_f32 v13, v13, v99
	v_add_f32_e32 v99, -1.0, v98
	s_delay_alu instid0(VALU_DEP_1) | instskip(NEXT) | instid1(VALU_DEP_1)
	v_dual_add_f32 v101, 1.0, v98 :: v_dual_add_f32 v102, 1.0, v99
	v_add_f32_e32 v100, -1.0, v101
	s_delay_alu instid0(VALU_DEP_1) | instskip(NEXT) | instid1(VALU_DEP_3)
	v_sub_f32_e32 v100, v98, v100
	v_sub_f32_e32 v98, v98, v102
	s_delay_alu instid0(VALU_DEP_2) | instskip(NEXT) | instid1(VALU_DEP_2)
	v_add_f32_e32 v100, v13, v100
	v_add_f32_e32 v13, v13, v98
	s_delay_alu instid0(VALU_DEP_1) | instskip(NEXT) | instid1(VALU_DEP_1)
	v_dual_add_f32 v103, v99, v13 :: v_dual_add_f32 v102, v101, v100
	v_sub_f32_e32 v99, v99, v103
	s_delay_alu instid0(VALU_DEP_2) | instskip(SKIP_1) | instid1(VALU_DEP_1)
	v_rcp_f32_e32 v98, v102
	v_sub_f32_e32 v101, v101, v102
	v_dual_add_f32 v13, v13, v99 :: v_dual_add_f32 v100, v100, v101
	s_waitcnt_depctr 0xfff
	v_mul_f32_e32 v104, v103, v98
	s_delay_alu instid0(VALU_DEP_1) | instskip(NEXT) | instid1(VALU_DEP_1)
	v_mul_f32_e32 v105, v102, v104
	v_fma_f32 v101, v104, v102, -v105
	s_delay_alu instid0(VALU_DEP_1) | instskip(NEXT) | instid1(VALU_DEP_1)
	v_fmac_f32_e32 v101, v104, v100
	v_add_f32_e32 v106, v105, v101
	s_delay_alu instid0(VALU_DEP_1) | instskip(SKIP_1) | instid1(VALU_DEP_2)
	v_sub_f32_e32 v107, v103, v106
	v_sub_f32_e32 v99, v106, v105
	;; [unrolled: 1-line block ×3, first 2 shown]
	s_delay_alu instid0(VALU_DEP_2) | instskip(NEXT) | instid1(VALU_DEP_2)
	v_sub_f32_e32 v99, v99, v101
	v_sub_f32_e32 v103, v103, v106
	s_delay_alu instid0(VALU_DEP_1) | instskip(NEXT) | instid1(VALU_DEP_1)
	v_add_f32_e32 v13, v13, v103
	v_add_f32_e32 v13, v99, v13
	s_delay_alu instid0(VALU_DEP_1) | instskip(NEXT) | instid1(VALU_DEP_1)
	v_add_f32_e32 v99, v107, v13
	v_mul_f32_e32 v101, v98, v99
	s_delay_alu instid0(VALU_DEP_1) | instskip(NEXT) | instid1(VALU_DEP_1)
	v_dual_sub_f32 v106, v107, v99 :: v_dual_mul_f32 v103, v102, v101
	v_add_f32_e32 v13, v13, v106
	s_delay_alu instid0(VALU_DEP_2) | instskip(NEXT) | instid1(VALU_DEP_1)
	v_fma_f32 v102, v101, v102, -v103
	v_fmac_f32_e32 v102, v101, v100
	s_delay_alu instid0(VALU_DEP_1) | instskip(NEXT) | instid1(VALU_DEP_1)
	v_add_f32_e32 v100, v103, v102
	v_sub_f32_e32 v105, v99, v100
	s_delay_alu instid0(VALU_DEP_1) | instskip(NEXT) | instid1(VALU_DEP_1)
	v_sub_f32_e32 v99, v99, v105
	v_sub_f32_e32 v99, v99, v100
	s_delay_alu instid0(VALU_DEP_1) | instskip(SKIP_2) | instid1(VALU_DEP_1)
	v_add_f32_e32 v13, v13, v99
	v_add_f32_e32 v99, v104, v101
	v_sub_f32_e32 v103, v100, v103
	v_sub_f32_e32 v100, v103, v102
	s_delay_alu instid0(VALU_DEP_1) | instskip(NEXT) | instid1(VALU_DEP_1)
	v_dual_add_f32 v13, v100, v13 :: v_dual_sub_f32 v100, v99, v104
	v_add_f32_e32 v13, v105, v13
	s_delay_alu instid0(VALU_DEP_1) | instskip(NEXT) | instid1(VALU_DEP_1)
	v_dual_sub_f32 v100, v101, v100 :: v_dual_mul_f32 v13, v98, v13
	v_add_f32_e32 v13, v100, v13
	s_delay_alu instid0(VALU_DEP_1) | instskip(NEXT) | instid1(VALU_DEP_1)
	v_add_f32_e32 v98, v99, v13
	v_mul_f32_e32 v100, v98, v98
	s_delay_alu instid0(VALU_DEP_1) | instskip(SKIP_1) | instid1(VALU_DEP_2)
	v_fmaak_f32 v101, s84, v100, 0x3ecc95a3
	v_mul_f32_e32 v102, v98, v100
	v_fmaak_f32 v100, v100, v101, 0x3f2aaada
	v_ldexp_f32 v101, v98, 1
	v_sub_f32_e32 v98, v98, v99
	s_delay_alu instid0(VALU_DEP_3) | instskip(NEXT) | instid1(VALU_DEP_2)
	v_mul_f32_e32 v100, v102, v100
	v_dual_mul_f32 v102, 0x3f317218, v12 :: v_dual_sub_f32 v13, v13, v98
	s_delay_alu instid0(VALU_DEP_2) | instskip(NEXT) | instid1(VALU_DEP_2)
	v_add_f32_e32 v99, v101, v100
	v_ldexp_f32 v13, v13, 1
	s_delay_alu instid0(VALU_DEP_2) | instskip(NEXT) | instid1(VALU_DEP_4)
	v_sub_f32_e32 v98, v99, v101
	v_fma_f32 v101, 0x3f317218, v12, -v102
	s_delay_alu instid0(VALU_DEP_1) | instskip(NEXT) | instid1(VALU_DEP_1)
	v_dual_sub_f32 v98, v100, v98 :: v_dual_fmac_f32 v101, 0xb102e308, v12
	v_add_f32_e32 v12, v13, v98
	s_delay_alu instid0(VALU_DEP_1) | instskip(NEXT) | instid1(VALU_DEP_1)
	v_add_f32_e32 v98, v99, v12
	v_sub_f32_e32 v99, v98, v99
	s_delay_alu instid0(VALU_DEP_1) | instskip(NEXT) | instid1(VALU_DEP_1)
	v_dual_sub_f32 v12, v12, v99 :: v_dual_add_f32 v13, v102, v101
	v_add_f32_e32 v100, v13, v98
	s_delay_alu instid0(VALU_DEP_1) | instskip(NEXT) | instid1(VALU_DEP_1)
	v_dual_sub_f32 v102, v13, v102 :: v_dual_sub_f32 v103, v100, v13
	v_dual_sub_f32 v101, v101, v102 :: v_dual_sub_f32 v104, v100, v103
	s_delay_alu instid0(VALU_DEP_1) | instskip(NEXT) | instid1(VALU_DEP_2)
	v_dual_sub_f32 v98, v98, v103 :: v_dual_add_f32 v99, v101, v12
	v_sub_f32_e32 v13, v13, v104
	s_delay_alu instid0(VALU_DEP_1) | instskip(NEXT) | instid1(VALU_DEP_3)
	v_add_f32_e32 v13, v98, v13
	v_sub_f32_e32 v98, v99, v101
	s_delay_alu instid0(VALU_DEP_2) | instskip(NEXT) | instid1(VALU_DEP_2)
	v_add_f32_e32 v13, v99, v13
	v_sub_f32_e32 v99, v99, v98
	v_sub_f32_e32 v12, v12, v98
	s_delay_alu instid0(VALU_DEP_2) | instskip(NEXT) | instid1(VALU_DEP_1)
	v_dual_add_f32 v102, v100, v13 :: v_dual_sub_f32 v99, v101, v99
	v_sub_f32_e32 v98, v102, v100
	s_delay_alu instid0(VALU_DEP_1) | instskip(NEXT) | instid1(VALU_DEP_1)
	v_dual_add_f32 v12, v12, v99 :: v_dual_sub_f32 v13, v13, v98
	v_add_f32_e32 v12, v12, v13
	s_delay_alu instid0(VALU_DEP_1) | instskip(NEXT) | instid1(VALU_DEP_1)
	v_add_f32_e32 v12, v102, v12
	v_cndmask_b32_e32 v98, v12, v17, vcc_lo
.LBB125_84:                             ;   in Loop: Header=BB125_12 Depth=1
	s_or_b32 exec_lo, exec_lo, s30
	v_lshrrev_b32_e32 v12, 16, v14
	s_delay_alu instid0(VALU_DEP_1) | instskip(NEXT) | instid1(VALU_DEP_1)
	v_cvt_f32_f16_e32 v12, v12
	v_add_f32_e32 v99, s69, v12
	s_delay_alu instid0(VALU_DEP_1) | instskip(SKIP_1) | instid1(SALU_CYCLE_1)
	v_cmp_ge_f32_e32 vcc_lo, 0x41a00000, v99
	s_and_b32 s29, s80, vcc_lo
	s_and_saveexec_b32 s30, s29
	s_cbranch_execz .LBB125_86
; %bb.85:                               ;   in Loop: Header=BB125_12 Depth=1
	v_mul_f32_e32 v12, 0x3fb8aa3b, v99
	v_cmp_ngt_f32_e32 vcc_lo, 0xc2ce8ed0, v99
	s_delay_alu instid0(VALU_DEP_2) | instskip(SKIP_1) | instid1(VALU_DEP_2)
	v_rndne_f32_e32 v13, v12
	v_fma_f32 v14, 0x3fb8aa3b, v99, -v12
	v_sub_f32_e32 v12, v12, v13
	s_delay_alu instid0(VALU_DEP_2) | instskip(SKIP_1) | instid1(VALU_DEP_2)
	v_fmac_f32_e32 v14, 0x32a5705f, v99
	v_cvt_i32_f32_e32 v13, v13
	v_add_f32_e32 v12, v12, v14
	s_delay_alu instid0(VALU_DEP_1) | instskip(SKIP_2) | instid1(VALU_DEP_1)
	v_exp_f32_e32 v12, v12
	s_waitcnt_depctr 0xfff
	v_ldexp_f32 v12, v12, v13
	v_cndmask_b32_e32 v12, 0, v12, vcc_lo
	v_cmp_nlt_f32_e32 vcc_lo, 0x42b17218, v99
	s_delay_alu instid0(VALU_DEP_2) | instskip(NEXT) | instid1(VALU_DEP_1)
	v_cndmask_b32_e32 v14, 0x7f800000, v12, vcc_lo
	v_add_f32_e32 v17, 1.0, v14
	s_delay_alu instid0(VALU_DEP_1) | instskip(NEXT) | instid1(VALU_DEP_1)
	v_cvt_f64_f32_e32 v[12:13], v17
	v_frexp_exp_i32_f64_e32 v12, v[12:13]
	v_frexp_mant_f32_e32 v13, v17
	s_delay_alu instid0(VALU_DEP_1) | instskip(SKIP_1) | instid1(VALU_DEP_1)
	v_cmp_gt_f32_e32 vcc_lo, 0x3f2aaaab, v13
	v_add_f32_e32 v13, -1.0, v17
	v_sub_f32_e32 v100, v13, v17
	v_sub_f32_e32 v13, v14, v13
	v_subrev_co_ci_u32_e32 v12, vcc_lo, 0, v12, vcc_lo
	s_delay_alu instid0(VALU_DEP_1) | instskip(SKIP_1) | instid1(VALU_DEP_2)
	v_sub_nc_u32_e32 v99, 0, v12
	v_cvt_f32_i32_e32 v12, v12
	v_ldexp_f32 v17, v17, v99
	s_delay_alu instid0(VALU_DEP_1) | instskip(NEXT) | instid1(VALU_DEP_1)
	v_dual_add_f32 v100, 1.0, v100 :: v_dual_add_f32 v101, 1.0, v17
	v_dual_add_f32 v13, v13, v100 :: v_dual_add_f32 v100, -1.0, v101
	s_delay_alu instid0(VALU_DEP_1) | instskip(SKIP_4) | instid1(VALU_DEP_4)
	v_ldexp_f32 v13, v13, v99
	v_add_f32_e32 v99, -1.0, v17
	v_cmp_eq_f32_e32 vcc_lo, 0x7f800000, v14
	v_cmp_gt_f32_e64 s29, 0x33800000, v14
	v_sub_f32_e32 v100, v17, v100
	v_add_f32_e32 v102, 1.0, v99
	s_delay_alu instid0(VALU_DEP_3) | instskip(NEXT) | instid1(VALU_DEP_2)
	s_or_b32 vcc_lo, s29, vcc_lo
	v_add_f32_e32 v100, v13, v100
	s_delay_alu instid0(VALU_DEP_2) | instskip(NEXT) | instid1(VALU_DEP_1)
	v_sub_f32_e32 v17, v17, v102
	v_add_f32_e32 v13, v13, v17
	s_delay_alu instid0(VALU_DEP_1) | instskip(NEXT) | instid1(VALU_DEP_1)
	v_dual_add_f32 v103, v99, v13 :: v_dual_add_f32 v102, v101, v100
	v_sub_f32_e32 v99, v99, v103
	s_delay_alu instid0(VALU_DEP_2) | instskip(SKIP_1) | instid1(VALU_DEP_1)
	v_rcp_f32_e32 v17, v102
	v_sub_f32_e32 v101, v101, v102
	v_dual_add_f32 v13, v13, v99 :: v_dual_add_f32 v100, v100, v101
	s_waitcnt_depctr 0xfff
	v_mul_f32_e32 v104, v103, v17
	s_delay_alu instid0(VALU_DEP_1) | instskip(NEXT) | instid1(VALU_DEP_1)
	v_mul_f32_e32 v105, v102, v104
	v_fma_f32 v101, v104, v102, -v105
	s_delay_alu instid0(VALU_DEP_1) | instskip(NEXT) | instid1(VALU_DEP_1)
	v_fmac_f32_e32 v101, v104, v100
	v_add_f32_e32 v106, v105, v101
	s_delay_alu instid0(VALU_DEP_1) | instskip(NEXT) | instid1(VALU_DEP_1)
	v_sub_f32_e32 v107, v103, v106
	v_sub_f32_e32 v103, v103, v107
	;; [unrolled: 1-line block ×3, first 2 shown]
	s_delay_alu instid0(VALU_DEP_2) | instskip(NEXT) | instid1(VALU_DEP_2)
	v_sub_f32_e32 v103, v103, v106
	v_sub_f32_e32 v99, v99, v101
	s_delay_alu instid0(VALU_DEP_2) | instskip(NEXT) | instid1(VALU_DEP_1)
	v_add_f32_e32 v13, v13, v103
	v_add_f32_e32 v13, v99, v13
	s_delay_alu instid0(VALU_DEP_1) | instskip(NEXT) | instid1(VALU_DEP_1)
	v_add_f32_e32 v99, v107, v13
	v_mul_f32_e32 v101, v17, v99
	s_delay_alu instid0(VALU_DEP_1) | instskip(NEXT) | instid1(VALU_DEP_1)
	v_dual_sub_f32 v106, v107, v99 :: v_dual_mul_f32 v103, v102, v101
	v_add_f32_e32 v13, v13, v106
	s_delay_alu instid0(VALU_DEP_2) | instskip(NEXT) | instid1(VALU_DEP_1)
	v_fma_f32 v102, v101, v102, -v103
	v_fmac_f32_e32 v102, v101, v100
	s_delay_alu instid0(VALU_DEP_1) | instskip(NEXT) | instid1(VALU_DEP_1)
	v_add_f32_e32 v100, v103, v102
	v_sub_f32_e32 v105, v99, v100
	v_sub_f32_e32 v103, v100, v103
	s_delay_alu instid0(VALU_DEP_2) | instskip(NEXT) | instid1(VALU_DEP_1)
	v_sub_f32_e32 v99, v99, v105
	v_sub_f32_e32 v99, v99, v100
	s_delay_alu instid0(VALU_DEP_1) | instskip(SKIP_1) | instid1(VALU_DEP_1)
	v_dual_sub_f32 v100, v103, v102 :: v_dual_add_f32 v13, v13, v99
	v_add_f32_e32 v99, v104, v101
	v_dual_add_f32 v13, v100, v13 :: v_dual_sub_f32 v100, v99, v104
	s_delay_alu instid0(VALU_DEP_1) | instskip(NEXT) | instid1(VALU_DEP_2)
	v_add_f32_e32 v13, v105, v13
	v_sub_f32_e32 v100, v101, v100
	s_delay_alu instid0(VALU_DEP_2) | instskip(NEXT) | instid1(VALU_DEP_1)
	v_mul_f32_e32 v13, v17, v13
	v_add_f32_e32 v13, v100, v13
	s_delay_alu instid0(VALU_DEP_1) | instskip(NEXT) | instid1(VALU_DEP_1)
	v_add_f32_e32 v17, v99, v13
	v_mul_f32_e32 v100, v17, v17
	s_delay_alu instid0(VALU_DEP_1) | instskip(SKIP_1) | instid1(VALU_DEP_2)
	v_fmaak_f32 v101, s84, v100, 0x3ecc95a3
	v_mul_f32_e32 v102, v17, v100
	v_fmaak_f32 v100, v100, v101, 0x3f2aaada
	v_ldexp_f32 v101, v17, 1
	s_delay_alu instid0(VALU_DEP_2) | instskip(NEXT) | instid1(VALU_DEP_1)
	v_dual_sub_f32 v17, v17, v99 :: v_dual_mul_f32 v100, v102, v100
	v_dual_mul_f32 v102, 0x3f317218, v12 :: v_dual_sub_f32 v13, v13, v17
	s_delay_alu instid0(VALU_DEP_2) | instskip(NEXT) | instid1(VALU_DEP_2)
	v_add_f32_e32 v99, v101, v100
	v_ldexp_f32 v13, v13, 1
	s_delay_alu instid0(VALU_DEP_2) | instskip(NEXT) | instid1(VALU_DEP_4)
	v_sub_f32_e32 v17, v99, v101
	v_fma_f32 v101, 0x3f317218, v12, -v102
	s_delay_alu instid0(VALU_DEP_2) | instskip(NEXT) | instid1(VALU_DEP_1)
	v_sub_f32_e32 v17, v100, v17
	v_dual_fmac_f32 v101, 0xb102e308, v12 :: v_dual_add_f32 v12, v13, v17
	s_delay_alu instid0(VALU_DEP_1) | instskip(NEXT) | instid1(VALU_DEP_1)
	v_add_f32_e32 v13, v102, v101
	v_dual_add_f32 v17, v99, v12 :: v_dual_sub_f32 v102, v13, v102
	s_delay_alu instid0(VALU_DEP_1) | instskip(SKIP_1) | instid1(VALU_DEP_3)
	v_add_f32_e32 v100, v13, v17
	v_sub_f32_e32 v99, v17, v99
	v_sub_f32_e32 v101, v101, v102
	s_delay_alu instid0(VALU_DEP_3) | instskip(NEXT) | instid1(VALU_DEP_3)
	v_sub_f32_e32 v103, v100, v13
	v_sub_f32_e32 v12, v12, v99
	s_delay_alu instid0(VALU_DEP_2) | instskip(SKIP_1) | instid1(VALU_DEP_3)
	v_sub_f32_e32 v104, v100, v103
	v_sub_f32_e32 v17, v17, v103
	v_add_f32_e32 v99, v101, v12
	s_delay_alu instid0(VALU_DEP_3) | instskip(NEXT) | instid1(VALU_DEP_1)
	v_sub_f32_e32 v13, v13, v104
	v_add_f32_e32 v13, v17, v13
	s_delay_alu instid0(VALU_DEP_3) | instskip(NEXT) | instid1(VALU_DEP_2)
	v_sub_f32_e32 v17, v99, v101
	v_add_f32_e32 v13, v99, v13
	s_delay_alu instid0(VALU_DEP_2) | instskip(SKIP_1) | instid1(VALU_DEP_2)
	v_sub_f32_e32 v99, v99, v17
	v_sub_f32_e32 v12, v12, v17
	v_dual_add_f32 v102, v100, v13 :: v_dual_sub_f32 v99, v101, v99
	s_delay_alu instid0(VALU_DEP_1) | instskip(NEXT) | instid1(VALU_DEP_1)
	v_dual_sub_f32 v17, v102, v100 :: v_dual_add_f32 v12, v12, v99
	v_sub_f32_e32 v13, v13, v17
	s_delay_alu instid0(VALU_DEP_1) | instskip(NEXT) | instid1(VALU_DEP_1)
	v_add_f32_e32 v12, v12, v13
	v_add_f32_e32 v12, v102, v12
	s_delay_alu instid0(VALU_DEP_1)
	v_cndmask_b32_e32 v99, v12, v14, vcc_lo
.LBB125_86:                             ;   in Loop: Header=BB125_12 Depth=1
	s_or_b32 exec_lo, exec_lo, s30
	v_cvt_f32_f16_e32 v12, v15
	s_delay_alu instid0(VALU_DEP_1) | instskip(NEXT) | instid1(VALU_DEP_1)
	v_add_f32_e32 v100, s69, v12
	v_cmp_ge_f32_e32 vcc_lo, 0x41a00000, v100
	s_and_b32 s29, s80, vcc_lo
	s_delay_alu instid0(SALU_CYCLE_1)
	s_and_saveexec_b32 s30, s29
	s_cbranch_execz .LBB125_88
; %bb.87:                               ;   in Loop: Header=BB125_12 Depth=1
	v_mul_f32_e32 v12, 0x3fb8aa3b, v100
	v_cmp_ngt_f32_e32 vcc_lo, 0xc2ce8ed0, v100
	s_delay_alu instid0(VALU_DEP_2) | instskip(SKIP_1) | instid1(VALU_DEP_2)
	v_rndne_f32_e32 v13, v12
	v_fma_f32 v14, 0x3fb8aa3b, v100, -v12
	v_sub_f32_e32 v12, v12, v13
	s_delay_alu instid0(VALU_DEP_2) | instskip(SKIP_1) | instid1(VALU_DEP_2)
	v_fmac_f32_e32 v14, 0x32a5705f, v100
	v_cvt_i32_f32_e32 v13, v13
	v_add_f32_e32 v12, v12, v14
	s_delay_alu instid0(VALU_DEP_1) | instskip(SKIP_2) | instid1(VALU_DEP_1)
	v_exp_f32_e32 v12, v12
	s_waitcnt_depctr 0xfff
	v_ldexp_f32 v12, v12, v13
	v_cndmask_b32_e32 v12, 0, v12, vcc_lo
	v_cmp_nlt_f32_e32 vcc_lo, 0x42b17218, v100
	s_delay_alu instid0(VALU_DEP_2) | instskip(NEXT) | instid1(VALU_DEP_1)
	v_cndmask_b32_e32 v14, 0x7f800000, v12, vcc_lo
	v_add_f32_e32 v17, 1.0, v14
	s_delay_alu instid0(VALU_DEP_1) | instskip(NEXT) | instid1(VALU_DEP_1)
	v_cvt_f64_f32_e32 v[12:13], v17
	v_frexp_exp_i32_f64_e32 v12, v[12:13]
	v_frexp_mant_f32_e32 v13, v17
	s_delay_alu instid0(VALU_DEP_1) | instskip(SKIP_1) | instid1(VALU_DEP_1)
	v_cmp_gt_f32_e32 vcc_lo, 0x3f2aaaab, v13
	v_add_f32_e32 v13, -1.0, v17
	v_sub_f32_e32 v101, v13, v17
	s_delay_alu instid0(VALU_DEP_1) | instskip(SKIP_2) | instid1(VALU_DEP_2)
	v_add_f32_e32 v101, 1.0, v101
	v_sub_f32_e32 v13, v14, v13
	v_cmp_gt_f32_e64 s29, 0x33800000, v14
	v_add_f32_e32 v13, v13, v101
	v_subrev_co_ci_u32_e32 v12, vcc_lo, 0, v12, vcc_lo
	v_cmp_eq_f32_e32 vcc_lo, 0x7f800000, v14
	s_delay_alu instid0(VALU_DEP_2) | instskip(SKIP_2) | instid1(VALU_DEP_2)
	v_sub_nc_u32_e32 v100, 0, v12
	v_cvt_f32_i32_e32 v12, v12
	s_or_b32 vcc_lo, s29, vcc_lo
	v_ldexp_f32 v17, v17, v100
	v_ldexp_f32 v13, v13, v100
	s_delay_alu instid0(VALU_DEP_2) | instskip(NEXT) | instid1(VALU_DEP_1)
	v_add_f32_e32 v100, -1.0, v17
	v_dual_add_f32 v102, 1.0, v17 :: v_dual_add_f32 v103, 1.0, v100
	s_delay_alu instid0(VALU_DEP_1) | instskip(NEXT) | instid1(VALU_DEP_1)
	v_add_f32_e32 v101, -1.0, v102
	v_sub_f32_e32 v101, v17, v101
	s_delay_alu instid0(VALU_DEP_3) | instskip(NEXT) | instid1(VALU_DEP_2)
	v_sub_f32_e32 v17, v17, v103
	v_add_f32_e32 v101, v13, v101
	s_delay_alu instid0(VALU_DEP_2) | instskip(NEXT) | instid1(VALU_DEP_1)
	v_add_f32_e32 v13, v13, v17
	v_add_f32_e32 v104, v100, v13
	s_delay_alu instid0(VALU_DEP_1) | instskip(NEXT) | instid1(VALU_DEP_1)
	v_dual_sub_f32 v100, v100, v104 :: v_dual_add_f32 v103, v102, v101
	v_add_f32_e32 v13, v13, v100
	s_delay_alu instid0(VALU_DEP_2) | instskip(SKIP_1) | instid1(VALU_DEP_1)
	v_rcp_f32_e32 v17, v103
	v_sub_f32_e32 v102, v102, v103
	v_add_f32_e32 v101, v101, v102
	s_waitcnt_depctr 0xfff
	v_mul_f32_e32 v105, v104, v17
	s_delay_alu instid0(VALU_DEP_1) | instskip(NEXT) | instid1(VALU_DEP_1)
	v_mul_f32_e32 v106, v103, v105
	v_fma_f32 v102, v105, v103, -v106
	s_delay_alu instid0(VALU_DEP_1) | instskip(NEXT) | instid1(VALU_DEP_1)
	v_fmac_f32_e32 v102, v105, v101
	v_add_f32_e32 v107, v106, v102
	s_delay_alu instid0(VALU_DEP_1) | instskip(SKIP_1) | instid1(VALU_DEP_2)
	v_sub_f32_e32 v108, v104, v107
	v_sub_f32_e32 v100, v107, v106
	v_sub_f32_e32 v104, v104, v108
	s_delay_alu instid0(VALU_DEP_1) | instskip(NEXT) | instid1(VALU_DEP_1)
	v_sub_f32_e32 v104, v104, v107
	v_dual_sub_f32 v100, v100, v102 :: v_dual_add_f32 v13, v13, v104
	s_delay_alu instid0(VALU_DEP_1) | instskip(NEXT) | instid1(VALU_DEP_1)
	v_add_f32_e32 v13, v100, v13
	v_add_f32_e32 v100, v108, v13
	s_delay_alu instid0(VALU_DEP_1) | instskip(NEXT) | instid1(VALU_DEP_1)
	v_mul_f32_e32 v102, v17, v100
	v_dual_sub_f32 v107, v108, v100 :: v_dual_mul_f32 v104, v103, v102
	s_delay_alu instid0(VALU_DEP_1) | instskip(NEXT) | instid1(VALU_DEP_2)
	v_add_f32_e32 v13, v13, v107
	v_fma_f32 v103, v102, v103, -v104
	s_delay_alu instid0(VALU_DEP_1) | instskip(NEXT) | instid1(VALU_DEP_1)
	v_fmac_f32_e32 v103, v102, v101
	v_add_f32_e32 v101, v104, v103
	s_delay_alu instid0(VALU_DEP_1) | instskip(NEXT) | instid1(VALU_DEP_1)
	v_sub_f32_e32 v106, v100, v101
	v_sub_f32_e32 v100, v100, v106
	s_delay_alu instid0(VALU_DEP_1) | instskip(NEXT) | instid1(VALU_DEP_1)
	v_sub_f32_e32 v100, v100, v101
	v_add_f32_e32 v13, v13, v100
	v_add_f32_e32 v100, v105, v102
	v_sub_f32_e32 v104, v101, v104
	s_delay_alu instid0(VALU_DEP_1) | instskip(NEXT) | instid1(VALU_DEP_1)
	v_sub_f32_e32 v101, v104, v103
	v_add_f32_e32 v13, v101, v13
	s_delay_alu instid0(VALU_DEP_4) | instskip(NEXT) | instid1(VALU_DEP_2)
	v_sub_f32_e32 v101, v100, v105
	v_add_f32_e32 v13, v106, v13
	s_delay_alu instid0(VALU_DEP_2) | instskip(NEXT) | instid1(VALU_DEP_2)
	v_sub_f32_e32 v101, v102, v101
	v_mul_f32_e32 v13, v17, v13
	s_delay_alu instid0(VALU_DEP_1) | instskip(NEXT) | instid1(VALU_DEP_1)
	v_add_f32_e32 v13, v101, v13
	v_add_f32_e32 v17, v100, v13
	s_delay_alu instid0(VALU_DEP_1) | instskip(NEXT) | instid1(VALU_DEP_1)
	v_mul_f32_e32 v101, v17, v17
	v_fmaak_f32 v102, s84, v101, 0x3ecc95a3
	v_mul_f32_e32 v103, v17, v101
	s_delay_alu instid0(VALU_DEP_2) | instskip(SKIP_1) | instid1(VALU_DEP_2)
	v_fmaak_f32 v101, v101, v102, 0x3f2aaada
	v_ldexp_f32 v102, v17, 1
	v_mul_f32_e32 v101, v103, v101
	s_delay_alu instid0(VALU_DEP_1) | instskip(NEXT) | instid1(VALU_DEP_1)
	v_dual_sub_f32 v17, v17, v100 :: v_dual_add_f32 v100, v102, v101
	v_sub_f32_e32 v13, v13, v17
	s_delay_alu instid0(VALU_DEP_2) | instskip(NEXT) | instid1(VALU_DEP_2)
	v_sub_f32_e32 v17, v100, v102
	v_ldexp_f32 v13, v13, 1
	s_delay_alu instid0(VALU_DEP_2) | instskip(SKIP_1) | instid1(VALU_DEP_1)
	v_sub_f32_e32 v17, v101, v17
	v_mul_f32_e32 v103, 0x3f317218, v12
	v_fma_f32 v102, 0x3f317218, v12, -v103
	s_delay_alu instid0(VALU_DEP_1) | instskip(NEXT) | instid1(VALU_DEP_1)
	v_fmac_f32_e32 v102, 0xb102e308, v12
	v_dual_add_f32 v12, v13, v17 :: v_dual_add_f32 v13, v103, v102
	s_delay_alu instid0(VALU_DEP_1) | instskip(NEXT) | instid1(VALU_DEP_1)
	v_add_f32_e32 v17, v100, v12
	v_add_f32_e32 v101, v13, v17
	v_sub_f32_e32 v100, v17, v100
	s_delay_alu instid0(VALU_DEP_2) | instskip(NEXT) | instid1(VALU_DEP_2)
	v_sub_f32_e32 v104, v101, v13
	v_dual_sub_f32 v12, v12, v100 :: v_dual_sub_f32 v103, v13, v103
	s_delay_alu instid0(VALU_DEP_2) | instskip(NEXT) | instid1(VALU_DEP_2)
	v_sub_f32_e32 v105, v101, v104
	v_dual_sub_f32 v17, v17, v104 :: v_dual_sub_f32 v102, v102, v103
	s_delay_alu instid0(VALU_DEP_1) | instskip(NEXT) | instid1(VALU_DEP_1)
	v_dual_sub_f32 v13, v13, v105 :: v_dual_add_f32 v100, v102, v12
	v_add_f32_e32 v13, v17, v13
	s_delay_alu instid0(VALU_DEP_2) | instskip(NEXT) | instid1(VALU_DEP_2)
	v_sub_f32_e32 v17, v100, v102
	v_add_f32_e32 v13, v100, v13
	s_delay_alu instid0(VALU_DEP_2) | instskip(SKIP_1) | instid1(VALU_DEP_2)
	v_sub_f32_e32 v100, v100, v17
	v_sub_f32_e32 v12, v12, v17
	v_dual_add_f32 v103, v101, v13 :: v_dual_sub_f32 v100, v102, v100
	s_delay_alu instid0(VALU_DEP_1) | instskip(NEXT) | instid1(VALU_DEP_1)
	v_dual_sub_f32 v17, v103, v101 :: v_dual_add_f32 v12, v12, v100
	v_sub_f32_e32 v13, v13, v17
	s_delay_alu instid0(VALU_DEP_1) | instskip(NEXT) | instid1(VALU_DEP_1)
	v_add_f32_e32 v12, v12, v13
	v_add_f32_e32 v12, v103, v12
	s_delay_alu instid0(VALU_DEP_1)
	v_cndmask_b32_e32 v100, v12, v14, vcc_lo
.LBB125_88:                             ;   in Loop: Header=BB125_12 Depth=1
	s_or_b32 exec_lo, exec_lo, s30
	v_lshrrev_b32_e32 v12, 16, v15
	s_delay_alu instid0(VALU_DEP_1) | instskip(NEXT) | instid1(VALU_DEP_1)
	v_cvt_f32_f16_e32 v12, v12
	v_add_f32_e32 v101, s69, v12
	s_delay_alu instid0(VALU_DEP_1) | instskip(SKIP_1) | instid1(SALU_CYCLE_1)
	v_cmp_ge_f32_e32 vcc_lo, 0x41a00000, v101
	s_and_b32 s29, s80, vcc_lo
	s_and_saveexec_b32 s30, s29
	s_cbranch_execz .LBB125_90
; %bb.89:                               ;   in Loop: Header=BB125_12 Depth=1
	v_mul_f32_e32 v12, 0x3fb8aa3b, v101
	v_cmp_ngt_f32_e32 vcc_lo, 0xc2ce8ed0, v101
	s_delay_alu instid0(VALU_DEP_2) | instskip(SKIP_1) | instid1(VALU_DEP_2)
	v_rndne_f32_e32 v13, v12
	v_fma_f32 v14, 0x3fb8aa3b, v101, -v12
	v_sub_f32_e32 v12, v12, v13
	s_delay_alu instid0(VALU_DEP_2) | instskip(SKIP_1) | instid1(VALU_DEP_2)
	v_fmac_f32_e32 v14, 0x32a5705f, v101
	v_cvt_i32_f32_e32 v13, v13
	v_add_f32_e32 v12, v12, v14
	s_delay_alu instid0(VALU_DEP_1) | instskip(SKIP_2) | instid1(VALU_DEP_1)
	v_exp_f32_e32 v12, v12
	s_waitcnt_depctr 0xfff
	v_ldexp_f32 v12, v12, v13
	v_cndmask_b32_e32 v12, 0, v12, vcc_lo
	v_cmp_nlt_f32_e32 vcc_lo, 0x42b17218, v101
	s_delay_alu instid0(VALU_DEP_2) | instskip(NEXT) | instid1(VALU_DEP_1)
	v_cndmask_b32_e32 v14, 0x7f800000, v12, vcc_lo
	v_add_f32_e32 v15, 1.0, v14
	s_delay_alu instid0(VALU_DEP_1) | instskip(NEXT) | instid1(VALU_DEP_1)
	v_cvt_f64_f32_e32 v[12:13], v15
	v_frexp_exp_i32_f64_e32 v12, v[12:13]
	v_frexp_mant_f32_e32 v13, v15
	s_delay_alu instid0(VALU_DEP_1) | instskip(SKIP_1) | instid1(VALU_DEP_1)
	v_cmp_gt_f32_e32 vcc_lo, 0x3f2aaaab, v13
	v_add_f32_e32 v13, -1.0, v15
	v_sub_f32_e32 v101, v13, v15
	v_sub_f32_e32 v13, v14, v13
	s_delay_alu instid0(VALU_DEP_2) | instskip(NEXT) | instid1(VALU_DEP_1)
	v_add_f32_e32 v101, 1.0, v101
	v_add_f32_e32 v13, v13, v101
	v_cmp_gt_f32_e64 s29, 0x33800000, v14
	v_subrev_co_ci_u32_e32 v12, vcc_lo, 0, v12, vcc_lo
	v_cmp_eq_f32_e32 vcc_lo, 0x7f800000, v14
	s_delay_alu instid0(VALU_DEP_2) | instskip(SKIP_2) | instid1(VALU_DEP_2)
	v_sub_nc_u32_e32 v17, 0, v12
	v_cvt_f32_i32_e32 v12, v12
	s_or_b32 vcc_lo, s29, vcc_lo
	v_ldexp_f32 v15, v15, v17
	v_ldexp_f32 v13, v13, v17
	s_delay_alu instid0(VALU_DEP_2) | instskip(SKIP_1) | instid1(VALU_DEP_2)
	v_add_f32_e32 v102, 1.0, v15
	v_add_f32_e32 v17, -1.0, v15
	v_add_f32_e32 v101, -1.0, v102
	s_delay_alu instid0(VALU_DEP_2) | instskip(NEXT) | instid1(VALU_DEP_2)
	v_add_f32_e32 v103, 1.0, v17
	v_sub_f32_e32 v101, v15, v101
	s_delay_alu instid0(VALU_DEP_2) | instskip(NEXT) | instid1(VALU_DEP_2)
	v_sub_f32_e32 v15, v15, v103
	v_add_f32_e32 v101, v13, v101
	s_delay_alu instid0(VALU_DEP_2) | instskip(NEXT) | instid1(VALU_DEP_1)
	v_add_f32_e32 v13, v13, v15
	v_add_f32_e32 v104, v17, v13
	s_delay_alu instid0(VALU_DEP_3) | instskip(NEXT) | instid1(VALU_DEP_1)
	v_add_f32_e32 v103, v102, v101
	v_rcp_f32_e32 v15, v103
	v_sub_f32_e32 v102, v102, v103
	s_delay_alu instid0(VALU_DEP_1) | instskip(SKIP_2) | instid1(VALU_DEP_1)
	v_add_f32_e32 v101, v101, v102
	s_waitcnt_depctr 0xfff
	v_mul_f32_e32 v105, v104, v15
	v_dual_mul_f32 v106, v103, v105 :: v_dual_sub_f32 v17, v17, v104
	s_delay_alu instid0(VALU_DEP_1) | instskip(NEXT) | instid1(VALU_DEP_2)
	v_fma_f32 v102, v105, v103, -v106
	v_add_f32_e32 v13, v13, v17
	s_delay_alu instid0(VALU_DEP_2) | instskip(NEXT) | instid1(VALU_DEP_1)
	v_fmac_f32_e32 v102, v105, v101
	v_add_f32_e32 v107, v106, v102
	s_delay_alu instid0(VALU_DEP_1) | instskip(NEXT) | instid1(VALU_DEP_1)
	v_dual_sub_f32 v108, v104, v107 :: v_dual_sub_f32 v17, v107, v106
	v_dual_sub_f32 v104, v104, v108 :: v_dual_sub_f32 v17, v17, v102
	s_delay_alu instid0(VALU_DEP_1) | instskip(NEXT) | instid1(VALU_DEP_1)
	v_sub_f32_e32 v104, v104, v107
	v_add_f32_e32 v13, v13, v104
	s_delay_alu instid0(VALU_DEP_1) | instskip(NEXT) | instid1(VALU_DEP_1)
	v_add_f32_e32 v13, v17, v13
	v_add_f32_e32 v17, v108, v13
	s_delay_alu instid0(VALU_DEP_1) | instskip(NEXT) | instid1(VALU_DEP_1)
	v_mul_f32_e32 v102, v15, v17
	v_dual_sub_f32 v107, v108, v17 :: v_dual_mul_f32 v104, v103, v102
	s_delay_alu instid0(VALU_DEP_1) | instskip(NEXT) | instid1(VALU_DEP_2)
	v_add_f32_e32 v13, v13, v107
	v_fma_f32 v103, v102, v103, -v104
	s_delay_alu instid0(VALU_DEP_1) | instskip(NEXT) | instid1(VALU_DEP_1)
	v_fmac_f32_e32 v103, v102, v101
	v_add_f32_e32 v101, v104, v103
	s_delay_alu instid0(VALU_DEP_1) | instskip(SKIP_1) | instid1(VALU_DEP_2)
	v_sub_f32_e32 v106, v17, v101
	v_sub_f32_e32 v104, v101, v104
	;; [unrolled: 1-line block ×3, first 2 shown]
	s_delay_alu instid0(VALU_DEP_1) | instskip(NEXT) | instid1(VALU_DEP_3)
	v_sub_f32_e32 v17, v17, v101
	v_sub_f32_e32 v101, v104, v103
	s_delay_alu instid0(VALU_DEP_2) | instskip(SKIP_1) | instid1(VALU_DEP_2)
	v_add_f32_e32 v13, v13, v17
	v_add_f32_e32 v17, v105, v102
	;; [unrolled: 1-line block ×3, first 2 shown]
	s_delay_alu instid0(VALU_DEP_2) | instskip(NEXT) | instid1(VALU_DEP_2)
	v_sub_f32_e32 v101, v17, v105
	v_add_f32_e32 v13, v106, v13
	s_delay_alu instid0(VALU_DEP_2) | instskip(NEXT) | instid1(VALU_DEP_2)
	v_sub_f32_e32 v101, v102, v101
	v_mul_f32_e32 v13, v15, v13
	s_delay_alu instid0(VALU_DEP_1) | instskip(NEXT) | instid1(VALU_DEP_1)
	v_add_f32_e32 v13, v101, v13
	v_add_f32_e32 v15, v17, v13
	s_delay_alu instid0(VALU_DEP_1) | instskip(NEXT) | instid1(VALU_DEP_1)
	v_mul_f32_e32 v101, v15, v15
	v_fmaak_f32 v102, s84, v101, 0x3ecc95a3
	v_mul_f32_e32 v103, v15, v101
	s_delay_alu instid0(VALU_DEP_2) | instskip(SKIP_2) | instid1(VALU_DEP_3)
	v_fmaak_f32 v101, v101, v102, 0x3f2aaada
	v_ldexp_f32 v102, v15, 1
	v_sub_f32_e32 v15, v15, v17
	v_mul_f32_e32 v101, v103, v101
	v_mul_f32_e32 v103, 0x3f317218, v12
	s_delay_alu instid0(VALU_DEP_3) | instskip(NEXT) | instid1(VALU_DEP_3)
	v_sub_f32_e32 v13, v13, v15
	v_add_f32_e32 v17, v102, v101
	s_delay_alu instid0(VALU_DEP_2) | instskip(NEXT) | instid1(VALU_DEP_2)
	v_ldexp_f32 v13, v13, 1
	v_sub_f32_e32 v15, v17, v102
	v_fma_f32 v102, 0x3f317218, v12, -v103
	s_delay_alu instid0(VALU_DEP_1) | instskip(NEXT) | instid1(VALU_DEP_1)
	v_dual_sub_f32 v15, v101, v15 :: v_dual_fmac_f32 v102, 0xb102e308, v12
	v_dual_add_f32 v12, v13, v15 :: v_dual_add_f32 v13, v103, v102
	s_delay_alu instid0(VALU_DEP_1) | instskip(NEXT) | instid1(VALU_DEP_1)
	v_add_f32_e32 v15, v17, v12
	v_add_f32_e32 v101, v13, v15
	v_sub_f32_e32 v17, v15, v17
	s_delay_alu instid0(VALU_DEP_2) | instskip(NEXT) | instid1(VALU_DEP_2)
	v_sub_f32_e32 v104, v101, v13
	v_dual_sub_f32 v103, v13, v103 :: v_dual_sub_f32 v12, v12, v17
	s_delay_alu instid0(VALU_DEP_1) | instskip(SKIP_1) | instid1(VALU_DEP_2)
	v_dual_sub_f32 v105, v101, v104 :: v_dual_sub_f32 v102, v102, v103
	v_sub_f32_e32 v15, v15, v104
	v_sub_f32_e32 v13, v13, v105
	s_delay_alu instid0(VALU_DEP_3) | instskip(NEXT) | instid1(VALU_DEP_2)
	v_add_f32_e32 v17, v102, v12
	v_add_f32_e32 v13, v15, v13
	s_delay_alu instid0(VALU_DEP_2) | instskip(NEXT) | instid1(VALU_DEP_2)
	v_sub_f32_e32 v15, v17, v102
	v_add_f32_e32 v13, v17, v13
	s_delay_alu instid0(VALU_DEP_2) | instskip(NEXT) | instid1(VALU_DEP_2)
	v_sub_f32_e32 v17, v17, v15
	v_dual_sub_f32 v12, v12, v15 :: v_dual_add_f32 v103, v101, v13
	s_delay_alu instid0(VALU_DEP_2) | instskip(NEXT) | instid1(VALU_DEP_2)
	v_sub_f32_e32 v17, v102, v17
	v_sub_f32_e32 v15, v103, v101
	s_delay_alu instid0(VALU_DEP_1) | instskip(NEXT) | instid1(VALU_DEP_1)
	v_dual_add_f32 v12, v12, v17 :: v_dual_sub_f32 v13, v13, v15
	v_add_f32_e32 v12, v12, v13
	s_delay_alu instid0(VALU_DEP_1) | instskip(NEXT) | instid1(VALU_DEP_1)
	v_add_f32_e32 v12, v103, v12
	v_cndmask_b32_e32 v101, v12, v14, vcc_lo
.LBB125_90:                             ;   in Loop: Header=BB125_12 Depth=1
	s_or_b32 exec_lo, exec_lo, s30
	s_waitcnt lgkmcnt(0)
	v_cvt_f32_f16_e32 v12, v8
	s_delay_alu instid0(VALU_DEP_1) | instskip(NEXT) | instid1(VALU_DEP_1)
	v_add_f32_e32 v104, s69, v12
	v_cmp_ge_f32_e32 vcc_lo, 0x41a00000, v104
	s_and_b32 s29, s80, vcc_lo
	s_delay_alu instid0(SALU_CYCLE_1)
	s_and_saveexec_b32 s30, s29
	s_cbranch_execz .LBB125_92
; %bb.91:                               ;   in Loop: Header=BB125_12 Depth=1
	v_mul_f32_e32 v12, 0x3fb8aa3b, v104
	v_cmp_ngt_f32_e32 vcc_lo, 0xc2ce8ed0, v104
	s_delay_alu instid0(VALU_DEP_2) | instskip(SKIP_1) | instid1(VALU_DEP_2)
	v_rndne_f32_e32 v13, v12
	v_fma_f32 v14, 0x3fb8aa3b, v104, -v12
	v_sub_f32_e32 v12, v12, v13
	s_delay_alu instid0(VALU_DEP_2) | instskip(SKIP_1) | instid1(VALU_DEP_2)
	v_fmac_f32_e32 v14, 0x32a5705f, v104
	v_cvt_i32_f32_e32 v13, v13
	v_add_f32_e32 v12, v12, v14
	s_delay_alu instid0(VALU_DEP_1) | instskip(SKIP_2) | instid1(VALU_DEP_1)
	v_exp_f32_e32 v12, v12
	s_waitcnt_depctr 0xfff
	v_ldexp_f32 v12, v12, v13
	v_cndmask_b32_e32 v12, 0, v12, vcc_lo
	v_cmp_nlt_f32_e32 vcc_lo, 0x42b17218, v104
	s_delay_alu instid0(VALU_DEP_2) | instskip(NEXT) | instid1(VALU_DEP_1)
	v_cndmask_b32_e32 v14, 0x7f800000, v12, vcc_lo
	v_add_f32_e32 v15, 1.0, v14
	s_delay_alu instid0(VALU_DEP_1) | instskip(NEXT) | instid1(VALU_DEP_1)
	v_cvt_f64_f32_e32 v[12:13], v15
	v_frexp_exp_i32_f64_e32 v12, v[12:13]
	v_frexp_mant_f32_e32 v13, v15
	s_delay_alu instid0(VALU_DEP_1) | instskip(SKIP_1) | instid1(VALU_DEP_1)
	v_cmp_gt_f32_e32 vcc_lo, 0x3f2aaaab, v13
	v_add_f32_e32 v13, -1.0, v15
	v_dual_sub_f32 v102, v13, v15 :: v_dual_sub_f32 v13, v14, v13
	s_delay_alu instid0(VALU_DEP_1) | instskip(NEXT) | instid1(VALU_DEP_1)
	v_add_f32_e32 v102, 1.0, v102
	v_add_f32_e32 v13, v13, v102
	v_subrev_co_ci_u32_e32 v12, vcc_lo, 0, v12, vcc_lo
	s_delay_alu instid0(VALU_DEP_1) | instskip(SKIP_1) | instid1(VALU_DEP_2)
	v_sub_nc_u32_e32 v17, 0, v12
	v_cvt_f32_i32_e32 v12, v12
	v_ldexp_f32 v15, v15, v17
	v_ldexp_f32 v13, v13, v17
	s_delay_alu instid0(VALU_DEP_2) | instskip(SKIP_3) | instid1(VALU_DEP_4)
	v_add_f32_e32 v103, 1.0, v15
	v_add_f32_e32 v17, -1.0, v15
	v_cmp_eq_f32_e32 vcc_lo, 0x7f800000, v14
	v_cmp_gt_f32_e64 s29, 0x33800000, v14
	v_add_f32_e32 v102, -1.0, v103
	s_delay_alu instid0(VALU_DEP_4) | instskip(NEXT) | instid1(VALU_DEP_3)
	v_add_f32_e32 v104, 1.0, v17
	s_or_b32 vcc_lo, s29, vcc_lo
	s_delay_alu instid0(VALU_DEP_2) | instskip(NEXT) | instid1(VALU_DEP_1)
	v_sub_f32_e32 v102, v15, v102
	v_dual_sub_f32 v15, v15, v104 :: v_dual_add_f32 v102, v13, v102
	s_delay_alu instid0(VALU_DEP_1) | instskip(NEXT) | instid1(VALU_DEP_1)
	v_add_f32_e32 v13, v13, v15
	v_dual_add_f32 v105, v17, v13 :: v_dual_add_f32 v104, v103, v102
	s_delay_alu instid0(VALU_DEP_1) | instskip(NEXT) | instid1(VALU_DEP_2)
	v_sub_f32_e32 v17, v17, v105
	v_rcp_f32_e32 v15, v104
	v_sub_f32_e32 v103, v103, v104
	s_delay_alu instid0(VALU_DEP_1) | instskip(SKIP_2) | instid1(VALU_DEP_1)
	v_dual_add_f32 v102, v102, v103 :: v_dual_add_f32 v13, v13, v17
	s_waitcnt_depctr 0xfff
	v_mul_f32_e32 v106, v105, v15
	v_mul_f32_e32 v107, v104, v106
	s_delay_alu instid0(VALU_DEP_1) | instskip(NEXT) | instid1(VALU_DEP_1)
	v_fma_f32 v103, v106, v104, -v107
	v_fmac_f32_e32 v103, v106, v102
	s_delay_alu instid0(VALU_DEP_1) | instskip(NEXT) | instid1(VALU_DEP_1)
	v_add_f32_e32 v108, v107, v103
	v_sub_f32_e32 v109, v105, v108
	s_delay_alu instid0(VALU_DEP_1) | instskip(SKIP_1) | instid1(VALU_DEP_2)
	v_sub_f32_e32 v105, v105, v109
	v_sub_f32_e32 v17, v108, v107
	;; [unrolled: 1-line block ×3, first 2 shown]
	s_delay_alu instid0(VALU_DEP_2) | instskip(NEXT) | instid1(VALU_DEP_2)
	v_sub_f32_e32 v17, v17, v103
	v_add_f32_e32 v13, v13, v105
	s_delay_alu instid0(VALU_DEP_1) | instskip(NEXT) | instid1(VALU_DEP_1)
	v_add_f32_e32 v13, v17, v13
	v_add_f32_e32 v17, v109, v13
	s_delay_alu instid0(VALU_DEP_1) | instskip(NEXT) | instid1(VALU_DEP_1)
	v_mul_f32_e32 v103, v15, v17
	v_dual_sub_f32 v108, v109, v17 :: v_dual_mul_f32 v105, v104, v103
	s_delay_alu instid0(VALU_DEP_1) | instskip(NEXT) | instid1(VALU_DEP_2)
	v_add_f32_e32 v13, v13, v108
	v_fma_f32 v104, v103, v104, -v105
	s_delay_alu instid0(VALU_DEP_1) | instskip(NEXT) | instid1(VALU_DEP_1)
	v_fmac_f32_e32 v104, v103, v102
	v_add_f32_e32 v102, v105, v104
	s_delay_alu instid0(VALU_DEP_1) | instskip(NEXT) | instid1(VALU_DEP_1)
	v_sub_f32_e32 v107, v17, v102
	v_sub_f32_e32 v17, v17, v107
	s_delay_alu instid0(VALU_DEP_1) | instskip(NEXT) | instid1(VALU_DEP_1)
	v_sub_f32_e32 v17, v17, v102
	v_add_f32_e32 v13, v13, v17
	v_add_f32_e32 v17, v106, v103
	v_sub_f32_e32 v105, v102, v105
	s_delay_alu instid0(VALU_DEP_1) | instskip(NEXT) | instid1(VALU_DEP_1)
	v_sub_f32_e32 v102, v105, v104
	v_dual_add_f32 v13, v102, v13 :: v_dual_sub_f32 v102, v17, v106
	s_delay_alu instid0(VALU_DEP_1) | instskip(NEXT) | instid1(VALU_DEP_2)
	v_add_f32_e32 v13, v107, v13
	v_sub_f32_e32 v102, v103, v102
	s_delay_alu instid0(VALU_DEP_2) | instskip(NEXT) | instid1(VALU_DEP_1)
	v_mul_f32_e32 v13, v15, v13
	v_add_f32_e32 v13, v102, v13
	s_delay_alu instid0(VALU_DEP_1) | instskip(NEXT) | instid1(VALU_DEP_1)
	v_add_f32_e32 v15, v17, v13
	v_mul_f32_e32 v102, v15, v15
	s_delay_alu instid0(VALU_DEP_1) | instskip(SKIP_1) | instid1(VALU_DEP_2)
	v_fmaak_f32 v103, s84, v102, 0x3ecc95a3
	v_mul_f32_e32 v104, v15, v102
	v_fmaak_f32 v102, v102, v103, 0x3f2aaada
	v_ldexp_f32 v103, v15, 1
	s_delay_alu instid0(VALU_DEP_2) | instskip(NEXT) | instid1(VALU_DEP_1)
	v_dual_sub_f32 v15, v15, v17 :: v_dual_mul_f32 v102, v104, v102
	v_dual_mul_f32 v104, 0x3f317218, v12 :: v_dual_sub_f32 v13, v13, v15
	s_delay_alu instid0(VALU_DEP_2) | instskip(NEXT) | instid1(VALU_DEP_2)
	v_add_f32_e32 v17, v103, v102
	v_ldexp_f32 v13, v13, 1
	s_delay_alu instid0(VALU_DEP_2) | instskip(NEXT) | instid1(VALU_DEP_4)
	v_sub_f32_e32 v15, v17, v103
	v_fma_f32 v103, 0x3f317218, v12, -v104
	s_delay_alu instid0(VALU_DEP_2) | instskip(NEXT) | instid1(VALU_DEP_1)
	v_sub_f32_e32 v15, v102, v15
	v_dual_fmac_f32 v103, 0xb102e308, v12 :: v_dual_add_f32 v12, v13, v15
	s_delay_alu instid0(VALU_DEP_1) | instskip(NEXT) | instid1(VALU_DEP_2)
	v_add_f32_e32 v13, v104, v103
	v_add_f32_e32 v15, v17, v12
	s_delay_alu instid0(VALU_DEP_2) | instskip(NEXT) | instid1(VALU_DEP_2)
	v_sub_f32_e32 v104, v13, v104
	v_dual_add_f32 v102, v13, v15 :: v_dual_sub_f32 v17, v15, v17
	s_delay_alu instid0(VALU_DEP_2) | instskip(NEXT) | instid1(VALU_DEP_2)
	v_sub_f32_e32 v103, v103, v104
	v_sub_f32_e32 v105, v102, v13
	s_delay_alu instid0(VALU_DEP_3) | instskip(NEXT) | instid1(VALU_DEP_2)
	v_sub_f32_e32 v12, v12, v17
	v_sub_f32_e32 v106, v102, v105
	;; [unrolled: 1-line block ×3, first 2 shown]
	s_delay_alu instid0(VALU_DEP_3) | instskip(NEXT) | instid1(VALU_DEP_3)
	v_add_f32_e32 v17, v103, v12
	v_sub_f32_e32 v13, v13, v106
	s_delay_alu instid0(VALU_DEP_1) | instskip(NEXT) | instid1(VALU_DEP_3)
	v_add_f32_e32 v13, v15, v13
	v_sub_f32_e32 v15, v17, v103
	s_delay_alu instid0(VALU_DEP_2) | instskip(NEXT) | instid1(VALU_DEP_2)
	v_add_f32_e32 v13, v17, v13
	v_sub_f32_e32 v17, v17, v15
	v_sub_f32_e32 v12, v12, v15
	s_delay_alu instid0(VALU_DEP_3) | instskip(NEXT) | instid1(VALU_DEP_3)
	v_add_f32_e32 v104, v102, v13
	v_sub_f32_e32 v17, v103, v17
	s_delay_alu instid0(VALU_DEP_2) | instskip(NEXT) | instid1(VALU_DEP_1)
	v_sub_f32_e32 v15, v104, v102
	v_dual_add_f32 v12, v12, v17 :: v_dual_sub_f32 v13, v13, v15
	s_delay_alu instid0(VALU_DEP_1) | instskip(NEXT) | instid1(VALU_DEP_1)
	v_add_f32_e32 v12, v12, v13
	v_add_f32_e32 v12, v104, v12
	s_delay_alu instid0(VALU_DEP_1)
	v_cndmask_b32_e32 v104, v12, v14, vcc_lo
.LBB125_92:                             ;   in Loop: Header=BB125_12 Depth=1
	s_or_b32 exec_lo, exec_lo, s30
	v_lshrrev_b32_e32 v8, 16, v8
	s_delay_alu instid0(VALU_DEP_1) | instskip(NEXT) | instid1(VALU_DEP_1)
	v_cvt_f32_f16_e32 v8, v8
	v_add_f32_e32 v115, s69, v8
	s_delay_alu instid0(VALU_DEP_1) | instskip(SKIP_1) | instid1(SALU_CYCLE_1)
	v_cmp_ge_f32_e32 vcc_lo, 0x41a00000, v115
	s_and_b32 s29, s80, vcc_lo
	s_and_saveexec_b32 s30, s29
	s_cbranch_execz .LBB125_94
; %bb.93:                               ;   in Loop: Header=BB125_12 Depth=1
	v_mul_f32_e32 v8, 0x3fb8aa3b, v115
	v_cmp_ngt_f32_e32 vcc_lo, 0xc2ce8ed0, v115
	s_delay_alu instid0(VALU_DEP_2) | instskip(SKIP_1) | instid1(VALU_DEP_1)
	v_rndne_f32_e32 v12, v8
	v_fma_f32 v13, 0x3fb8aa3b, v115, -v8
	v_dual_sub_f32 v8, v8, v12 :: v_dual_fmac_f32 v13, 0x32a5705f, v115
	v_cvt_i32_f32_e32 v12, v12
	s_delay_alu instid0(VALU_DEP_2) | instskip(NEXT) | instid1(VALU_DEP_1)
	v_add_f32_e32 v8, v8, v13
	v_exp_f32_e32 v8, v8
	s_waitcnt_depctr 0xfff
	v_ldexp_f32 v8, v8, v12
	s_delay_alu instid0(VALU_DEP_1) | instskip(SKIP_1) | instid1(VALU_DEP_2)
	v_cndmask_b32_e32 v8, 0, v8, vcc_lo
	v_cmp_nlt_f32_e32 vcc_lo, 0x42b17218, v115
	v_cndmask_b32_e32 v8, 0x7f800000, v8, vcc_lo
	s_delay_alu instid0(VALU_DEP_1) | instskip(NEXT) | instid1(VALU_DEP_1)
	v_add_f32_e32 v14, 1.0, v8
	v_cvt_f64_f32_e32 v[12:13], v14
	s_delay_alu instid0(VALU_DEP_1) | instskip(SKIP_1) | instid1(VALU_DEP_1)
	v_frexp_exp_i32_f64_e32 v12, v[12:13]
	v_frexp_mant_f32_e32 v13, v14
	v_cmp_gt_f32_e32 vcc_lo, 0x3f2aaaab, v13
	v_add_f32_e32 v13, -1.0, v14
	s_delay_alu instid0(VALU_DEP_1) | instskip(SKIP_1) | instid1(VALU_DEP_2)
	v_sub_f32_e32 v17, v13, v14
	v_sub_f32_e32 v13, v8, v13
	v_add_f32_e32 v17, 1.0, v17
	s_delay_alu instid0(VALU_DEP_1) | instskip(SKIP_3) | instid1(VALU_DEP_2)
	v_add_f32_e32 v13, v13, v17
	v_cmp_gt_f32_e64 s29, 0x33800000, v8
	v_subrev_co_ci_u32_e32 v12, vcc_lo, 0, v12, vcc_lo
	v_cmp_eq_f32_e32 vcc_lo, 0x7f800000, v8
	v_sub_nc_u32_e32 v15, 0, v12
	v_cvt_f32_i32_e32 v12, v12
	s_or_b32 vcc_lo, s29, vcc_lo
	s_delay_alu instid0(VALU_DEP_2) | instskip(SKIP_1) | instid1(VALU_DEP_2)
	v_ldexp_f32 v14, v14, v15
	v_ldexp_f32 v13, v13, v15
	v_add_f32_e32 v102, 1.0, v14
	v_add_f32_e32 v15, -1.0, v14
	s_delay_alu instid0(VALU_DEP_1) | instskip(NEXT) | instid1(VALU_DEP_3)
	v_add_f32_e32 v103, 1.0, v15
	v_add_f32_e32 v17, -1.0, v102
	s_delay_alu instid0(VALU_DEP_1) | instskip(NEXT) | instid1(VALU_DEP_1)
	v_sub_f32_e32 v17, v14, v17
	v_dual_sub_f32 v14, v14, v103 :: v_dual_add_f32 v17, v13, v17
	s_delay_alu instid0(VALU_DEP_1) | instskip(NEXT) | instid1(VALU_DEP_1)
	v_add_f32_e32 v103, v102, v17
	v_sub_f32_e32 v102, v102, v103
	s_delay_alu instid0(VALU_DEP_1) | instskip(NEXT) | instid1(VALU_DEP_4)
	v_add_f32_e32 v17, v17, v102
	v_add_f32_e32 v13, v13, v14
	v_rcp_f32_e32 v14, v103
	s_delay_alu instid0(VALU_DEP_1) | instskip(SKIP_2) | instid1(VALU_DEP_1)
	v_add_f32_e32 v105, v15, v13
	s_waitcnt_depctr 0xfff
	v_dual_sub_f32 v15, v15, v105 :: v_dual_mul_f32 v106, v105, v14
	v_mul_f32_e32 v107, v103, v106
	s_delay_alu instid0(VALU_DEP_1) | instskip(NEXT) | instid1(VALU_DEP_1)
	v_fma_f32 v102, v106, v103, -v107
	v_dual_fmac_f32 v102, v106, v17 :: v_dual_add_f32 v13, v13, v15
	s_delay_alu instid0(VALU_DEP_1) | instskip(NEXT) | instid1(VALU_DEP_1)
	v_add_f32_e32 v108, v107, v102
	v_sub_f32_e32 v109, v105, v108
	v_sub_f32_e32 v15, v108, v107
	s_delay_alu instid0(VALU_DEP_2) | instskip(NEXT) | instid1(VALU_DEP_2)
	v_sub_f32_e32 v105, v105, v109
	v_sub_f32_e32 v15, v15, v102
	s_delay_alu instid0(VALU_DEP_2) | instskip(NEXT) | instid1(VALU_DEP_1)
	v_sub_f32_e32 v105, v105, v108
	v_add_f32_e32 v13, v13, v105
	s_delay_alu instid0(VALU_DEP_1) | instskip(NEXT) | instid1(VALU_DEP_1)
	v_add_f32_e32 v13, v15, v13
	v_add_f32_e32 v15, v109, v13
	s_delay_alu instid0(VALU_DEP_1) | instskip(NEXT) | instid1(VALU_DEP_1)
	v_mul_f32_e32 v102, v14, v15
	v_dual_sub_f32 v108, v109, v15 :: v_dual_mul_f32 v105, v103, v102
	s_delay_alu instid0(VALU_DEP_1) | instskip(NEXT) | instid1(VALU_DEP_2)
	v_add_f32_e32 v13, v13, v108
	v_fma_f32 v103, v102, v103, -v105
	s_delay_alu instid0(VALU_DEP_1) | instskip(NEXT) | instid1(VALU_DEP_1)
	v_fmac_f32_e32 v103, v102, v17
	v_add_f32_e32 v17, v105, v103
	s_delay_alu instid0(VALU_DEP_1) | instskip(SKIP_1) | instid1(VALU_DEP_2)
	v_sub_f32_e32 v107, v15, v17
	v_sub_f32_e32 v105, v17, v105
	;; [unrolled: 1-line block ×3, first 2 shown]
	s_delay_alu instid0(VALU_DEP_1) | instskip(NEXT) | instid1(VALU_DEP_3)
	v_sub_f32_e32 v15, v15, v17
	v_sub_f32_e32 v17, v105, v103
	s_delay_alu instid0(VALU_DEP_2) | instskip(SKIP_1) | instid1(VALU_DEP_2)
	v_add_f32_e32 v13, v13, v15
	v_add_f32_e32 v15, v106, v102
	;; [unrolled: 1-line block ×3, first 2 shown]
	s_delay_alu instid0(VALU_DEP_2) | instskip(NEXT) | instid1(VALU_DEP_2)
	v_sub_f32_e32 v17, v15, v106
	v_add_f32_e32 v13, v107, v13
	s_delay_alu instid0(VALU_DEP_2) | instskip(NEXT) | instid1(VALU_DEP_2)
	v_sub_f32_e32 v17, v102, v17
	v_mul_f32_e32 v13, v14, v13
	s_delay_alu instid0(VALU_DEP_1) | instskip(NEXT) | instid1(VALU_DEP_1)
	v_add_f32_e32 v13, v17, v13
	v_add_f32_e32 v14, v15, v13
	s_delay_alu instid0(VALU_DEP_1) | instskip(NEXT) | instid1(VALU_DEP_1)
	v_mul_f32_e32 v17, v14, v14
	v_fmaak_f32 v102, s84, v17, 0x3ecc95a3
	v_mul_f32_e32 v103, v14, v17
	s_delay_alu instid0(VALU_DEP_2) | instskip(SKIP_1) | instid1(VALU_DEP_2)
	v_fmaak_f32 v17, v17, v102, 0x3f2aaada
	v_ldexp_f32 v102, v14, 1
	v_dual_sub_f32 v14, v14, v15 :: v_dual_mul_f32 v17, v103, v17
	v_mul_f32_e32 v103, 0x3f317218, v12
	s_delay_alu instid0(VALU_DEP_2) | instskip(NEXT) | instid1(VALU_DEP_3)
	v_sub_f32_e32 v13, v13, v14
	v_add_f32_e32 v15, v102, v17
	s_delay_alu instid0(VALU_DEP_2) | instskip(NEXT) | instid1(VALU_DEP_2)
	v_ldexp_f32 v13, v13, 1
	v_sub_f32_e32 v14, v15, v102
	v_fma_f32 v102, 0x3f317218, v12, -v103
	s_delay_alu instid0(VALU_DEP_2) | instskip(NEXT) | instid1(VALU_DEP_2)
	v_sub_f32_e32 v14, v17, v14
	v_fmac_f32_e32 v102, 0xb102e308, v12
	s_delay_alu instid0(VALU_DEP_2) | instskip(NEXT) | instid1(VALU_DEP_2)
	v_add_f32_e32 v12, v13, v14
	v_add_f32_e32 v13, v103, v102
	s_delay_alu instid0(VALU_DEP_1) | instskip(NEXT) | instid1(VALU_DEP_1)
	v_dual_add_f32 v14, v15, v12 :: v_dual_sub_f32 v103, v13, v103
	v_add_f32_e32 v17, v13, v14
	v_sub_f32_e32 v15, v14, v15
	s_delay_alu instid0(VALU_DEP_2) | instskip(NEXT) | instid1(VALU_DEP_2)
	v_dual_sub_f32 v102, v102, v103 :: v_dual_sub_f32 v105, v17, v13
	v_sub_f32_e32 v12, v12, v15
	s_delay_alu instid0(VALU_DEP_2) | instskip(SKIP_1) | instid1(VALU_DEP_3)
	v_sub_f32_e32 v106, v17, v105
	v_sub_f32_e32 v14, v14, v105
	v_add_f32_e32 v15, v102, v12
	s_delay_alu instid0(VALU_DEP_3) | instskip(NEXT) | instid1(VALU_DEP_1)
	v_sub_f32_e32 v13, v13, v106
	v_dual_add_f32 v13, v14, v13 :: v_dual_sub_f32 v14, v15, v102
	s_delay_alu instid0(VALU_DEP_1) | instskip(NEXT) | instid1(VALU_DEP_2)
	v_add_f32_e32 v13, v15, v13
	v_sub_f32_e32 v15, v15, v14
	s_delay_alu instid0(VALU_DEP_2) | instskip(NEXT) | instid1(VALU_DEP_1)
	v_dual_sub_f32 v12, v12, v14 :: v_dual_add_f32 v103, v17, v13
	v_dual_sub_f32 v15, v102, v15 :: v_dual_sub_f32 v14, v103, v17
	s_delay_alu instid0(VALU_DEP_1) | instskip(NEXT) | instid1(VALU_DEP_1)
	v_dual_add_f32 v12, v12, v15 :: v_dual_sub_f32 v13, v13, v14
	v_add_f32_e32 v12, v12, v13
	s_delay_alu instid0(VALU_DEP_1) | instskip(NEXT) | instid1(VALU_DEP_1)
	v_add_f32_e32 v12, v103, v12
	v_cndmask_b32_e32 v115, v12, v8, vcc_lo
.LBB125_94:                             ;   in Loop: Header=BB125_12 Depth=1
	s_or_b32 exec_lo, exec_lo, s30
	v_cvt_f32_f16_e32 v8, v9
	s_delay_alu instid0(VALU_DEP_1) | instskip(NEXT) | instid1(VALU_DEP_1)
	v_add_f32_e32 v118, s69, v8
	v_cmp_ge_f32_e32 vcc_lo, 0x41a00000, v118
	s_and_b32 s29, s80, vcc_lo
	s_delay_alu instid0(SALU_CYCLE_1)
	s_and_saveexec_b32 s30, s29
	s_cbranch_execz .LBB125_96
; %bb.95:                               ;   in Loop: Header=BB125_12 Depth=1
	v_mul_f32_e32 v8, 0x3fb8aa3b, v118
	v_cmp_ngt_f32_e32 vcc_lo, 0xc2ce8ed0, v118
	s_delay_alu instid0(VALU_DEP_2) | instskip(SKIP_1) | instid1(VALU_DEP_1)
	v_rndne_f32_e32 v12, v8
	v_fma_f32 v13, 0x3fb8aa3b, v118, -v8
	v_dual_sub_f32 v8, v8, v12 :: v_dual_fmac_f32 v13, 0x32a5705f, v118
	v_cvt_i32_f32_e32 v12, v12
	s_delay_alu instid0(VALU_DEP_2) | instskip(NEXT) | instid1(VALU_DEP_1)
	v_add_f32_e32 v8, v8, v13
	v_exp_f32_e32 v8, v8
	s_waitcnt_depctr 0xfff
	v_ldexp_f32 v8, v8, v12
	s_delay_alu instid0(VALU_DEP_1) | instskip(SKIP_1) | instid1(VALU_DEP_2)
	v_cndmask_b32_e32 v8, 0, v8, vcc_lo
	v_cmp_nlt_f32_e32 vcc_lo, 0x42b17218, v118
	v_cndmask_b32_e32 v8, 0x7f800000, v8, vcc_lo
	s_delay_alu instid0(VALU_DEP_1) | instskip(NEXT) | instid1(VALU_DEP_1)
	v_add_f32_e32 v14, 1.0, v8
	v_cvt_f64_f32_e32 v[12:13], v14
	s_delay_alu instid0(VALU_DEP_1) | instskip(SKIP_1) | instid1(VALU_DEP_1)
	v_frexp_exp_i32_f64_e32 v12, v[12:13]
	v_frexp_mant_f32_e32 v13, v14
	v_cmp_gt_f32_e32 vcc_lo, 0x3f2aaaab, v13
	v_add_f32_e32 v13, -1.0, v14
	s_delay_alu instid0(VALU_DEP_1) | instskip(SKIP_1) | instid1(VALU_DEP_2)
	v_sub_f32_e32 v17, v13, v14
	v_sub_f32_e32 v13, v8, v13
	v_add_f32_e32 v17, 1.0, v17
	s_delay_alu instid0(VALU_DEP_1) | instskip(SKIP_3) | instid1(VALU_DEP_2)
	v_add_f32_e32 v13, v13, v17
	v_cmp_gt_f32_e64 s29, 0x33800000, v8
	v_subrev_co_ci_u32_e32 v12, vcc_lo, 0, v12, vcc_lo
	v_cmp_eq_f32_e32 vcc_lo, 0x7f800000, v8
	v_sub_nc_u32_e32 v15, 0, v12
	v_cvt_f32_i32_e32 v12, v12
	s_or_b32 vcc_lo, s29, vcc_lo
	s_delay_alu instid0(VALU_DEP_2) | instskip(SKIP_1) | instid1(VALU_DEP_2)
	v_ldexp_f32 v14, v14, v15
	v_ldexp_f32 v13, v13, v15
	v_add_f32_e32 v102, 1.0, v14
	v_add_f32_e32 v15, -1.0, v14
	s_delay_alu instid0(VALU_DEP_1) | instskip(NEXT) | instid1(VALU_DEP_3)
	v_add_f32_e32 v103, 1.0, v15
	v_add_f32_e32 v17, -1.0, v102
	s_delay_alu instid0(VALU_DEP_1) | instskip(NEXT) | instid1(VALU_DEP_1)
	v_sub_f32_e32 v17, v14, v17
	v_dual_sub_f32 v14, v14, v103 :: v_dual_add_f32 v17, v13, v17
	s_delay_alu instid0(VALU_DEP_1) | instskip(NEXT) | instid1(VALU_DEP_1)
	v_add_f32_e32 v103, v102, v17
	v_sub_f32_e32 v102, v102, v103
	s_delay_alu instid0(VALU_DEP_1) | instskip(NEXT) | instid1(VALU_DEP_4)
	v_add_f32_e32 v17, v17, v102
	v_add_f32_e32 v13, v13, v14
	v_rcp_f32_e32 v14, v103
	s_delay_alu instid0(VALU_DEP_1) | instskip(SKIP_2) | instid1(VALU_DEP_1)
	v_add_f32_e32 v105, v15, v13
	s_waitcnt_depctr 0xfff
	v_dual_sub_f32 v15, v15, v105 :: v_dual_mul_f32 v106, v105, v14
	v_mul_f32_e32 v107, v103, v106
	s_delay_alu instid0(VALU_DEP_1) | instskip(NEXT) | instid1(VALU_DEP_1)
	v_fma_f32 v102, v106, v103, -v107
	v_dual_fmac_f32 v102, v106, v17 :: v_dual_add_f32 v13, v13, v15
	s_delay_alu instid0(VALU_DEP_1) | instskip(NEXT) | instid1(VALU_DEP_1)
	v_add_f32_e32 v108, v107, v102
	v_sub_f32_e32 v109, v105, v108
	v_sub_f32_e32 v15, v108, v107
	s_delay_alu instid0(VALU_DEP_2) | instskip(NEXT) | instid1(VALU_DEP_2)
	v_sub_f32_e32 v105, v105, v109
	v_sub_f32_e32 v15, v15, v102
	s_delay_alu instid0(VALU_DEP_2) | instskip(NEXT) | instid1(VALU_DEP_1)
	v_sub_f32_e32 v105, v105, v108
	v_add_f32_e32 v13, v13, v105
	s_delay_alu instid0(VALU_DEP_1) | instskip(NEXT) | instid1(VALU_DEP_1)
	v_add_f32_e32 v13, v15, v13
	v_add_f32_e32 v15, v109, v13
	s_delay_alu instid0(VALU_DEP_1) | instskip(NEXT) | instid1(VALU_DEP_1)
	v_mul_f32_e32 v102, v14, v15
	v_dual_sub_f32 v108, v109, v15 :: v_dual_mul_f32 v105, v103, v102
	s_delay_alu instid0(VALU_DEP_1) | instskip(NEXT) | instid1(VALU_DEP_2)
	v_add_f32_e32 v13, v13, v108
	v_fma_f32 v103, v102, v103, -v105
	s_delay_alu instid0(VALU_DEP_1) | instskip(NEXT) | instid1(VALU_DEP_1)
	v_fmac_f32_e32 v103, v102, v17
	v_add_f32_e32 v17, v105, v103
	s_delay_alu instid0(VALU_DEP_1) | instskip(SKIP_1) | instid1(VALU_DEP_2)
	v_sub_f32_e32 v107, v15, v17
	v_sub_f32_e32 v105, v17, v105
	;; [unrolled: 1-line block ×3, first 2 shown]
	s_delay_alu instid0(VALU_DEP_1) | instskip(NEXT) | instid1(VALU_DEP_3)
	v_sub_f32_e32 v15, v15, v17
	v_sub_f32_e32 v17, v105, v103
	s_delay_alu instid0(VALU_DEP_2) | instskip(SKIP_1) | instid1(VALU_DEP_2)
	v_add_f32_e32 v13, v13, v15
	v_add_f32_e32 v15, v106, v102
	v_add_f32_e32 v13, v17, v13
	s_delay_alu instid0(VALU_DEP_2) | instskip(NEXT) | instid1(VALU_DEP_2)
	v_sub_f32_e32 v17, v15, v106
	v_add_f32_e32 v13, v107, v13
	s_delay_alu instid0(VALU_DEP_2) | instskip(NEXT) | instid1(VALU_DEP_2)
	v_sub_f32_e32 v17, v102, v17
	v_mul_f32_e32 v13, v14, v13
	s_delay_alu instid0(VALU_DEP_1) | instskip(NEXT) | instid1(VALU_DEP_1)
	v_add_f32_e32 v13, v17, v13
	v_add_f32_e32 v14, v15, v13
	s_delay_alu instid0(VALU_DEP_1) | instskip(NEXT) | instid1(VALU_DEP_1)
	v_mul_f32_e32 v17, v14, v14
	v_fmaak_f32 v102, s84, v17, 0x3ecc95a3
	v_mul_f32_e32 v103, v14, v17
	s_delay_alu instid0(VALU_DEP_2) | instskip(SKIP_1) | instid1(VALU_DEP_2)
	v_fmaak_f32 v17, v17, v102, 0x3f2aaada
	v_ldexp_f32 v102, v14, 1
	v_dual_sub_f32 v14, v14, v15 :: v_dual_mul_f32 v17, v103, v17
	v_mul_f32_e32 v103, 0x3f317218, v12
	s_delay_alu instid0(VALU_DEP_2) | instskip(NEXT) | instid1(VALU_DEP_3)
	v_sub_f32_e32 v13, v13, v14
	v_add_f32_e32 v15, v102, v17
	s_delay_alu instid0(VALU_DEP_2) | instskip(NEXT) | instid1(VALU_DEP_2)
	v_ldexp_f32 v13, v13, 1
	v_sub_f32_e32 v14, v15, v102
	v_fma_f32 v102, 0x3f317218, v12, -v103
	s_delay_alu instid0(VALU_DEP_2) | instskip(NEXT) | instid1(VALU_DEP_2)
	v_sub_f32_e32 v14, v17, v14
	v_fmac_f32_e32 v102, 0xb102e308, v12
	s_delay_alu instid0(VALU_DEP_2) | instskip(NEXT) | instid1(VALU_DEP_2)
	v_add_f32_e32 v12, v13, v14
	v_add_f32_e32 v13, v103, v102
	s_delay_alu instid0(VALU_DEP_1) | instskip(NEXT) | instid1(VALU_DEP_1)
	v_dual_add_f32 v14, v15, v12 :: v_dual_sub_f32 v103, v13, v103
	v_add_f32_e32 v17, v13, v14
	v_sub_f32_e32 v15, v14, v15
	s_delay_alu instid0(VALU_DEP_2) | instskip(NEXT) | instid1(VALU_DEP_2)
	v_dual_sub_f32 v102, v102, v103 :: v_dual_sub_f32 v105, v17, v13
	v_sub_f32_e32 v12, v12, v15
	s_delay_alu instid0(VALU_DEP_2) | instskip(SKIP_1) | instid1(VALU_DEP_3)
	v_sub_f32_e32 v106, v17, v105
	v_sub_f32_e32 v14, v14, v105
	v_add_f32_e32 v15, v102, v12
	s_delay_alu instid0(VALU_DEP_3) | instskip(NEXT) | instid1(VALU_DEP_1)
	v_sub_f32_e32 v13, v13, v106
	v_dual_add_f32 v13, v14, v13 :: v_dual_sub_f32 v14, v15, v102
	s_delay_alu instid0(VALU_DEP_1) | instskip(NEXT) | instid1(VALU_DEP_2)
	v_add_f32_e32 v13, v15, v13
	v_sub_f32_e32 v15, v15, v14
	s_delay_alu instid0(VALU_DEP_2) | instskip(NEXT) | instid1(VALU_DEP_1)
	v_dual_sub_f32 v12, v12, v14 :: v_dual_add_f32 v103, v17, v13
	v_dual_sub_f32 v15, v102, v15 :: v_dual_sub_f32 v14, v103, v17
	s_delay_alu instid0(VALU_DEP_1) | instskip(NEXT) | instid1(VALU_DEP_1)
	v_dual_add_f32 v12, v12, v15 :: v_dual_sub_f32 v13, v13, v14
	v_add_f32_e32 v12, v12, v13
	s_delay_alu instid0(VALU_DEP_1) | instskip(NEXT) | instid1(VALU_DEP_1)
	v_add_f32_e32 v12, v103, v12
	v_cndmask_b32_e32 v118, v12, v8, vcc_lo
.LBB125_96:                             ;   in Loop: Header=BB125_12 Depth=1
	s_or_b32 exec_lo, exec_lo, s30
	v_lshrrev_b32_e32 v8, 16, v9
	s_delay_alu instid0(VALU_DEP_1) | instskip(NEXT) | instid1(VALU_DEP_1)
	v_cvt_f32_f16_e32 v8, v8
	v_add_f32_e32 v121, s69, v8
	s_delay_alu instid0(VALU_DEP_1) | instskip(SKIP_1) | instid1(SALU_CYCLE_1)
	v_cmp_ge_f32_e32 vcc_lo, 0x41a00000, v121
	s_and_b32 s29, s80, vcc_lo
	s_and_saveexec_b32 s30, s29
	s_cbranch_execz .LBB125_98
; %bb.97:                               ;   in Loop: Header=BB125_12 Depth=1
	v_mul_f32_e32 v8, 0x3fb8aa3b, v121
	v_cmp_ngt_f32_e32 vcc_lo, 0xc2ce8ed0, v121
	s_delay_alu instid0(VALU_DEP_2) | instskip(SKIP_1) | instid1(VALU_DEP_2)
	v_rndne_f32_e32 v9, v8
	v_fma_f32 v12, 0x3fb8aa3b, v121, -v8
	v_sub_f32_e32 v8, v8, v9
	s_delay_alu instid0(VALU_DEP_2) | instskip(SKIP_1) | instid1(VALU_DEP_2)
	v_fmac_f32_e32 v12, 0x32a5705f, v121
	v_cvt_i32_f32_e32 v9, v9
	v_add_f32_e32 v8, v8, v12
	s_delay_alu instid0(VALU_DEP_1) | instskip(SKIP_2) | instid1(VALU_DEP_1)
	v_exp_f32_e32 v8, v8
	s_waitcnt_depctr 0xfff
	v_ldexp_f32 v8, v8, v9
	v_cndmask_b32_e32 v8, 0, v8, vcc_lo
	v_cmp_nlt_f32_e32 vcc_lo, 0x42b17218, v121
	s_delay_alu instid0(VALU_DEP_2) | instskip(NEXT) | instid1(VALU_DEP_1)
	v_cndmask_b32_e32 v12, 0x7f800000, v8, vcc_lo
	v_add_f32_e32 v13, 1.0, v12
	s_delay_alu instid0(VALU_DEP_1) | instskip(NEXT) | instid1(VALU_DEP_1)
	v_cvt_f64_f32_e32 v[8:9], v13
	v_frexp_exp_i32_f64_e32 v8, v[8:9]
	v_frexp_mant_f32_e32 v9, v13
	s_delay_alu instid0(VALU_DEP_1) | instskip(SKIP_1) | instid1(VALU_DEP_1)
	v_cmp_gt_f32_e32 vcc_lo, 0x3f2aaaab, v9
	v_add_f32_e32 v9, -1.0, v13
	v_sub_f32_e32 v15, v9, v13
	s_delay_alu instid0(VALU_DEP_1) | instskip(SKIP_1) | instid1(VALU_DEP_1)
	v_add_f32_e32 v15, 1.0, v15
	v_subrev_co_ci_u32_e32 v8, vcc_lo, 0, v8, vcc_lo
	v_sub_nc_u32_e32 v14, 0, v8
	v_cvt_f32_i32_e32 v8, v8
	s_delay_alu instid0(VALU_DEP_2) | instskip(NEXT) | instid1(VALU_DEP_1)
	v_ldexp_f32 v13, v13, v14
	v_add_f32_e32 v17, 1.0, v13
	v_sub_f32_e32 v9, v12, v9
	v_cmp_eq_f32_e32 vcc_lo, 0x7f800000, v12
	v_cmp_gt_f32_e64 s29, 0x33800000, v12
	s_delay_alu instid0(VALU_DEP_3) | instskip(SKIP_1) | instid1(VALU_DEP_3)
	v_add_f32_e32 v9, v9, v15
	v_add_f32_e32 v15, -1.0, v17
	s_or_b32 vcc_lo, s29, vcc_lo
	s_delay_alu instid0(VALU_DEP_2) | instskip(NEXT) | instid1(VALU_DEP_2)
	v_ldexp_f32 v9, v9, v14
	v_dual_add_f32 v14, -1.0, v13 :: v_dual_sub_f32 v15, v13, v15
	s_delay_alu instid0(VALU_DEP_1) | instskip(NEXT) | instid1(VALU_DEP_1)
	v_dual_add_f32 v102, 1.0, v14 :: v_dual_add_f32 v15, v9, v15
	v_sub_f32_e32 v13, v13, v102
	s_delay_alu instid0(VALU_DEP_1) | instskip(NEXT) | instid1(VALU_DEP_1)
	v_add_f32_e32 v9, v9, v13
	v_dual_add_f32 v102, v17, v15 :: v_dual_add_f32 v103, v14, v9
	s_delay_alu instid0(VALU_DEP_1) | instskip(NEXT) | instid1(VALU_DEP_1)
	v_rcp_f32_e32 v13, v102
	v_dual_sub_f32 v17, v17, v102 :: v_dual_sub_f32 v14, v14, v103
	s_delay_alu instid0(VALU_DEP_1) | instskip(SKIP_2) | instid1(VALU_DEP_1)
	v_add_f32_e32 v9, v9, v14
	s_waitcnt_depctr 0xfff
	v_mul_f32_e32 v105, v103, v13
	v_mul_f32_e32 v106, v102, v105
	v_add_f32_e32 v15, v15, v17
	s_delay_alu instid0(VALU_DEP_2) | instskip(NEXT) | instid1(VALU_DEP_1)
	v_fma_f32 v17, v105, v102, -v106
	v_fmac_f32_e32 v17, v105, v15
	s_delay_alu instid0(VALU_DEP_1) | instskip(NEXT) | instid1(VALU_DEP_1)
	v_add_f32_e32 v107, v106, v17
	v_sub_f32_e32 v108, v103, v107
	v_sub_f32_e32 v14, v107, v106
	s_delay_alu instid0(VALU_DEP_1) | instskip(NEXT) | instid1(VALU_DEP_1)
	v_dual_sub_f32 v103, v103, v108 :: v_dual_sub_f32 v14, v14, v17
	v_sub_f32_e32 v103, v103, v107
	s_delay_alu instid0(VALU_DEP_1) | instskip(NEXT) | instid1(VALU_DEP_1)
	v_add_f32_e32 v9, v9, v103
	v_add_f32_e32 v9, v14, v9
	s_delay_alu instid0(VALU_DEP_1) | instskip(NEXT) | instid1(VALU_DEP_1)
	v_add_f32_e32 v14, v108, v9
	v_mul_f32_e32 v17, v13, v14
	v_sub_f32_e32 v107, v108, v14
	s_delay_alu instid0(VALU_DEP_2) | instskip(NEXT) | instid1(VALU_DEP_2)
	v_mul_f32_e32 v103, v102, v17
	v_add_f32_e32 v9, v9, v107
	s_delay_alu instid0(VALU_DEP_2) | instskip(NEXT) | instid1(VALU_DEP_1)
	v_fma_f32 v102, v17, v102, -v103
	v_fmac_f32_e32 v102, v17, v15
	s_delay_alu instid0(VALU_DEP_1) | instskip(NEXT) | instid1(VALU_DEP_1)
	v_add_f32_e32 v15, v103, v102
	v_sub_f32_e32 v106, v14, v15
	s_delay_alu instid0(VALU_DEP_1) | instskip(NEXT) | instid1(VALU_DEP_1)
	v_dual_sub_f32 v103, v15, v103 :: v_dual_sub_f32 v14, v14, v106
	v_dual_sub_f32 v14, v14, v15 :: v_dual_sub_f32 v15, v103, v102
	s_delay_alu instid0(VALU_DEP_1) | instskip(SKIP_1) | instid1(VALU_DEP_2)
	v_add_f32_e32 v9, v9, v14
	v_add_f32_e32 v14, v105, v17
	v_add_f32_e32 v9, v15, v9
	s_delay_alu instid0(VALU_DEP_2) | instskip(NEXT) | instid1(VALU_DEP_2)
	v_sub_f32_e32 v15, v14, v105
	v_add_f32_e32 v9, v106, v9
	s_delay_alu instid0(VALU_DEP_2) | instskip(NEXT) | instid1(VALU_DEP_2)
	v_sub_f32_e32 v15, v17, v15
	v_mul_f32_e32 v9, v13, v9
	s_delay_alu instid0(VALU_DEP_1) | instskip(NEXT) | instid1(VALU_DEP_1)
	v_add_f32_e32 v9, v15, v9
	v_add_f32_e32 v13, v14, v9
	s_delay_alu instid0(VALU_DEP_1) | instskip(NEXT) | instid1(VALU_DEP_1)
	v_mul_f32_e32 v15, v13, v13
	v_fmaak_f32 v17, s84, v15, 0x3ecc95a3
	s_delay_alu instid0(VALU_DEP_1) | instskip(SKIP_2) | instid1(VALU_DEP_3)
	v_dual_mul_f32 v102, v13, v15 :: v_dual_fmaak_f32 v15, v15, v17, 0x3f2aaada
	v_ldexp_f32 v17, v13, 1
	v_sub_f32_e32 v13, v13, v14
	v_dual_mul_f32 v15, v102, v15 :: v_dual_mul_f32 v102, 0x3f317218, v8
	s_delay_alu instid0(VALU_DEP_2) | instskip(NEXT) | instid1(VALU_DEP_2)
	v_sub_f32_e32 v9, v9, v13
	v_add_f32_e32 v14, v17, v15
	s_delay_alu instid0(VALU_DEP_2) | instskip(NEXT) | instid1(VALU_DEP_2)
	v_ldexp_f32 v9, v9, 1
	v_sub_f32_e32 v13, v14, v17
	v_fma_f32 v17, 0x3f317218, v8, -v102
	s_delay_alu instid0(VALU_DEP_2) | instskip(NEXT) | instid1(VALU_DEP_1)
	v_sub_f32_e32 v13, v15, v13
	v_dual_fmac_f32 v17, 0xb102e308, v8 :: v_dual_add_f32 v8, v9, v13
	s_delay_alu instid0(VALU_DEP_1) | instskip(NEXT) | instid1(VALU_DEP_1)
	v_add_f32_e32 v9, v102, v17
	v_dual_add_f32 v13, v14, v8 :: v_dual_sub_f32 v102, v9, v102
	s_delay_alu instid0(VALU_DEP_1) | instskip(SKIP_1) | instid1(VALU_DEP_3)
	v_add_f32_e32 v15, v9, v13
	v_sub_f32_e32 v14, v13, v14
	v_sub_f32_e32 v17, v17, v102
	s_delay_alu instid0(VALU_DEP_2) | instskip(NEXT) | instid1(VALU_DEP_1)
	v_dual_sub_f32 v103, v15, v9 :: v_dual_sub_f32 v8, v8, v14
	v_sub_f32_e32 v105, v15, v103
	v_sub_f32_e32 v13, v13, v103
	s_delay_alu instid0(VALU_DEP_3) | instskip(NEXT) | instid1(VALU_DEP_3)
	v_add_f32_e32 v14, v17, v8
	v_sub_f32_e32 v9, v9, v105
	s_delay_alu instid0(VALU_DEP_1) | instskip(NEXT) | instid1(VALU_DEP_3)
	v_add_f32_e32 v9, v13, v9
	v_sub_f32_e32 v13, v14, v17
	s_delay_alu instid0(VALU_DEP_2) | instskip(NEXT) | instid1(VALU_DEP_2)
	v_add_f32_e32 v9, v14, v9
	v_sub_f32_e32 v14, v14, v13
	v_sub_f32_e32 v8, v8, v13
	s_delay_alu instid0(VALU_DEP_3) | instskip(NEXT) | instid1(VALU_DEP_1)
	v_add_f32_e32 v102, v15, v9
	v_dual_sub_f32 v14, v17, v14 :: v_dual_sub_f32 v13, v102, v15
	s_delay_alu instid0(VALU_DEP_1) | instskip(NEXT) | instid1(VALU_DEP_1)
	v_dual_add_f32 v8, v8, v14 :: v_dual_sub_f32 v9, v9, v13
	v_add_f32_e32 v8, v8, v9
	s_delay_alu instid0(VALU_DEP_1) | instskip(NEXT) | instid1(VALU_DEP_1)
	v_add_f32_e32 v8, v102, v8
	v_cndmask_b32_e32 v121, v8, v12, vcc_lo
.LBB125_98:                             ;   in Loop: Header=BB125_12 Depth=1
	s_or_b32 exec_lo, exec_lo, s30
	v_cvt_f32_f16_e32 v8, v10
	s_delay_alu instid0(VALU_DEP_1) | instskip(NEXT) | instid1(VALU_DEP_1)
	v_add_f32_e32 v122, s69, v8
	v_cmp_ge_f32_e32 vcc_lo, 0x41a00000, v122
	s_and_b32 s29, s80, vcc_lo
	s_delay_alu instid0(SALU_CYCLE_1)
	s_and_saveexec_b32 s30, s29
	s_cbranch_execz .LBB125_100
; %bb.99:                               ;   in Loop: Header=BB125_12 Depth=1
	v_mul_f32_e32 v8, 0x3fb8aa3b, v122
	v_cmp_ngt_f32_e32 vcc_lo, 0xc2ce8ed0, v122
	s_delay_alu instid0(VALU_DEP_2) | instskip(SKIP_1) | instid1(VALU_DEP_2)
	v_rndne_f32_e32 v9, v8
	v_fma_f32 v12, 0x3fb8aa3b, v122, -v8
	v_sub_f32_e32 v8, v8, v9
	s_delay_alu instid0(VALU_DEP_2) | instskip(SKIP_1) | instid1(VALU_DEP_2)
	v_fmac_f32_e32 v12, 0x32a5705f, v122
	v_cvt_i32_f32_e32 v9, v9
	v_add_f32_e32 v8, v8, v12
	s_delay_alu instid0(VALU_DEP_1) | instskip(SKIP_2) | instid1(VALU_DEP_1)
	v_exp_f32_e32 v8, v8
	s_waitcnt_depctr 0xfff
	v_ldexp_f32 v8, v8, v9
	v_cndmask_b32_e32 v8, 0, v8, vcc_lo
	v_cmp_nlt_f32_e32 vcc_lo, 0x42b17218, v122
	s_delay_alu instid0(VALU_DEP_2) | instskip(NEXT) | instid1(VALU_DEP_1)
	v_cndmask_b32_e32 v12, 0x7f800000, v8, vcc_lo
	v_add_f32_e32 v13, 1.0, v12
	s_delay_alu instid0(VALU_DEP_1) | instskip(NEXT) | instid1(VALU_DEP_1)
	v_cvt_f64_f32_e32 v[8:9], v13
	v_frexp_exp_i32_f64_e32 v8, v[8:9]
	v_frexp_mant_f32_e32 v9, v13
	s_delay_alu instid0(VALU_DEP_1) | instskip(SKIP_1) | instid1(VALU_DEP_1)
	v_cmp_gt_f32_e32 vcc_lo, 0x3f2aaaab, v9
	v_add_f32_e32 v9, -1.0, v13
	v_sub_f32_e32 v15, v9, v13
	s_delay_alu instid0(VALU_DEP_1) | instskip(SKIP_1) | instid1(VALU_DEP_1)
	v_add_f32_e32 v15, 1.0, v15
	v_subrev_co_ci_u32_e32 v8, vcc_lo, 0, v8, vcc_lo
	v_sub_nc_u32_e32 v14, 0, v8
	v_cvt_f32_i32_e32 v8, v8
	s_delay_alu instid0(VALU_DEP_2) | instskip(NEXT) | instid1(VALU_DEP_1)
	v_ldexp_f32 v13, v13, v14
	v_add_f32_e32 v17, 1.0, v13
	v_sub_f32_e32 v9, v12, v9
	v_cmp_eq_f32_e32 vcc_lo, 0x7f800000, v12
	v_cmp_gt_f32_e64 s29, 0x33800000, v12
	s_delay_alu instid0(VALU_DEP_3) | instskip(NEXT) | instid1(VALU_DEP_2)
	v_add_f32_e32 v9, v9, v15
	s_or_b32 vcc_lo, s29, vcc_lo
	s_delay_alu instid0(VALU_DEP_1) | instskip(SKIP_1) | instid1(VALU_DEP_1)
	v_ldexp_f32 v9, v9, v14
	v_add_f32_e32 v14, -1.0, v13
	v_dual_add_f32 v15, -1.0, v17 :: v_dual_add_f32 v102, 1.0, v14
	s_delay_alu instid0(VALU_DEP_1) | instskip(NEXT) | instid1(VALU_DEP_2)
	v_sub_f32_e32 v15, v13, v15
	v_sub_f32_e32 v13, v13, v102
	s_delay_alu instid0(VALU_DEP_2) | instskip(NEXT) | instid1(VALU_DEP_2)
	v_add_f32_e32 v15, v9, v15
	v_add_f32_e32 v9, v9, v13
	s_delay_alu instid0(VALU_DEP_1) | instskip(NEXT) | instid1(VALU_DEP_1)
	v_dual_add_f32 v102, v17, v15 :: v_dual_add_f32 v103, v14, v9
	v_rcp_f32_e32 v13, v102
	s_delay_alu instid0(VALU_DEP_1) | instskip(NEXT) | instid1(VALU_DEP_1)
	v_dual_sub_f32 v17, v17, v102 :: v_dual_sub_f32 v14, v14, v103
	v_add_f32_e32 v15, v15, v17
	s_delay_alu instid0(VALU_DEP_2) | instskip(SKIP_2) | instid1(VALU_DEP_1)
	v_add_f32_e32 v9, v9, v14
	s_waitcnt_depctr 0xfff
	v_mul_f32_e32 v105, v103, v13
	v_mul_f32_e32 v106, v102, v105
	s_delay_alu instid0(VALU_DEP_1) | instskip(NEXT) | instid1(VALU_DEP_1)
	v_fma_f32 v17, v105, v102, -v106
	v_fmac_f32_e32 v17, v105, v15
	s_delay_alu instid0(VALU_DEP_1) | instskip(NEXT) | instid1(VALU_DEP_1)
	v_add_f32_e32 v107, v106, v17
	v_sub_f32_e32 v108, v103, v107
	v_sub_f32_e32 v14, v107, v106
	s_delay_alu instid0(VALU_DEP_1) | instskip(NEXT) | instid1(VALU_DEP_1)
	v_dual_sub_f32 v103, v103, v108 :: v_dual_sub_f32 v14, v14, v17
	v_sub_f32_e32 v103, v103, v107
	s_delay_alu instid0(VALU_DEP_1) | instskip(NEXT) | instid1(VALU_DEP_1)
	v_add_f32_e32 v9, v9, v103
	v_add_f32_e32 v9, v14, v9
	s_delay_alu instid0(VALU_DEP_1) | instskip(NEXT) | instid1(VALU_DEP_1)
	v_add_f32_e32 v14, v108, v9
	v_mul_f32_e32 v17, v13, v14
	v_sub_f32_e32 v107, v108, v14
	s_delay_alu instid0(VALU_DEP_2) | instskip(NEXT) | instid1(VALU_DEP_2)
	v_mul_f32_e32 v103, v102, v17
	v_add_f32_e32 v9, v9, v107
	s_delay_alu instid0(VALU_DEP_2) | instskip(NEXT) | instid1(VALU_DEP_1)
	v_fma_f32 v102, v17, v102, -v103
	v_fmac_f32_e32 v102, v17, v15
	s_delay_alu instid0(VALU_DEP_1) | instskip(NEXT) | instid1(VALU_DEP_1)
	v_add_f32_e32 v15, v103, v102
	v_sub_f32_e32 v106, v14, v15
	s_delay_alu instid0(VALU_DEP_1) | instskip(NEXT) | instid1(VALU_DEP_1)
	v_dual_sub_f32 v103, v15, v103 :: v_dual_sub_f32 v14, v14, v106
	v_dual_sub_f32 v14, v14, v15 :: v_dual_sub_f32 v15, v103, v102
	s_delay_alu instid0(VALU_DEP_1) | instskip(SKIP_1) | instid1(VALU_DEP_2)
	v_add_f32_e32 v9, v9, v14
	v_add_f32_e32 v14, v105, v17
	;; [unrolled: 1-line block ×3, first 2 shown]
	s_delay_alu instid0(VALU_DEP_2) | instskip(NEXT) | instid1(VALU_DEP_2)
	v_sub_f32_e32 v15, v14, v105
	v_add_f32_e32 v9, v106, v9
	s_delay_alu instid0(VALU_DEP_2) | instskip(NEXT) | instid1(VALU_DEP_2)
	v_sub_f32_e32 v15, v17, v15
	v_mul_f32_e32 v9, v13, v9
	s_delay_alu instid0(VALU_DEP_1) | instskip(NEXT) | instid1(VALU_DEP_1)
	v_add_f32_e32 v9, v15, v9
	v_add_f32_e32 v13, v14, v9
	s_delay_alu instid0(VALU_DEP_1) | instskip(NEXT) | instid1(VALU_DEP_1)
	v_mul_f32_e32 v15, v13, v13
	v_fmaak_f32 v17, s84, v15, 0x3ecc95a3
	s_delay_alu instid0(VALU_DEP_1) | instskip(SKIP_2) | instid1(VALU_DEP_3)
	v_dual_mul_f32 v102, v13, v15 :: v_dual_fmaak_f32 v15, v15, v17, 0x3f2aaada
	v_ldexp_f32 v17, v13, 1
	v_sub_f32_e32 v13, v13, v14
	v_dual_mul_f32 v15, v102, v15 :: v_dual_mul_f32 v102, 0x3f317218, v8
	s_delay_alu instid0(VALU_DEP_2) | instskip(NEXT) | instid1(VALU_DEP_2)
	v_sub_f32_e32 v9, v9, v13
	v_add_f32_e32 v14, v17, v15
	s_delay_alu instid0(VALU_DEP_2) | instskip(NEXT) | instid1(VALU_DEP_2)
	v_ldexp_f32 v9, v9, 1
	v_sub_f32_e32 v13, v14, v17
	v_fma_f32 v17, 0x3f317218, v8, -v102
	s_delay_alu instid0(VALU_DEP_2) | instskip(NEXT) | instid1(VALU_DEP_1)
	v_sub_f32_e32 v13, v15, v13
	v_dual_fmac_f32 v17, 0xb102e308, v8 :: v_dual_add_f32 v8, v9, v13
	s_delay_alu instid0(VALU_DEP_1) | instskip(NEXT) | instid1(VALU_DEP_1)
	v_add_f32_e32 v9, v102, v17
	v_dual_add_f32 v13, v14, v8 :: v_dual_sub_f32 v102, v9, v102
	s_delay_alu instid0(VALU_DEP_1) | instskip(SKIP_1) | instid1(VALU_DEP_3)
	v_add_f32_e32 v15, v9, v13
	v_sub_f32_e32 v14, v13, v14
	v_sub_f32_e32 v17, v17, v102
	s_delay_alu instid0(VALU_DEP_2) | instskip(NEXT) | instid1(VALU_DEP_1)
	v_dual_sub_f32 v103, v15, v9 :: v_dual_sub_f32 v8, v8, v14
	v_sub_f32_e32 v105, v15, v103
	v_sub_f32_e32 v13, v13, v103
	s_delay_alu instid0(VALU_DEP_3) | instskip(NEXT) | instid1(VALU_DEP_3)
	v_add_f32_e32 v14, v17, v8
	v_sub_f32_e32 v9, v9, v105
	s_delay_alu instid0(VALU_DEP_1) | instskip(NEXT) | instid1(VALU_DEP_3)
	v_add_f32_e32 v9, v13, v9
	v_sub_f32_e32 v13, v14, v17
	s_delay_alu instid0(VALU_DEP_2) | instskip(NEXT) | instid1(VALU_DEP_2)
	v_add_f32_e32 v9, v14, v9
	v_sub_f32_e32 v14, v14, v13
	v_sub_f32_e32 v8, v8, v13
	s_delay_alu instid0(VALU_DEP_3) | instskip(NEXT) | instid1(VALU_DEP_1)
	v_add_f32_e32 v102, v15, v9
	v_dual_sub_f32 v14, v17, v14 :: v_dual_sub_f32 v13, v102, v15
	s_delay_alu instid0(VALU_DEP_1) | instskip(NEXT) | instid1(VALU_DEP_1)
	v_dual_add_f32 v8, v8, v14 :: v_dual_sub_f32 v9, v9, v13
	v_add_f32_e32 v8, v8, v9
	s_delay_alu instid0(VALU_DEP_1) | instskip(NEXT) | instid1(VALU_DEP_1)
	v_add_f32_e32 v8, v102, v8
	v_cndmask_b32_e32 v122, v8, v12, vcc_lo
.LBB125_100:                            ;   in Loop: Header=BB125_12 Depth=1
	s_or_b32 exec_lo, exec_lo, s30
	v_lshrrev_b32_e32 v8, 16, v10
	s_delay_alu instid0(VALU_DEP_1) | instskip(NEXT) | instid1(VALU_DEP_1)
	v_cvt_f32_f16_e32 v8, v8
	v_add_f32_e32 v123, s69, v8
	s_delay_alu instid0(VALU_DEP_1) | instskip(SKIP_1) | instid1(SALU_CYCLE_1)
	v_cmp_ge_f32_e32 vcc_lo, 0x41a00000, v123
	s_and_b32 s29, s80, vcc_lo
	s_and_saveexec_b32 s30, s29
	s_cbranch_execz .LBB125_102
; %bb.101:                              ;   in Loop: Header=BB125_12 Depth=1
	v_mul_f32_e32 v8, 0x3fb8aa3b, v123
	v_cmp_ngt_f32_e32 vcc_lo, 0xc2ce8ed0, v123
	s_delay_alu instid0(VALU_DEP_2) | instskip(SKIP_1) | instid1(VALU_DEP_2)
	v_rndne_f32_e32 v9, v8
	v_fma_f32 v10, 0x3fb8aa3b, v123, -v8
	v_sub_f32_e32 v8, v8, v9
	s_delay_alu instid0(VALU_DEP_2) | instskip(SKIP_1) | instid1(VALU_DEP_2)
	v_fmac_f32_e32 v10, 0x32a5705f, v123
	v_cvt_i32_f32_e32 v9, v9
	v_add_f32_e32 v8, v8, v10
	s_delay_alu instid0(VALU_DEP_1) | instskip(SKIP_2) | instid1(VALU_DEP_1)
	v_exp_f32_e32 v8, v8
	s_waitcnt_depctr 0xfff
	v_ldexp_f32 v8, v8, v9
	v_cndmask_b32_e32 v8, 0, v8, vcc_lo
	v_cmp_nlt_f32_e32 vcc_lo, 0x42b17218, v123
	s_delay_alu instid0(VALU_DEP_2) | instskip(NEXT) | instid1(VALU_DEP_1)
	v_cndmask_b32_e32 v10, 0x7f800000, v8, vcc_lo
	v_add_f32_e32 v12, 1.0, v10
	s_delay_alu instid0(VALU_DEP_1) | instskip(NEXT) | instid1(VALU_DEP_1)
	v_cvt_f64_f32_e32 v[8:9], v12
	v_frexp_exp_i32_f64_e32 v8, v[8:9]
	v_frexp_mant_f32_e32 v9, v12
	s_delay_alu instid0(VALU_DEP_1) | instskip(SKIP_1) | instid1(VALU_DEP_1)
	v_cmp_gt_f32_e32 vcc_lo, 0x3f2aaaab, v9
	v_add_f32_e32 v9, -1.0, v12
	v_dual_sub_f32 v14, v9, v12 :: v_dual_sub_f32 v9, v10, v9
	v_subrev_co_ci_u32_e32 v8, vcc_lo, 0, v8, vcc_lo
	s_delay_alu instid0(VALU_DEP_1) | instskip(SKIP_1) | instid1(VALU_DEP_2)
	v_sub_nc_u32_e32 v13, 0, v8
	v_cvt_f32_i32_e32 v8, v8
	v_ldexp_f32 v12, v12, v13
	s_delay_alu instid0(VALU_DEP_1) | instskip(NEXT) | instid1(VALU_DEP_1)
	v_dual_add_f32 v14, 1.0, v14 :: v_dual_add_f32 v15, 1.0, v12
	v_add_f32_e32 v9, v9, v14
	s_delay_alu instid0(VALU_DEP_1) | instskip(NEXT) | instid1(VALU_DEP_3)
	v_ldexp_f32 v9, v9, v13
	v_dual_add_f32 v13, -1.0, v12 :: v_dual_add_f32 v14, -1.0, v15
	s_delay_alu instid0(VALU_DEP_1) | instskip(NEXT) | instid1(VALU_DEP_1)
	v_dual_add_f32 v17, 1.0, v13 :: v_dual_sub_f32 v14, v12, v14
	v_sub_f32_e32 v12, v12, v17
	s_delay_alu instid0(VALU_DEP_2) | instskip(NEXT) | instid1(VALU_DEP_2)
	v_add_f32_e32 v14, v9, v14
	v_add_f32_e32 v9, v9, v12
	s_delay_alu instid0(VALU_DEP_2) | instskip(SKIP_2) | instid1(VALU_DEP_3)
	v_add_f32_e32 v17, v15, v14
	v_cmp_eq_f32_e32 vcc_lo, 0x7f800000, v10
	v_cmp_gt_f32_e64 s29, 0x33800000, v10
	v_rcp_f32_e32 v12, v17
	v_sub_f32_e32 v15, v15, v17
	s_delay_alu instid0(VALU_DEP_2) | instskip(NEXT) | instid1(VALU_DEP_1)
	s_or_b32 vcc_lo, s29, vcc_lo
	v_add_f32_e32 v14, v14, v15
	v_add_f32_e32 v102, v13, v9
	s_waitcnt_depctr 0xfff
	v_mul_f32_e32 v103, v102, v12
	s_delay_alu instid0(VALU_DEP_1) | instskip(NEXT) | instid1(VALU_DEP_1)
	v_mul_f32_e32 v105, v17, v103
	v_fma_f32 v15, v103, v17, -v105
	s_delay_alu instid0(VALU_DEP_1) | instskip(SKIP_1) | instid1(VALU_DEP_2)
	v_fmac_f32_e32 v15, v103, v14
	v_sub_f32_e32 v13, v13, v102
	v_add_f32_e32 v106, v105, v15
	s_delay_alu instid0(VALU_DEP_2) | instskip(NEXT) | instid1(VALU_DEP_2)
	v_add_f32_e32 v9, v9, v13
	v_sub_f32_e32 v107, v102, v106
	v_sub_f32_e32 v13, v106, v105
	s_delay_alu instid0(VALU_DEP_2) | instskip(NEXT) | instid1(VALU_DEP_1)
	v_sub_f32_e32 v102, v102, v107
	v_dual_sub_f32 v13, v13, v15 :: v_dual_sub_f32 v102, v102, v106
	s_delay_alu instid0(VALU_DEP_1) | instskip(NEXT) | instid1(VALU_DEP_1)
	v_add_f32_e32 v9, v9, v102
	v_add_f32_e32 v9, v13, v9
	s_delay_alu instid0(VALU_DEP_1) | instskip(NEXT) | instid1(VALU_DEP_1)
	v_add_f32_e32 v13, v107, v9
	v_mul_f32_e32 v15, v12, v13
	v_sub_f32_e32 v106, v107, v13
	s_delay_alu instid0(VALU_DEP_2) | instskip(NEXT) | instid1(VALU_DEP_1)
	v_mul_f32_e32 v102, v17, v15
	v_fma_f32 v17, v15, v17, -v102
	s_delay_alu instid0(VALU_DEP_1) | instskip(NEXT) | instid1(VALU_DEP_1)
	v_fmac_f32_e32 v17, v15, v14
	v_add_f32_e32 v14, v102, v17
	s_delay_alu instid0(VALU_DEP_1) | instskip(SKIP_2) | instid1(VALU_DEP_3)
	v_sub_f32_e32 v105, v13, v14
	v_sub_f32_e32 v102, v14, v102
	v_add_f32_e32 v9, v9, v106
	v_sub_f32_e32 v13, v13, v105
	s_delay_alu instid0(VALU_DEP_1) | instskip(NEXT) | instid1(VALU_DEP_1)
	v_dual_sub_f32 v13, v13, v14 :: v_dual_sub_f32 v14, v102, v17
	v_add_f32_e32 v9, v9, v13
	v_add_f32_e32 v13, v103, v15
	s_delay_alu instid0(VALU_DEP_1) | instskip(NEXT) | instid1(VALU_DEP_1)
	v_dual_add_f32 v9, v14, v9 :: v_dual_sub_f32 v14, v13, v103
	v_dual_add_f32 v9, v105, v9 :: v_dual_sub_f32 v14, v15, v14
	s_delay_alu instid0(VALU_DEP_1) | instskip(NEXT) | instid1(VALU_DEP_1)
	v_mul_f32_e32 v9, v12, v9
	v_add_f32_e32 v9, v14, v9
	s_delay_alu instid0(VALU_DEP_1) | instskip(NEXT) | instid1(VALU_DEP_1)
	v_add_f32_e32 v12, v13, v9
	v_mul_f32_e32 v14, v12, v12
	s_delay_alu instid0(VALU_DEP_1) | instskip(NEXT) | instid1(VALU_DEP_1)
	v_fmaak_f32 v15, s84, v14, 0x3ecc95a3
	v_dual_mul_f32 v17, v12, v14 :: v_dual_fmaak_f32 v14, v14, v15, 0x3f2aaada
	v_ldexp_f32 v15, v12, 1
	s_delay_alu instid0(VALU_DEP_2) | instskip(SKIP_1) | instid1(VALU_DEP_2)
	v_mul_f32_e32 v14, v17, v14
	v_dual_sub_f32 v12, v12, v13 :: v_dual_mul_f32 v17, 0x3f317218, v8
	v_add_f32_e32 v13, v15, v14
	s_delay_alu instid0(VALU_DEP_2) | instskip(NEXT) | instid1(VALU_DEP_2)
	v_sub_f32_e32 v9, v9, v12
	v_sub_f32_e32 v12, v13, v15
	s_delay_alu instid0(VALU_DEP_4) | instskip(NEXT) | instid1(VALU_DEP_3)
	v_fma_f32 v15, 0x3f317218, v8, -v17
	v_ldexp_f32 v9, v9, 1
	s_delay_alu instid0(VALU_DEP_3) | instskip(NEXT) | instid1(VALU_DEP_3)
	v_sub_f32_e32 v12, v14, v12
	v_fmac_f32_e32 v15, 0xb102e308, v8
	s_delay_alu instid0(VALU_DEP_2) | instskip(NEXT) | instid1(VALU_DEP_1)
	v_add_f32_e32 v8, v9, v12
	v_add_f32_e32 v12, v13, v8
	s_delay_alu instid0(VALU_DEP_1) | instskip(NEXT) | instid1(VALU_DEP_1)
	v_sub_f32_e32 v13, v12, v13
	v_dual_sub_f32 v8, v8, v13 :: v_dual_add_f32 v9, v17, v15
	s_delay_alu instid0(VALU_DEP_1) | instskip(NEXT) | instid1(VALU_DEP_1)
	v_add_f32_e32 v14, v9, v12
	v_sub_f32_e32 v102, v14, v9
	s_delay_alu instid0(VALU_DEP_1) | instskip(NEXT) | instid1(VALU_DEP_1)
	v_dual_sub_f32 v17, v9, v17 :: v_dual_sub_f32 v12, v12, v102
	v_sub_f32_e32 v15, v15, v17
	s_delay_alu instid0(VALU_DEP_1) | instskip(SKIP_1) | instid1(VALU_DEP_1)
	v_add_f32_e32 v13, v15, v8
	v_sub_f32_e32 v103, v14, v102
	v_sub_f32_e32 v9, v9, v103
	s_delay_alu instid0(VALU_DEP_1) | instskip(NEXT) | instid1(VALU_DEP_1)
	v_dual_add_f32 v9, v12, v9 :: v_dual_sub_f32 v12, v13, v15
	v_add_f32_e32 v9, v13, v9
	s_delay_alu instid0(VALU_DEP_2) | instskip(NEXT) | instid1(VALU_DEP_2)
	v_sub_f32_e32 v13, v13, v12
	v_dual_sub_f32 v8, v8, v12 :: v_dual_add_f32 v17, v14, v9
	s_delay_alu instid0(VALU_DEP_1) | instskip(NEXT) | instid1(VALU_DEP_1)
	v_dual_sub_f32 v13, v15, v13 :: v_dual_sub_f32 v12, v17, v14
	v_dual_add_f32 v8, v8, v13 :: v_dual_sub_f32 v9, v9, v12
	s_delay_alu instid0(VALU_DEP_1) | instskip(NEXT) | instid1(VALU_DEP_1)
	v_add_f32_e32 v8, v8, v9
	v_add_f32_e32 v8, v17, v8
	s_delay_alu instid0(VALU_DEP_1)
	v_cndmask_b32_e32 v123, v8, v10, vcc_lo
.LBB125_102:                            ;   in Loop: Header=BB125_12 Depth=1
	s_or_b32 exec_lo, exec_lo, s30
	v_cvt_f32_f16_e32 v8, v11
	s_delay_alu instid0(VALU_DEP_1) | instskip(NEXT) | instid1(VALU_DEP_1)
	v_add_f32_e32 v124, s69, v8
	v_cmp_ge_f32_e32 vcc_lo, 0x41a00000, v124
	s_and_b32 s29, s80, vcc_lo
	s_delay_alu instid0(SALU_CYCLE_1)
	s_and_saveexec_b32 s30, s29
	s_cbranch_execz .LBB125_104
; %bb.103:                              ;   in Loop: Header=BB125_12 Depth=1
	v_mul_f32_e32 v8, 0x3fb8aa3b, v124
	v_cmp_ngt_f32_e32 vcc_lo, 0xc2ce8ed0, v124
	s_delay_alu instid0(VALU_DEP_2) | instskip(SKIP_1) | instid1(VALU_DEP_2)
	v_rndne_f32_e32 v9, v8
	v_fma_f32 v10, 0x3fb8aa3b, v124, -v8
	v_sub_f32_e32 v8, v8, v9
	s_delay_alu instid0(VALU_DEP_2) | instskip(SKIP_1) | instid1(VALU_DEP_2)
	v_fmac_f32_e32 v10, 0x32a5705f, v124
	v_cvt_i32_f32_e32 v9, v9
	v_add_f32_e32 v8, v8, v10
	s_delay_alu instid0(VALU_DEP_1) | instskip(SKIP_2) | instid1(VALU_DEP_1)
	v_exp_f32_e32 v8, v8
	s_waitcnt_depctr 0xfff
	v_ldexp_f32 v8, v8, v9
	v_cndmask_b32_e32 v8, 0, v8, vcc_lo
	v_cmp_nlt_f32_e32 vcc_lo, 0x42b17218, v124
	s_delay_alu instid0(VALU_DEP_2) | instskip(NEXT) | instid1(VALU_DEP_1)
	v_cndmask_b32_e32 v10, 0x7f800000, v8, vcc_lo
	v_add_f32_e32 v12, 1.0, v10
	s_delay_alu instid0(VALU_DEP_1) | instskip(NEXT) | instid1(VALU_DEP_1)
	v_cvt_f64_f32_e32 v[8:9], v12
	v_frexp_exp_i32_f64_e32 v8, v[8:9]
	v_frexp_mant_f32_e32 v9, v12
	s_delay_alu instid0(VALU_DEP_1) | instskip(SKIP_1) | instid1(VALU_DEP_1)
	v_cmp_gt_f32_e32 vcc_lo, 0x3f2aaaab, v9
	v_add_f32_e32 v9, -1.0, v12
	v_dual_sub_f32 v14, v9, v12 :: v_dual_sub_f32 v9, v10, v9
	v_subrev_co_ci_u32_e32 v8, vcc_lo, 0, v8, vcc_lo
	s_delay_alu instid0(VALU_DEP_1) | instskip(SKIP_1) | instid1(VALU_DEP_2)
	v_sub_nc_u32_e32 v13, 0, v8
	v_cvt_f32_i32_e32 v8, v8
	v_ldexp_f32 v12, v12, v13
	s_delay_alu instid0(VALU_DEP_1) | instskip(NEXT) | instid1(VALU_DEP_1)
	v_dual_add_f32 v14, 1.0, v14 :: v_dual_add_f32 v15, 1.0, v12
	v_add_f32_e32 v9, v9, v14
	s_delay_alu instid0(VALU_DEP_1) | instskip(NEXT) | instid1(VALU_DEP_3)
	v_ldexp_f32 v9, v9, v13
	v_dual_add_f32 v13, -1.0, v12 :: v_dual_add_f32 v14, -1.0, v15
	s_delay_alu instid0(VALU_DEP_1) | instskip(NEXT) | instid1(VALU_DEP_1)
	v_dual_add_f32 v17, 1.0, v13 :: v_dual_sub_f32 v14, v12, v14
	v_sub_f32_e32 v12, v12, v17
	s_delay_alu instid0(VALU_DEP_2) | instskip(NEXT) | instid1(VALU_DEP_2)
	v_add_f32_e32 v14, v9, v14
	v_add_f32_e32 v9, v9, v12
	s_delay_alu instid0(VALU_DEP_2) | instskip(SKIP_2) | instid1(VALU_DEP_3)
	v_add_f32_e32 v17, v15, v14
	v_cmp_eq_f32_e32 vcc_lo, 0x7f800000, v10
	v_cmp_gt_f32_e64 s29, 0x33800000, v10
	v_rcp_f32_e32 v12, v17
	v_sub_f32_e32 v15, v15, v17
	s_delay_alu instid0(VALU_DEP_2) | instskip(NEXT) | instid1(VALU_DEP_1)
	s_or_b32 vcc_lo, s29, vcc_lo
	v_add_f32_e32 v14, v14, v15
	v_add_f32_e32 v102, v13, v9
	s_waitcnt_depctr 0xfff
	v_mul_f32_e32 v103, v102, v12
	s_delay_alu instid0(VALU_DEP_1) | instskip(NEXT) | instid1(VALU_DEP_1)
	v_mul_f32_e32 v105, v17, v103
	v_fma_f32 v15, v103, v17, -v105
	s_delay_alu instid0(VALU_DEP_1) | instskip(SKIP_1) | instid1(VALU_DEP_2)
	v_fmac_f32_e32 v15, v103, v14
	v_sub_f32_e32 v13, v13, v102
	v_add_f32_e32 v106, v105, v15
	s_delay_alu instid0(VALU_DEP_2) | instskip(NEXT) | instid1(VALU_DEP_2)
	v_add_f32_e32 v9, v9, v13
	v_sub_f32_e32 v107, v102, v106
	v_sub_f32_e32 v13, v106, v105
	s_delay_alu instid0(VALU_DEP_2) | instskip(NEXT) | instid1(VALU_DEP_1)
	v_sub_f32_e32 v102, v102, v107
	v_dual_sub_f32 v13, v13, v15 :: v_dual_sub_f32 v102, v102, v106
	s_delay_alu instid0(VALU_DEP_1) | instskip(NEXT) | instid1(VALU_DEP_1)
	v_add_f32_e32 v9, v9, v102
	v_add_f32_e32 v9, v13, v9
	s_delay_alu instid0(VALU_DEP_1) | instskip(NEXT) | instid1(VALU_DEP_1)
	v_add_f32_e32 v13, v107, v9
	v_mul_f32_e32 v15, v12, v13
	v_sub_f32_e32 v106, v107, v13
	s_delay_alu instid0(VALU_DEP_2) | instskip(NEXT) | instid1(VALU_DEP_1)
	v_mul_f32_e32 v102, v17, v15
	v_fma_f32 v17, v15, v17, -v102
	s_delay_alu instid0(VALU_DEP_1) | instskip(NEXT) | instid1(VALU_DEP_1)
	v_fmac_f32_e32 v17, v15, v14
	v_add_f32_e32 v14, v102, v17
	s_delay_alu instid0(VALU_DEP_1) | instskip(SKIP_2) | instid1(VALU_DEP_3)
	v_sub_f32_e32 v105, v13, v14
	v_sub_f32_e32 v102, v14, v102
	v_add_f32_e32 v9, v9, v106
	v_sub_f32_e32 v13, v13, v105
	s_delay_alu instid0(VALU_DEP_1) | instskip(NEXT) | instid1(VALU_DEP_1)
	v_dual_sub_f32 v13, v13, v14 :: v_dual_sub_f32 v14, v102, v17
	v_add_f32_e32 v9, v9, v13
	v_add_f32_e32 v13, v103, v15
	s_delay_alu instid0(VALU_DEP_1) | instskip(NEXT) | instid1(VALU_DEP_1)
	v_dual_add_f32 v9, v14, v9 :: v_dual_sub_f32 v14, v13, v103
	v_dual_add_f32 v9, v105, v9 :: v_dual_sub_f32 v14, v15, v14
	s_delay_alu instid0(VALU_DEP_1) | instskip(NEXT) | instid1(VALU_DEP_1)
	v_mul_f32_e32 v9, v12, v9
	v_add_f32_e32 v9, v14, v9
	s_delay_alu instid0(VALU_DEP_1) | instskip(NEXT) | instid1(VALU_DEP_1)
	v_add_f32_e32 v12, v13, v9
	v_mul_f32_e32 v14, v12, v12
	s_delay_alu instid0(VALU_DEP_1) | instskip(NEXT) | instid1(VALU_DEP_1)
	v_fmaak_f32 v15, s84, v14, 0x3ecc95a3
	v_dual_mul_f32 v17, v12, v14 :: v_dual_fmaak_f32 v14, v14, v15, 0x3f2aaada
	v_ldexp_f32 v15, v12, 1
	s_delay_alu instid0(VALU_DEP_2) | instskip(SKIP_1) | instid1(VALU_DEP_2)
	v_mul_f32_e32 v14, v17, v14
	v_dual_sub_f32 v12, v12, v13 :: v_dual_mul_f32 v17, 0x3f317218, v8
	v_add_f32_e32 v13, v15, v14
	s_delay_alu instid0(VALU_DEP_2) | instskip(NEXT) | instid1(VALU_DEP_2)
	v_sub_f32_e32 v9, v9, v12
	v_sub_f32_e32 v12, v13, v15
	s_delay_alu instid0(VALU_DEP_4) | instskip(NEXT) | instid1(VALU_DEP_3)
	v_fma_f32 v15, 0x3f317218, v8, -v17
	v_ldexp_f32 v9, v9, 1
	s_delay_alu instid0(VALU_DEP_3) | instskip(NEXT) | instid1(VALU_DEP_3)
	v_sub_f32_e32 v12, v14, v12
	v_fmac_f32_e32 v15, 0xb102e308, v8
	s_delay_alu instid0(VALU_DEP_2) | instskip(NEXT) | instid1(VALU_DEP_1)
	v_add_f32_e32 v8, v9, v12
	v_add_f32_e32 v12, v13, v8
	s_delay_alu instid0(VALU_DEP_1) | instskip(NEXT) | instid1(VALU_DEP_1)
	v_sub_f32_e32 v13, v12, v13
	v_dual_sub_f32 v8, v8, v13 :: v_dual_add_f32 v9, v17, v15
	s_delay_alu instid0(VALU_DEP_1) | instskip(NEXT) | instid1(VALU_DEP_1)
	v_add_f32_e32 v14, v9, v12
	v_sub_f32_e32 v102, v14, v9
	s_delay_alu instid0(VALU_DEP_1) | instskip(NEXT) | instid1(VALU_DEP_1)
	v_dual_sub_f32 v17, v9, v17 :: v_dual_sub_f32 v12, v12, v102
	v_sub_f32_e32 v15, v15, v17
	s_delay_alu instid0(VALU_DEP_1) | instskip(SKIP_1) | instid1(VALU_DEP_1)
	v_add_f32_e32 v13, v15, v8
	v_sub_f32_e32 v103, v14, v102
	v_sub_f32_e32 v9, v9, v103
	s_delay_alu instid0(VALU_DEP_1) | instskip(NEXT) | instid1(VALU_DEP_1)
	v_dual_add_f32 v9, v12, v9 :: v_dual_sub_f32 v12, v13, v15
	v_add_f32_e32 v9, v13, v9
	s_delay_alu instid0(VALU_DEP_2) | instskip(NEXT) | instid1(VALU_DEP_2)
	v_sub_f32_e32 v13, v13, v12
	v_dual_sub_f32 v8, v8, v12 :: v_dual_add_f32 v17, v14, v9
	s_delay_alu instid0(VALU_DEP_1) | instskip(NEXT) | instid1(VALU_DEP_1)
	v_dual_sub_f32 v13, v15, v13 :: v_dual_sub_f32 v12, v17, v14
	v_dual_add_f32 v8, v8, v13 :: v_dual_sub_f32 v9, v9, v12
	s_delay_alu instid0(VALU_DEP_1) | instskip(NEXT) | instid1(VALU_DEP_1)
	v_add_f32_e32 v8, v8, v9
	v_add_f32_e32 v8, v17, v8
	s_delay_alu instid0(VALU_DEP_1)
	v_cndmask_b32_e32 v124, v8, v10, vcc_lo
.LBB125_104:                            ;   in Loop: Header=BB125_12 Depth=1
	s_or_b32 exec_lo, exec_lo, s30
	v_lshrrev_b32_e32 v8, 16, v11
	s_delay_alu instid0(VALU_DEP_1) | instskip(NEXT) | instid1(VALU_DEP_1)
	v_cvt_f32_f16_e32 v8, v8
	v_add_f32_e32 v125, s69, v8
	s_delay_alu instid0(VALU_DEP_1) | instskip(SKIP_1) | instid1(SALU_CYCLE_1)
	v_cmp_ge_f32_e32 vcc_lo, 0x41a00000, v125
	s_and_b32 s29, s80, vcc_lo
	s_and_saveexec_b32 s30, s29
	s_cbranch_execz .LBB125_106
; %bb.105:                              ;   in Loop: Header=BB125_12 Depth=1
	v_mul_f32_e32 v8, 0x3fb8aa3b, v125
	v_cmp_ngt_f32_e32 vcc_lo, 0xc2ce8ed0, v125
	s_delay_alu instid0(VALU_DEP_2) | instskip(SKIP_1) | instid1(VALU_DEP_2)
	v_rndne_f32_e32 v9, v8
	v_fma_f32 v10, 0x3fb8aa3b, v125, -v8
	v_sub_f32_e32 v8, v8, v9
	s_delay_alu instid0(VALU_DEP_2) | instskip(SKIP_1) | instid1(VALU_DEP_2)
	v_fmac_f32_e32 v10, 0x32a5705f, v125
	v_cvt_i32_f32_e32 v9, v9
	v_add_f32_e32 v8, v8, v10
	s_delay_alu instid0(VALU_DEP_1) | instskip(SKIP_2) | instid1(VALU_DEP_1)
	v_exp_f32_e32 v8, v8
	s_waitcnt_depctr 0xfff
	v_ldexp_f32 v8, v8, v9
	v_cndmask_b32_e32 v8, 0, v8, vcc_lo
	v_cmp_nlt_f32_e32 vcc_lo, 0x42b17218, v125
	s_delay_alu instid0(VALU_DEP_2) | instskip(NEXT) | instid1(VALU_DEP_1)
	v_cndmask_b32_e32 v10, 0x7f800000, v8, vcc_lo
	v_add_f32_e32 v11, 1.0, v10
	s_delay_alu instid0(VALU_DEP_1) | instskip(NEXT) | instid1(VALU_DEP_1)
	v_cvt_f64_f32_e32 v[8:9], v11
	v_frexp_exp_i32_f64_e32 v8, v[8:9]
	v_frexp_mant_f32_e32 v9, v11
	s_delay_alu instid0(VALU_DEP_1) | instskip(SKIP_1) | instid1(VALU_DEP_1)
	v_cmp_gt_f32_e32 vcc_lo, 0x3f2aaaab, v9
	v_add_f32_e32 v9, -1.0, v11
	v_sub_f32_e32 v13, v9, v11
	v_sub_f32_e32 v9, v10, v9
	s_delay_alu instid0(VALU_DEP_2) | instskip(NEXT) | instid1(VALU_DEP_1)
	v_add_f32_e32 v13, 1.0, v13
	v_add_f32_e32 v9, v9, v13
	v_cmp_gt_f32_e64 s29, 0x33800000, v10
	v_subrev_co_ci_u32_e32 v8, vcc_lo, 0, v8, vcc_lo
	v_cmp_eq_f32_e32 vcc_lo, 0x7f800000, v10
	s_delay_alu instid0(VALU_DEP_2) | instskip(SKIP_2) | instid1(VALU_DEP_2)
	v_sub_nc_u32_e32 v12, 0, v8
	v_cvt_f32_i32_e32 v8, v8
	s_or_b32 vcc_lo, s29, vcc_lo
	v_ldexp_f32 v11, v11, v12
	v_ldexp_f32 v9, v9, v12
	s_delay_alu instid0(VALU_DEP_2) | instskip(NEXT) | instid1(VALU_DEP_1)
	v_add_f32_e32 v14, 1.0, v11
	v_dual_add_f32 v12, -1.0, v11 :: v_dual_add_f32 v13, -1.0, v14
	s_delay_alu instid0(VALU_DEP_1) | instskip(NEXT) | instid1(VALU_DEP_2)
	v_add_f32_e32 v15, 1.0, v12
	v_sub_f32_e32 v13, v11, v13
	s_delay_alu instid0(VALU_DEP_2) | instskip(NEXT) | instid1(VALU_DEP_2)
	v_sub_f32_e32 v11, v11, v15
	v_add_f32_e32 v13, v9, v13
	s_delay_alu instid0(VALU_DEP_2) | instskip(NEXT) | instid1(VALU_DEP_2)
	v_add_f32_e32 v9, v9, v11
	v_add_f32_e32 v15, v14, v13
	s_delay_alu instid0(VALU_DEP_1) | instskip(NEXT) | instid1(VALU_DEP_2)
	v_rcp_f32_e32 v11, v15
	v_dual_add_f32 v17, v12, v9 :: v_dual_sub_f32 v14, v14, v15
	s_delay_alu instid0(VALU_DEP_1) | instskip(SKIP_2) | instid1(VALU_DEP_1)
	v_dual_sub_f32 v12, v12, v17 :: v_dual_add_f32 v13, v13, v14
	s_waitcnt_depctr 0xfff
	v_mul_f32_e32 v102, v17, v11
	v_mul_f32_e32 v103, v15, v102
	s_delay_alu instid0(VALU_DEP_1) | instskip(NEXT) | instid1(VALU_DEP_1)
	v_fma_f32 v14, v102, v15, -v103
	v_dual_fmac_f32 v14, v102, v13 :: v_dual_add_f32 v9, v9, v12
	s_delay_alu instid0(VALU_DEP_1) | instskip(NEXT) | instid1(VALU_DEP_1)
	v_add_f32_e32 v105, v103, v14
	v_sub_f32_e32 v106, v17, v105
	v_sub_f32_e32 v12, v105, v103
	s_delay_alu instid0(VALU_DEP_2) | instskip(NEXT) | instid1(VALU_DEP_1)
	v_sub_f32_e32 v17, v17, v106
	v_dual_sub_f32 v12, v12, v14 :: v_dual_sub_f32 v17, v17, v105
	s_delay_alu instid0(VALU_DEP_1) | instskip(NEXT) | instid1(VALU_DEP_1)
	v_add_f32_e32 v9, v9, v17
	v_add_f32_e32 v9, v12, v9
	s_delay_alu instid0(VALU_DEP_1) | instskip(NEXT) | instid1(VALU_DEP_1)
	v_add_f32_e32 v12, v106, v9
	v_mul_f32_e32 v14, v11, v12
	v_sub_f32_e32 v105, v106, v12
	s_delay_alu instid0(VALU_DEP_2) | instskip(NEXT) | instid1(VALU_DEP_2)
	v_mul_f32_e32 v17, v15, v14
	v_add_f32_e32 v9, v9, v105
	s_delay_alu instid0(VALU_DEP_2) | instskip(NEXT) | instid1(VALU_DEP_1)
	v_fma_f32 v15, v14, v15, -v17
	v_fmac_f32_e32 v15, v14, v13
	s_delay_alu instid0(VALU_DEP_1) | instskip(NEXT) | instid1(VALU_DEP_1)
	v_add_f32_e32 v13, v17, v15
	v_sub_f32_e32 v103, v12, v13
	s_delay_alu instid0(VALU_DEP_1) | instskip(NEXT) | instid1(VALU_DEP_1)
	v_dual_sub_f32 v17, v13, v17 :: v_dual_sub_f32 v12, v12, v103
	v_dual_sub_f32 v12, v12, v13 :: v_dual_sub_f32 v13, v17, v15
	s_delay_alu instid0(VALU_DEP_1) | instskip(NEXT) | instid1(VALU_DEP_1)
	v_dual_add_f32 v9, v9, v12 :: v_dual_add_f32 v12, v102, v14
	v_add_f32_e32 v9, v13, v9
	s_delay_alu instid0(VALU_DEP_2) | instskip(NEXT) | instid1(VALU_DEP_2)
	v_sub_f32_e32 v13, v12, v102
	v_add_f32_e32 v9, v103, v9
	s_delay_alu instid0(VALU_DEP_2) | instskip(NEXT) | instid1(VALU_DEP_2)
	v_sub_f32_e32 v13, v14, v13
	v_mul_f32_e32 v9, v11, v9
	s_delay_alu instid0(VALU_DEP_1) | instskip(NEXT) | instid1(VALU_DEP_1)
	v_add_f32_e32 v9, v13, v9
	v_add_f32_e32 v11, v12, v9
	s_delay_alu instid0(VALU_DEP_1) | instskip(NEXT) | instid1(VALU_DEP_1)
	v_mul_f32_e32 v13, v11, v11
	v_fmaak_f32 v14, s84, v13, 0x3ecc95a3
	v_mul_f32_e32 v15, v11, v13
	s_delay_alu instid0(VALU_DEP_2) | instskip(SKIP_2) | instid1(VALU_DEP_3)
	v_fmaak_f32 v13, v13, v14, 0x3f2aaada
	v_ldexp_f32 v14, v11, 1
	v_sub_f32_e32 v11, v11, v12
	v_mul_f32_e32 v13, v15, v13
	v_mul_f32_e32 v15, 0x3f317218, v8
	s_delay_alu instid0(VALU_DEP_2) | instskip(NEXT) | instid1(VALU_DEP_1)
	v_dual_sub_f32 v9, v9, v11 :: v_dual_add_f32 v12, v14, v13
	v_ldexp_f32 v9, v9, 1
	s_delay_alu instid0(VALU_DEP_2) | instskip(NEXT) | instid1(VALU_DEP_4)
	v_sub_f32_e32 v11, v12, v14
	v_fma_f32 v14, 0x3f317218, v8, -v15
	s_delay_alu instid0(VALU_DEP_1) | instskip(NEXT) | instid1(VALU_DEP_1)
	v_dual_sub_f32 v11, v13, v11 :: v_dual_fmac_f32 v14, 0xb102e308, v8
	v_dual_add_f32 v8, v9, v11 :: v_dual_add_f32 v9, v15, v14
	s_delay_alu instid0(VALU_DEP_1) | instskip(NEXT) | instid1(VALU_DEP_2)
	v_add_f32_e32 v11, v12, v8
	v_sub_f32_e32 v15, v9, v15
	s_delay_alu instid0(VALU_DEP_2) | instskip(NEXT) | instid1(VALU_DEP_1)
	v_dual_add_f32 v13, v9, v11 :: v_dual_sub_f32 v12, v11, v12
	v_dual_sub_f32 v14, v14, v15 :: v_dual_sub_f32 v17, v13, v9
	s_delay_alu instid0(VALU_DEP_2) | instskip(NEXT) | instid1(VALU_DEP_2)
	v_sub_f32_e32 v8, v8, v12
	v_sub_f32_e32 v102, v13, v17
	s_delay_alu instid0(VALU_DEP_2) | instskip(NEXT) | instid1(VALU_DEP_2)
	v_dual_sub_f32 v11, v11, v17 :: v_dual_add_f32 v12, v14, v8
	v_sub_f32_e32 v9, v9, v102
	s_delay_alu instid0(VALU_DEP_1) | instskip(NEXT) | instid1(VALU_DEP_3)
	v_add_f32_e32 v9, v11, v9
	v_sub_f32_e32 v11, v12, v14
	s_delay_alu instid0(VALU_DEP_2) | instskip(NEXT) | instid1(VALU_DEP_2)
	v_add_f32_e32 v9, v12, v9
	v_sub_f32_e32 v12, v12, v11
	s_delay_alu instid0(VALU_DEP_2) | instskip(NEXT) | instid1(VALU_DEP_1)
	v_dual_sub_f32 v8, v8, v11 :: v_dual_add_f32 v15, v13, v9
	v_dual_sub_f32 v12, v14, v12 :: v_dual_sub_f32 v11, v15, v13
	s_delay_alu instid0(VALU_DEP_1) | instskip(NEXT) | instid1(VALU_DEP_1)
	v_dual_add_f32 v8, v8, v12 :: v_dual_sub_f32 v9, v9, v11
	v_add_f32_e32 v8, v8, v9
	s_delay_alu instid0(VALU_DEP_1) | instskip(NEXT) | instid1(VALU_DEP_1)
	v_add_f32_e32 v8, v15, v8
	v_cndmask_b32_e32 v125, v8, v10, vcc_lo
.LBB125_106:                            ;   in Loop: Header=BB125_12 Depth=1
	s_or_b32 exec_lo, exec_lo, s30
	v_lshrrev_b32_e32 v9, 16, v6
	v_lshrrev_b32_e32 v10, 16, v7
	;; [unrolled: 1-line block ×6, first 2 shown]
	v_cvt_f32_f16_e32 v8, v7
	v_cvt_f32_f16_e32 v7, v9
	v_cvt_f32_f16_e32 v9, v11
	v_cvt_f32_f16_e32 v11, v10
	v_cvt_f32_f16_e32 v10, v12
	v_cvt_f32_f16_e32 v12, v13
	v_cvt_f32_f16_e32 v13, v14
	v_lshrrev_b32_e32 v14, 16, v1
	v_lshrrev_b32_e32 v15, 16, v0
	v_cvt_f32_f16_e32 v6, v6
	v_cvt_f32_f16_e32 v5, v5
	;; [unrolled: 1-line block ×9, first 2 shown]
	v_dual_mul_f32 v106, s70, v8 :: v_dual_mul_f32 v107, s70, v6
	v_dual_mul_f32 v102, s70, v7 :: v_dual_mul_f32 v103, s70, v9
	;; [unrolled: 1-line block ×7, first 2 shown]
	v_mul_f32_e32 v113, s70, v15
	v_mul_f32_e32 v112, s70, v11
	s_and_b32 vcc_lo, exec_lo, s81
	s_barrier
	buffer_gl0_inv
	s_cbranch_vccz .LBB125_204
; %bb.107:                              ;   in Loop: Header=BB125_12 Depth=1
	v_dual_mul_f32 v126, v125, v11 :: v_dual_mul_f32 v131, v124, v8
	v_add_co_u32 v11, s29, s61, v16
	s_delay_alu instid0(VALU_DEP_1) | instskip(SKIP_1) | instid1(VALU_DEP_1)
	v_add_co_ci_u32_e64 v17, null, s62, 0, s29
	v_add_co_u32 v16, s29, s75, v16
	v_add_co_ci_u32_e64 v130, null, s76, 0, s29
	s_delay_alu instid0(VALU_DEP_4) | instskip(NEXT) | instid1(VALU_DEP_4)
	v_add_co_u32 v127, vcc_lo, v11, v93
	v_add_co_ci_u32_e32 v128, vcc_lo, 0, v17, vcc_lo
	s_delay_alu instid0(VALU_DEP_4) | instskip(NEXT) | instid1(VALU_DEP_4)
	v_add_co_u32 v129, vcc_lo, v16, v93
	v_add_co_ci_u32_e32 v130, vcc_lo, 0, v130, vcc_lo
	v_cmp_gt_u32_e32 vcc_lo, s41, v18
	s_cmp_lg_u32 s88, 0
	v_cmp_gt_u32_e64 s31, s41, v79
	s_cselect_b32 s51, -1, 0
	s_cmp_eq_u32 s88, s83
	v_cmp_gt_u32_e64 s33, s41, v80
	s_cselect_b32 s89, -1, 0
	s_or_b32 s29, s82, vcc_lo
	v_cmp_gt_u32_e32 vcc_lo, s41, v78
	v_cmp_gt_u32_e64 s34, s41, v81
	v_cmp_gt_u32_e64 s35, s41, v82
	;; [unrolled: 1-line block ×4, first 2 shown]
	s_or_b32 s30, s82, vcc_lo
	v_cmp_gt_u32_e32 vcc_lo, s41, v83
	v_cmp_gt_u32_e64 s39, s41, v86
	v_cmp_gt_u32_e64 s40, s41, v87
	;; [unrolled: 1-line block ×4, first 2 shown]
	s_or_b32 s36, s82, vcc_lo
	v_cmp_gt_u32_e32 vcc_lo, s41, v88
	v_cmp_gt_u32_e64 s44, s41, v91
	v_cmp_gt_u32_e64 s45, s41, v92
	v_dual_mul_f32 v132, v123, v7 :: v_dual_mul_f32 v133, v122, v6
	v_dual_mul_f32 v134, v121, v9 :: v_dual_mul_f32 v137, v104, v4
	;; [unrolled: 1-line block ×7, first 2 shown]
	s_mov_b32 s66, 0
	s_or_b32 s31, s82, s31
	s_or_b32 s33, s82, s33
	;; [unrolled: 1-line block ×8, first 2 shown]
	s_or_b32 s41, s82, vcc_lo
	s_or_b32 s42, s82, s42
	s_or_b32 s43, s82, s43
	s_or_b32 s44, s82, s44
	s_or_b32 s45, s82, s45
	s_mov_b32 s52, s66
	s_mov_b32 s54, s66
	;; [unrolled: 1-line block ×5, first 2 shown]
	s_branch .LBB125_109
.LBB125_108:                            ;   in Loop: Header=BB125_109 Depth=2
	s_or_b32 exec_lo, exec_lo, s46
	v_cndmask_b32_e64 v9, v175, v11, s12
	v_cndmask_b32_e64 v10, v174, v10, s12
	s_add_i32 s90, s90, -1
	s_add_i32 s91, s91, 8
	s_add_i32 s58, s58, s49
	v_fma_f32 v9, v9, v146, v15
	v_mul_f32_e32 v10, v10, v146
	s_add_i32 s54, s54, s48
	s_add_i32 s52, s52, s60
	;; [unrolled: 1-line block ×3, first 2 shown]
	v_cndmask_b32_e64 v9, v9, v15, s11
	v_cndmask_b32_e64 v10, v10, v146, s11
	s_cmp_eq_u32 s90, 0
	s_waitcnt lgkmcnt(0)
	s_delay_alu instid0(VALU_DEP_1) | instskip(NEXT) | instid1(VALU_DEP_1)
	v_fmac_f32_e32 v9, v8, v10
	v_fmac_f32_e32 v12, v9, v148
	s_delay_alu instid0(VALU_DEP_1) | instskip(NEXT) | instid1(VALU_DEP_1)
	v_fmac_f32_e32 v13, v12, v150
	v_fmac_f32_e32 v14, v13, v152
	v_fma_mix_f32 v120, v9, v4, v120 op_sel_hi:[0,1,0]
	s_delay_alu instid0(VALU_DEP_2) | instskip(SKIP_2) | instid1(VALU_DEP_3)
	v_fmac_f32_e32 v147, v14, v154
	v_fma_mix_f32 v113, v12, v4, v113 op_sel:[0,1,0] op_sel_hi:[0,1,0]
	v_fma_mix_f32 v114, v14, v5, v114 op_sel:[0,1,0] op_sel_hi:[0,1,0]
	v_fmac_f32_e32 v149, v147, v155
	v_fma_mix_f32 v117, v147, v6, v117 op_sel_hi:[0,1,0]
	s_delay_alu instid0(VALU_DEP_2) | instskip(SKIP_1) | instid1(VALU_DEP_2)
	v_fmac_f32_e32 v151, v149, v157
	v_fma_mix_f32 v110, v149, v6, v110 op_sel:[0,1,0] op_sel_hi:[0,1,0]
	v_fmac_f32_e32 v153, v151, v160
	s_delay_alu instid0(VALU_DEP_1) | instskip(SKIP_1) | instid1(VALU_DEP_2)
	v_fmac_f32_e32 v156, v153, v161
	v_fma_mix_f32 v119, v13, v5, v119 op_sel_hi:[0,1,0]
	v_fmac_f32_e32 v158, v156, v162
	v_fma_mix_f32 v116, v151, v7, v116 op_sel_hi:[0,1,0]
	v_fma_mix_f32 v111, v156, v0, v111 op_sel_hi:[0,1,0]
	s_delay_alu instid0(VALU_DEP_3) | instskip(SKIP_1) | instid1(VALU_DEP_2)
	v_fmac_f32_e32 v159, v158, v163
	v_fma_mix_f32 v105, v158, v0, v105 op_sel:[0,1,0] op_sel_hi:[0,1,0]
	v_fmac_f32_e32 v164, v159, v170
	v_fma_mix_f32 v108, v159, v1, v108 op_sel_hi:[0,1,0]
	s_delay_alu instid0(VALU_DEP_2) | instskip(NEXT) | instid1(VALU_DEP_1)
	v_fmac_f32_e32 v165, v164, v167
	v_fmac_f32_e32 v166, v165, v169
	v_fma_mix_f32 v109, v153, v7, v109 op_sel:[0,1,0] op_sel_hi:[0,1,0]
	s_delay_alu instid0(VALU_DEP_2) | instskip(SKIP_2) | instid1(VALU_DEP_3)
	v_fmac_f32_e32 v168, v166, v172
	v_fma_mix_f32 v107, v165, v2, v107 op_sel_hi:[0,1,0]
	v_fma_mix_f32 v102, v166, v2, v102 op_sel:[0,1,0] op_sel_hi:[0,1,0]
	v_fmac_f32_e32 v171, v168, v173
	v_fma_mix_f32 v103, v164, v1, v103 op_sel:[0,1,0] op_sel_hi:[0,1,0]
	v_fma_mix_f32 v106, v168, v3, v106 op_sel_hi:[0,1,0]
	s_delay_alu instid0(VALU_DEP_3)
	v_fma_mix_f32 v112, v171, v3, v112 op_sel:[0,1,0] op_sel_hi:[0,1,0]
	s_cbranch_scc1 .LBB125_204
.LBB125_109:                            ;   Parent Loop BB125_12 Depth=1
                                        ; =>  This Inner Loop Header: Depth=2
	s_lshl_b64 s[46:47], s[66:67], 2
	s_mov_b32 s53, s67
	s_add_u32 s46, s73, s46
	s_addc_u32 s47, s74, s47
	v_dual_mov_b32 v2, 0 :: v_dual_mov_b32 v3, 0
	global_load_b32 v146, v21, s[46:47]
	s_lshl_b64 s[46:47], s[52:53], 1
	s_delay_alu instid0(SALU_CYCLE_1)
	v_add_co_u32 v0, vcc_lo, v127, s46
	v_add_co_ci_u32_e32 v1, vcc_lo, s47, v128, vcc_lo
	s_and_saveexec_b32 s46, s13
	s_cbranch_execnz .LBB125_145
; %bb.110:                              ;   in Loop: Header=BB125_109 Depth=2
	s_or_b32 exec_lo, exec_lo, s46
	s_and_saveexec_b32 s46, s14
	s_cbranch_execnz .LBB125_146
.LBB125_111:                            ;   in Loop: Header=BB125_109 Depth=2
	s_or_b32 exec_lo, exec_lo, s46
	v_mov_b32_e32 v4, 0
	s_and_saveexec_b32 s46, s15
	s_cbranch_execnz .LBB125_147
.LBB125_112:                            ;   in Loop: Header=BB125_109 Depth=2
	s_or_b32 exec_lo, exec_lo, s46
	s_and_saveexec_b32 s46, s16
	s_cbranch_execnz .LBB125_148
.LBB125_113:                            ;   in Loop: Header=BB125_109 Depth=2
	s_or_b32 exec_lo, exec_lo, s46
	v_mov_b32_e32 v5, 0
	s_and_saveexec_b32 s46, s17
	s_cbranch_execnz .LBB125_149
.LBB125_114:                            ;   in Loop: Header=BB125_109 Depth=2
	s_or_b32 exec_lo, exec_lo, s46
	s_and_saveexec_b32 s46, s18
	s_cbranch_execnz .LBB125_150
.LBB125_115:                            ;   in Loop: Header=BB125_109 Depth=2
	s_or_b32 exec_lo, exec_lo, s46
	v_mov_b32_e32 v6, 0
	s_and_saveexec_b32 s46, s19
	s_cbranch_execnz .LBB125_151
.LBB125_116:                            ;   in Loop: Header=BB125_109 Depth=2
	s_or_b32 exec_lo, exec_lo, s46
	s_and_saveexec_b32 s46, s20
	s_cbranch_execnz .LBB125_152
.LBB125_117:                            ;   in Loop: Header=BB125_109 Depth=2
	s_or_b32 exec_lo, exec_lo, s46
	v_mov_b32_e32 v7, 0
	s_and_saveexec_b32 s46, s21
	s_cbranch_execnz .LBB125_153
.LBB125_118:                            ;   in Loop: Header=BB125_109 Depth=2
	s_or_b32 exec_lo, exec_lo, s46
	s_and_saveexec_b32 s46, s22
	s_cbranch_execnz .LBB125_154
.LBB125_119:                            ;   in Loop: Header=BB125_109 Depth=2
	s_or_b32 exec_lo, exec_lo, s46
	v_mov_b32_e32 v8, 0
	s_and_saveexec_b32 s46, s23
	s_cbranch_execnz .LBB125_155
.LBB125_120:                            ;   in Loop: Header=BB125_109 Depth=2
	s_or_b32 exec_lo, exec_lo, s46
	s_and_saveexec_b32 s46, s24
	s_cbranch_execnz .LBB125_156
.LBB125_121:                            ;   in Loop: Header=BB125_109 Depth=2
	s_or_b32 exec_lo, exec_lo, s46
	v_mov_b32_e32 v9, 0
	s_and_saveexec_b32 s46, s25
	s_cbranch_execnz .LBB125_157
.LBB125_122:                            ;   in Loop: Header=BB125_109 Depth=2
	s_or_b32 exec_lo, exec_lo, s46
	s_and_saveexec_b32 s46, s26
	s_cbranch_execnz .LBB125_158
.LBB125_123:                            ;   in Loop: Header=BB125_109 Depth=2
	s_or_b32 exec_lo, exec_lo, s46
	v_mov_b32_e32 v10, 0
	s_and_saveexec_b32 s46, s27
	s_cbranch_execnz .LBB125_159
.LBB125_124:                            ;   in Loop: Header=BB125_109 Depth=2
	s_or_b32 exec_lo, exec_lo, s46
	s_and_saveexec_b32 s46, s28
	s_cbranch_execz .LBB125_126
.LBB125_125:                            ;   in Loop: Header=BB125_109 Depth=2
	global_load_u16 v0, v[0:1], off offset:960
	s_waitcnt vmcnt(0)
	v_lshl_or_b32 v10, v0, 16, v10
.LBB125_126:                            ;   in Loop: Header=BB125_109 Depth=2
	s_or_b32 exec_lo, exec_lo, s46
	s_waitcnt vmcnt(0)
	ds_store_b16 v37, v3
	ds_store_b16 v37, v2 offset:64
	ds_store_b16 v38, v4 offset:128
	ds_store_b16_d16_hi v39, v4 offset:192
	ds_store_b16 v40, v5 offset:256
	ds_store_b16_d16_hi v41, v5 offset:320
	;; [unrolled: 2-line block ×7, first 2 shown]
	; wave barrier
	ds_load_b128 v[12:15], v52
	ds_load_b128 v[8:11], v52 offset:16
	s_mov_b32 s55, s67
	v_dual_mov_b32 v2, 0 :: v_dual_mov_b32 v3, 0
	s_lshl_b64 s[46:47], s[54:55], 1
	s_delay_alu instid0(SALU_CYCLE_1)
	v_add_co_u32 v0, vcc_lo, v129, s46
	v_add_co_ci_u32_e32 v1, vcc_lo, s47, v130, vcc_lo
	s_and_saveexec_b32 s46, s13
	s_cbranch_execnz .LBB125_160
; %bb.127:                              ;   in Loop: Header=BB125_109 Depth=2
	s_or_b32 exec_lo, exec_lo, s46
	s_and_saveexec_b32 s46, s14
	s_cbranch_execnz .LBB125_161
.LBB125_128:                            ;   in Loop: Header=BB125_109 Depth=2
	s_or_b32 exec_lo, exec_lo, s46
	v_mov_b32_e32 v4, 0
	s_and_saveexec_b32 s46, s15
	s_cbranch_execnz .LBB125_162
.LBB125_129:                            ;   in Loop: Header=BB125_109 Depth=2
	s_or_b32 exec_lo, exec_lo, s46
	s_and_saveexec_b32 s46, s16
	s_cbranch_execnz .LBB125_163
.LBB125_130:                            ;   in Loop: Header=BB125_109 Depth=2
	s_or_b32 exec_lo, exec_lo, s46
	v_mov_b32_e32 v5, 0
	s_and_saveexec_b32 s46, s17
	s_cbranch_execnz .LBB125_164
.LBB125_131:                            ;   in Loop: Header=BB125_109 Depth=2
	s_or_b32 exec_lo, exec_lo, s46
	s_and_saveexec_b32 s46, s18
	s_cbranch_execnz .LBB125_165
.LBB125_132:                            ;   in Loop: Header=BB125_109 Depth=2
	s_or_b32 exec_lo, exec_lo, s46
	v_mov_b32_e32 v6, 0
	s_and_saveexec_b32 s46, s19
	s_cbranch_execnz .LBB125_166
.LBB125_133:                            ;   in Loop: Header=BB125_109 Depth=2
	s_or_b32 exec_lo, exec_lo, s46
	s_and_saveexec_b32 s46, s20
	s_cbranch_execnz .LBB125_167
.LBB125_134:                            ;   in Loop: Header=BB125_109 Depth=2
	s_or_b32 exec_lo, exec_lo, s46
	v_mov_b32_e32 v7, 0
	s_and_saveexec_b32 s46, s21
	s_cbranch_execnz .LBB125_168
.LBB125_135:                            ;   in Loop: Header=BB125_109 Depth=2
	s_or_b32 exec_lo, exec_lo, s46
	s_and_saveexec_b32 s46, s22
	s_cbranch_execnz .LBB125_169
.LBB125_136:                            ;   in Loop: Header=BB125_109 Depth=2
	s_or_b32 exec_lo, exec_lo, s46
	v_mov_b32_e32 v16, 0
	s_and_saveexec_b32 s46, s23
	s_cbranch_execnz .LBB125_170
.LBB125_137:                            ;   in Loop: Header=BB125_109 Depth=2
	s_or_b32 exec_lo, exec_lo, s46
	s_and_saveexec_b32 s46, s24
	s_cbranch_execnz .LBB125_171
.LBB125_138:                            ;   in Loop: Header=BB125_109 Depth=2
	s_or_b32 exec_lo, exec_lo, s46
	v_mov_b32_e32 v17, 0
	s_and_saveexec_b32 s46, s25
	s_cbranch_execnz .LBB125_172
.LBB125_139:                            ;   in Loop: Header=BB125_109 Depth=2
	s_or_b32 exec_lo, exec_lo, s46
	s_and_saveexec_b32 s46, s26
	s_cbranch_execnz .LBB125_173
.LBB125_140:                            ;   in Loop: Header=BB125_109 Depth=2
	s_or_b32 exec_lo, exec_lo, s46
	v_mov_b32_e32 v147, 0
	s_and_saveexec_b32 s46, s27
	s_cbranch_execnz .LBB125_174
.LBB125_141:                            ;   in Loop: Header=BB125_109 Depth=2
	s_or_b32 exec_lo, exec_lo, s46
	s_and_saveexec_b32 s46, s28
	s_cbranch_execz .LBB125_143
.LBB125_142:                            ;   in Loop: Header=BB125_109 Depth=2
	global_load_u16 v0, v[0:1], off offset:960
	s_waitcnt vmcnt(0)
	v_lshl_or_b32 v147, v0, 16, v147
.LBB125_143:                            ;   in Loop: Header=BB125_109 Depth=2
	s_or_b32 exec_lo, exec_lo, s46
	s_waitcnt vmcnt(0)
	ds_store_b16 v37, v3 offset:4224
	ds_store_b16 v53, v2 offset:64
	;; [unrolled: 1-line block ×3, first 2 shown]
	ds_store_b16_d16_hi v55, v4 offset:192
	ds_store_b16 v56, v5 offset:256
	ds_store_b16_d16_hi v57, v5 offset:320
	ds_store_b16 v58, v6 offset:384
	;; [unrolled: 2-line block ×6, first 2 shown]
	ds_store_b16_d16_hi v67, v147 offset:960
	; wave barrier
	ds_load_b128 v[4:7], v52 offset:4224
	ds_load_b128 v[0:3], v68 offset:16
	s_and_not1_b32 vcc_lo, exec_lo, s51
	s_cbranch_vccnz .LBB125_175
; %bb.144:                              ;   in Loop: Header=BB125_109 Depth=2
	v_mov_b32_e32 v16, s91
	ds_load_b64 v[16:17], v16
	s_cbranch_execz .LBB125_176
	s_branch .LBB125_179
.LBB125_145:                            ;   in Loop: Header=BB125_109 Depth=2
	global_load_u16 v3, v[0:1], off
	s_or_b32 exec_lo, exec_lo, s46
	s_and_saveexec_b32 s46, s14
	s_cbranch_execz .LBB125_111
.LBB125_146:                            ;   in Loop: Header=BB125_109 Depth=2
	global_load_u16 v2, v[0:1], off offset:64
	s_or_b32 exec_lo, exec_lo, s46
	v_mov_b32_e32 v4, 0
	s_and_saveexec_b32 s46, s15
	s_cbranch_execz .LBB125_112
.LBB125_147:                            ;   in Loop: Header=BB125_109 Depth=2
	global_load_u16 v4, v[0:1], off offset:128
	s_or_b32 exec_lo, exec_lo, s46
	s_and_saveexec_b32 s46, s16
	s_cbranch_execz .LBB125_113
.LBB125_148:                            ;   in Loop: Header=BB125_109 Depth=2
	global_load_u16 v5, v[0:1], off offset:192
	s_waitcnt vmcnt(0)
	v_lshl_or_b32 v4, v5, 16, v4
	s_or_b32 exec_lo, exec_lo, s46
	v_mov_b32_e32 v5, 0
	s_and_saveexec_b32 s46, s17
	s_cbranch_execz .LBB125_114
.LBB125_149:                            ;   in Loop: Header=BB125_109 Depth=2
	global_load_u16 v5, v[0:1], off offset:256
	s_or_b32 exec_lo, exec_lo, s46
	s_and_saveexec_b32 s46, s18
	s_cbranch_execz .LBB125_115
.LBB125_150:                            ;   in Loop: Header=BB125_109 Depth=2
	global_load_u16 v6, v[0:1], off offset:320
	s_waitcnt vmcnt(0)
	v_lshl_or_b32 v5, v6, 16, v5
	s_or_b32 exec_lo, exec_lo, s46
	v_mov_b32_e32 v6, 0
	s_and_saveexec_b32 s46, s19
	s_cbranch_execz .LBB125_116
.LBB125_151:                            ;   in Loop: Header=BB125_109 Depth=2
	global_load_u16 v6, v[0:1], off offset:384
	s_or_b32 exec_lo, exec_lo, s46
	s_and_saveexec_b32 s46, s20
	s_cbranch_execz .LBB125_117
.LBB125_152:                            ;   in Loop: Header=BB125_109 Depth=2
	global_load_u16 v7, v[0:1], off offset:448
	s_waitcnt vmcnt(0)
	v_lshl_or_b32 v6, v7, 16, v6
	s_or_b32 exec_lo, exec_lo, s46
	v_mov_b32_e32 v7, 0
	s_and_saveexec_b32 s46, s21
	s_cbranch_execz .LBB125_118
.LBB125_153:                            ;   in Loop: Header=BB125_109 Depth=2
	global_load_u16 v7, v[0:1], off offset:512
	s_or_b32 exec_lo, exec_lo, s46
	s_and_saveexec_b32 s46, s22
	s_cbranch_execz .LBB125_119
.LBB125_154:                            ;   in Loop: Header=BB125_109 Depth=2
	global_load_u16 v8, v[0:1], off offset:576
	s_waitcnt vmcnt(0)
	v_lshl_or_b32 v7, v8, 16, v7
	s_or_b32 exec_lo, exec_lo, s46
	v_mov_b32_e32 v8, 0
	s_and_saveexec_b32 s46, s23
	s_cbranch_execz .LBB125_120
.LBB125_155:                            ;   in Loop: Header=BB125_109 Depth=2
	global_load_u16 v8, v[0:1], off offset:640
	s_or_b32 exec_lo, exec_lo, s46
	s_and_saveexec_b32 s46, s24
	s_cbranch_execz .LBB125_121
.LBB125_156:                            ;   in Loop: Header=BB125_109 Depth=2
	global_load_u16 v9, v[0:1], off offset:704
	s_waitcnt vmcnt(0)
	v_lshl_or_b32 v8, v9, 16, v8
	s_or_b32 exec_lo, exec_lo, s46
	v_mov_b32_e32 v9, 0
	s_and_saveexec_b32 s46, s25
	s_cbranch_execz .LBB125_122
.LBB125_157:                            ;   in Loop: Header=BB125_109 Depth=2
	global_load_u16 v9, v[0:1], off offset:768
	s_or_b32 exec_lo, exec_lo, s46
	s_and_saveexec_b32 s46, s26
	s_cbranch_execz .LBB125_123
.LBB125_158:                            ;   in Loop: Header=BB125_109 Depth=2
	global_load_u16 v10, v[0:1], off offset:832
	s_waitcnt vmcnt(0)
	v_lshl_or_b32 v9, v10, 16, v9
	s_or_b32 exec_lo, exec_lo, s46
	v_mov_b32_e32 v10, 0
	s_and_saveexec_b32 s46, s27
	s_cbranch_execz .LBB125_124
.LBB125_159:                            ;   in Loop: Header=BB125_109 Depth=2
	global_load_u16 v10, v[0:1], off offset:896
	s_or_b32 exec_lo, exec_lo, s46
	s_and_saveexec_b32 s46, s28
	s_cbranch_execnz .LBB125_125
	s_branch .LBB125_126
.LBB125_160:                            ;   in Loop: Header=BB125_109 Depth=2
	global_load_u16 v3, v[0:1], off
	s_or_b32 exec_lo, exec_lo, s46
	s_and_saveexec_b32 s46, s14
	s_cbranch_execz .LBB125_128
.LBB125_161:                            ;   in Loop: Header=BB125_109 Depth=2
	global_load_u16 v2, v[0:1], off offset:64
	s_or_b32 exec_lo, exec_lo, s46
	v_mov_b32_e32 v4, 0
	s_and_saveexec_b32 s46, s15
	s_cbranch_execz .LBB125_129
.LBB125_162:                            ;   in Loop: Header=BB125_109 Depth=2
	global_load_u16 v4, v[0:1], off offset:128
	s_or_b32 exec_lo, exec_lo, s46
	s_and_saveexec_b32 s46, s16
	s_cbranch_execz .LBB125_130
.LBB125_163:                            ;   in Loop: Header=BB125_109 Depth=2
	global_load_u16 v5, v[0:1], off offset:192
	s_waitcnt vmcnt(0)
	v_lshl_or_b32 v4, v5, 16, v4
	s_or_b32 exec_lo, exec_lo, s46
	v_mov_b32_e32 v5, 0
	s_and_saveexec_b32 s46, s17
	s_cbranch_execz .LBB125_131
.LBB125_164:                            ;   in Loop: Header=BB125_109 Depth=2
	global_load_u16 v5, v[0:1], off offset:256
	s_or_b32 exec_lo, exec_lo, s46
	s_and_saveexec_b32 s46, s18
	s_cbranch_execz .LBB125_132
.LBB125_165:                            ;   in Loop: Header=BB125_109 Depth=2
	global_load_u16 v6, v[0:1], off offset:320
	s_waitcnt vmcnt(0)
	v_lshl_or_b32 v5, v6, 16, v5
	s_or_b32 exec_lo, exec_lo, s46
	v_mov_b32_e32 v6, 0
	s_and_saveexec_b32 s46, s19
	s_cbranch_execz .LBB125_133
.LBB125_166:                            ;   in Loop: Header=BB125_109 Depth=2
	global_load_u16 v6, v[0:1], off offset:384
	s_or_b32 exec_lo, exec_lo, s46
	s_and_saveexec_b32 s46, s20
	s_cbranch_execz .LBB125_134
.LBB125_167:                            ;   in Loop: Header=BB125_109 Depth=2
	global_load_u16 v7, v[0:1], off offset:448
	s_waitcnt vmcnt(0)
	v_lshl_or_b32 v6, v7, 16, v6
	s_or_b32 exec_lo, exec_lo, s46
	v_mov_b32_e32 v7, 0
	s_and_saveexec_b32 s46, s21
	s_cbranch_execz .LBB125_135
.LBB125_168:                            ;   in Loop: Header=BB125_109 Depth=2
	global_load_u16 v7, v[0:1], off offset:512
	s_or_b32 exec_lo, exec_lo, s46
	s_and_saveexec_b32 s46, s22
	s_cbranch_execz .LBB125_136
.LBB125_169:                            ;   in Loop: Header=BB125_109 Depth=2
	global_load_u16 v16, v[0:1], off offset:576
	s_waitcnt vmcnt(0)
	v_lshl_or_b32 v7, v16, 16, v7
	s_or_b32 exec_lo, exec_lo, s46
	v_mov_b32_e32 v16, 0
	s_and_saveexec_b32 s46, s23
	s_cbranch_execz .LBB125_137
.LBB125_170:                            ;   in Loop: Header=BB125_109 Depth=2
	global_load_u16 v16, v[0:1], off offset:640
	s_or_b32 exec_lo, exec_lo, s46
	s_and_saveexec_b32 s46, s24
	s_cbranch_execz .LBB125_138
.LBB125_171:                            ;   in Loop: Header=BB125_109 Depth=2
	global_load_u16 v17, v[0:1], off offset:704
	s_waitcnt vmcnt(0)
	v_lshl_or_b32 v16, v17, 16, v16
	s_or_b32 exec_lo, exec_lo, s46
	v_mov_b32_e32 v17, 0
	s_and_saveexec_b32 s46, s25
	s_cbranch_execz .LBB125_139
.LBB125_172:                            ;   in Loop: Header=BB125_109 Depth=2
	global_load_u16 v17, v[0:1], off offset:768
	s_or_b32 exec_lo, exec_lo, s46
	s_and_saveexec_b32 s46, s26
	s_cbranch_execz .LBB125_140
.LBB125_173:                            ;   in Loop: Header=BB125_109 Depth=2
	global_load_u16 v147, v[0:1], off offset:832
	s_waitcnt vmcnt(0)
	v_lshl_or_b32 v17, v147, 16, v17
	s_or_b32 exec_lo, exec_lo, s46
	v_mov_b32_e32 v147, 0
	s_and_saveexec_b32 s46, s27
	s_cbranch_execz .LBB125_141
.LBB125_174:                            ;   in Loop: Header=BB125_109 Depth=2
	global_load_u16 v147, v[0:1], off offset:896
	s_or_b32 exec_lo, exec_lo, s46
	s_and_saveexec_b32 s46, s28
	s_cbranch_execnz .LBB125_142
	s_branch .LBB125_143
.LBB125_175:                            ;   in Loop: Header=BB125_109 Depth=2
                                        ; implicit-def: $vgpr16
.LBB125_176:                            ;   in Loop: Header=BB125_109 Depth=2
	s_waitcnt lgkmcnt(0)
	v_mov_b32_e32 v17, 0
	s_and_not1_b32 vcc_lo, exec_lo, s68
	s_cbranch_vccnz .LBB125_178
; %bb.177:                              ;   in Loop: Header=BB125_109 Depth=2
	s_mov_b32 s59, s67
	s_delay_alu instid0(SALU_CYCLE_1) | instskip(NEXT) | instid1(SALU_CYCLE_1)
	s_lshl_b64 s[46:47], s[58:59], 2
	s_add_u32 s46, s77, s46
	s_addc_u32 s47, s78, s47
	global_load_b32 v17, v21, s[46:47]
.LBB125_178:                            ;   in Loop: Header=BB125_109 Depth=2
	v_mov_b32_e32 v16, 1.0
.LBB125_179:                            ;   in Loop: Header=BB125_109 Depth=2
	v_mul_f32_e32 v168, 0x3fb8aa3b, v146
	s_waitcnt lgkmcnt(19)
	v_lshrrev_b32_e32 v148, 16, v13
	v_lshrrev_b32_e32 v149, 16, v14
	v_cvt_f32_f16_e32 v13, v13
	v_cvt_f32_f16_e64 v156, v14
	v_mul_f32_e32 v14, v168, v94
	v_lshrrev_b32_e32 v147, 16, v12
	v_lshrrev_b32_e32 v150, 16, v15
	v_mul_f32_e32 v13, v143, v13
	v_cvt_f32_f16_e32 v12, v12
	v_cmp_gt_f32_e32 vcc_lo, 0xc2fc0000, v14
	v_cvt_f32_f16_e64 v157, v15
	v_mul_f32_e32 v15, v168, v95
	v_cvt_f32_f16_e64 v155, v148
	v_mul_f32_e32 v12, v145, v12
	v_cndmask_b32_e64 v14, 0, 0x42800000, vcc_lo
	v_mul_f32_e32 v146, v168, v96
	v_cmp_gt_f32_e64 s46, 0xc2fc0000, v15
	v_cndmask_b32_e64 v148, 1.0, 0x1f800000, vcc_lo
	s_waitcnt lgkmcnt(18)
	v_lshrrev_b32_e32 v151, 16, v8
	v_fmac_f32_e32 v14, v168, v94
	v_cvt_f32_f16_e64 v147, v147
	v_cndmask_b32_e64 v15, 0, 0x42800000, s46
	v_cvt_f32_f16_e64 v158, v150
	v_cmp_gt_f32_e32 vcc_lo, 0xc2fc0000, v146
	v_exp_f32_e32 v14, v14
	v_mul_f32_e32 v146, v168, v97
	v_fmac_f32_e32 v15, v168, v95
	v_cvt_f32_f16_e64 v159, v151
	v_cndmask_b32_e64 v151, 0, 0x42800000, vcc_lo
	v_lshrrev_b32_e32 v152, 16, v9
	v_lshrrev_b32_e32 v153, 16, v10
	;; [unrolled: 1-line block ×3, first 2 shown]
	v_cvt_f32_f16_e32 v9, v9
	v_cvt_f32_f16_e32 v8, v8
	v_mul_f32_e32 v14, v14, v148
	v_exp_f32_e32 v150, v15
	v_cndmask_b32_e64 v15, 0, v12, s29
	v_cndmask_b32_e64 v12, 1.0, 0x1f800000, s46
	v_cmp_gt_f32_e64 s46, 0xc2fc0000, v146
	v_cndmask_b32_e64 v146, 1.0, v14, s29
	v_mul_f32_e32 v14, v144, v147
	v_cvt_f32_f16_e64 v164, v152
	v_cvt_f32_f16_e64 v166, v153
	v_cndmask_b32_e64 v148, 0, 0x42800000, s46
	v_cvt_f32_f16_e64 v171, v154
	v_mul_f32_e32 v147, v150, v12
	v_cndmask_b32_e64 v12, 0, v14, s30
	v_cndmask_b32_e64 v14, 1.0, 0x1f800000, vcc_lo
	v_fmac_f32_e32 v151, v168, v96
	v_fmac_f32_e32 v148, v168, v97
	v_dual_mul_f32 v153, v168, v99 :: v_dual_mul_f32 v158, v138, v158
	v_dual_mul_f32 v154, v168, v100 :: v_dual_mul_f32 v9, v135, v9
	s_delay_alu instid0(VALU_DEP_4)
	v_exp_f32_e32 v150, v151
	v_mul_f32_e32 v151, v168, v98
	v_exp_f32_e32 v152, v148
	v_cndmask_b32_e64 v148, 1.0, v147, s30
	v_cndmask_b32_e64 v147, 1.0, 0x1f800000, s46
	v_cmp_gt_f32_e64 s46, 0xc2fc0000, v153
	v_cvt_f32_f16_e32 v10, v10
	v_cvt_f32_f16_e32 v11, v11
	v_mul_f32_e32 v169, v168, v122
	s_delay_alu instid0(TRANS32_DEP_2) | instskip(SKIP_1) | instid1(TRANS32_DEP_1)
	v_dual_mul_f32 v159, v136, v159 :: v_dual_mul_f32 v14, v150, v14
	v_cndmask_b32_e64 v153, 0, 0x42800000, s46
	v_dual_mul_f32 v147, v152, v147 :: v_dual_mul_f32 v10, v133, v10
	v_cndmask_b32_e64 v13, 0, v13, s31
	s_delay_alu instid0(VALU_DEP_4)
	v_cndmask_b32_e64 v150, 1.0, v14, s31
	v_mul_f32_e32 v14, v142, v155
	v_cmp_gt_f32_e32 vcc_lo, 0xc2fc0000, v151
	v_cndmask_b32_e64 v152, 1.0, v147, s33
	v_dual_fmac_f32 v153, v168, v99 :: v_dual_mul_f32 v8, v137, v8
	v_mul_f32_e32 v155, v168, v101
	v_cndmask_b32_e64 v151, 0, 0x42800000, vcc_lo
	v_cndmask_b32_e64 v147, 1.0, 0x1f800000, vcc_lo
	v_cmp_gt_f32_e32 vcc_lo, 0xc2fc0000, v154
	v_exp_f32_e32 v153, v153
	v_cmp_gt_f32_e64 s47, 0xc2fc0000, v155
	v_fmac_f32_e32 v151, v168, v98
	v_mul_f32_e32 v162, v168, v115
	v_cndmask_b32_e64 v154, 0, 0x42800000, vcc_lo
	v_cvt_f32_f16_e64 v149, v149
	v_cndmask_b32_e64 v155, 0, 0x42800000, s47
	v_exp_f32_e32 v151, v151
	v_cndmask_b32_e64 v14, 0, v14, s33
	v_dual_fmac_f32 v154, v168, v100 :: v_dual_mul_f32 v11, v131, v11
	s_delay_alu instid0(VALU_DEP_3) | instskip(SKIP_2) | instid1(VALU_DEP_4)
	v_fmac_f32_e32 v155, v168, v101
	v_mul_f32_e32 v170, v168, v123
	v_mul_f32_e32 v166, v132, v166
	v_exp_f32_e32 v160, v154
	s_delay_alu instid0(TRANS32_DEP_2)
	v_mul_f32_e32 v151, v151, v147
	v_mul_f32_e32 v147, v141, v156
	v_cndmask_b32_e64 v156, 1.0, 0x1f800000, s46
	v_cmp_gt_f32_e64 s46, 0xc2fc0000, v162
	v_mul_f32_e32 v162, v168, v121
	v_cndmask_b32_e64 v154, 1.0, v151, s34
	v_cndmask_b32_e64 v147, 0, v147, s34
	v_mul_f32_e32 v151, v153, v156
	v_cndmask_b32_e64 v153, 1.0, 0x1f800000, vcc_lo
	v_exp_f32_e32 v156, v155
	v_cndmask_b32_e64 v166, 0, v166, s43
	s_delay_alu instid0(VALU_DEP_3) | instskip(NEXT) | instid1(VALU_DEP_3)
	v_cndmask_b32_e64 v155, 1.0, v151, s35
	v_mul_f32_e32 v153, v160, v153
	v_mul_f32_e32 v151, v139, v157
	v_cndmask_b32_e64 v160, 1.0, 0x1f800000, s47
	s_delay_alu instid0(VALU_DEP_3)
	v_cndmask_b32_e64 v157, 1.0, v153, s36
	v_mul_f32_e32 v161, v168, v104
	v_cndmask_b32_e64 v153, 0, v158, s37
	v_mul_f32_e32 v158, v168, v118
	v_mul_f32_e32 v156, v156, v160
	v_cndmask_b32_e64 v151, 0, v151, s36
	v_cmp_gt_f32_e32 vcc_lo, 0xc2fc0000, v161
	s_delay_alu instid0(VALU_DEP_4) | instskip(NEXT) | instid1(VALU_DEP_4)
	v_cmp_gt_f32_e64 s47, 0xc2fc0000, v158
	v_cndmask_b32_e64 v160, 1.0, v156, s37
	v_cndmask_b32_e64 v161, 0, 0x42800000, vcc_lo
	v_cndmask_b32_e64 v163, 1.0, 0x1f800000, vcc_lo
	s_delay_alu instid0(VALU_DEP_4) | instskip(SKIP_1) | instid1(VALU_DEP_4)
	v_cndmask_b32_e64 v158, 0, 0x42800000, s47
	v_cmp_gt_f32_e32 vcc_lo, 0xc2fc0000, v162
	v_fmac_f32_e32 v161, v168, v104
	s_delay_alu instid0(VALU_DEP_3) | instskip(SKIP_1) | instid1(VALU_DEP_3)
	v_fmac_f32_e32 v158, v168, v118
	v_cndmask_b32_e64 v162, 0, 0x42800000, vcc_lo
	v_exp_f32_e32 v156, v161
	v_cndmask_b32_e64 v161, 0, 0x42800000, s46
	s_delay_alu instid0(VALU_DEP_2) | instskip(NEXT) | instid1(VALU_DEP_2)
	v_fmac_f32_e32 v162, v168, v121
	v_fmac_f32_e32 v161, v168, v115
	s_delay_alu instid0(VALU_DEP_2) | instskip(NEXT) | instid1(VALU_DEP_1)
	v_exp_f32_e32 v167, v162
	v_exp_f32_e32 v165, v161
	s_delay_alu instid0(TRANS32_DEP_3)
	v_mul_f32_e32 v161, v156, v163
	v_cndmask_b32_e64 v156, 0, v8, s38
	v_exp_f32_e32 v8, v158
	v_cndmask_b32_e64 v158, 1.0, 0x1f800000, s46
	v_cndmask_b32_e64 v163, 1.0, 0x1f800000, s47
	v_cmp_gt_f32_e64 s46, 0xc2fc0000, v170
	v_cndmask_b32_e64 v161, 1.0, v161, s38
	s_delay_alu instid0(TRANS32_DEP_2) | instid1(VALU_DEP_4)
	v_mul_f32_e32 v162, v165, v158
	v_cndmask_b32_e64 v165, 1.0, 0x1f800000, vcc_lo
	v_cmp_gt_f32_e32 vcc_lo, 0xc2fc0000, v169
	s_delay_alu instid0(TRANS32_DEP_1)
	v_mul_f32_e32 v8, v8, v163
	v_cndmask_b32_e64 v158, 0, v159, s39
	v_cndmask_b32_e64 v159, 0, v9, s40
	v_mul_f32_e32 v9, v134, v164
	v_fma_f32 v169, v148, v15, v12
	v_cndmask_b32_e64 v163, 1.0, v8, s40
	v_mul_f32_e32 v8, v167, v165
	v_cndmask_b32_e64 v165, 0, 0x42800000, vcc_lo
	v_mul_f32_e32 v167, v148, v146
	v_cndmask_b32_e64 v164, 0, v9, s41
	v_cndmask_b32_e64 v162, 1.0, v162, s39
	v_cndmask_b32_e64 v170, 1.0, v8, s41
	v_fmac_f32_e32 v165, v168, v122
	v_mul_f32_e32 v9, v167, v150
	v_fma_f32 v167, v169, v150, v13
	v_cndmask_b32_e64 v8, 1.0, 0x1f800000, vcc_lo
	v_cndmask_b32_e64 v169, 0, 0x42800000, s46
	v_exp_f32_e32 v165, v165
	v_mul_f32_e32 v149, v140, v149
	v_mul_f32_e32 v9, v9, v152
	v_fma_f32 v167, v167, v152, v14
	v_fmac_f32_e32 v169, v168, v123
	s_delay_alu instid0(VALU_DEP_3) | instskip(NEXT) | instid1(VALU_DEP_3)
	v_mul_f32_e32 v9, v9, v154
	v_fma_f32 v167, v167, v154, v147
	s_delay_alu instid0(VALU_DEP_3) | instskip(NEXT) | instid1(TRANS32_DEP_2)
	v_exp_f32_e32 v169, v169
	v_mul_f32_e32 v8, v165, v8
	v_cndmask_b32_e64 v149, 0, v149, s35
	v_mul_f32_e32 v9, v9, v155
	v_cndmask_b32_e64 v165, 0, v10, s42
	v_cndmask_b32_e64 v10, 1.0, 0x1f800000, s46
	s_delay_alu instid0(VALU_DEP_4)
	v_fma_f32 v172, v167, v155, v149
	v_cndmask_b32_e64 v167, 1.0, v8, s42
	v_mul_f32_e32 v8, v9, v157
	s_delay_alu instid0(TRANS32_DEP_1) | instid1(VALU_DEP_4)
	v_mul_f32_e32 v10, v169, v10
	s_delay_alu instid0(VALU_DEP_4) | instskip(SKIP_1) | instid1(VALU_DEP_4)
	v_fma_f32 v9, v172, v157, v151
	v_mul_f32_e32 v172, v168, v124
	v_mul_f32_e32 v8, v8, v160
	s_delay_alu instid0(VALU_DEP_3) | instskip(NEXT) | instid1(VALU_DEP_3)
	v_fma_f32 v9, v9, v160, v153
	v_cmp_gt_f32_e32 vcc_lo, 0xc2fc0000, v172
	v_mul_f32_e32 v172, v168, v125
	s_delay_alu instid0(VALU_DEP_4) | instskip(NEXT) | instid1(VALU_DEP_4)
	v_mul_f32_e32 v8, v8, v161
	v_fma_f32 v9, v9, v161, v156
	v_cndmask_b32_e64 v169, 0, 0x42800000, vcc_lo
	s_delay_alu instid0(VALU_DEP_4) | instskip(NEXT) | instid1(VALU_DEP_4)
	v_cmp_gt_f32_e64 s46, 0xc2fc0000, v172
	v_mul_f32_e32 v8, v8, v162
	s_delay_alu instid0(VALU_DEP_4) | instskip(NEXT) | instid1(VALU_DEP_4)
	v_fma_f32 v9, v9, v162, v158
	v_fmac_f32_e32 v169, v168, v124
	s_delay_alu instid0(VALU_DEP_4) | instskip(NEXT) | instid1(VALU_DEP_4)
	v_cndmask_b32_e64 v172, 0, 0x42800000, s46
	v_mul_f32_e32 v8, v8, v163
	s_delay_alu instid0(VALU_DEP_4) | instskip(NEXT) | instid1(VALU_DEP_4)
	v_fma_f32 v9, v9, v163, v159
	v_exp_f32_e32 v173, v169
	s_delay_alu instid0(VALU_DEP_3)
	v_fmac_f32_e32 v172, v168, v125
	v_cndmask_b32_e64 v169, 1.0, v10, s43
	v_cndmask_b32_e64 v10, 1.0, 0x1f800000, vcc_lo
	v_mul_f32_e32 v8, v8, v170
	v_fma_f32 v9, v9, v170, v164
	v_exp_f32_e32 v174, v172
	v_cndmask_b32_e64 v168, 0, v11, s44
	v_cndmask_b32_e64 v11, 1.0, 0x1f800000, s46
	v_mul_f32_e32 v8, v8, v167
	v_mul_f32_e32 v10, v173, v10
	v_fma_f32 v9, v9, v167, v165
	s_delay_alu instid0(VALU_DEP_3) | instskip(NEXT) | instid1(VALU_DEP_3)
	v_mul_f32_e32 v8, v8, v169
	v_cndmask_b32_e64 v172, 1.0, v10, s44
	v_mul_f32_e32 v10, v126, v171
	s_delay_alu instid0(TRANS32_DEP_1) | instskip(SKIP_1) | instid1(VALU_DEP_4)
	v_mul_f32_e32 v11, v174, v11
	v_fma_f32 v9, v9, v169, v166
	v_mul_f32_e32 v8, v8, v172
	s_delay_alu instid0(VALU_DEP_4) | instskip(NEXT) | instid1(VALU_DEP_4)
	v_cndmask_b32_e64 v171, 0, v10, s45
	v_cndmask_b32_e64 v173, 1.0, v11, s45
	s_delay_alu instid0(VALU_DEP_4) | instskip(NEXT) | instid1(VALU_DEP_2)
	v_fma_f32 v9, v9, v172, v168
	v_mul_f32_e32 v8, v8, v173
	s_delay_alu instid0(VALU_DEP_2) | instskip(NEXT) | instid1(VALU_DEP_2)
	v_fma_f32 v9, v9, v173, v171
	v_mov_b32_dpp v11, v8 row_shr:1 row_mask:0xf bank_mask:0xf
	s_delay_alu instid0(VALU_DEP_2)
	v_mov_b32_dpp v10, v9 row_shr:1 row_mask:0xf bank_mask:0xf
	s_and_saveexec_b32 s46, s0
; %bb.180:                              ;   in Loop: Header=BB125_109 Depth=2
	s_delay_alu instid0(VALU_DEP_2) | instskip(NEXT) | instid1(VALU_DEP_1)
	v_mul_f32_e32 v11, v8, v11
	v_dual_fmac_f32 v9, v8, v10 :: v_dual_mov_b32 v8, v11
; %bb.181:                              ;   in Loop: Header=BB125_109 Depth=2
	s_or_b32 exec_lo, exec_lo, s46
	s_delay_alu instid0(VALU_DEP_1) | instskip(NEXT) | instid1(VALU_DEP_2)
	v_mov_b32_dpp v10, v8 row_shr:2 row_mask:0xf bank_mask:0xf
	v_mov_b32_dpp v11, v9 row_shr:2 row_mask:0xf bank_mask:0xf
	s_and_saveexec_b32 s46, s1
; %bb.182:                              ;   in Loop: Header=BB125_109 Depth=2
	s_delay_alu instid0(VALU_DEP_1) | instskip(NEXT) | instid1(VALU_DEP_3)
	v_fmac_f32_e32 v9, v8, v11
	v_mul_f32_e32 v8, v8, v10
; %bb.183:                              ;   in Loop: Header=BB125_109 Depth=2
	s_or_b32 exec_lo, exec_lo, s46
	s_delay_alu instid0(VALU_DEP_1) | instskip(NEXT) | instid1(VALU_DEP_3)
	v_mov_b32_dpp v10, v8 row_shr:4 row_mask:0xf bank_mask:0xf
	v_mov_b32_dpp v11, v9 row_shr:4 row_mask:0xf bank_mask:0xf
	s_and_saveexec_b32 s46, s2
; %bb.184:                              ;   in Loop: Header=BB125_109 Depth=2
	s_delay_alu instid0(VALU_DEP_1) | instskip(NEXT) | instid1(VALU_DEP_3)
	v_fmac_f32_e32 v9, v8, v11
	v_mul_f32_e32 v8, v8, v10
; %bb.185:                              ;   in Loop: Header=BB125_109 Depth=2
	s_or_b32 exec_lo, exec_lo, s46
	s_delay_alu instid0(VALU_DEP_1) | instskip(NEXT) | instid1(VALU_DEP_3)
	v_mov_b32_dpp v10, v8 row_shr:8 row_mask:0xf bank_mask:0xf
	v_mov_b32_dpp v11, v9 row_shr:8 row_mask:0xf bank_mask:0xf
	s_and_saveexec_b32 s46, s3
; %bb.186:                              ;   in Loop: Header=BB125_109 Depth=2
	s_delay_alu instid0(VALU_DEP_1) | instskip(NEXT) | instid1(VALU_DEP_3)
	v_fmac_f32_e32 v9, v8, v11
	v_mul_f32_e32 v8, v8, v10
; %bb.187:                              ;   in Loop: Header=BB125_109 Depth=2
	s_or_b32 exec_lo, exec_lo, s46
	ds_swizzle_b32 v11, v8 offset:swizzle(BROADCAST,32,15)
	ds_swizzle_b32 v10, v9 offset:swizzle(BROADCAST,32,15)
	s_and_saveexec_b32 s46, s4
	s_cbranch_execz .LBB125_189
; %bb.188:                              ;   in Loop: Header=BB125_109 Depth=2
	s_waitcnt lgkmcnt(1)
	v_mul_f32_e32 v11, v8, v11
	s_waitcnt lgkmcnt(0)
	s_delay_alu instid0(VALU_DEP_1)
	v_dual_fmac_f32 v9, v8, v10 :: v_dual_mov_b32 v8, v11
.LBB125_189:                            ;   in Loop: Header=BB125_109 Depth=2
	s_or_b32 exec_lo, exec_lo, s46
	s_and_saveexec_b32 s46, s5
	s_cbranch_execz .LBB125_191
; %bb.190:                              ;   in Loop: Header=BB125_109 Depth=2
	ds_store_b64 v69, v[8:9] offset:8448
.LBB125_191:                            ;   in Loop: Header=BB125_109 Depth=2
	s_or_b32 exec_lo, exec_lo, s46
	s_waitcnt vmcnt(0) lgkmcnt(0)
	s_waitcnt_vscnt null, 0x0
	s_barrier
	buffer_gl0_inv
	s_and_saveexec_b32 s46, s6
	s_cbranch_execz .LBB125_195
; %bb.192:                              ;   in Loop: Header=BB125_109 Depth=2
	ds_load_b64 v[10:11], v70 offset:8448
	s_waitcnt lgkmcnt(0)
	v_mov_b32_dpp v176, v10 row_shr:1 row_mask:0xf bank_mask:0xf
	v_mov_b32_dpp v175, v11 row_shr:1 row_mask:0xf bank_mask:0xf
	v_mov_b32_e32 v174, v10
	s_and_saveexec_b32 s47, s7
; %bb.193:                              ;   in Loop: Header=BB125_109 Depth=2
	s_delay_alu instid0(VALU_DEP_3) | instskip(NEXT) | instid1(VALU_DEP_3)
	v_mul_f32_e32 v174, v10, v176
	v_fmac_f32_e32 v11, v10, v175
	s_delay_alu instid0(VALU_DEP_2)
	v_mov_b32_e32 v10, v174
; %bb.194:                              ;   in Loop: Header=BB125_109 Depth=2
	s_or_b32 exec_lo, exec_lo, s47
	v_mov_b32_dpp v174, v174 row_shr:2 row_mask:0xf bank_mask:0xf
	s_delay_alu instid0(VALU_DEP_3) | instskip(NEXT) | instid1(VALU_DEP_2)
	v_mov_b32_dpp v175, v11 row_shr:2 row_mask:0xf bank_mask:0xf
	v_mul_f32_e32 v174, v10, v174
	s_delay_alu instid0(VALU_DEP_2) | instskip(NEXT) | instid1(VALU_DEP_2)
	v_fma_f32 v175, v10, v175, v11
	v_cndmask_b32_e64 v10, v10, v174, s8
	s_delay_alu instid0(VALU_DEP_2)
	v_cndmask_b32_e64 v11, v11, v175, s8
	ds_store_b64 v70, v[10:11] offset:8448
.LBB125_195:                            ;   in Loop: Header=BB125_109 Depth=2
	s_or_b32 exec_lo, exec_lo, s46
	s_waitcnt lgkmcnt(0)
	s_barrier
	buffer_gl0_inv
                                        ; implicit-def: $vgpr11
	s_and_saveexec_b32 s46, s10
	s_cbranch_execz .LBB125_197
; %bb.196:                              ;   in Loop: Header=BB125_109 Depth=2
	ds_load_b64 v[10:11], v69 offset:8440
	s_waitcnt lgkmcnt(0)
	v_mul_f32_e32 v174, v8, v10
	s_delay_alu instid0(VALU_DEP_1)
	v_dual_fmac_f32 v9, v8, v11 :: v_dual_mov_b32 v8, v174
.LBB125_197:                            ;   in Loop: Header=BB125_109 Depth=2
	s_or_b32 exec_lo, exec_lo, s46
	ds_bpermute_b32 v174, v71, v8
	ds_bpermute_b32 v175, v71, v9
	s_and_saveexec_b32 s46, s9
	s_cbranch_execz .LBB125_201
; %bb.198:                              ;   in Loop: Header=BB125_109 Depth=2
	ds_load_b64 v[8:9], v21 offset:8472
	s_and_saveexec_b32 s47, s11
	s_cbranch_execz .LBB125_200
; %bb.199:                              ;   in Loop: Header=BB125_109 Depth=2
	ds_store_b64 v21, v[16:17] offset:8472
.LBB125_200:                            ;   in Loop: Header=BB125_109 Depth=2
	s_or_b32 exec_lo, exec_lo, s47
	s_waitcnt lgkmcnt(0)
	v_fmac_f32_e32 v9, v17, v8
	s_delay_alu instid0(VALU_DEP_1)
	v_dual_mul_f32 v16, v16, v8 :: v_dual_mov_b32 v17, v9
.LBB125_201:                            ;   in Loop: Header=BB125_109 Depth=2
	s_or_b32 exec_lo, exec_lo, s46
	s_waitcnt lgkmcnt(0)
	s_barrier
	buffer_gl0_inv
	ds_load_b32 v8, v21 offset:8476
	s_and_saveexec_b32 s46, s11
	s_cbranch_execz .LBB125_108
; %bb.202:                              ;   in Loop: Header=BB125_109 Depth=2
	v_mov_b32_e32 v9, s91
	s_and_not1_b32 vcc_lo, exec_lo, s89
	ds_store_b64 v9, v[16:17]
	s_cbranch_vccnz .LBB125_108
; %bb.203:                              ;   in Loop: Header=BB125_109 Depth=2
	s_mov_b32 s59, s67
	s_delay_alu instid0(SALU_CYCLE_1) | instskip(NEXT) | instid1(SALU_CYCLE_1)
	s_lshl_b64 s[92:93], s[58:59], 2
	s_add_u32 s92, s77, s92
	s_addc_u32 s93, s78, s93
	global_store_b32 v21, v17, s[92:93]
	s_branch .LBB125_108
.LBB125_204:                            ;   in Loop: Header=BB125_12 Depth=1
	v_cvt_f16_f32_e32 v0, v120
	v_cvt_f16_f32_e32 v4, v113
	;; [unrolled: 1-line block ×16, first 2 shown]
	v_pack_b32_f16 v3, v3, v7
	v_pack_b32_f16 v2, v2, v6
	;; [unrolled: 1-line block ×8, first 2 shown]
	s_waitcnt_vscnt null, 0x0
	s_barrier
	buffer_gl0_inv
	ds_store_b128 v52, v[0:3]
	ds_store_b128 v52, v[4:7] offset:16
	; wave barrier
	ds_load_u16 v16, v37 offset:64
	ds_load_u16 v15, v38 offset:128
	;; [unrolled: 1-line block ×15, first 2 shown]
	s_mov_b32 s51, s67
	s_delay_alu instid0(SALU_CYCLE_1) | instskip(NEXT) | instid1(SALU_CYCLE_1)
	s_lshl_b64 s[34:35], s[50:51], 1
	v_add_co_u32 v0, vcc_lo, v72, s34
	v_add_co_ci_u32_e32 v1, vcc_lo, s35, v73, vcc_lo
	s_and_saveexec_b32 s29, s13
	s_cbranch_execnz .LBB125_271
; %bb.205:                              ;   in Loop: Header=BB125_12 Depth=1
	s_or_b32 exec_lo, exec_lo, s29
	s_and_saveexec_b32 s29, s14
	s_cbranch_execnz .LBB125_272
.LBB125_206:                            ;   in Loop: Header=BB125_12 Depth=1
	s_or_b32 exec_lo, exec_lo, s29
	s_and_saveexec_b32 s29, s15
	s_cbranch_execnz .LBB125_273
.LBB125_207:                            ;   in Loop: Header=BB125_12 Depth=1
	s_or_b32 exec_lo, exec_lo, s29
	s_and_saveexec_b32 s29, s16
	s_cbranch_execnz .LBB125_274
.LBB125_208:                            ;   in Loop: Header=BB125_12 Depth=1
	s_or_b32 exec_lo, exec_lo, s29
	s_and_saveexec_b32 s29, s17
	s_cbranch_execnz .LBB125_275
.LBB125_209:                            ;   in Loop: Header=BB125_12 Depth=1
	s_or_b32 exec_lo, exec_lo, s29
	s_and_saveexec_b32 s29, s18
	s_cbranch_execnz .LBB125_276
.LBB125_210:                            ;   in Loop: Header=BB125_12 Depth=1
	s_or_b32 exec_lo, exec_lo, s29
	s_and_saveexec_b32 s29, s19
	s_cbranch_execnz .LBB125_277
.LBB125_211:                            ;   in Loop: Header=BB125_12 Depth=1
	s_or_b32 exec_lo, exec_lo, s29
	s_and_saveexec_b32 s29, s20
	s_cbranch_execnz .LBB125_278
.LBB125_212:                            ;   in Loop: Header=BB125_12 Depth=1
	s_or_b32 exec_lo, exec_lo, s29
	s_and_saveexec_b32 s29, s21
	s_cbranch_execnz .LBB125_279
.LBB125_213:                            ;   in Loop: Header=BB125_12 Depth=1
	s_or_b32 exec_lo, exec_lo, s29
	s_and_saveexec_b32 s29, s22
	s_cbranch_execnz .LBB125_280
.LBB125_214:                            ;   in Loop: Header=BB125_12 Depth=1
	s_or_b32 exec_lo, exec_lo, s29
	s_and_saveexec_b32 s29, s23
	s_cbranch_execnz .LBB125_281
.LBB125_215:                            ;   in Loop: Header=BB125_12 Depth=1
	s_or_b32 exec_lo, exec_lo, s29
	s_and_saveexec_b32 s29, s24
	s_cbranch_execnz .LBB125_282
.LBB125_216:                            ;   in Loop: Header=BB125_12 Depth=1
	s_or_b32 exec_lo, exec_lo, s29
	s_and_saveexec_b32 s29, s25
	s_cbranch_execnz .LBB125_283
.LBB125_217:                            ;   in Loop: Header=BB125_12 Depth=1
	s_or_b32 exec_lo, exec_lo, s29
	s_and_saveexec_b32 s29, s26
	s_cbranch_execnz .LBB125_284
.LBB125_218:                            ;   in Loop: Header=BB125_12 Depth=1
	s_or_b32 exec_lo, exec_lo, s29
	s_and_saveexec_b32 s29, s27
	s_cbranch_execnz .LBB125_285
.LBB125_219:                            ;   in Loop: Header=BB125_12 Depth=1
	s_or_b32 exec_lo, exec_lo, s29
	s_and_saveexec_b32 s29, s28
	s_cbranch_execz .LBB125_221
.LBB125_220:                            ;   in Loop: Header=BB125_12 Depth=1
	s_waitcnt lgkmcnt(0)
	global_store_b16 v[0:1], v2, off offset:960
.LBB125_221:                            ;   in Loop: Header=BB125_12 Depth=1
	s_or_b32 exec_lo, exec_lo, s29
	v_add_co_u32 v0, vcc_lo, v74, s34
	v_add_co_ci_u32_e32 v1, vcc_lo, s35, v75, vcc_lo
	s_waitcnt lgkmcnt(0)
	v_dual_mov_b32 v2, 0 :: v_dual_mov_b32 v3, 0
	s_waitcnt_vscnt null, 0x0
	s_barrier
	buffer_gl0_inv
	s_and_saveexec_b32 s29, s13
	s_cbranch_execz .LBB125_223
; %bb.222:                              ;   in Loop: Header=BB125_12 Depth=1
	global_load_u16 v3, v[0:1], off
.LBB125_223:                            ;   in Loop: Header=BB125_12 Depth=1
	s_or_b32 exec_lo, exec_lo, s29
	s_and_saveexec_b32 s29, s14
	s_cbranch_execz .LBB125_225
; %bb.224:                              ;   in Loop: Header=BB125_12 Depth=1
	global_load_u16 v2, v[0:1], off offset:64
.LBB125_225:                            ;   in Loop: Header=BB125_12 Depth=1
	s_or_b32 exec_lo, exec_lo, s29
	v_dual_mov_b32 v4, 0 :: v_dual_mov_b32 v5, 0
	s_and_saveexec_b32 s29, s15
	s_cbranch_execz .LBB125_227
; %bb.226:                              ;   in Loop: Header=BB125_12 Depth=1
	global_load_u16 v5, v[0:1], off offset:128
.LBB125_227:                            ;   in Loop: Header=BB125_12 Depth=1
	s_or_b32 exec_lo, exec_lo, s29
	s_and_saveexec_b32 s29, s16
	s_cbranch_execz .LBB125_229
; %bb.228:                              ;   in Loop: Header=BB125_12 Depth=1
	global_load_u16 v4, v[0:1], off offset:192
.LBB125_229:                            ;   in Loop: Header=BB125_12 Depth=1
	s_or_b32 exec_lo, exec_lo, s29
	v_dual_mov_b32 v6, 0 :: v_dual_mov_b32 v7, 0
	s_and_saveexec_b32 s29, s17
	s_cbranch_execz .LBB125_231
; %bb.230:                              ;   in Loop: Header=BB125_12 Depth=1
	global_load_u16 v7, v[0:1], off offset:256
.LBB125_231:                            ;   in Loop: Header=BB125_12 Depth=1
	;; [unrolled: 13-line block ×7, first 2 shown]
	s_or_b32 exec_lo, exec_lo, s29
	s_and_saveexec_b32 s29, s28
	s_cbranch_execz .LBB125_253
; %bb.252:                              ;   in Loop: Header=BB125_12 Depth=1
	global_load_u16 v16, v[0:1], off offset:960
.LBB125_253:                            ;   in Loop: Header=BB125_12 Depth=1
	s_or_b32 exec_lo, exec_lo, s29
	s_waitcnt vmcnt(0)
	ds_store_b16 v37, v3
	ds_store_b16 v37, v2 offset:64
	ds_store_b16 v38, v5 offset:128
	ds_store_b16 v39, v4 offset:192
	ds_store_b16 v40, v7 offset:256
	ds_store_b16 v41, v6 offset:320
	ds_store_b16 v42, v9 offset:384
	ds_store_b16 v43, v8 offset:448
	ds_store_b16 v44, v11 offset:512
	ds_store_b16 v45, v10 offset:576
	ds_store_b16 v46, v13 offset:640
	ds_store_b16 v47, v12 offset:704
	ds_store_b16 v48, v15 offset:768
	ds_store_b16 v49, v14 offset:832
	ds_store_b16 v50, v17 offset:896
	ds_store_b16 v51, v16 offset:960
	; wave barrier
	ds_load_b128 v[4:7], v52
	ds_load_b128 v[0:3], v52 offset:16
	s_waitcnt lgkmcnt(0)
	s_barrier
	buffer_gl0_inv
	v_lshrrev_b32_e32 v8, 16, v4
	v_lshrrev_b32_e32 v9, 16, v5
	v_cvt_f32_f16_e32 v10, v5
	v_cvt_f32_f16_e32 v11, v4
	v_lshrrev_b32_e32 v104, 16, v6
	v_cvt_f32_f16_e32 v8, v8
	v_cvt_f32_f16_e32 v9, v9
	v_mul_f32_e32 v12, 0xbfb8aa3b, v10
	v_mul_f32_e32 v14, 0xbfb8aa3b, v11
	v_cvt_f32_f16_e32 v104, v104
	v_mul_f32_e32 v13, 0xbfb8aa3b, v8
	v_mul_f32_e32 v15, 0xbfb8aa3b, v9
	v_rndne_f32_e32 v16, v12
	v_fma_mix_f32 v17, v5, s86, -v12 op_sel_hi:[1,0,0]
	v_cmp_nlt_f32_e32 vcc_lo, 0x42ce8ed0, v8
	v_rndne_f32_e32 v94, v13
	v_fma_mix_f32 v95, v4, s86, -v13 op_sel:[1,0,0] op_sel_hi:[1,0,0]
	v_fma_mix_f32 v97, v5, s86, -v15 op_sel:[1,0,0] op_sel_hi:[1,0,0]
	v_rndne_f32_e32 v96, v15
	s_delay_alu instid0(VALU_DEP_4) | instskip(NEXT) | instid1(VALU_DEP_4)
	v_dual_sub_f32 v12, v12, v16 :: v_dual_sub_f32 v13, v13, v94
	v_fma_mix_f32 v95, v4, s87, v95 op_sel:[1,0,0] op_sel_hi:[1,0,0]
	s_delay_alu instid0(VALU_DEP_4) | instskip(SKIP_4) | instid1(VALU_DEP_4)
	v_fma_mix_f32 v97, v5, s87, v97 op_sel:[1,0,0] op_sel_hi:[1,0,0]
	v_fma_mix_f32 v5, v5, s87, v17 op_sel_hi:[1,0,0]
	v_rndne_f32_e32 v17, v14
	v_sub_f32_e32 v15, v15, v96
	v_cvt_i32_f32_e32 v16, v16
	v_add_f32_e32 v5, v12, v5
	s_delay_alu instid0(VALU_DEP_4) | instskip(SKIP_2) | instid1(VALU_DEP_4)
	v_dual_sub_f32 v12, v14, v17 :: v_dual_add_f32 v13, v13, v95
	v_fma_mix_f32 v95, v4, s86, -v14 op_sel_hi:[1,0,0]
	v_add_f32_e32 v15, v15, v97
	v_exp_f32_e32 v5, v5
	v_cvt_i32_f32_e32 v17, v17
	s_delay_alu instid0(VALU_DEP_3) | instskip(NEXT) | instid1(VALU_DEP_3)
	v_fma_mix_f32 v4, v4, s87, v95 op_sel_hi:[1,0,0]
	v_exp_f32_e32 v14, v15
	v_cvt_i32_f32_e32 v15, v94
	s_delay_alu instid0(VALU_DEP_2) | instskip(SKIP_2) | instid1(TRANS32_DEP_3)
	v_add_f32_e32 v4, v12, v4
	v_exp_f32_e32 v13, v13
	v_cvt_i32_f32_e32 v12, v96
	v_ldexp_f32 v5, v5, v16
	s_delay_alu instid0(VALU_DEP_3)
	v_exp_f32_e32 v4, v4
	s_delay_alu instid0(TRANS32_DEP_3) | instid1(VALU_DEP_2)
	v_ldexp_f32 v12, v14, v12
	s_waitcnt_depctr 0xfff
	v_ldexp_f32 v13, v13, v15
	v_ldexp_f32 v4, v4, v17
	s_delay_alu instid0(VALU_DEP_2)
	v_cndmask_b32_e32 v13, 0, v13, vcc_lo
	v_cmp_nlt_f32_e32 vcc_lo, 0x42ce8ed0, v9
	v_cndmask_b32_e32 v12, 0, v12, vcc_lo
	v_cmp_nlt_f32_e32 vcc_lo, 0x42ce8ed0, v10
	v_cndmask_b32_e32 v5, 0, v5, vcc_lo
	v_cmp_ngt_f32_e32 vcc_lo, 0xc2b17218, v8
	v_cndmask_b32_e32 v13, 0x7f800000, v13, vcc_lo
	v_cmp_ngt_f32_e32 vcc_lo, 0xc2b17218, v9
	;; [unrolled: 2-line block ×3, first 2 shown]
	s_delay_alu instid0(VALU_DEP_2) | instskip(NEXT) | instid1(VALU_DEP_1)
	v_add_f32_e32 v12, 1.0, v12
	v_div_scale_f32 v15, null, v12, v12, v9
	v_div_scale_f32 v99, s29, v9, v12, v9
	s_delay_alu instid0(VALU_DEP_2) | instskip(SKIP_4) | instid1(VALU_DEP_3)
	v_rcp_f32_e32 v94, v15
	s_waitcnt_depctr 0xfff
	v_fma_f32 v98, -v15, v94, 1.0
	v_cndmask_b32_e32 v5, 0x7f800000, v5, vcc_lo
	v_cmp_nlt_f32_e32 vcc_lo, 0x42ce8ed0, v11
	v_fmac_f32_e32 v94, v98, v94
	s_delay_alu instid0(VALU_DEP_3) | instskip(SKIP_2) | instid1(VALU_DEP_3)
	v_add_f32_e32 v14, 1.0, v5
	v_cndmask_b32_e32 v4, 0, v4, vcc_lo
	v_cmp_ngt_f32_e32 vcc_lo, 0xc2b17218, v11
	v_div_scale_f32 v16, null, v14, v14, v10
	s_delay_alu instid0(VALU_DEP_3) | instskip(NEXT) | instid1(VALU_DEP_2)
	v_cndmask_b32_e32 v4, 0x7f800000, v4, vcc_lo
	v_rcp_f32_e32 v95, v16
	s_delay_alu instid0(VALU_DEP_1) | instskip(NEXT) | instid1(VALU_DEP_1)
	v_dual_add_f32 v96, 1.0, v4 :: v_dual_add_f32 v13, 1.0, v13
	v_div_scale_f32 v101, null, v96, v96, v11
	s_waitcnt_depctr 0xfff
	v_fma_f32 v100, -v16, v95, 1.0
	v_rcp_f32_e32 v122, v101
	s_delay_alu instid0(VALU_DEP_1) | instskip(SKIP_2) | instid1(VALU_DEP_3)
	v_dual_fmac_f32 v95, v100, v95 :: v_dual_mul_f32 v100, v99, v94
	v_div_scale_f32 v5, null, v13, v13, v8
	v_div_scale_f32 v4, vcc_lo, v8, v13, v8
	v_fma_f32 v121, -v15, v100, v99
	s_delay_alu instid0(VALU_DEP_3) | instskip(SKIP_2) | instid1(VALU_DEP_1)
	v_rcp_f32_e32 v17, v5
	s_waitcnt_depctr 0xfff
	v_fma_f32 v97, -v5, v17, 1.0
	v_fmac_f32_e32 v17, v97, v17
	v_div_scale_f32 v97, s30, v10, v14, v10
	s_delay_alu instid0(VALU_DEP_1) | instskip(NEXT) | instid1(VALU_DEP_1)
	v_dual_mul_f32 v98, v4, v17 :: v_dual_mul_f32 v115, v97, v95
	v_fma_f32 v118, -v5, v98, v4
	s_delay_alu instid0(VALU_DEP_2) | instskip(SKIP_1) | instid1(VALU_DEP_3)
	v_fma_f32 v123, -v16, v115, v97
	v_dual_fmac_f32 v100, v121, v94 :: v_dual_mul_f32 v121, 0xbfb8aa3b, v104
	v_fmac_f32_e32 v98, v118, v17
	v_lshrrev_b32_e32 v118, 16, v7
	s_delay_alu instid0(VALU_DEP_4) | instskip(NEXT) | instid1(VALU_DEP_3)
	v_fmac_f32_e32 v115, v123, v95
	v_fma_f32 v4, -v5, v98, v4
	v_fma_f32 v5, -v15, v100, v99
	v_fma_f32 v15, -v101, v122, 1.0
	v_cvt_f32_f16_e32 v99, v118
	v_rndne_f32_e32 v118, v121
	v_div_fmas_f32 v4, v4, v17, v98
	s_mov_b32 vcc_lo, s29
	v_fma_mix_f32 v17, v6, s86, -v121 op_sel:[1,0,0] op_sel_hi:[1,0,0]
	v_div_fmas_f32 v5, v5, v94, v100
	v_fmac_f32_e32 v122, v15, v122
	v_div_fixup_f32 v4, v4, v13, v8
	v_mul_f32_e32 v13, 0xbfb8aa3b, v99
	v_div_scale_f32 v8, s29, v11, v96, v11
	v_div_fixup_f32 v5, v5, v12, v9
	v_sub_f32_e32 v9, v121, v118
	v_fma_mix_f32 v12, v6, s87, v17 op_sel:[1,0,0] op_sel_hi:[1,0,0]
	v_fma_f32 v15, -v16, v115, v97
	v_mul_f32_e32 v16, v8, v122
	s_mov_b32 vcc_lo, s30
	v_rndne_f32_e32 v17, v13
	v_add_f32_e32 v9, v9, v12
	v_cvt_f32_f16_e32 v12, v7
	v_div_fmas_f32 v15, v15, v95, v115
	v_fma_mix_f32 v94, v7, s86, -v13 op_sel:[1,0,0] op_sel_hi:[1,0,0]
	v_fma_f32 v97, -v101, v16, v8
	v_sub_f32_e32 v13, v13, v17
	v_mul_f32_e32 v95, 0xbfb8aa3b, v12
	v_exp_f32_e32 v9, v9
	v_fma_mix_f32 v94, v7, s87, v94 op_sel:[1,0,0] op_sel_hi:[1,0,0]
	v_fmac_f32_e32 v16, v97, v122
	v_cvt_i32_f32_e32 v98, v118
	v_rndne_f32_e32 v100, v95
	v_fma_mix_f32 v115, v7, s86, -v95 op_sel_hi:[1,0,0]
	v_add_f32_e32 v13, v13, v94
	v_cmp_nlt_f32_e32 vcc_lo, 0x42ce8ed0, v104
	v_cvt_i32_f32_e32 v17, v17
	v_sub_f32_e32 v94, v95, v100
	v_fma_mix_f32 v7, v7, s87, v115 op_sel_hi:[1,0,0]
	v_cvt_f32_f16_e32 v95, v6
	v_ldexp_f32 v9, v9, v98
	v_fma_f32 v8, -v101, v16, v8
	v_div_fixup_f32 v10, v15, v14, v10
	v_add_f32_e32 v7, v94, v7
	v_mul_f32_e32 v94, 0xbfb8aa3b, v95
	s_delay_alu instid0(VALU_DEP_2) | instskip(NEXT) | instid1(VALU_DEP_1)
	v_exp_f32_e32 v7, v7
	v_rndne_f32_e32 v97, v94
	v_fma_mix_f32 v98, v6, s86, -v94 op_sel_hi:[1,0,0]
	s_delay_alu instid0(VALU_DEP_2) | instskip(SKIP_1) | instid1(VALU_DEP_2)
	v_sub_f32_e32 v94, v94, v97
	v_exp_f32_e32 v13, v13
	v_fma_mix_f32 v6, v6, s87, v98 op_sel_hi:[1,0,0]
	v_cndmask_b32_e32 v9, 0, v9, vcc_lo
	v_cmp_ngt_f32_e32 vcc_lo, 0xc2b17218, v104
	s_delay_alu instid0(VALU_DEP_3) | instskip(SKIP_1) | instid1(VALU_DEP_4)
	v_add_f32_e32 v6, v94, v6
	v_cvt_i32_f32_e32 v94, v97
	v_cndmask_b32_e32 v9, 0x7f800000, v9, vcc_lo
	v_cmp_nlt_f32_e32 vcc_lo, 0x42ce8ed0, v99
	s_delay_alu instid0(TRANS32_DEP_1) | instskip(SKIP_2) | instid1(VALU_DEP_2)
	v_ldexp_f32 v13, v13, v17
	v_cvt_i32_f32_e32 v17, v100
	v_exp_f32_e32 v6, v6
	v_cndmask_b32_e32 v13, 0, v13, vcc_lo
	v_cmp_ngt_f32_e32 vcc_lo, 0xc2b17218, v99
	s_delay_alu instid0(VALU_DEP_3) | instskip(NEXT) | instid1(VALU_DEP_3)
	v_ldexp_f32 v7, v7, v17
	v_cndmask_b32_e32 v13, 0x7f800000, v13, vcc_lo
	v_cmp_nlt_f32_e32 vcc_lo, 0x42ce8ed0, v12
	s_waitcnt_depctr 0xfff
	v_ldexp_f32 v6, v6, v94
	v_add_f32_e32 v13, 1.0, v13
	v_cndmask_b32_e32 v7, 0, v7, vcc_lo
	v_cmp_ngt_f32_e32 vcc_lo, 0xc2b17218, v12
	s_delay_alu instid0(VALU_DEP_3) | instskip(NEXT) | instid1(VALU_DEP_3)
	v_div_scale_f32 v100, null, v13, v13, v99
	v_cndmask_b32_e32 v7, 0x7f800000, v7, vcc_lo
	s_mov_b32 vcc_lo, s29
	v_cmp_nlt_f32_e64 s29, 0x42ce8ed0, v95
	v_div_fmas_f32 v8, v8, v122, v16
	v_rcp_f32_e32 v16, v100
	v_add_f32_e32 v94, 1.0, v7
	s_delay_alu instid0(VALU_DEP_3) | instskip(SKIP_2) | instid1(VALU_DEP_2)
	v_cndmask_b32_e64 v6, 0, v6, s29
	v_cmp_ngt_f32_e64 s29, 0xc2b17218, v95
	v_div_fixup_f32 v8, v8, v96, v11
	v_cndmask_b32_e64 v6, 0x7f800000, v6, s29
	s_waitcnt_depctr 0xfff
	v_fma_f32 v115, -v100, v16, 1.0
	s_delay_alu instid0(VALU_DEP_1) | instskip(SKIP_1) | instid1(VALU_DEP_1)
	v_dual_add_f32 v11, 1.0, v6 :: v_dual_fmac_f32 v16, v115, v16
	v_div_scale_f32 v115, s29, v99, v13, v99
	v_dual_add_f32 v9, 1.0, v9 :: v_dual_mul_f32 v14, v115, v16
	s_delay_alu instid0(VALU_DEP_1) | instskip(SKIP_1) | instid1(VALU_DEP_3)
	v_div_scale_f32 v98, null, v9, v9, v104
	v_div_scale_f32 v7, vcc_lo, v104, v9, v104
	v_fma_f32 v96, -v100, v14, v115
	s_delay_alu instid0(VALU_DEP_3) | instskip(NEXT) | instid1(VALU_DEP_1)
	v_rcp_f32_e32 v17, v98
	v_fmac_f32_e32 v14, v96, v16
	s_waitcnt_depctr 0xfff
	v_fma_f32 v97, -v98, v17, 1.0
	s_delay_alu instid0(VALU_DEP_1) | instskip(SKIP_1) | instid1(VALU_DEP_2)
	v_fmac_f32_e32 v17, v97, v17
	v_div_scale_f32 v97, null, v94, v94, v12
	v_mul_f32_e32 v101, v7, v17
	s_delay_alu instid0(VALU_DEP_2) | instskip(NEXT) | instid1(VALU_DEP_1)
	v_rcp_f32_e32 v118, v97
	v_fma_f32 v121, -v98, v101, v7
	s_delay_alu instid0(VALU_DEP_1) | instskip(SKIP_3) | instid1(VALU_DEP_2)
	v_fmac_f32_e32 v101, v121, v17
	s_waitcnt_depctr 0xfff
	v_fma_f32 v6, -v97, v118, 1.0
	v_fma_f32 v7, -v98, v101, v7
	v_fmac_f32_e32 v118, v6, v118
	v_div_scale_f32 v98, s30, v12, v94, v12
	v_fma_mixlo_f16 v6, v120, v8, 0
	s_delay_alu instid0(VALU_DEP_4) | instskip(SKIP_1) | instid1(VALU_DEP_4)
	v_div_fmas_f32 v17, v7, v17, v101
	v_fma_f32 v8, -v100, v14, v115
	v_mul_f32_e32 v96, v98, v118
	v_lshrrev_b32_e32 v101, 16, v0
	s_mov_b32 vcc_lo, s29
	v_fma_mixlo_f16 v7, v119, v10, 0
	v_div_fixup_f32 v10, v17, v9, v104
	v_fma_f32 v9, -v97, v96, v98
	v_div_fmas_f32 v8, v8, v16, v14
	v_cvt_f32_f16_e32 v14, v101
	v_lshrrev_b32_e32 v100, 16, v1
	s_mov_b32 vcc_lo, s30
	v_fmac_f32_e32 v96, v9, v118
	v_div_fixup_f32 v13, v8, v13, v99
	v_mul_f32_e32 v8, 0xbfb8aa3b, v14
	v_cvt_f32_f16_e32 v16, v100
	v_cvt_f32_f16_e32 v99, v1
	v_fma_mixhi_f16 v7, v114, v5, 0
	v_fma_mixhi_f16 v6, v113, v4, 0
	v_rndne_f32_e32 v100, v8
	v_fma_mix_f32 v101, v0, s86, -v8 op_sel:[1,0,0] op_sel_hi:[1,0,0]
	s_delay_alu instid0(VALU_DEP_2) | instskip(NEXT) | instid1(VALU_DEP_2)
	v_sub_f32_e32 v8, v8, v100
	v_fma_mix_f32 v101, v0, s87, v101 op_sel:[1,0,0] op_sel_hi:[1,0,0]
	v_cvt_i32_f32_e32 v100, v100
	s_delay_alu instid0(VALU_DEP_2) | instskip(SKIP_2) | instid1(VALU_DEP_3)
	v_add_f32_e32 v8, v8, v101
	v_div_scale_f32 v15, null, v11, v11, v95
	v_div_scale_f32 v9, s29, v95, v11, v95
	v_exp_f32_e32 v8, v8
	s_delay_alu instid0(VALU_DEP_2) | instskip(SKIP_3) | instid1(VALU_DEP_1)
	v_rcp_f32_e32 v121, v15
	s_waitcnt_depctr 0xfff
	v_ldexp_f32 v8, v8, v100
	v_fma_f32 v17, -v15, v121, 1.0
	v_fmac_f32_e32 v121, v17, v121
	v_fma_f32 v17, -v97, v96, v98
	v_mul_f32_e32 v97, 0xbfb8aa3b, v16
	s_delay_alu instid0(VALU_DEP_2) | instskip(NEXT) | instid1(VALU_DEP_2)
	v_div_fmas_f32 v17, v17, v118, v96
	v_rndne_f32_e32 v104, v97
	v_fma_mix_f32 v115, v1, s86, -v97 op_sel:[1,0,0] op_sel_hi:[1,0,0]
	v_cmp_nlt_f32_e32 vcc_lo, 0x42ce8ed0, v14
	s_delay_alu instid0(VALU_DEP_4) | instskip(NEXT) | instid1(VALU_DEP_4)
	v_div_fixup_f32 v12, v17, v94, v12
	v_sub_f32_e32 v97, v97, v104
	s_delay_alu instid0(VALU_DEP_4) | instskip(SKIP_3) | instid1(VALU_DEP_4)
	v_fma_mix_f32 v115, v1, s87, v115 op_sel:[1,0,0] op_sel_hi:[1,0,0]
	v_cndmask_b32_e32 v8, 0, v8, vcc_lo
	v_cvt_i32_f32_e32 v96, v104
	v_cmp_nlt_f32_e32 vcc_lo, 0x42ce8ed0, v16
	v_add_f32_e32 v97, v97, v115
	s_delay_alu instid0(VALU_DEP_1) | instskip(SKIP_2) | instid1(VALU_DEP_1)
	v_exp_f32_e32 v97, v97
	s_waitcnt_depctr 0xfff
	v_ldexp_f32 v96, v97, v96
	v_cndmask_b32_e32 v96, 0, v96, vcc_lo
	v_cmp_ngt_f32_e32 vcc_lo, 0xc2b17218, v14
	v_mul_f32_e32 v98, v9, v121
	v_cndmask_b32_e32 v8, 0x7f800000, v8, vcc_lo
	v_mul_f32_e32 v119, 0xbfb8aa3b, v99
	s_delay_alu instid0(VALU_DEP_3) | instskip(SKIP_1) | instid1(VALU_DEP_4)
	v_fma_f32 v101, -v15, v98, v9
	v_cmp_ngt_f32_e32 vcc_lo, 0xc2b17218, v16
	v_add_f32_e32 v100, 1.0, v8
	s_delay_alu instid0(VALU_DEP_4)
	v_rndne_f32_e32 v120, v119
	v_fma_mix_f32 v122, v1, s86, -v119 op_sel_hi:[1,0,0]
	v_fmac_f32_e32 v98, v101, v121
	v_cndmask_b32_e32 v96, 0x7f800000, v96, vcc_lo
	v_cmp_nlt_f32_e32 vcc_lo, 0x42ce8ed0, v99
	v_sub_f32_e32 v115, v119, v120
	v_fma_mix_f32 v1, v1, s87, v122 op_sel_hi:[1,0,0]
	v_fma_f32 v9, -v15, v98, v9
	v_cvt_f32_f16_e32 v15, v0
	v_cvt_i32_f32_e32 v97, v120
	s_delay_alu instid0(VALU_DEP_4) | instskip(SKIP_1) | instid1(VALU_DEP_4)
	v_dual_add_f32 v96, 1.0, v96 :: v_dual_add_f32 v1, v115, v1
	v_div_scale_f32 v101, null, v100, v100, v14
	v_cmp_nlt_f32_e64 s30, 0x42ce8ed0, v15
	v_cmp_ngt_f32_e64 s31, 0xc2b17218, v15
	s_delay_alu instid0(VALU_DEP_4) | instskip(NEXT) | instid1(VALU_DEP_3)
	v_exp_f32_e32 v1, v1
	v_rcp_f32_e32 v115, v101
	s_waitcnt_depctr 0xfff
	v_ldexp_f32 v1, v1, v97
	v_mul_f32_e32 v97, 0xbfb8aa3b, v15
	s_delay_alu instid0(VALU_DEP_1) | instskip(SKIP_1) | instid1(VALU_DEP_2)
	v_rndne_f32_e32 v8, v97
	v_fma_mix_f32 v104, v0, s86, -v97 op_sel_hi:[1,0,0]
	v_sub_f32_e32 v97, v97, v8
	s_delay_alu instid0(VALU_DEP_2) | instskip(SKIP_3) | instid1(VALU_DEP_4)
	v_fma_mix_f32 v0, v0, s87, v104 op_sel_hi:[1,0,0]
	v_cndmask_b32_e32 v1, 0, v1, vcc_lo
	v_cmp_ngt_f32_e32 vcc_lo, 0xc2b17218, v99
	v_div_scale_f32 v104, null, v96, v96, v16
	v_add_f32_e32 v0, v97, v0
	v_fma_f32 v97, -v101, v115, 1.0
	v_cndmask_b32_e32 v1, 0x7f800000, v1, vcc_lo
	s_mov_b32 vcc_lo, s29
	v_div_scale_f32 v17, s29, v16, v96, v16
	v_div_fmas_f32 v9, v9, v121, v98
	v_exp_f32_e32 v0, v0
	v_rcp_f32_e32 v98, v104
	v_fmac_f32_e32 v115, v97, v115
	v_div_scale_f32 v97, vcc_lo, v14, v100, v14
	v_div_fixup_f32 v9, v9, v11, v95
	v_cvt_i32_f32_e32 v11, v8
	s_delay_alu instid0(VALU_DEP_2)
	v_fma_mixlo_f16 v8, v117, v9, 0
	s_delay_alu instid0(TRANS32_DEP_2) | instid1(VALU_DEP_2)
	v_ldexp_f32 v0, v0, v11
	s_delay_alu instid0(TRANS32_DEP_1) | instskip(SKIP_1) | instid1(VALU_DEP_4)
	v_fma_f32 v119, -v104, v98, 1.0
	v_mul_f32_e32 v11, v97, v115
	v_fma_mixhi_f16 v8, v110, v10, 0
	s_delay_alu instid0(VALU_DEP_4) | instskip(NEXT) | instid1(VALU_DEP_4)
	v_cndmask_b32_e64 v0, 0, v0, s30
	v_fmac_f32_e32 v98, v119, v98
	s_delay_alu instid0(VALU_DEP_4) | instskip(NEXT) | instid1(VALU_DEP_3)
	v_fma_f32 v94, -v101, v11, v97
	v_cndmask_b32_e64 v0, 0x7f800000, v0, s31
	v_add_f32_e32 v1, 1.0, v1
	s_delay_alu instid0(VALU_DEP_4) | instskip(NEXT) | instid1(VALU_DEP_3)
	v_mul_f32_e32 v117, v17, v98
	v_dual_fmac_f32 v11, v94, v115 :: v_dual_add_f32 v0, 1.0, v0
	s_delay_alu instid0(VALU_DEP_3) | instskip(SKIP_1) | instid1(VALU_DEP_4)
	v_div_scale_f32 v118, null, v1, v1, v99
	v_div_scale_f32 v119, s30, v99, v1, v99
	v_fma_f32 v94, -v104, v117, v17
	s_delay_alu instid0(VALU_DEP_3) | instskip(NEXT) | instid1(VALU_DEP_1)
	v_rcp_f32_e32 v95, v118
	v_fmac_f32_e32 v117, v94, v98
	s_delay_alu instid0(VALU_DEP_1) | instskip(SKIP_3) | instid1(VALU_DEP_2)
	v_fma_f32 v17, -v104, v117, v17
	s_waitcnt_depctr 0xfff
	v_fma_f32 v9, -v118, v95, 1.0
	v_lshrrev_b32_e32 v104, 16, v3
	v_fmac_f32_e32 v95, v9, v95
	v_fma_mixlo_f16 v9, v116, v12, 0
	v_fma_f32 v12, -v101, v11, v97
	s_delay_alu instid0(VALU_DEP_4) | instskip(NEXT) | instid1(VALU_DEP_4)
	v_cvt_f32_f16_e32 v104, v104
	v_mul_f32_e32 v120, v119, v95
	s_delay_alu instid0(VALU_DEP_4) | instskip(NEXT) | instid1(VALU_DEP_4)
	v_fma_mixhi_f16 v9, v109, v13, 0
	v_div_fmas_f32 v11, v12, v115, v11
	v_lshrrev_b32_e32 v12, 16, v2
	s_mov_b32 vcc_lo, s29
	v_fma_f32 v94, -v118, v120, v119
	v_div_fmas_f32 v17, v17, v98, v117
	s_mov_b32 vcc_lo, s30
	v_cvt_f32_f16_e32 v12, v12
	v_cvt_f32_f16_e32 v117, v3
	v_fmac_f32_e32 v120, v94, v95
	v_div_scale_f32 v94, null, v0, v0, v15
	s_delay_alu instid0(VALU_DEP_4) | instskip(SKIP_1) | instid1(VALU_DEP_4)
	v_mul_f32_e32 v101, 0xbfb8aa3b, v12
	v_cmp_nlt_f32_e64 s29, 0x42ce8ed0, v12
	v_fma_f32 v98, -v118, v120, v119
	s_delay_alu instid0(VALU_DEP_4)
	v_rcp_f32_e32 v97, v94
	v_mul_f32_e32 v118, 0xbfb8aa3b, v104
	v_fma_mix_f32 v115, v2, s86, -v101 op_sel:[1,0,0] op_sel_hi:[1,0,0]
	v_cvt_f32_f16_e32 v119, v2
	v_div_fmas_f32 v95, v98, v95, v120
	v_rndne_f32_e32 v98, v101
	v_fma_mix_f32 v120, v3, s86, -v118 op_sel:[1,0,0] op_sel_hi:[1,0,0]
	v_fma_mix_f32 v115, v2, s87, v115 op_sel:[1,0,0] op_sel_hi:[1,0,0]
	v_div_scale_f32 v123, vcc_lo, v15, v0, v15
	s_delay_alu instid0(TRANS32_DEP_1)
	v_fma_f32 v116, -v94, v97, 1.0
	v_sub_f32_e32 v101, v101, v98
	v_fma_mix_f32 v120, v3, s87, v120 op_sel:[1,0,0] op_sel_hi:[1,0,0]
	v_cvt_i32_f32_e32 v98, v98
	v_div_fixup_f32 v1, v95, v1, v99
	v_fmac_f32_e32 v97, v116, v97
	v_dual_mul_f32 v116, 0xbfb8aa3b, v117 :: v_dual_add_f32 v101, v101, v115
	v_rndne_f32_e32 v115, v118
	v_div_fixup_f32 v11, v11, v100, v14
	v_div_fixup_f32 v14, v17, v96, v16
	s_delay_alu instid0(VALU_DEP_4)
	v_rndne_f32_e32 v121, v116
	v_fma_mix_f32 v122, v3, s86, -v116 op_sel_hi:[1,0,0]
	v_exp_f32_e32 v101, v101
	v_sub_f32_e32 v118, v118, v115
	v_cvt_i32_f32_e32 v115, v115
	v_sub_f32_e32 v116, v116, v121
	v_fma_mix_f32 v3, v3, s87, v122 op_sel_hi:[1,0,0]
	v_mul_f32_e32 v122, 0xbfb8aa3b, v119
	v_add_f32_e32 v118, v118, v120
	v_fma_mixlo_f16 v1, v108, v1, 0
	s_delay_alu instid0(VALU_DEP_4) | instskip(NEXT) | instid1(VALU_DEP_4)
	v_add_f32_e32 v3, v116, v3
	v_rndne_f32_e32 v116, v122
	v_fma_mix_f32 v120, v2, s86, -v122 op_sel_hi:[1,0,0]
	v_exp_f32_e32 v118, v118
	v_ldexp_f32 v98, v101, v98
	v_exp_f32_e32 v3, v3
	v_sub_f32_e32 v101, v122, v116
	v_fma_mix_f32 v2, v2, s87, v120 op_sel_hi:[1,0,0]
	v_cvt_i32_f32_e32 v120, v121
	v_cndmask_b32_e64 v98, 0, v98, s29
	v_cmp_ngt_f32_e64 s29, 0xc2b17218, v12
	v_fma_mixhi_f16 v1, v103, v14, 0
	v_add_f32_e32 v2, v101, v2
	v_ldexp_f32 v101, v118, v115
	v_cvt_i32_f32_e32 v115, v116
	v_cndmask_b32_e64 v98, 0x7f800000, v98, s29
	v_cmp_nlt_f32_e64 s29, 0x42ce8ed0, v104
	v_ldexp_f32 v3, v3, v120
	v_exp_f32_e32 v2, v2
	s_delay_alu instid0(VALU_DEP_3) | instskip(NEXT) | instid1(VALU_DEP_3)
	v_add_f32_e32 v98, 1.0, v98
	v_cndmask_b32_e64 v101, 0, v101, s29
	v_cmp_nlt_f32_e64 s29, 0x42ce8ed0, v117
	s_delay_alu instid0(VALU_DEP_1)
	v_cndmask_b32_e64 v3, 0, v3, s29
	v_cmp_ngt_f32_e64 s29, 0xc2b17218, v104
	s_waitcnt_depctr 0xfff
	v_ldexp_f32 v2, v2, v115
	v_div_scale_f32 v115, null, v98, v98, v12
	v_cndmask_b32_e64 v101, 0x7f800000, v101, s29
	v_cmp_ngt_f32_e64 s29, 0xc2b17218, v117
	s_delay_alu instid0(VALU_DEP_3) | instskip(NEXT) | instid1(VALU_DEP_2)
	v_rcp_f32_e32 v116, v115
	v_add_f32_e32 v101, 1.0, v101
	s_delay_alu instid0(VALU_DEP_2) | instskip(SKIP_1) | instid1(VALU_DEP_3)
	v_cndmask_b32_e64 v3, 0x7f800000, v3, s29
	v_cmp_nlt_f32_e64 s29, 0x42ce8ed0, v119
	v_div_scale_f32 v118, null, v101, v101, v104
	s_delay_alu instid0(VALU_DEP_2) | instskip(SKIP_1) | instid1(TRANS32_DEP_1)
	v_cndmask_b32_e64 v2, 0, v2, s29
	v_cmp_ngt_f32_e64 s29, 0xc2b17218, v119
	v_fma_f32 v124, -v115, v116, 1.0
	s_delay_alu instid0(VALU_DEP_4) | instskip(NEXT) | instid1(VALU_DEP_2)
	v_rcp_f32_e32 v122, v118
	v_cndmask_b32_e64 v2, 0x7f800000, v2, s29
	s_delay_alu instid0(VALU_DEP_2) | instskip(SKIP_1) | instid1(VALU_DEP_3)
	v_fmac_f32_e32 v116, v124, v116
	v_div_scale_f32 v124, s29, v12, v98, v12
	v_dual_add_f32 v2, 1.0, v2 :: v_dual_mul_f32 v121, v123, v97
	s_waitcnt_depctr 0xfff
	v_fma_f32 v128, -v118, v122, 1.0
	v_mul_f32_e32 v130, v124, v116
	v_div_scale_f32 v127, null, v2, v2, v119
	v_fma_f32 v126, -v94, v121, v123
	s_delay_alu instid0(VALU_DEP_4) | instskip(SKIP_1) | instid1(VALU_DEP_4)
	v_fmac_f32_e32 v122, v128, v122
	v_div_scale_f32 v128, s30, v104, v101, v104
	v_rcp_f32_e32 v129, v127
	s_delay_alu instid0(VALU_DEP_1) | instskip(NEXT) | instid1(VALU_DEP_1)
	v_dual_fmac_f32 v121, v126, v97 :: v_dual_mul_f32 v132, v128, v122
	v_fma_f32 v94, -v94, v121, v123
	v_fma_f32 v123, -v115, v130, v124
	s_waitcnt_depctr 0xfff
	v_fma_f32 v131, -v127, v129, 1.0
	v_div_fmas_f32 v94, v94, v97, v121
	v_fma_f32 v97, -v118, v132, v128
	v_dual_add_f32 v3, 1.0, v3 :: v_dual_fmac_f32 v130, v123, v116
	s_delay_alu instid0(VALU_DEP_4) | instskip(SKIP_1) | instid1(VALU_DEP_4)
	v_fmac_f32_e32 v129, v131, v129
	v_div_scale_f32 v131, s33, v119, v2, v119
	v_fmac_f32_e32 v132, v97, v122
	s_delay_alu instid0(VALU_DEP_4) | instskip(NEXT) | instid1(VALU_DEP_3)
	v_div_scale_f32 v120, null, v3, v3, v117
	v_mul_f32_e32 v123, v131, v129
	v_div_fixup_f32 v0, v94, v0, v15
	v_fma_f32 v15, -v115, v130, v124
	s_delay_alu instid0(VALU_DEP_4)
	v_rcp_f32_e32 v125, v120
	v_fma_f32 v97, -v118, v132, v128
	v_fma_f32 v94, -v127, v123, v131
	s_mov_b32 vcc_lo, s29
	v_fma_mixlo_f16 v0, v111, v0, 0
	v_div_fmas_f32 v15, v15, v116, v130
	s_mov_b32 vcc_lo, s30
	v_fmac_f32_e32 v123, v94, v129
	v_div_fmas_f32 v97, v97, v122, v132
	v_fma_mixhi_f16 v0, v105, v11, 0
	v_fma_f32 v126, -v120, v125, 1.0
	v_div_fixup_f32 v12, v15, v98, v12
	v_fma_f32 v115, -v127, v123, v131
	v_div_fixup_f32 v15, v97, v101, v104
	s_delay_alu instid0(VALU_DEP_4) | instskip(SKIP_1) | instid1(VALU_DEP_1)
	v_fmac_f32_e32 v125, v126, v125
	v_div_scale_f32 v126, s31, v117, v3, v117
	s_mov_b32 vcc_lo, s31
	s_delay_alu instid0(VALU_DEP_1) | instskip(NEXT) | instid1(VALU_DEP_1)
	v_mul_f32_e32 v133, v126, v125
	v_fma_f32 v121, -v120, v133, v126
	s_delay_alu instid0(VALU_DEP_1) | instskip(NEXT) | instid1(VALU_DEP_1)
	v_fmac_f32_e32 v133, v121, v125
	v_fma_f32 v94, -v120, v133, v126
	s_delay_alu instid0(VALU_DEP_1) | instskip(SKIP_2) | instid1(VALU_DEP_2)
	v_div_fmas_f32 v94, v94, v125, v133
	s_mov_b32 vcc_lo, s33
	v_div_fmas_f32 v115, v115, v129, v123
	v_div_fixup_f32 v3, v94, v3, v117
	s_delay_alu instid0(VALU_DEP_2) | instskip(NEXT) | instid1(VALU_DEP_2)
	v_div_fixup_f32 v2, v115, v2, v119
	v_fma_mixlo_f16 v3, v106, v3, 0
	s_delay_alu instid0(VALU_DEP_2) | instskip(NEXT) | instid1(VALU_DEP_2)
	v_fma_mixlo_f16 v2, v107, v2, 0
	v_fma_mixhi_f16 v3, v112, v15, 0
	s_delay_alu instid0(VALU_DEP_2)
	v_fma_mixhi_f16 v2, v102, v12, 0
	ds_store_b128 v52, v[6:9]
	ds_store_b128 v52, v[0:3] offset:16
	; wave barrier
	ds_load_u16 v16, v37 offset:64
	ds_load_u16 v15, v38 offset:128
	;; [unrolled: 1-line block ×15, first 2 shown]
	v_add_co_u32 v0, vcc_lo, v76, s34
	v_add_co_ci_u32_e32 v1, vcc_lo, s35, v77, vcc_lo
	s_and_saveexec_b32 s29, s13
	s_cbranch_execnz .LBB125_286
; %bb.254:                              ;   in Loop: Header=BB125_12 Depth=1
	s_or_b32 exec_lo, exec_lo, s29
	s_and_saveexec_b32 s13, s14
	s_cbranch_execnz .LBB125_287
.LBB125_255:                            ;   in Loop: Header=BB125_12 Depth=1
	s_or_b32 exec_lo, exec_lo, s13
	s_and_saveexec_b32 s13, s15
	s_cbranch_execnz .LBB125_288
.LBB125_256:                            ;   in Loop: Header=BB125_12 Depth=1
	s_or_b32 exec_lo, exec_lo, s13
	s_and_saveexec_b32 s13, s16
	s_cbranch_execnz .LBB125_289
.LBB125_257:                            ;   in Loop: Header=BB125_12 Depth=1
	s_or_b32 exec_lo, exec_lo, s13
	s_and_saveexec_b32 s13, s17
	s_cbranch_execnz .LBB125_290
.LBB125_258:                            ;   in Loop: Header=BB125_12 Depth=1
	s_or_b32 exec_lo, exec_lo, s13
	s_and_saveexec_b32 s13, s18
	s_cbranch_execnz .LBB125_291
.LBB125_259:                            ;   in Loop: Header=BB125_12 Depth=1
	s_or_b32 exec_lo, exec_lo, s13
	s_and_saveexec_b32 s13, s19
	s_cbranch_execnz .LBB125_292
.LBB125_260:                            ;   in Loop: Header=BB125_12 Depth=1
	s_or_b32 exec_lo, exec_lo, s13
	s_and_saveexec_b32 s13, s20
	s_cbranch_execnz .LBB125_293
.LBB125_261:                            ;   in Loop: Header=BB125_12 Depth=1
	s_or_b32 exec_lo, exec_lo, s13
	s_and_saveexec_b32 s13, s21
	s_cbranch_execnz .LBB125_294
.LBB125_262:                            ;   in Loop: Header=BB125_12 Depth=1
	s_or_b32 exec_lo, exec_lo, s13
	s_and_saveexec_b32 s13, s22
	s_cbranch_execnz .LBB125_295
.LBB125_263:                            ;   in Loop: Header=BB125_12 Depth=1
	s_or_b32 exec_lo, exec_lo, s13
	s_and_saveexec_b32 s13, s23
	s_cbranch_execnz .LBB125_296
.LBB125_264:                            ;   in Loop: Header=BB125_12 Depth=1
	s_or_b32 exec_lo, exec_lo, s13
	s_and_saveexec_b32 s13, s24
	s_cbranch_execnz .LBB125_297
.LBB125_265:                            ;   in Loop: Header=BB125_12 Depth=1
	s_or_b32 exec_lo, exec_lo, s13
	s_and_saveexec_b32 s13, s25
	s_cbranch_execnz .LBB125_298
.LBB125_266:                            ;   in Loop: Header=BB125_12 Depth=1
	s_or_b32 exec_lo, exec_lo, s13
	s_and_saveexec_b32 s13, s26
	s_cbranch_execnz .LBB125_299
.LBB125_267:                            ;   in Loop: Header=BB125_12 Depth=1
	s_or_b32 exec_lo, exec_lo, s13
	s_and_saveexec_b32 s13, s27
	s_cbranch_execnz .LBB125_300
.LBB125_268:                            ;   in Loop: Header=BB125_12 Depth=1
	s_or_b32 exec_lo, exec_lo, s13
	s_and_saveexec_b32 s13, s28
	s_cbranch_execz .LBB125_11
	s_branch .LBB125_301
.LBB125_269:                            ;   in Loop: Header=BB125_12 Depth=1
	global_load_u16 v101, v[8:9], off offset:832
	s_or_b32 exec_lo, exec_lo, s29
	s_and_saveexec_b32 s29, s27
	s_cbranch_execz .LBB125_72
.LBB125_270:                            ;   in Loop: Header=BB125_12 Depth=1
	global_load_u16 v100, v[8:9], off offset:896
	s_or_b32 exec_lo, exec_lo, s29
	v_mov_b32_e32 v102, 0
	s_and_saveexec_b32 s29, s28
	s_cbranch_execnz .LBB125_73
	s_branch .LBB125_74
.LBB125_271:                            ;   in Loop: Header=BB125_12 Depth=1
	ds_load_u16 v17, v37
	s_waitcnt lgkmcnt(0)
	global_store_b16 v[0:1], v17, off
	s_or_b32 exec_lo, exec_lo, s29
	s_and_saveexec_b32 s29, s14
	s_cbranch_execz .LBB125_206
.LBB125_272:                            ;   in Loop: Header=BB125_12 Depth=1
	s_waitcnt lgkmcnt(14)
	global_store_b16 v[0:1], v16, off offset:64
	s_or_b32 exec_lo, exec_lo, s29
	s_and_saveexec_b32 s29, s15
	s_cbranch_execz .LBB125_207
.LBB125_273:                            ;   in Loop: Header=BB125_12 Depth=1
	s_waitcnt lgkmcnt(13)
	global_store_b16 v[0:1], v15, off offset:128
	s_or_b32 exec_lo, exec_lo, s29
	s_and_saveexec_b32 s29, s16
	s_cbranch_execz .LBB125_208
.LBB125_274:                            ;   in Loop: Header=BB125_12 Depth=1
	s_waitcnt lgkmcnt(12)
	global_store_b16 v[0:1], v14, off offset:192
	s_or_b32 exec_lo, exec_lo, s29
	s_and_saveexec_b32 s29, s17
	s_cbranch_execz .LBB125_209
.LBB125_275:                            ;   in Loop: Header=BB125_12 Depth=1
	s_waitcnt lgkmcnt(11)
	global_store_b16 v[0:1], v13, off offset:256
	s_or_b32 exec_lo, exec_lo, s29
	s_and_saveexec_b32 s29, s18
	s_cbranch_execz .LBB125_210
.LBB125_276:                            ;   in Loop: Header=BB125_12 Depth=1
	s_waitcnt lgkmcnt(10)
	global_store_b16 v[0:1], v12, off offset:320
	s_or_b32 exec_lo, exec_lo, s29
	s_and_saveexec_b32 s29, s19
	s_cbranch_execz .LBB125_211
.LBB125_277:                            ;   in Loop: Header=BB125_12 Depth=1
	s_waitcnt lgkmcnt(9)
	global_store_b16 v[0:1], v11, off offset:384
	s_or_b32 exec_lo, exec_lo, s29
	s_and_saveexec_b32 s29, s20
	s_cbranch_execz .LBB125_212
.LBB125_278:                            ;   in Loop: Header=BB125_12 Depth=1
	s_waitcnt lgkmcnt(8)
	global_store_b16 v[0:1], v10, off offset:448
	s_or_b32 exec_lo, exec_lo, s29
	s_and_saveexec_b32 s29, s21
	s_cbranch_execz .LBB125_213
.LBB125_279:                            ;   in Loop: Header=BB125_12 Depth=1
	s_waitcnt lgkmcnt(7)
	global_store_b16 v[0:1], v9, off offset:512
	s_or_b32 exec_lo, exec_lo, s29
	s_and_saveexec_b32 s29, s22
	s_cbranch_execz .LBB125_214
.LBB125_280:                            ;   in Loop: Header=BB125_12 Depth=1
	s_waitcnt lgkmcnt(6)
	global_store_b16 v[0:1], v8, off offset:576
	s_or_b32 exec_lo, exec_lo, s29
	s_and_saveexec_b32 s29, s23
	s_cbranch_execz .LBB125_215
.LBB125_281:                            ;   in Loop: Header=BB125_12 Depth=1
	s_waitcnt lgkmcnt(5)
	global_store_b16 v[0:1], v7, off offset:640
	s_or_b32 exec_lo, exec_lo, s29
	s_and_saveexec_b32 s29, s24
	s_cbranch_execz .LBB125_216
.LBB125_282:                            ;   in Loop: Header=BB125_12 Depth=1
	s_waitcnt lgkmcnt(4)
	global_store_b16 v[0:1], v6, off offset:704
	s_or_b32 exec_lo, exec_lo, s29
	s_and_saveexec_b32 s29, s25
	s_cbranch_execz .LBB125_217
.LBB125_283:                            ;   in Loop: Header=BB125_12 Depth=1
	s_waitcnt lgkmcnt(3)
	global_store_b16 v[0:1], v5, off offset:768
	s_or_b32 exec_lo, exec_lo, s29
	s_and_saveexec_b32 s29, s26
	s_cbranch_execz .LBB125_218
.LBB125_284:                            ;   in Loop: Header=BB125_12 Depth=1
	s_waitcnt lgkmcnt(2)
	global_store_b16 v[0:1], v4, off offset:832
	s_or_b32 exec_lo, exec_lo, s29
	s_and_saveexec_b32 s29, s27
	s_cbranch_execz .LBB125_219
.LBB125_285:                            ;   in Loop: Header=BB125_12 Depth=1
	s_waitcnt lgkmcnt(1)
	global_store_b16 v[0:1], v3, off offset:896
	s_or_b32 exec_lo, exec_lo, s29
	s_and_saveexec_b32 s29, s28
	s_cbranch_execnz .LBB125_220
	s_branch .LBB125_221
.LBB125_286:                            ;   in Loop: Header=BB125_12 Depth=1
	ds_load_u16 v17, v37
	s_waitcnt lgkmcnt(0)
	global_store_b16 v[0:1], v17, off
	s_or_b32 exec_lo, exec_lo, s29
	s_and_saveexec_b32 s13, s14
	s_cbranch_execz .LBB125_255
.LBB125_287:                            ;   in Loop: Header=BB125_12 Depth=1
	s_waitcnt lgkmcnt(14)
	global_store_b16 v[0:1], v16, off offset:64
	s_or_b32 exec_lo, exec_lo, s13
	s_and_saveexec_b32 s13, s15
	s_cbranch_execz .LBB125_256
.LBB125_288:                            ;   in Loop: Header=BB125_12 Depth=1
	s_waitcnt lgkmcnt(13)
	global_store_b16 v[0:1], v15, off offset:128
	s_or_b32 exec_lo, exec_lo, s13
	s_and_saveexec_b32 s13, s16
	s_cbranch_execz .LBB125_257
.LBB125_289:                            ;   in Loop: Header=BB125_12 Depth=1
	s_waitcnt lgkmcnt(12)
	global_store_b16 v[0:1], v14, off offset:192
	s_or_b32 exec_lo, exec_lo, s13
	s_and_saveexec_b32 s13, s17
	s_cbranch_execz .LBB125_258
.LBB125_290:                            ;   in Loop: Header=BB125_12 Depth=1
	s_waitcnt lgkmcnt(11)
	global_store_b16 v[0:1], v13, off offset:256
	s_or_b32 exec_lo, exec_lo, s13
	s_and_saveexec_b32 s13, s18
	s_cbranch_execz .LBB125_259
.LBB125_291:                            ;   in Loop: Header=BB125_12 Depth=1
	s_waitcnt lgkmcnt(10)
	global_store_b16 v[0:1], v12, off offset:320
	s_or_b32 exec_lo, exec_lo, s13
	s_and_saveexec_b32 s13, s19
	s_cbranch_execz .LBB125_260
.LBB125_292:                            ;   in Loop: Header=BB125_12 Depth=1
	s_waitcnt lgkmcnt(9)
	global_store_b16 v[0:1], v11, off offset:384
	s_or_b32 exec_lo, exec_lo, s13
	s_and_saveexec_b32 s13, s20
	s_cbranch_execz .LBB125_261
.LBB125_293:                            ;   in Loop: Header=BB125_12 Depth=1
	s_waitcnt lgkmcnt(8)
	global_store_b16 v[0:1], v10, off offset:448
	s_or_b32 exec_lo, exec_lo, s13
	s_and_saveexec_b32 s13, s21
	s_cbranch_execz .LBB125_262
.LBB125_294:                            ;   in Loop: Header=BB125_12 Depth=1
	s_waitcnt lgkmcnt(7)
	global_store_b16 v[0:1], v9, off offset:512
	s_or_b32 exec_lo, exec_lo, s13
	s_and_saveexec_b32 s13, s22
	s_cbranch_execz .LBB125_263
.LBB125_295:                            ;   in Loop: Header=BB125_12 Depth=1
	s_waitcnt lgkmcnt(6)
	global_store_b16 v[0:1], v8, off offset:576
	s_or_b32 exec_lo, exec_lo, s13
	s_and_saveexec_b32 s13, s23
	s_cbranch_execz .LBB125_264
.LBB125_296:                            ;   in Loop: Header=BB125_12 Depth=1
	s_waitcnt lgkmcnt(5)
	global_store_b16 v[0:1], v7, off offset:640
	s_or_b32 exec_lo, exec_lo, s13
	s_and_saveexec_b32 s13, s24
	s_cbranch_execz .LBB125_265
.LBB125_297:                            ;   in Loop: Header=BB125_12 Depth=1
	s_waitcnt lgkmcnt(4)
	global_store_b16 v[0:1], v6, off offset:704
	s_or_b32 exec_lo, exec_lo, s13
	s_and_saveexec_b32 s13, s25
	s_cbranch_execz .LBB125_266
.LBB125_298:                            ;   in Loop: Header=BB125_12 Depth=1
	s_waitcnt lgkmcnt(3)
	global_store_b16 v[0:1], v5, off offset:768
	s_or_b32 exec_lo, exec_lo, s13
	s_and_saveexec_b32 s13, s26
	s_cbranch_execz .LBB125_267
.LBB125_299:                            ;   in Loop: Header=BB125_12 Depth=1
	s_waitcnt lgkmcnt(2)
	global_store_b16 v[0:1], v4, off offset:832
	s_or_b32 exec_lo, exec_lo, s13
	s_and_saveexec_b32 s13, s27
	s_cbranch_execz .LBB125_268
.LBB125_300:                            ;   in Loop: Header=BB125_12 Depth=1
	s_waitcnt lgkmcnt(1)
	global_store_b16 v[0:1], v3, off offset:896
	s_or_b32 exec_lo, exec_lo, s13
	s_and_saveexec_b32 s13, s28
	s_cbranch_execz .LBB125_11
.LBB125_301:                            ;   in Loop: Header=BB125_12 Depth=1
	s_waitcnt lgkmcnt(0)
	global_store_b16 v[0:1], v2, off offset:960
	s_branch .LBB125_11
.LBB125_302:
	s_nop 0
	s_sendmsg sendmsg(MSG_DEALLOC_VGPRS)
	s_endpgm
	.section	.rodata,"a",@progbits
	.p2align	6, 0x0
	.amdhsa_kernel _Z25selective_scan_fwd_kernelI32Selective_Scan_fwd_kernel_traitsILi128ELi16ELi1ELb0ELb1ELb1ELb1ELb0EN3c104HalfEffEEv13SSMParamsBase
		.amdhsa_group_segment_fixed_size 0
		.amdhsa_private_segment_fixed_size 0
		.amdhsa_kernarg_size 248
		.amdhsa_user_sgpr_count 14
		.amdhsa_user_sgpr_dispatch_ptr 0
		.amdhsa_user_sgpr_queue_ptr 0
		.amdhsa_user_sgpr_kernarg_segment_ptr 1
		.amdhsa_user_sgpr_dispatch_id 0
		.amdhsa_user_sgpr_private_segment_size 0
		.amdhsa_wavefront_size32 1
		.amdhsa_uses_dynamic_stack 0
		.amdhsa_enable_private_segment 0
		.amdhsa_system_sgpr_workgroup_id_x 1
		.amdhsa_system_sgpr_workgroup_id_y 1
		.amdhsa_system_sgpr_workgroup_id_z 0
		.amdhsa_system_sgpr_workgroup_info 0
		.amdhsa_system_vgpr_workitem_id 0
		.amdhsa_next_free_vgpr 177
		.amdhsa_next_free_sgpr 94
		.amdhsa_reserve_vcc 1
		.amdhsa_float_round_mode_32 0
		.amdhsa_float_round_mode_16_64 0
		.amdhsa_float_denorm_mode_32 3
		.amdhsa_float_denorm_mode_16_64 3
		.amdhsa_dx10_clamp 1
		.amdhsa_ieee_mode 1
		.amdhsa_fp16_overflow 0
		.amdhsa_workgroup_processor_mode 1
		.amdhsa_memory_ordered 1
		.amdhsa_forward_progress 0
		.amdhsa_shared_vgpr_count 0
		.amdhsa_exception_fp_ieee_invalid_op 0
		.amdhsa_exception_fp_denorm_src 0
		.amdhsa_exception_fp_ieee_div_zero 0
		.amdhsa_exception_fp_ieee_overflow 0
		.amdhsa_exception_fp_ieee_underflow 0
		.amdhsa_exception_fp_ieee_inexact 0
		.amdhsa_exception_int_div_zero 0
	.end_amdhsa_kernel
	.section	.text._Z25selective_scan_fwd_kernelI32Selective_Scan_fwd_kernel_traitsILi128ELi16ELi1ELb0ELb1ELb1ELb1ELb0EN3c104HalfEffEEv13SSMParamsBase,"axG",@progbits,_Z25selective_scan_fwd_kernelI32Selective_Scan_fwd_kernel_traitsILi128ELi16ELi1ELb0ELb1ELb1ELb1ELb0EN3c104HalfEffEEv13SSMParamsBase,comdat
.Lfunc_end125:
	.size	_Z25selective_scan_fwd_kernelI32Selective_Scan_fwd_kernel_traitsILi128ELi16ELi1ELb0ELb1ELb1ELb1ELb0EN3c104HalfEffEEv13SSMParamsBase, .Lfunc_end125-_Z25selective_scan_fwd_kernelI32Selective_Scan_fwd_kernel_traitsILi128ELi16ELi1ELb0ELb1ELb1ELb1ELb0EN3c104HalfEffEEv13SSMParamsBase
                                        ; -- End function
	.section	.AMDGPU.csdata,"",@progbits
; Kernel info:
; codeLenInByte = 26148
; NumSgprs: 96
; NumVgprs: 177
; ScratchSize: 0
; MemoryBound: 0
; FloatMode: 240
; IeeeMode: 1
; LDSByteSize: 0 bytes/workgroup (compile time only)
; SGPRBlocks: 11
; VGPRBlocks: 22
; NumSGPRsForWavesPerEU: 96
; NumVGPRsForWavesPerEU: 177
; Occupancy: 8
; WaveLimiterHint : 0
; COMPUTE_PGM_RSRC2:SCRATCH_EN: 0
; COMPUTE_PGM_RSRC2:USER_SGPR: 14
; COMPUTE_PGM_RSRC2:TRAP_HANDLER: 0
; COMPUTE_PGM_RSRC2:TGID_X_EN: 1
; COMPUTE_PGM_RSRC2:TGID_Y_EN: 1
; COMPUTE_PGM_RSRC2:TGID_Z_EN: 0
; COMPUTE_PGM_RSRC2:TIDIG_COMP_CNT: 0
	.section	.text._Z25selective_scan_fwd_kernelI32Selective_Scan_fwd_kernel_traitsILi128ELi16ELi1ELb0ELb1ELb1ELb0ELb1EN3c104HalfEffEEv13SSMParamsBase,"axG",@progbits,_Z25selective_scan_fwd_kernelI32Selective_Scan_fwd_kernel_traitsILi128ELi16ELi1ELb0ELb1ELb1ELb0ELb1EN3c104HalfEffEEv13SSMParamsBase,comdat
	.protected	_Z25selective_scan_fwd_kernelI32Selective_Scan_fwd_kernel_traitsILi128ELi16ELi1ELb0ELb1ELb1ELb0ELb1EN3c104HalfEffEEv13SSMParamsBase ; -- Begin function _Z25selective_scan_fwd_kernelI32Selective_Scan_fwd_kernel_traitsILi128ELi16ELi1ELb0ELb1ELb1ELb0ELb1EN3c104HalfEffEEv13SSMParamsBase
	.globl	_Z25selective_scan_fwd_kernelI32Selective_Scan_fwd_kernel_traitsILi128ELi16ELi1ELb0ELb1ELb1ELb0ELb1EN3c104HalfEffEEv13SSMParamsBase
	.p2align	8
	.type	_Z25selective_scan_fwd_kernelI32Selective_Scan_fwd_kernel_traitsILi128ELi16ELi1ELb0ELb1ELb1ELb0ELb1EN3c104HalfEffEEv13SSMParamsBase,@function
_Z25selective_scan_fwd_kernelI32Selective_Scan_fwd_kernel_traitsILi128ELi16ELi1ELb0ELb1ELb1ELb0ELb1EN3c104HalfEffEEv13SSMParamsBase: ; @_Z25selective_scan_fwd_kernelI32Selective_Scan_fwd_kernel_traitsILi128ELi16ELi1ELb0ELb1ELb1ELb0ELb1EN3c104HalfEffEEv13SSMParamsBase
; %bb.0:
	s_clause 0x2
	s_load_b32 s36, s[0:1], 0x18
	s_load_b128 s[4:7], s[0:1], 0xe0
	s_load_b64 s[10:11], s[0:1], 0xf0
	s_mov_b32 s12, s15
	s_ashr_i32 s15, s14, 31
	s_mov_b32 s66, 0
	s_lshl_b64 s[8:9], s[14:15], 2
	s_waitcnt lgkmcnt(0)
	s_abs_i32 s33, s36
	s_add_u32 s2, s4, s8
	v_cvt_f32_u32_e32 v1, s33
	s_addc_u32 s3, s5, s9
	s_cmp_eq_u64 s[10:11], 0
	s_delay_alu instid0(VALU_DEP_1) | instskip(SKIP_2) | instid1(VALU_DEP_1)
	v_rcp_iflag_f32_e32 v1, v1
	s_waitcnt_depctr 0xfff
	v_mul_f32_e32 v1, 0x4f7ffffe, v1
	v_cvt_u32_f32_e32 v1, v1
	s_delay_alu instid0(VALU_DEP_1)
	v_readfirstlane_b32 s37, v1
	s_cbranch_scc1 .LBB126_2
; %bb.1:
	v_mov_b32_e32 v1, 0
	s_add_u32 s4, s10, s14
	s_addc_u32 s5, s11, s15
	global_load_u8 v1, v1, s[4:5]
	s_waitcnt vmcnt(0)
	v_and_b32_e32 v1, 1, v1
	s_delay_alu instid0(VALU_DEP_1)
	v_cmp_eq_u32_e64 s66, 1, v1
.LBB126_2:
	s_load_b64 s[4:5], s[0:1], 0x20
	s_cmp_eq_u64 s[6:7], 0
	s_cbranch_scc1 .LBB126_4
; %bb.3:
	s_add_u32 s6, s6, s8
	s_addc_u32 s7, s7, s9
	s_load_b32 s14, s[6:7], 0x0
	s_waitcnt lgkmcnt(0)
	s_ashr_i32 s15, s14, 31
.LBB126_4:
	s_waitcnt lgkmcnt(0)
	s_cmp_eq_u64 s[4:5], s[14:15]
	s_cbranch_scc1 .LBB126_238
; %bb.5:
	s_load_b512 s[16:31], s[0:1], 0x88
	s_load_b64 s[34:35], s[2:3], 0x0
	s_mov_b32 s67, 0
	s_mov_b32 s68, 0
	s_waitcnt lgkmcnt(0)
	s_cmp_eq_u64 s[22:23], 0
	s_cbranch_scc1 .LBB126_7
; %bb.6:
	s_ashr_i32 s13, s12, 31
	s_delay_alu instid0(SALU_CYCLE_1) | instskip(NEXT) | instid1(SALU_CYCLE_1)
	s_lshl_b64 s[2:3], s[12:13], 2
	s_add_u32 s2, s22, s2
	s_addc_u32 s3, s23, s3
	s_load_b32 s68, s[2:3], 0x0
.LBB126_7:
	s_cmp_eq_u64 s[28:29], 0
	s_cbranch_scc1 .LBB126_9
; %bb.8:
	s_ashr_i32 s13, s12, 31
	s_delay_alu instid0(SALU_CYCLE_1) | instskip(NEXT) | instid1(SALU_CYCLE_1)
	s_lshl_b64 s[2:3], s[12:13], 2
	s_add_u32 s2, s28, s2
	s_addc_u32 s3, s29, s3
	s_load_b32 s67, s[2:3], 0x0
.LBB126_9:
	s_sub_i32 s69, s35, s34
	s_delay_alu instid0(SALU_CYCLE_1)
	s_cmp_lt_i32 s69, 1
	s_cbranch_scc1 .LBB126_238
; %bb.10:
	s_sub_i32 s2, 0, s33
	s_abs_i32 s5, s12
	s_mul_i32 s4, s2, s37
	s_clause 0x1
	s_load_b64 s[2:3], s[0:1], 0x5c
	s_load_b128 s[56:59], s[0:1], 0x4c
	s_mul_hi_u32 s4, s37, s4
	s_ashr_i32 s7, s36, 31
	s_add_i32 s37, s37, s4
	s_ashr_i32 s4, s12, 31
	s_mul_hi_u32 s6, s5, s37
	s_xor_b32 s7, s4, s7
	s_mul_i32 s8, s6, s33
	s_load_b256 s[48:55], s[0:1], 0x2c
	s_sub_i32 s4, s5, s8
	s_add_i32 s5, s6, 1
	s_sub_i32 s8, s4, s33
	s_cmp_ge_u32 s4, s33
	s_mov_b32 s65, 0
	s_cselect_b32 s5, s5, s6
	s_cselect_b32 s4, s8, s4
	s_add_i32 s6, s5, 1
	s_cmp_ge_u32 s4, s33
	s_load_b128 s[60:63], s[0:1], 0x7c
	s_cselect_b32 s4, s6, s5
	s_waitcnt lgkmcnt(0)
	s_mul_i32 s64, s34, s58
	s_xor_b32 s6, s4, s7
	s_lshl_b64 s[4:5], s[64:65], 1
	s_sub_i32 s6, s6, s7
	s_mul_i32 s64, s59, s12
	s_add_u32 s7, s24, s4
	s_addc_u32 s8, s25, s5
	s_lshl_b64 s[4:5], s[64:65], 1
	s_mul_i32 s64, s34, s2
	s_add_u32 s70, s7, s4
	s_addc_u32 s71, s8, s5
	s_lshl_b64 s[4:5], s[64:65], 1
	;; [unrolled: 4-line block ×3, first 2 shown]
	v_dual_mov_b32 v21, 0 :: v_dual_lshlrev_b32 v18, 4, v0
	s_add_u32 s72, s4, s2
	s_mul_i32 s64, s48, s12
	s_addc_u32 s48, s5, s3
	s_load_b64 s[4:5], s[0:1], 0xc8
	s_lshl_b64 s[2:3], s[64:65], 2
	v_mbcnt_lo_u32_b32 v19, -1, 0
	v_and_b32_e32 v1, 0x600, v18
	s_mul_i32 s64, s34, s50
	s_add_u32 s73, s16, s2
	s_addc_u32 s63, s17, s3
	s_lshl_b64 s[2:3], s[64:65], 1
	s_mul_i32 s64, s6, s53
	s_clause 0x2
	s_load_b64 s[16:17], s[0:1], 0x6c
	s_load_b32 s78, s[0:1], 0xc
	s_load_b32 s0, s[0:1], 0x28
	s_add_u32 s7, s18, s2
	v_or_b32_e32 v20, v19, v1
	s_addc_u32 s8, s19, s3
	s_lshl_b64 s[2:3], s[64:65], 1
	s_mul_i32 s64, s34, s54
	s_add_u32 s53, s7, s2
	s_addc_u32 s74, s8, s3
	s_lshl_b64 s[2:3], s[64:65], 1
	s_mul_i32 s64, s6, s57
	v_or_b32_e32 v24, 0x60, v20
	v_and_b32_e32 v14, 0x60, v0
	s_add_u32 s7, s20, s2
	s_addc_u32 s6, s21, s3
	s_lshl_b64 s[2:3], s[64:65], 1
	s_mul_i32 s64, s14, s60
	s_add_u32 s57, s7, s2
	s_addc_u32 s75, s6, s3
	s_lshl_b64 s[2:3], s[64:65], 2
	v_or_b32_e32 v26, 0xa0, v20
	v_or_b32_e32 v28, 0xe0, v20
	;; [unrolled: 1-line block ×5, first 2 shown]
	v_lshrrev_b32_e32 v2, 5, v24
	v_or_b32_e32 v36, 0x1e0, v20
	v_or_b32_e32 v16, v19, v14
	s_mul_i32 s64, s61, s12
	s_waitcnt lgkmcnt(0)
	s_add_u32 s4, s4, s2
	s_addc_u32 s5, s5, s3
	s_lshl_b64 s[2:3], s[64:65], 2
	v_or_b32_e32 v23, 64, v20
	s_add_u32 s76, s4, s2
	v_or_b32_e32 v25, 0x80, v20
	v_or_b32_e32 v27, 0xc0, v20
	;; [unrolled: 1-line block ×6, first 2 shown]
	v_and_b32_e32 v2, 50, v2
	v_lshrrev_b32_e32 v5, 5, v26
	v_lshrrev_b32_e32 v8, 5, v28
	;; [unrolled: 1-line block ×6, first 2 shown]
	v_lshrrev_b16 v50, 1, v16
	s_addc_u32 s77, s5, s3
	s_add_i32 s2, s69, 0x7ff
	v_lshrrev_b32_e32 v3, 5, v1
	s_lshr_b32 s79, s2, 11
	s_bitcmp1_b32 s0, 0
	v_lshrrev_b32_e32 v4, 5, v23
	v_lshrrev_b32_e32 v6, 5, v25
	v_add_lshl_u32 v2, v2, v20, 1
	v_and_b32_e32 v5, 52, v5
	v_lshrrev_b32_e32 v7, 5, v27
	v_and_b32_e32 v8, 54, v8
	v_lshrrev_b32_e32 v10, 5, v29
	;; [unrolled: 2-line block ×5, first 2 shown]
	v_and_b32_e32 v51, 62, v49
	v_lshlrev_b32_e32 v16, 4, v16
	v_and_b32_e32 v52, 62, v50
	s_cselect_b32 s80, -1, 0
	s_cmp_gt_i32 s78, 0
	v_add_lshl_u32 v3, v3, v20, 1
	s_cselect_b32 s81, -1, 0
	s_add_i32 s0, 0, 0x1080
	v_add_lshl_u32 v4, v4, v20, 1
	v_add_lshl_u32 v6, v6, v20, 1
	v_add_nc_u32_e32 v39, 0, v2
	v_add_lshl_u32 v5, v5, v20, 1
	v_add_lshl_u32 v7, v7, v20, 1
	;; [unrolled: 1-line block ×12, first 2 shown]
	v_add_nc_u32_e32 v55, s0, v2
	v_and_b32_e32 v2, 15, v19
	s_and_b32 s1, s69, 0x7ff
	v_add_nc_u32_e32 v51, 0, v67
	v_add_nc_u32_e32 v53, s0, v3
	;; [unrolled: 1-line block ×15, first 2 shown]
	s_cmp_eq_u32 s1, 0
	v_add_nc_u32_e32 v68, s0, v16
	v_cmp_ne_u32_e64 s0, 0, v2
	v_cmp_lt_u32_e64 s1, 1, v2
	v_cmp_lt_u32_e64 s2, 3, v2
	;; [unrolled: 1-line block ×3, first 2 shown]
	v_add_nc_u32_e32 v2, -1, v19
	v_add_nc_u32_e32 v37, 0, v3
	v_lshrrev_b32_e32 v3, 2, v0
	v_add_nc_u32_e32 v41, 0, v5
	v_or_b32_e32 v5, 31, v14
	v_cmp_gt_i32_e32 vcc_lo, 0, v2
	s_mul_i32 s64, s34, s16
	v_and_b32_e32 v3, 24, v3
	s_cselect_b32 s82, -1, 0
	s_lshl_b64 s[14:15], s[64:65], 1
	v_cndmask_b32_e32 v2, v2, v19, vcc_lo
	s_add_i32 s83, s79, -1
	s_mul_i32 s64, s17, s12
	v_cmp_eq_u32_e64 s5, v5, v0
	v_cmp_gt_u32_e64 s6, 4, v0
	v_lshl_add_u32 v70, v0, 3, 0
	v_cmp_gt_u32_e64 s9, 32, v0
	v_cmp_lt_u32_e64 s10, 31, v0
	v_cmp_eq_u32_e64 s11, 0, v0
	s_add_u32 s14, s30, s14
	v_lshlrev_b32_e32 v0, 1, v19
	s_addc_u32 s15, s31, s15
	s_lshl_b64 s[12:13], s[64:65], 1
	v_add_nc_u32_e32 v69, 0, v3
	v_and_b32_e32 v3, 3, v19
	s_add_u32 s12, s14, s12
	v_lshlrev_b32_e32 v71, 2, v2
	s_addc_u32 s13, s15, s13
	v_lshlrev_b32_e32 v2, 1, v1
	v_add_co_u32 v0, s12, s12, v0
	v_add_nc_u32_e32 v38, 0, v4
	v_and_b32_e32 v4, 16, v19
	v_cmp_ne_u32_e64 s7, 0, v3
	v_cmp_lt_u32_e64 s8, 1, v3
	v_add_co_ci_u32_e64 v3, null, s13, 0, s12
	v_add_co_u32 v72, vcc_lo, v0, v2
	v_or_b32_e32 v22, 32, v20
	v_add_nc_u32_e32 v40, 0, v6
	v_add_nc_u32_e32 v42, 0, v7
	;; [unrolled: 1-line block ×11, first 2 shown]
	v_cmp_ne_u32_e64 s4, 0, v4
	v_cmp_eq_u32_e64 s12, 0, v19
	v_add_co_ci_u32_e32 v73, vcc_lo, 0, v3, vcc_lo
	v_or_b32_e32 v74, 1, v18
	v_or_b32_e32 v75, 2, v18
	;; [unrolled: 1-line block ×15, first 2 shown]
	v_lshlrev_b32_e32 v89, 1, v1
	s_mov_b32 s84, 0x3e9b6dac
	s_add_i32 s85, 0, 0x2120
	s_mov_b32 s86, 0
	s_branch .LBB126_12
.LBB126_11:                             ;   in Loop: Header=BB126_12 Depth=1
	s_or_b32 exec_lo, exec_lo, s13
	s_add_u32 s72, s72, 0x1000
	s_addc_u32 s48, s48, 0
	s_add_u32 s70, s70, 0x1000
	s_addc_u32 s71, s71, 0
	;; [unrolled: 2-line block ×4, first 2 shown]
	s_add_i32 s86, s86, 1
	s_delay_alu instid0(SALU_CYCLE_1)
	s_cmp_eq_u32 s86, s79
	s_cbranch_scc1 .LBB126_238
.LBB126_12:                             ; =>This Loop Header: Depth=1
                                        ;     Child Loop BB126_109 Depth 2
	s_waitcnt lgkmcnt(14)
	v_lshlrev_b32_e32 v16, 1, v19
	s_lshl_b32 s50, s86, 11
	s_waitcnt lgkmcnt(0)
	v_mov_b32_e32 v2, 0
	s_sub_i32 s41, s69, s50
	v_add_co_u32 v0, s13, s70, v16
	s_delay_alu instid0(VALU_DEP_1) | instskip(SKIP_1) | instid1(VALU_DEP_3)
	v_add_co_ci_u32_e64 v1, null, s71, 0, s13
	v_cmp_gt_u32_e64 s13, s41, v20
	v_add_co_u32 v0, vcc_lo, v0, v89
	s_delay_alu instid0(VALU_DEP_3)
	v_add_co_ci_u32_e32 v1, vcc_lo, 0, v1, vcc_lo
	s_waitcnt_vscnt null, 0x0
	s_barrier
	buffer_gl0_inv
	s_and_saveexec_b32 s14, s13
	s_cbranch_execz .LBB126_14
; %bb.13:                               ;   in Loop: Header=BB126_12 Depth=1
	global_load_u16 v2, v[0:1], off
.LBB126_14:                             ;   in Loop: Header=BB126_12 Depth=1
	s_or_b32 exec_lo, exec_lo, s14
	v_cmp_gt_u32_e64 s14, s41, v22
	v_dual_mov_b32 v3, 0 :: v_dual_mov_b32 v4, 0
	s_delay_alu instid0(VALU_DEP_2)
	s_and_saveexec_b32 s15, s14
	s_cbranch_execz .LBB126_16
; %bb.15:                               ;   in Loop: Header=BB126_12 Depth=1
	global_load_u16 v4, v[0:1], off offset:64
.LBB126_16:                             ;   in Loop: Header=BB126_12 Depth=1
	s_or_b32 exec_lo, exec_lo, s15
	v_cmp_gt_u32_e64 s15, s41, v23
	s_delay_alu instid0(VALU_DEP_1)
	s_and_saveexec_b32 s16, s15
	s_cbranch_execz .LBB126_18
; %bb.17:                               ;   in Loop: Header=BB126_12 Depth=1
	global_load_u16 v3, v[0:1], off offset:128
.LBB126_18:                             ;   in Loop: Header=BB126_12 Depth=1
	s_or_b32 exec_lo, exec_lo, s16
	v_cmp_gt_u32_e64 s16, s41, v24
	v_dual_mov_b32 v5, 0 :: v_dual_mov_b32 v6, 0
	s_delay_alu instid0(VALU_DEP_2)
	s_and_saveexec_b32 s17, s16
	s_cbranch_execz .LBB126_20
; %bb.19:                               ;   in Loop: Header=BB126_12 Depth=1
	global_load_u16 v6, v[0:1], off offset:192
.LBB126_20:                             ;   in Loop: Header=BB126_12 Depth=1
	s_or_b32 exec_lo, exec_lo, s17
	v_cmp_gt_u32_e64 s17, s41, v25
	s_delay_alu instid0(VALU_DEP_1)
	s_and_saveexec_b32 s18, s17
	s_cbranch_execz .LBB126_22
; %bb.21:                               ;   in Loop: Header=BB126_12 Depth=1
	global_load_u16 v5, v[0:1], off offset:256
.LBB126_22:                             ;   in Loop: Header=BB126_12 Depth=1
	;; [unrolled: 17-line block ×3, first 2 shown]
	s_or_b32 exec_lo, exec_lo, s20
	v_cmp_gt_u32_e64 s20, s41, v28
	v_mov_b32_e32 v9, 0
	v_mov_b32_e32 v11, 0
	s_delay_alu instid0(VALU_DEP_3)
	s_and_saveexec_b32 s21, s20
	s_cbranch_execz .LBB126_28
; %bb.27:                               ;   in Loop: Header=BB126_12 Depth=1
	global_load_u16 v11, v[0:1], off offset:448
.LBB126_28:                             ;   in Loop: Header=BB126_12 Depth=1
	s_or_b32 exec_lo, exec_lo, s21
	v_cmp_gt_u32_e64 s21, s41, v29
	s_delay_alu instid0(VALU_DEP_1)
	s_and_saveexec_b32 s22, s21
	s_cbranch_execz .LBB126_30
; %bb.29:                               ;   in Loop: Header=BB126_12 Depth=1
	global_load_u16 v9, v[0:1], off offset:512
.LBB126_30:                             ;   in Loop: Header=BB126_12 Depth=1
	s_or_b32 exec_lo, exec_lo, s22
	v_cmp_gt_u32_e64 s22, s41, v30
	v_dual_mov_b32 v12, 0 :: v_dual_mov_b32 v13, 0
	s_delay_alu instid0(VALU_DEP_2)
	s_and_saveexec_b32 s23, s22
	s_cbranch_execz .LBB126_32
; %bb.31:                               ;   in Loop: Header=BB126_12 Depth=1
	global_load_u16 v13, v[0:1], off offset:576
.LBB126_32:                             ;   in Loop: Header=BB126_12 Depth=1
	s_or_b32 exec_lo, exec_lo, s23
	v_cmp_gt_u32_e64 s23, s41, v31
	s_delay_alu instid0(VALU_DEP_1)
	s_and_saveexec_b32 s24, s23
	s_cbranch_execz .LBB126_34
; %bb.33:                               ;   in Loop: Header=BB126_12 Depth=1
	global_load_u16 v12, v[0:1], off offset:640
.LBB126_34:                             ;   in Loop: Header=BB126_12 Depth=1
	s_or_b32 exec_lo, exec_lo, s24
	v_cmp_gt_u32_e64 s24, s41, v32
	v_dual_mov_b32 v14, 0 :: v_dual_mov_b32 v15, 0
	s_delay_alu instid0(VALU_DEP_2)
	;; [unrolled: 17-line block ×4, first 2 shown]
	s_and_saveexec_b32 s29, s28
	s_cbranch_execz .LBB126_44
; %bb.43:                               ;   in Loop: Header=BB126_12 Depth=1
	global_load_u16 v91, v[0:1], off offset:960
.LBB126_44:                             ;   in Loop: Header=BB126_12 Depth=1
	s_or_b32 exec_lo, exec_lo, s29
	s_waitcnt vmcnt(0)
	ds_store_b16 v37, v2
	ds_store_b16 v37, v4 offset:64
	ds_store_b16 v38, v3 offset:128
	;; [unrolled: 1-line block ×15, first 2 shown]
	; wave barrier
	ds_load_b128 v[0:3], v52
	ds_load_b128 v[4:7], v52 offset:16
	v_add_co_u32 v8, s29, s72, v16
	s_delay_alu instid0(VALU_DEP_1) | instskip(SKIP_1) | instid1(VALU_DEP_2)
	v_add_co_ci_u32_e64 v9, null, s48, 0, s29
	s_waitcnt lgkmcnt(0)
	v_add_co_u32 v8, vcc_lo, v8, v89
	s_delay_alu instid0(VALU_DEP_2)
	v_add_co_ci_u32_e32 v9, vcc_lo, 0, v9, vcc_lo
	s_barrier
	buffer_gl0_inv
	s_and_saveexec_b32 s29, s13
	s_cbranch_execz .LBB126_46
; %bb.45:                               ;   in Loop: Header=BB126_12 Depth=1
	global_load_u16 v10, v[8:9], off
.LBB126_46:                             ;   in Loop: Header=BB126_12 Depth=1
	s_or_b32 exec_lo, exec_lo, s29
	v_dual_mov_b32 v11, 0 :: v_dual_mov_b32 v12, 0
	s_and_saveexec_b32 s29, s14
	s_cbranch_execz .LBB126_48
; %bb.47:                               ;   in Loop: Header=BB126_12 Depth=1
	global_load_u16 v12, v[8:9], off offset:64
.LBB126_48:                             ;   in Loop: Header=BB126_12 Depth=1
	s_or_b32 exec_lo, exec_lo, s29
	s_and_saveexec_b32 s29, s15
	s_cbranch_execz .LBB126_50
; %bb.49:                               ;   in Loop: Header=BB126_12 Depth=1
	global_load_u16 v11, v[8:9], off offset:128
.LBB126_50:                             ;   in Loop: Header=BB126_12 Depth=1
	s_or_b32 exec_lo, exec_lo, s29
	v_dual_mov_b32 v13, 0 :: v_dual_mov_b32 v14, 0
	s_and_saveexec_b32 s29, s16
	s_cbranch_execz .LBB126_52
; %bb.51:                               ;   in Loop: Header=BB126_12 Depth=1
	global_load_u16 v14, v[8:9], off offset:192
.LBB126_52:                             ;   in Loop: Header=BB126_12 Depth=1
	s_or_b32 exec_lo, exec_lo, s29
	s_and_saveexec_b32 s29, s17
	s_cbranch_execz .LBB126_54
; %bb.53:                               ;   in Loop: Header=BB126_12 Depth=1
	global_load_u16 v13, v[8:9], off offset:256
.LBB126_54:                             ;   in Loop: Header=BB126_12 Depth=1
	s_or_b32 exec_lo, exec_lo, s29
	v_mov_b32_e32 v15, 0
	v_mov_b32_e32 v17, 0
	s_and_saveexec_b32 s29, s18
	s_cbranch_execz .LBB126_56
; %bb.55:                               ;   in Loop: Header=BB126_12 Depth=1
	global_load_u16 v17, v[8:9], off offset:320
.LBB126_56:                             ;   in Loop: Header=BB126_12 Depth=1
	s_or_b32 exec_lo, exec_lo, s29
	s_and_saveexec_b32 s29, s19
	s_cbranch_execz .LBB126_58
; %bb.57:                               ;   in Loop: Header=BB126_12 Depth=1
	global_load_u16 v15, v[8:9], off offset:384
.LBB126_58:                             ;   in Loop: Header=BB126_12 Depth=1
	s_or_b32 exec_lo, exec_lo, s29
	v_dual_mov_b32 v90, 0 :: v_dual_mov_b32 v91, 0
	s_and_saveexec_b32 s29, s20
	s_cbranch_execz .LBB126_60
; %bb.59:                               ;   in Loop: Header=BB126_12 Depth=1
	global_load_u16 v91, v[8:9], off offset:448
.LBB126_60:                             ;   in Loop: Header=BB126_12 Depth=1
	s_or_b32 exec_lo, exec_lo, s29
	s_and_saveexec_b32 s29, s21
	s_cbranch_execz .LBB126_62
; %bb.61:                               ;   in Loop: Header=BB126_12 Depth=1
	global_load_u16 v90, v[8:9], off offset:512
.LBB126_62:                             ;   in Loop: Header=BB126_12 Depth=1
	s_or_b32 exec_lo, exec_lo, s29
	v_dual_mov_b32 v92, 0 :: v_dual_mov_b32 v93, 0
	;; [unrolled: 13-line block ×4, first 2 shown]
	s_and_saveexec_b32 s29, s26
	s_cbranch_execnz .LBB126_220
; %bb.71:                               ;   in Loop: Header=BB126_12 Depth=1
	s_or_b32 exec_lo, exec_lo, s29
	s_and_saveexec_b32 s29, s27
	s_cbranch_execnz .LBB126_221
.LBB126_72:                             ;   in Loop: Header=BB126_12 Depth=1
	s_or_b32 exec_lo, exec_lo, s29
	v_mov_b32_e32 v98, 0
	s_and_saveexec_b32 s29, s28
	s_cbranch_execz .LBB126_74
.LBB126_73:                             ;   in Loop: Header=BB126_12 Depth=1
	global_load_u16 v98, v[8:9], off offset:960
.LBB126_74:                             ;   in Loop: Header=BB126_12 Depth=1
	s_or_b32 exec_lo, exec_lo, s29
	s_waitcnt vmcnt(0)
	ds_store_b16 v37, v10
	ds_store_b16 v37, v12 offset:64
	ds_store_b16 v38, v11 offset:128
	;; [unrolled: 1-line block ×15, first 2 shown]
	; wave barrier
	ds_load_b128 v[12:15], v52
	ds_load_b128 v[8:11], v52 offset:16
	s_waitcnt lgkmcnt(1)
	v_cvt_f32_f16_e32 v17, v12
	s_delay_alu instid0(VALU_DEP_1) | instskip(NEXT) | instid1(VALU_DEP_1)
	v_add_f32_e32 v90, s67, v17
	v_cmp_ge_f32_e32 vcc_lo, 0x41a00000, v90
	s_and_b32 s29, s80, vcc_lo
	s_delay_alu instid0(SALU_CYCLE_1)
	s_and_saveexec_b32 s30, s29
	s_cbranch_execz .LBB126_76
; %bb.75:                               ;   in Loop: Header=BB126_12 Depth=1
	v_mul_f32_e32 v17, 0x3fb8aa3b, v90
	v_cmp_ngt_f32_e32 vcc_lo, 0xc2ce8ed0, v90
	s_delay_alu instid0(VALU_DEP_2) | instskip(SKIP_1) | instid1(VALU_DEP_1)
	v_rndne_f32_e32 v91, v17
	v_fma_f32 v92, 0x3fb8aa3b, v90, -v17
	v_dual_sub_f32 v17, v17, v91 :: v_dual_fmac_f32 v92, 0x32a5705f, v90
	v_cvt_i32_f32_e32 v91, v91
	s_delay_alu instid0(VALU_DEP_2) | instskip(NEXT) | instid1(VALU_DEP_1)
	v_add_f32_e32 v17, v17, v92
	v_exp_f32_e32 v17, v17
	s_waitcnt_depctr 0xfff
	v_ldexp_f32 v17, v17, v91
	s_delay_alu instid0(VALU_DEP_1) | instskip(SKIP_1) | instid1(VALU_DEP_2)
	v_cndmask_b32_e32 v17, 0, v17, vcc_lo
	v_cmp_nlt_f32_e32 vcc_lo, 0x42b17218, v90
	v_cndmask_b32_e32 v17, 0x7f800000, v17, vcc_lo
	s_delay_alu instid0(VALU_DEP_1) | instskip(NEXT) | instid1(VALU_DEP_1)
	v_add_f32_e32 v92, 1.0, v17
	v_cvt_f64_f32_e32 v[90:91], v92
	s_delay_alu instid0(VALU_DEP_1) | instskip(SKIP_1) | instid1(VALU_DEP_1)
	v_frexp_exp_i32_f64_e32 v90, v[90:91]
	v_frexp_mant_f32_e32 v91, v92
	v_cmp_gt_f32_e32 vcc_lo, 0x3f2aaaab, v91
	v_add_f32_e32 v91, -1.0, v92
	s_delay_alu instid0(VALU_DEP_1) | instskip(NEXT) | instid1(VALU_DEP_1)
	v_dual_sub_f32 v94, v91, v92 :: v_dual_sub_f32 v91, v17, v91
	v_add_f32_e32 v94, 1.0, v94
	v_subrev_co_ci_u32_e32 v90, vcc_lo, 0, v90, vcc_lo
	s_delay_alu instid0(VALU_DEP_1) | instskip(SKIP_1) | instid1(VALU_DEP_2)
	v_sub_nc_u32_e32 v93, 0, v90
	v_cvt_f32_i32_e32 v90, v90
	v_ldexp_f32 v92, v92, v93
	v_add_f32_e32 v91, v91, v94
	s_delay_alu instid0(VALU_DEP_1) | instskip(NEXT) | instid1(VALU_DEP_3)
	v_ldexp_f32 v91, v91, v93
	v_add_f32_e32 v95, 1.0, v92
	s_delay_alu instid0(VALU_DEP_1) | instskip(NEXT) | instid1(VALU_DEP_1)
	v_add_f32_e32 v94, -1.0, v95
	v_sub_f32_e32 v94, v92, v94
	v_cmp_eq_f32_e32 vcc_lo, 0x7f800000, v17
	v_cmp_gt_f32_e64 s29, 0x33800000, v17
	s_delay_alu instid0(VALU_DEP_3) | instskip(NEXT) | instid1(VALU_DEP_2)
	v_dual_add_f32 v94, v91, v94 :: v_dual_add_f32 v93, -1.0, v92
	s_or_b32 vcc_lo, s29, vcc_lo
	s_delay_alu instid0(VALU_DEP_1) | instskip(NEXT) | instid1(VALU_DEP_1)
	v_add_f32_e32 v96, 1.0, v93
	v_sub_f32_e32 v92, v92, v96
	s_delay_alu instid0(VALU_DEP_3) | instskip(NEXT) | instid1(VALU_DEP_1)
	v_add_f32_e32 v96, v95, v94
	v_sub_f32_e32 v95, v95, v96
	s_delay_alu instid0(VALU_DEP_3) | instskip(SKIP_1) | instid1(VALU_DEP_2)
	v_add_f32_e32 v91, v91, v92
	v_rcp_f32_e32 v92, v96
	v_add_f32_e32 v94, v94, v95
	s_delay_alu instid0(VALU_DEP_2) | instskip(NEXT) | instid1(VALU_DEP_1)
	v_add_f32_e32 v97, v93, v91
	v_sub_f32_e32 v93, v93, v97
	s_waitcnt_depctr 0xfff
	v_dual_mul_f32 v98, v97, v92 :: v_dual_add_f32 v91, v91, v93
	s_delay_alu instid0(VALU_DEP_1) | instskip(NEXT) | instid1(VALU_DEP_1)
	v_mul_f32_e32 v99, v96, v98
	v_fma_f32 v95, v98, v96, -v99
	s_delay_alu instid0(VALU_DEP_1) | instskip(NEXT) | instid1(VALU_DEP_1)
	v_fmac_f32_e32 v95, v98, v94
	v_add_f32_e32 v100, v99, v95
	s_delay_alu instid0(VALU_DEP_1) | instskip(NEXT) | instid1(VALU_DEP_1)
	v_sub_f32_e32 v101, v97, v100
	v_sub_f32_e32 v97, v97, v101
	;; [unrolled: 1-line block ×3, first 2 shown]
	s_delay_alu instid0(VALU_DEP_2) | instskip(NEXT) | instid1(VALU_DEP_2)
	v_sub_f32_e32 v97, v97, v100
	v_sub_f32_e32 v93, v93, v95
	s_delay_alu instid0(VALU_DEP_2) | instskip(NEXT) | instid1(VALU_DEP_1)
	v_add_f32_e32 v91, v91, v97
	v_add_f32_e32 v91, v93, v91
	s_delay_alu instid0(VALU_DEP_1) | instskip(NEXT) | instid1(VALU_DEP_1)
	v_add_f32_e32 v93, v101, v91
	v_mul_f32_e32 v95, v92, v93
	s_delay_alu instid0(VALU_DEP_1) | instskip(NEXT) | instid1(VALU_DEP_1)
	v_dual_sub_f32 v100, v101, v93 :: v_dual_mul_f32 v97, v96, v95
	v_add_f32_e32 v91, v91, v100
	s_delay_alu instid0(VALU_DEP_2) | instskip(NEXT) | instid1(VALU_DEP_1)
	v_fma_f32 v96, v95, v96, -v97
	v_fmac_f32_e32 v96, v95, v94
	s_delay_alu instid0(VALU_DEP_1) | instskip(NEXT) | instid1(VALU_DEP_1)
	v_add_f32_e32 v94, v97, v96
	v_sub_f32_e32 v99, v93, v94
	v_sub_f32_e32 v97, v94, v97
	s_delay_alu instid0(VALU_DEP_2) | instskip(NEXT) | instid1(VALU_DEP_1)
	v_sub_f32_e32 v93, v93, v99
	v_sub_f32_e32 v93, v93, v94
	s_delay_alu instid0(VALU_DEP_1) | instskip(SKIP_1) | instid1(VALU_DEP_1)
	v_dual_sub_f32 v94, v97, v96 :: v_dual_add_f32 v91, v91, v93
	v_add_f32_e32 v93, v98, v95
	v_dual_add_f32 v91, v94, v91 :: v_dual_sub_f32 v94, v93, v98
	s_delay_alu instid0(VALU_DEP_1) | instskip(NEXT) | instid1(VALU_DEP_1)
	v_add_f32_e32 v91, v99, v91
	v_dual_sub_f32 v94, v95, v94 :: v_dual_mul_f32 v91, v92, v91
	s_delay_alu instid0(VALU_DEP_1) | instskip(NEXT) | instid1(VALU_DEP_1)
	v_add_f32_e32 v91, v94, v91
	v_add_f32_e32 v92, v93, v91
	s_delay_alu instid0(VALU_DEP_1) | instskip(NEXT) | instid1(VALU_DEP_1)
	v_mul_f32_e32 v94, v92, v92
	v_fmaak_f32 v95, s84, v94, 0x3ecc95a3
	v_mul_f32_e32 v96, v92, v94
	s_delay_alu instid0(VALU_DEP_2) | instskip(SKIP_2) | instid1(VALU_DEP_3)
	v_fmaak_f32 v94, v94, v95, 0x3f2aaada
	v_ldexp_f32 v95, v92, 1
	v_sub_f32_e32 v92, v92, v93
	v_mul_f32_e32 v94, v96, v94
	s_delay_alu instid0(VALU_DEP_2) | instskip(NEXT) | instid1(VALU_DEP_2)
	v_dual_mul_f32 v96, 0x3f317218, v90 :: v_dual_sub_f32 v91, v91, v92
	v_add_f32_e32 v93, v95, v94
	s_delay_alu instid0(VALU_DEP_2) | instskip(NEXT) | instid1(VALU_DEP_2)
	v_ldexp_f32 v91, v91, 1
	v_sub_f32_e32 v92, v93, v95
	s_delay_alu instid0(VALU_DEP_4) | instskip(NEXT) | instid1(VALU_DEP_1)
	v_fma_f32 v95, 0x3f317218, v90, -v96
	v_dual_sub_f32 v92, v94, v92 :: v_dual_fmac_f32 v95, 0xb102e308, v90
	s_delay_alu instid0(VALU_DEP_1) | instskip(NEXT) | instid1(VALU_DEP_1)
	v_dual_add_f32 v90, v91, v92 :: v_dual_add_f32 v91, v96, v95
	v_add_f32_e32 v92, v93, v90
	s_delay_alu instid0(VALU_DEP_2) | instskip(NEXT) | instid1(VALU_DEP_2)
	v_sub_f32_e32 v96, v91, v96
	v_dual_add_f32 v94, v91, v92 :: v_dual_sub_f32 v93, v92, v93
	s_delay_alu instid0(VALU_DEP_2) | instskip(NEXT) | instid1(VALU_DEP_2)
	v_sub_f32_e32 v95, v95, v96
	v_sub_f32_e32 v97, v94, v91
	s_delay_alu instid0(VALU_DEP_3) | instskip(NEXT) | instid1(VALU_DEP_2)
	v_sub_f32_e32 v90, v90, v93
	v_sub_f32_e32 v98, v94, v97
	s_delay_alu instid0(VALU_DEP_2) | instskip(NEXT) | instid1(VALU_DEP_2)
	v_dual_sub_f32 v92, v92, v97 :: v_dual_add_f32 v93, v95, v90
	v_sub_f32_e32 v91, v91, v98
	s_delay_alu instid0(VALU_DEP_1) | instskip(NEXT) | instid1(VALU_DEP_3)
	v_add_f32_e32 v91, v92, v91
	v_sub_f32_e32 v92, v93, v95
	s_delay_alu instid0(VALU_DEP_2) | instskip(NEXT) | instid1(VALU_DEP_2)
	v_add_f32_e32 v91, v93, v91
	v_sub_f32_e32 v93, v93, v92
	v_sub_f32_e32 v90, v90, v92
	s_delay_alu instid0(VALU_DEP_2) | instskip(NEXT) | instid1(VALU_DEP_1)
	v_dual_add_f32 v96, v94, v91 :: v_dual_sub_f32 v93, v95, v93
	v_sub_f32_e32 v92, v96, v94
	s_delay_alu instid0(VALU_DEP_1) | instskip(NEXT) | instid1(VALU_DEP_1)
	v_dual_add_f32 v90, v90, v93 :: v_dual_sub_f32 v91, v91, v92
	v_add_f32_e32 v90, v90, v91
	s_delay_alu instid0(VALU_DEP_1) | instskip(NEXT) | instid1(VALU_DEP_1)
	v_add_f32_e32 v90, v96, v90
	v_cndmask_b32_e32 v90, v90, v17, vcc_lo
.LBB126_76:                             ;   in Loop: Header=BB126_12 Depth=1
	s_or_b32 exec_lo, exec_lo, s30
	v_lshrrev_b32_e32 v12, 16, v12
	s_delay_alu instid0(VALU_DEP_1) | instskip(NEXT) | instid1(VALU_DEP_1)
	v_cvt_f32_f16_e32 v12, v12
	v_add_f32_e32 v91, s67, v12
	s_delay_alu instid0(VALU_DEP_1) | instskip(SKIP_1) | instid1(SALU_CYCLE_1)
	v_cmp_ge_f32_e32 vcc_lo, 0x41a00000, v91
	s_and_b32 s29, s80, vcc_lo
	s_and_saveexec_b32 s30, s29
	s_cbranch_execz .LBB126_78
; %bb.77:                               ;   in Loop: Header=BB126_12 Depth=1
	v_mul_f32_e32 v12, 0x3fb8aa3b, v91
	v_cmp_ngt_f32_e32 vcc_lo, 0xc2ce8ed0, v91
	s_delay_alu instid0(VALU_DEP_2) | instskip(SKIP_1) | instid1(VALU_DEP_2)
	v_rndne_f32_e32 v17, v12
	v_fma_f32 v92, 0x3fb8aa3b, v91, -v12
	v_sub_f32_e32 v12, v12, v17
	s_delay_alu instid0(VALU_DEP_2) | instskip(SKIP_1) | instid1(VALU_DEP_2)
	v_fmac_f32_e32 v92, 0x32a5705f, v91
	v_cvt_i32_f32_e32 v17, v17
	v_add_f32_e32 v12, v12, v92
	s_delay_alu instid0(VALU_DEP_1) | instskip(SKIP_2) | instid1(VALU_DEP_1)
	v_exp_f32_e32 v12, v12
	s_waitcnt_depctr 0xfff
	v_ldexp_f32 v12, v12, v17
	v_cndmask_b32_e32 v12, 0, v12, vcc_lo
	v_cmp_nlt_f32_e32 vcc_lo, 0x42b17218, v91
	s_delay_alu instid0(VALU_DEP_2) | instskip(NEXT) | instid1(VALU_DEP_1)
	v_cndmask_b32_e32 v12, 0x7f800000, v12, vcc_lo
	v_add_f32_e32 v17, 1.0, v12
	s_delay_alu instid0(VALU_DEP_1) | instskip(NEXT) | instid1(VALU_DEP_1)
	v_cvt_f64_f32_e32 v[91:92], v17
	v_frexp_exp_i32_f64_e32 v91, v[91:92]
	v_frexp_mant_f32_e32 v92, v17
	s_delay_alu instid0(VALU_DEP_1) | instskip(SKIP_1) | instid1(VALU_DEP_1)
	v_cmp_gt_f32_e32 vcc_lo, 0x3f2aaaab, v92
	v_add_f32_e32 v92, -1.0, v17
	v_sub_f32_e32 v94, v92, v17
	v_sub_f32_e32 v92, v12, v92
	s_delay_alu instid0(VALU_DEP_2) | instskip(NEXT) | instid1(VALU_DEP_1)
	v_add_f32_e32 v94, 1.0, v94
	v_add_f32_e32 v92, v92, v94
	v_subrev_co_ci_u32_e32 v91, vcc_lo, 0, v91, vcc_lo
	s_delay_alu instid0(VALU_DEP_1) | instskip(SKIP_1) | instid1(VALU_DEP_2)
	v_sub_nc_u32_e32 v93, 0, v91
	v_cvt_f32_i32_e32 v91, v91
	v_ldexp_f32 v17, v17, v93
	v_ldexp_f32 v92, v92, v93
	s_delay_alu instid0(VALU_DEP_2) | instskip(NEXT) | instid1(VALU_DEP_1)
	v_add_f32_e32 v95, 1.0, v17
	v_dual_add_f32 v93, -1.0, v17 :: v_dual_add_f32 v94, -1.0, v95
	s_delay_alu instid0(VALU_DEP_1) | instskip(NEXT) | instid1(VALU_DEP_2)
	v_add_f32_e32 v96, 1.0, v93
	v_sub_f32_e32 v94, v17, v94
	s_delay_alu instid0(VALU_DEP_2) | instskip(NEXT) | instid1(VALU_DEP_1)
	v_sub_f32_e32 v17, v17, v96
	v_add_f32_e32 v17, v92, v17
	s_delay_alu instid0(VALU_DEP_1) | instskip(SKIP_2) | instid1(VALU_DEP_3)
	v_add_f32_e32 v97, v93, v17
	v_cmp_eq_f32_e32 vcc_lo, 0x7f800000, v12
	v_cmp_gt_f32_e64 s29, 0x33800000, v12
	v_dual_sub_f32 v93, v93, v97 :: v_dual_add_f32 v94, v92, v94
	s_delay_alu instid0(VALU_DEP_2) | instskip(NEXT) | instid1(VALU_DEP_1)
	s_or_b32 vcc_lo, s29, vcc_lo
	v_dual_add_f32 v17, v17, v93 :: v_dual_add_f32 v96, v95, v94
	s_delay_alu instid0(VALU_DEP_1) | instskip(SKIP_1) | instid1(VALU_DEP_1)
	v_rcp_f32_e32 v92, v96
	v_sub_f32_e32 v95, v95, v96
	v_add_f32_e32 v94, v94, v95
	s_waitcnt_depctr 0xfff
	v_mul_f32_e32 v98, v97, v92
	s_delay_alu instid0(VALU_DEP_1) | instskip(NEXT) | instid1(VALU_DEP_1)
	v_mul_f32_e32 v99, v96, v98
	v_fma_f32 v95, v98, v96, -v99
	s_delay_alu instid0(VALU_DEP_1) | instskip(NEXT) | instid1(VALU_DEP_1)
	v_fmac_f32_e32 v95, v98, v94
	v_add_f32_e32 v100, v99, v95
	s_delay_alu instid0(VALU_DEP_1) | instskip(SKIP_1) | instid1(VALU_DEP_2)
	v_sub_f32_e32 v101, v97, v100
	v_sub_f32_e32 v93, v100, v99
	;; [unrolled: 1-line block ×3, first 2 shown]
	s_delay_alu instid0(VALU_DEP_2) | instskip(NEXT) | instid1(VALU_DEP_2)
	v_sub_f32_e32 v93, v93, v95
	v_sub_f32_e32 v97, v97, v100
	s_delay_alu instid0(VALU_DEP_1) | instskip(NEXT) | instid1(VALU_DEP_1)
	v_add_f32_e32 v17, v17, v97
	v_add_f32_e32 v17, v93, v17
	s_delay_alu instid0(VALU_DEP_1) | instskip(NEXT) | instid1(VALU_DEP_1)
	v_add_f32_e32 v93, v101, v17
	v_mul_f32_e32 v95, v92, v93
	s_delay_alu instid0(VALU_DEP_1) | instskip(NEXT) | instid1(VALU_DEP_1)
	v_mul_f32_e32 v97, v96, v95
	v_fma_f32 v96, v95, v96, -v97
	s_delay_alu instid0(VALU_DEP_1) | instskip(SKIP_1) | instid1(VALU_DEP_2)
	v_fmac_f32_e32 v96, v95, v94
	v_sub_f32_e32 v100, v101, v93
	v_add_f32_e32 v94, v97, v96
	s_delay_alu instid0(VALU_DEP_2) | instskip(NEXT) | instid1(VALU_DEP_2)
	v_add_f32_e32 v17, v17, v100
	v_sub_f32_e32 v99, v93, v94
	s_delay_alu instid0(VALU_DEP_1) | instskip(NEXT) | instid1(VALU_DEP_1)
	v_sub_f32_e32 v93, v93, v99
	v_sub_f32_e32 v93, v93, v94
	s_delay_alu instid0(VALU_DEP_1) | instskip(SKIP_2) | instid1(VALU_DEP_1)
	v_add_f32_e32 v17, v17, v93
	v_add_f32_e32 v93, v98, v95
	v_sub_f32_e32 v97, v94, v97
	v_sub_f32_e32 v94, v97, v96
	s_delay_alu instid0(VALU_DEP_1) | instskip(NEXT) | instid1(VALU_DEP_1)
	v_dual_add_f32 v17, v94, v17 :: v_dual_sub_f32 v94, v93, v98
	v_add_f32_e32 v17, v99, v17
	s_delay_alu instid0(VALU_DEP_1) | instskip(NEXT) | instid1(VALU_DEP_1)
	v_dual_sub_f32 v94, v95, v94 :: v_dual_mul_f32 v17, v92, v17
	v_add_f32_e32 v17, v94, v17
	s_delay_alu instid0(VALU_DEP_1) | instskip(NEXT) | instid1(VALU_DEP_1)
	v_add_f32_e32 v92, v93, v17
	v_mul_f32_e32 v94, v92, v92
	s_delay_alu instid0(VALU_DEP_1) | instskip(SKIP_1) | instid1(VALU_DEP_2)
	v_fmaak_f32 v95, s84, v94, 0x3ecc95a3
	v_mul_f32_e32 v96, v92, v94
	v_fmaak_f32 v94, v94, v95, 0x3f2aaada
	v_ldexp_f32 v95, v92, 1
	s_delay_alu instid0(VALU_DEP_2) | instskip(SKIP_1) | instid1(VALU_DEP_2)
	v_mul_f32_e32 v94, v96, v94
	v_sub_f32_e32 v92, v92, v93
	v_dual_mul_f32 v96, 0x3f317218, v91 :: v_dual_add_f32 v93, v95, v94
	s_delay_alu instid0(VALU_DEP_2) | instskip(NEXT) | instid1(VALU_DEP_2)
	v_sub_f32_e32 v17, v17, v92
	v_sub_f32_e32 v92, v93, v95
	s_delay_alu instid0(VALU_DEP_3) | instskip(NEXT) | instid1(VALU_DEP_3)
	v_fma_f32 v95, 0x3f317218, v91, -v96
	v_ldexp_f32 v17, v17, 1
	s_delay_alu instid0(VALU_DEP_2) | instskip(NEXT) | instid1(VALU_DEP_1)
	v_dual_sub_f32 v92, v94, v92 :: v_dual_fmac_f32 v95, 0xb102e308, v91
	v_add_f32_e32 v17, v17, v92
	s_delay_alu instid0(VALU_DEP_1) | instskip(NEXT) | instid1(VALU_DEP_1)
	v_dual_add_f32 v91, v96, v95 :: v_dual_add_f32 v92, v93, v17
	v_sub_f32_e32 v96, v91, v96
	s_delay_alu instid0(VALU_DEP_2) | instskip(NEXT) | instid1(VALU_DEP_2)
	v_dual_add_f32 v94, v91, v92 :: v_dual_sub_f32 v93, v92, v93
	v_sub_f32_e32 v95, v95, v96
	s_delay_alu instid0(VALU_DEP_2) | instskip(NEXT) | instid1(VALU_DEP_1)
	v_sub_f32_e32 v97, v94, v91
	v_sub_f32_e32 v98, v94, v97
	;; [unrolled: 1-line block ×4, first 2 shown]
	s_delay_alu instid0(VALU_DEP_1) | instskip(NEXT) | instid1(VALU_DEP_4)
	v_add_f32_e32 v93, v95, v17
	v_sub_f32_e32 v91, v91, v98
	s_delay_alu instid0(VALU_DEP_1) | instskip(NEXT) | instid1(VALU_DEP_3)
	v_add_f32_e32 v91, v92, v91
	v_sub_f32_e32 v92, v93, v95
	s_delay_alu instid0(VALU_DEP_2) | instskip(NEXT) | instid1(VALU_DEP_2)
	v_add_f32_e32 v91, v93, v91
	v_sub_f32_e32 v93, v93, v92
	s_delay_alu instid0(VALU_DEP_2) | instskip(NEXT) | instid1(VALU_DEP_1)
	v_dual_sub_f32 v17, v17, v92 :: v_dual_add_f32 v96, v94, v91
	v_dual_sub_f32 v92, v96, v94 :: v_dual_sub_f32 v93, v95, v93
	s_delay_alu instid0(VALU_DEP_1) | instskip(NEXT) | instid1(VALU_DEP_2)
	v_sub_f32_e32 v91, v91, v92
	v_add_f32_e32 v17, v17, v93
	s_delay_alu instid0(VALU_DEP_1) | instskip(NEXT) | instid1(VALU_DEP_1)
	v_add_f32_e32 v17, v17, v91
	v_add_f32_e32 v17, v96, v17
	s_delay_alu instid0(VALU_DEP_1)
	v_cndmask_b32_e32 v91, v17, v12, vcc_lo
.LBB126_78:                             ;   in Loop: Header=BB126_12 Depth=1
	s_or_b32 exec_lo, exec_lo, s30
	v_cvt_f32_f16_e32 v12, v13
	s_delay_alu instid0(VALU_DEP_1) | instskip(NEXT) | instid1(VALU_DEP_1)
	v_add_f32_e32 v92, s67, v12
	v_cmp_ge_f32_e32 vcc_lo, 0x41a00000, v92
	s_and_b32 s29, s80, vcc_lo
	s_delay_alu instid0(SALU_CYCLE_1)
	s_and_saveexec_b32 s30, s29
	s_cbranch_execz .LBB126_80
; %bb.79:                               ;   in Loop: Header=BB126_12 Depth=1
	v_mul_f32_e32 v12, 0x3fb8aa3b, v92
	v_cmp_ngt_f32_e32 vcc_lo, 0xc2ce8ed0, v92
	s_delay_alu instid0(VALU_DEP_2) | instskip(SKIP_1) | instid1(VALU_DEP_1)
	v_rndne_f32_e32 v17, v12
	v_fma_f32 v93, 0x3fb8aa3b, v92, -v12
	v_dual_sub_f32 v12, v12, v17 :: v_dual_fmac_f32 v93, 0x32a5705f, v92
	v_cvt_i32_f32_e32 v17, v17
	s_delay_alu instid0(VALU_DEP_2) | instskip(NEXT) | instid1(VALU_DEP_1)
	v_add_f32_e32 v12, v12, v93
	v_exp_f32_e32 v12, v12
	s_waitcnt_depctr 0xfff
	v_ldexp_f32 v12, v12, v17
	s_delay_alu instid0(VALU_DEP_1) | instskip(SKIP_1) | instid1(VALU_DEP_2)
	v_cndmask_b32_e32 v12, 0, v12, vcc_lo
	v_cmp_nlt_f32_e32 vcc_lo, 0x42b17218, v92
	v_cndmask_b32_e32 v12, 0x7f800000, v12, vcc_lo
	s_delay_alu instid0(VALU_DEP_1) | instskip(NEXT) | instid1(VALU_DEP_1)
	v_add_f32_e32 v17, 1.0, v12
	v_cvt_f64_f32_e32 v[92:93], v17
	s_delay_alu instid0(VALU_DEP_1) | instskip(SKIP_1) | instid1(VALU_DEP_1)
	v_frexp_exp_i32_f64_e32 v92, v[92:93]
	v_frexp_mant_f32_e32 v93, v17
	v_cmp_gt_f32_e32 vcc_lo, 0x3f2aaaab, v93
	v_add_f32_e32 v93, -1.0, v17
	s_delay_alu instid0(VALU_DEP_1) | instskip(SKIP_1) | instid1(VALU_DEP_2)
	v_sub_f32_e32 v95, v93, v17
	v_sub_f32_e32 v93, v12, v93
	v_add_f32_e32 v95, 1.0, v95
	s_delay_alu instid0(VALU_DEP_1) | instskip(SKIP_3) | instid1(VALU_DEP_2)
	v_add_f32_e32 v93, v93, v95
	v_cmp_gt_f32_e64 s29, 0x33800000, v12
	v_subrev_co_ci_u32_e32 v92, vcc_lo, 0, v92, vcc_lo
	v_cmp_eq_f32_e32 vcc_lo, 0x7f800000, v12
	v_sub_nc_u32_e32 v94, 0, v92
	v_cvt_f32_i32_e32 v92, v92
	s_or_b32 vcc_lo, s29, vcc_lo
	s_delay_alu instid0(VALU_DEP_2) | instskip(SKIP_1) | instid1(VALU_DEP_2)
	v_ldexp_f32 v17, v17, v94
	v_ldexp_f32 v93, v93, v94
	v_add_f32_e32 v96, 1.0, v17
	s_delay_alu instid0(VALU_DEP_1) | instskip(NEXT) | instid1(VALU_DEP_1)
	v_dual_add_f32 v94, -1.0, v17 :: v_dual_add_f32 v95, -1.0, v96
	v_add_f32_e32 v97, 1.0, v94
	s_delay_alu instid0(VALU_DEP_2) | instskip(NEXT) | instid1(VALU_DEP_2)
	v_sub_f32_e32 v95, v17, v95
	v_sub_f32_e32 v17, v17, v97
	s_delay_alu instid0(VALU_DEP_1) | instskip(NEXT) | instid1(VALU_DEP_1)
	v_add_f32_e32 v17, v93, v17
	v_dual_add_f32 v98, v94, v17 :: v_dual_add_f32 v95, v93, v95
	s_delay_alu instid0(VALU_DEP_1) | instskip(NEXT) | instid1(VALU_DEP_1)
	v_dual_sub_f32 v94, v94, v98 :: v_dual_add_f32 v97, v96, v95
	v_rcp_f32_e32 v93, v97
	v_sub_f32_e32 v96, v96, v97
	s_delay_alu instid0(VALU_DEP_1) | instskip(SKIP_2) | instid1(VALU_DEP_1)
	v_add_f32_e32 v95, v95, v96
	s_waitcnt_depctr 0xfff
	v_mul_f32_e32 v99, v98, v93
	v_mul_f32_e32 v100, v97, v99
	s_delay_alu instid0(VALU_DEP_1) | instskip(NEXT) | instid1(VALU_DEP_1)
	v_fma_f32 v96, v99, v97, -v100
	v_fmac_f32_e32 v96, v99, v95
	s_delay_alu instid0(VALU_DEP_1) | instskip(NEXT) | instid1(VALU_DEP_1)
	v_add_f32_e32 v101, v100, v96
	v_sub_f32_e32 v102, v98, v101
	s_delay_alu instid0(VALU_DEP_1) | instskip(SKIP_2) | instid1(VALU_DEP_3)
	v_sub_f32_e32 v98, v98, v102
	v_add_f32_e32 v17, v17, v94
	v_sub_f32_e32 v94, v101, v100
	v_sub_f32_e32 v98, v98, v101
	s_delay_alu instid0(VALU_DEP_1) | instskip(NEXT) | instid1(VALU_DEP_1)
	v_dual_sub_f32 v94, v94, v96 :: v_dual_add_f32 v17, v17, v98
	v_add_f32_e32 v17, v94, v17
	s_delay_alu instid0(VALU_DEP_1) | instskip(NEXT) | instid1(VALU_DEP_1)
	v_add_f32_e32 v94, v102, v17
	v_mul_f32_e32 v96, v93, v94
	s_delay_alu instid0(VALU_DEP_1) | instskip(NEXT) | instid1(VALU_DEP_1)
	v_dual_sub_f32 v101, v102, v94 :: v_dual_mul_f32 v98, v97, v96
	v_add_f32_e32 v17, v17, v101
	s_delay_alu instid0(VALU_DEP_2) | instskip(NEXT) | instid1(VALU_DEP_1)
	v_fma_f32 v97, v96, v97, -v98
	v_fmac_f32_e32 v97, v96, v95
	s_delay_alu instid0(VALU_DEP_1) | instskip(NEXT) | instid1(VALU_DEP_1)
	v_add_f32_e32 v95, v98, v97
	v_sub_f32_e32 v100, v94, v95
	s_delay_alu instid0(VALU_DEP_1) | instskip(NEXT) | instid1(VALU_DEP_1)
	v_sub_f32_e32 v94, v94, v100
	v_sub_f32_e32 v94, v94, v95
	s_delay_alu instid0(VALU_DEP_1) | instskip(SKIP_1) | instid1(VALU_DEP_1)
	v_dual_add_f32 v17, v17, v94 :: v_dual_add_f32 v94, v99, v96
	v_sub_f32_e32 v98, v95, v98
	v_sub_f32_e32 v95, v98, v97
	s_delay_alu instid0(VALU_DEP_1) | instskip(NEXT) | instid1(VALU_DEP_4)
	v_add_f32_e32 v17, v95, v17
	v_sub_f32_e32 v95, v94, v99
	s_delay_alu instid0(VALU_DEP_2) | instskip(NEXT) | instid1(VALU_DEP_2)
	v_add_f32_e32 v17, v100, v17
	v_sub_f32_e32 v95, v96, v95
	s_delay_alu instid0(VALU_DEP_2) | instskip(NEXT) | instid1(VALU_DEP_1)
	v_mul_f32_e32 v17, v93, v17
	v_add_f32_e32 v17, v95, v17
	s_delay_alu instid0(VALU_DEP_1) | instskip(NEXT) | instid1(VALU_DEP_1)
	v_add_f32_e32 v93, v94, v17
	v_mul_f32_e32 v95, v93, v93
	s_delay_alu instid0(VALU_DEP_1) | instskip(SKIP_1) | instid1(VALU_DEP_2)
	v_fmaak_f32 v96, s84, v95, 0x3ecc95a3
	v_mul_f32_e32 v97, v93, v95
	v_fmaak_f32 v95, v95, v96, 0x3f2aaada
	v_ldexp_f32 v96, v93, 1
	v_sub_f32_e32 v93, v93, v94
	s_delay_alu instid0(VALU_DEP_3) | instskip(SKIP_1) | instid1(VALU_DEP_2)
	v_mul_f32_e32 v95, v97, v95
	v_mul_f32_e32 v97, 0x3f317218, v92
	v_dual_sub_f32 v17, v17, v93 :: v_dual_add_f32 v94, v96, v95
	s_delay_alu instid0(VALU_DEP_1) | instskip(NEXT) | instid1(VALU_DEP_2)
	v_ldexp_f32 v17, v17, 1
	v_sub_f32_e32 v93, v94, v96
	s_delay_alu instid0(VALU_DEP_4) | instskip(NEXT) | instid1(VALU_DEP_1)
	v_fma_f32 v96, 0x3f317218, v92, -v97
	v_dual_sub_f32 v93, v95, v93 :: v_dual_fmac_f32 v96, 0xb102e308, v92
	s_delay_alu instid0(VALU_DEP_1) | instskip(NEXT) | instid1(VALU_DEP_1)
	v_add_f32_e32 v17, v17, v93
	v_dual_add_f32 v92, v97, v96 :: v_dual_add_f32 v93, v94, v17
	s_delay_alu instid0(VALU_DEP_1) | instskip(NEXT) | instid1(VALU_DEP_2)
	v_sub_f32_e32 v97, v92, v97
	v_dual_add_f32 v95, v92, v93 :: v_dual_sub_f32 v94, v93, v94
	s_delay_alu instid0(VALU_DEP_2) | instskip(NEXT) | instid1(VALU_DEP_2)
	v_sub_f32_e32 v96, v96, v97
	v_dual_sub_f32 v98, v95, v92 :: v_dual_sub_f32 v17, v17, v94
	s_delay_alu instid0(VALU_DEP_1) | instskip(NEXT) | instid1(VALU_DEP_2)
	v_sub_f32_e32 v99, v95, v98
	v_dual_sub_f32 v93, v93, v98 :: v_dual_add_f32 v94, v96, v17
	s_delay_alu instid0(VALU_DEP_2) | instskip(NEXT) | instid1(VALU_DEP_1)
	v_sub_f32_e32 v92, v92, v99
	v_add_f32_e32 v92, v93, v92
	s_delay_alu instid0(VALU_DEP_3) | instskip(NEXT) | instid1(VALU_DEP_2)
	v_sub_f32_e32 v93, v94, v96
	v_add_f32_e32 v92, v94, v92
	s_delay_alu instid0(VALU_DEP_2) | instskip(SKIP_1) | instid1(VALU_DEP_2)
	v_sub_f32_e32 v94, v94, v93
	v_sub_f32_e32 v17, v17, v93
	v_dual_add_f32 v97, v95, v92 :: v_dual_sub_f32 v94, v96, v94
	s_delay_alu instid0(VALU_DEP_1) | instskip(NEXT) | instid1(VALU_DEP_1)
	v_sub_f32_e32 v93, v97, v95
	v_dual_add_f32 v17, v17, v94 :: v_dual_sub_f32 v92, v92, v93
	s_delay_alu instid0(VALU_DEP_1) | instskip(NEXT) | instid1(VALU_DEP_1)
	v_add_f32_e32 v17, v17, v92
	v_add_f32_e32 v17, v97, v17
	s_delay_alu instid0(VALU_DEP_1)
	v_cndmask_b32_e32 v92, v17, v12, vcc_lo
.LBB126_80:                             ;   in Loop: Header=BB126_12 Depth=1
	s_or_b32 exec_lo, exec_lo, s30
	v_lshrrev_b32_e32 v12, 16, v13
	s_delay_alu instid0(VALU_DEP_1) | instskip(NEXT) | instid1(VALU_DEP_1)
	v_cvt_f32_f16_e32 v12, v12
	v_add_f32_e32 v93, s67, v12
	s_delay_alu instid0(VALU_DEP_1) | instskip(SKIP_1) | instid1(SALU_CYCLE_1)
	v_cmp_ge_f32_e32 vcc_lo, 0x41a00000, v93
	s_and_b32 s29, s80, vcc_lo
	s_and_saveexec_b32 s30, s29
	s_cbranch_execz .LBB126_82
; %bb.81:                               ;   in Loop: Header=BB126_12 Depth=1
	v_mul_f32_e32 v12, 0x3fb8aa3b, v93
	v_cmp_ngt_f32_e32 vcc_lo, 0xc2ce8ed0, v93
	s_delay_alu instid0(VALU_DEP_2) | instskip(SKIP_1) | instid1(VALU_DEP_2)
	v_rndne_f32_e32 v13, v12
	v_fma_f32 v17, 0x3fb8aa3b, v93, -v12
	v_sub_f32_e32 v12, v12, v13
	s_delay_alu instid0(VALU_DEP_2) | instskip(SKIP_1) | instid1(VALU_DEP_2)
	v_fmac_f32_e32 v17, 0x32a5705f, v93
	v_cvt_i32_f32_e32 v13, v13
	v_add_f32_e32 v12, v12, v17
	s_delay_alu instid0(VALU_DEP_1) | instskip(SKIP_2) | instid1(VALU_DEP_1)
	v_exp_f32_e32 v12, v12
	s_waitcnt_depctr 0xfff
	v_ldexp_f32 v12, v12, v13
	v_cndmask_b32_e32 v12, 0, v12, vcc_lo
	v_cmp_nlt_f32_e32 vcc_lo, 0x42b17218, v93
	s_delay_alu instid0(VALU_DEP_2) | instskip(NEXT) | instid1(VALU_DEP_1)
	v_cndmask_b32_e32 v17, 0x7f800000, v12, vcc_lo
	v_add_f32_e32 v93, 1.0, v17
	s_delay_alu instid0(VALU_DEP_1) | instskip(NEXT) | instid1(VALU_DEP_1)
	v_cvt_f64_f32_e32 v[12:13], v93
	v_frexp_exp_i32_f64_e32 v12, v[12:13]
	v_frexp_mant_f32_e32 v13, v93
	s_delay_alu instid0(VALU_DEP_1) | instskip(SKIP_1) | instid1(VALU_DEP_1)
	v_cmp_gt_f32_e32 vcc_lo, 0x3f2aaaab, v13
	v_add_f32_e32 v13, -1.0, v93
	v_sub_f32_e32 v95, v13, v93
	s_delay_alu instid0(VALU_DEP_1) | instskip(SKIP_1) | instid1(VALU_DEP_1)
	v_add_f32_e32 v95, 1.0, v95
	v_subrev_co_ci_u32_e32 v12, vcc_lo, 0, v12, vcc_lo
	v_sub_nc_u32_e32 v94, 0, v12
	v_cvt_f32_i32_e32 v12, v12
	s_delay_alu instid0(VALU_DEP_2) | instskip(NEXT) | instid1(VALU_DEP_1)
	v_ldexp_f32 v93, v93, v94
	v_add_f32_e32 v96, 1.0, v93
	v_sub_f32_e32 v13, v17, v13
	v_cmp_eq_f32_e32 vcc_lo, 0x7f800000, v17
	v_cmp_gt_f32_e64 s29, 0x33800000, v17
	s_delay_alu instid0(VALU_DEP_3) | instskip(SKIP_1) | instid1(VALU_DEP_3)
	v_add_f32_e32 v13, v13, v95
	v_add_f32_e32 v95, -1.0, v96
	s_or_b32 vcc_lo, s29, vcc_lo
	s_delay_alu instid0(VALU_DEP_2) | instskip(NEXT) | instid1(VALU_DEP_2)
	v_ldexp_f32 v13, v13, v94
	v_dual_add_f32 v94, -1.0, v93 :: v_dual_sub_f32 v95, v93, v95
	s_delay_alu instid0(VALU_DEP_1) | instskip(NEXT) | instid1(VALU_DEP_2)
	v_add_f32_e32 v97, 1.0, v94
	v_add_f32_e32 v95, v13, v95
	s_delay_alu instid0(VALU_DEP_2) | instskip(NEXT) | instid1(VALU_DEP_1)
	v_sub_f32_e32 v93, v93, v97
	v_add_f32_e32 v13, v13, v93
	s_delay_alu instid0(VALU_DEP_1) | instskip(NEXT) | instid1(VALU_DEP_1)
	v_dual_add_f32 v98, v94, v13 :: v_dual_add_f32 v97, v96, v95
	v_sub_f32_e32 v94, v94, v98
	s_delay_alu instid0(VALU_DEP_2) | instskip(NEXT) | instid1(VALU_DEP_1)
	v_rcp_f32_e32 v93, v97
	v_dual_sub_f32 v96, v96, v97 :: v_dual_add_f32 v13, v13, v94
	s_delay_alu instid0(VALU_DEP_1) | instskip(SKIP_2) | instid1(VALU_DEP_1)
	v_add_f32_e32 v95, v95, v96
	s_waitcnt_depctr 0xfff
	v_mul_f32_e32 v99, v98, v93
	v_mul_f32_e32 v100, v97, v99
	s_delay_alu instid0(VALU_DEP_1) | instskip(NEXT) | instid1(VALU_DEP_1)
	v_fma_f32 v96, v99, v97, -v100
	v_fmac_f32_e32 v96, v99, v95
	s_delay_alu instid0(VALU_DEP_1) | instskip(NEXT) | instid1(VALU_DEP_1)
	v_add_f32_e32 v101, v100, v96
	v_sub_f32_e32 v102, v98, v101
	v_sub_f32_e32 v94, v101, v100
	s_delay_alu instid0(VALU_DEP_2) | instskip(NEXT) | instid1(VALU_DEP_2)
	v_sub_f32_e32 v98, v98, v102
	v_sub_f32_e32 v94, v94, v96
	s_delay_alu instid0(VALU_DEP_2) | instskip(NEXT) | instid1(VALU_DEP_1)
	v_sub_f32_e32 v98, v98, v101
	v_add_f32_e32 v13, v13, v98
	s_delay_alu instid0(VALU_DEP_1) | instskip(NEXT) | instid1(VALU_DEP_1)
	v_add_f32_e32 v13, v94, v13
	v_add_f32_e32 v94, v102, v13
	s_delay_alu instid0(VALU_DEP_1) | instskip(NEXT) | instid1(VALU_DEP_1)
	v_mul_f32_e32 v96, v93, v94
	v_dual_sub_f32 v101, v102, v94 :: v_dual_mul_f32 v98, v97, v96
	s_delay_alu instid0(VALU_DEP_1) | instskip(NEXT) | instid1(VALU_DEP_1)
	v_fma_f32 v97, v96, v97, -v98
	v_fmac_f32_e32 v97, v96, v95
	s_delay_alu instid0(VALU_DEP_1) | instskip(NEXT) | instid1(VALU_DEP_1)
	v_add_f32_e32 v95, v98, v97
	v_dual_add_f32 v13, v13, v101 :: v_dual_sub_f32 v100, v94, v95
	s_delay_alu instid0(VALU_DEP_1) | instskip(NEXT) | instid1(VALU_DEP_1)
	v_sub_f32_e32 v94, v94, v100
	v_sub_f32_e32 v94, v94, v95
	s_delay_alu instid0(VALU_DEP_1) | instskip(SKIP_1) | instid1(VALU_DEP_1)
	v_dual_add_f32 v13, v13, v94 :: v_dual_add_f32 v94, v99, v96
	v_sub_f32_e32 v98, v95, v98
	v_sub_f32_e32 v95, v98, v97
	s_delay_alu instid0(VALU_DEP_1) | instskip(NEXT) | instid1(VALU_DEP_4)
	v_add_f32_e32 v13, v95, v13
	v_sub_f32_e32 v95, v94, v99
	s_delay_alu instid0(VALU_DEP_2) | instskip(NEXT) | instid1(VALU_DEP_2)
	v_add_f32_e32 v13, v100, v13
	v_sub_f32_e32 v95, v96, v95
	s_delay_alu instid0(VALU_DEP_2) | instskip(NEXT) | instid1(VALU_DEP_1)
	v_mul_f32_e32 v13, v93, v13
	v_add_f32_e32 v13, v95, v13
	s_delay_alu instid0(VALU_DEP_1) | instskip(NEXT) | instid1(VALU_DEP_1)
	v_add_f32_e32 v93, v94, v13
	v_mul_f32_e32 v95, v93, v93
	s_delay_alu instid0(VALU_DEP_1) | instskip(SKIP_1) | instid1(VALU_DEP_2)
	v_fmaak_f32 v96, s84, v95, 0x3ecc95a3
	v_mul_f32_e32 v97, v93, v95
	v_fmaak_f32 v95, v95, v96, 0x3f2aaada
	v_ldexp_f32 v96, v93, 1
	v_sub_f32_e32 v93, v93, v94
	s_delay_alu instid0(VALU_DEP_3) | instskip(SKIP_1) | instid1(VALU_DEP_2)
	v_mul_f32_e32 v95, v97, v95
	v_mul_f32_e32 v97, 0x3f317218, v12
	v_dual_sub_f32 v13, v13, v93 :: v_dual_add_f32 v94, v96, v95
	s_delay_alu instid0(VALU_DEP_1) | instskip(NEXT) | instid1(VALU_DEP_2)
	v_ldexp_f32 v13, v13, 1
	v_sub_f32_e32 v93, v94, v96
	s_delay_alu instid0(VALU_DEP_4) | instskip(NEXT) | instid1(VALU_DEP_1)
	v_fma_f32 v96, 0x3f317218, v12, -v97
	v_dual_sub_f32 v93, v95, v93 :: v_dual_fmac_f32 v96, 0xb102e308, v12
	s_delay_alu instid0(VALU_DEP_1) | instskip(NEXT) | instid1(VALU_DEP_2)
	v_add_f32_e32 v12, v13, v93
	v_add_f32_e32 v13, v97, v96
	s_delay_alu instid0(VALU_DEP_2) | instskip(NEXT) | instid1(VALU_DEP_2)
	v_add_f32_e32 v93, v94, v12
	v_sub_f32_e32 v97, v13, v97
	s_delay_alu instid0(VALU_DEP_2) | instskip(SKIP_1) | instid1(VALU_DEP_3)
	v_add_f32_e32 v95, v13, v93
	v_sub_f32_e32 v94, v93, v94
	v_sub_f32_e32 v96, v96, v97
	s_delay_alu instid0(VALU_DEP_3) | instskip(NEXT) | instid1(VALU_DEP_3)
	v_sub_f32_e32 v98, v95, v13
	v_sub_f32_e32 v12, v12, v94
	s_delay_alu instid0(VALU_DEP_2) | instskip(NEXT) | instid1(VALU_DEP_2)
	v_sub_f32_e32 v99, v95, v98
	v_dual_sub_f32 v93, v93, v98 :: v_dual_add_f32 v94, v96, v12
	s_delay_alu instid0(VALU_DEP_2) | instskip(NEXT) | instid1(VALU_DEP_1)
	v_sub_f32_e32 v13, v13, v99
	v_add_f32_e32 v13, v93, v13
	s_delay_alu instid0(VALU_DEP_3) | instskip(NEXT) | instid1(VALU_DEP_2)
	v_sub_f32_e32 v93, v94, v96
	v_add_f32_e32 v13, v94, v13
	s_delay_alu instid0(VALU_DEP_2) | instskip(SKIP_1) | instid1(VALU_DEP_1)
	v_sub_f32_e32 v12, v12, v93
	v_sub_f32_e32 v94, v94, v93
	v_dual_add_f32 v97, v95, v13 :: v_dual_sub_f32 v94, v96, v94
	s_delay_alu instid0(VALU_DEP_1) | instskip(NEXT) | instid1(VALU_DEP_1)
	v_dual_sub_f32 v93, v97, v95 :: v_dual_add_f32 v12, v12, v94
	v_sub_f32_e32 v13, v13, v93
	s_delay_alu instid0(VALU_DEP_1) | instskip(NEXT) | instid1(VALU_DEP_1)
	v_add_f32_e32 v12, v12, v13
	v_add_f32_e32 v12, v97, v12
	s_delay_alu instid0(VALU_DEP_1)
	v_cndmask_b32_e32 v93, v12, v17, vcc_lo
.LBB126_82:                             ;   in Loop: Header=BB126_12 Depth=1
	s_or_b32 exec_lo, exec_lo, s30
	v_cvt_f32_f16_e32 v12, v14
	s_delay_alu instid0(VALU_DEP_1) | instskip(NEXT) | instid1(VALU_DEP_1)
	v_add_f32_e32 v94, s67, v12
	v_cmp_ge_f32_e32 vcc_lo, 0x41a00000, v94
	s_and_b32 s29, s80, vcc_lo
	s_delay_alu instid0(SALU_CYCLE_1)
	s_and_saveexec_b32 s30, s29
	s_cbranch_execz .LBB126_84
; %bb.83:                               ;   in Loop: Header=BB126_12 Depth=1
	v_mul_f32_e32 v12, 0x3fb8aa3b, v94
	v_cmp_ngt_f32_e32 vcc_lo, 0xc2ce8ed0, v94
	s_delay_alu instid0(VALU_DEP_2) | instskip(SKIP_1) | instid1(VALU_DEP_1)
	v_rndne_f32_e32 v13, v12
	v_fma_f32 v17, 0x3fb8aa3b, v94, -v12
	v_dual_sub_f32 v12, v12, v13 :: v_dual_fmac_f32 v17, 0x32a5705f, v94
	v_cvt_i32_f32_e32 v13, v13
	s_delay_alu instid0(VALU_DEP_2) | instskip(NEXT) | instid1(VALU_DEP_1)
	v_add_f32_e32 v12, v12, v17
	v_exp_f32_e32 v12, v12
	s_waitcnt_depctr 0xfff
	v_ldexp_f32 v12, v12, v13
	s_delay_alu instid0(VALU_DEP_1) | instskip(SKIP_1) | instid1(VALU_DEP_2)
	v_cndmask_b32_e32 v12, 0, v12, vcc_lo
	v_cmp_nlt_f32_e32 vcc_lo, 0x42b17218, v94
	v_cndmask_b32_e32 v17, 0x7f800000, v12, vcc_lo
	s_delay_alu instid0(VALU_DEP_1) | instskip(NEXT) | instid1(VALU_DEP_1)
	v_add_f32_e32 v94, 1.0, v17
	v_cvt_f64_f32_e32 v[12:13], v94
	s_delay_alu instid0(VALU_DEP_1) | instskip(SKIP_1) | instid1(VALU_DEP_1)
	v_frexp_exp_i32_f64_e32 v12, v[12:13]
	v_frexp_mant_f32_e32 v13, v94
	v_cmp_gt_f32_e32 vcc_lo, 0x3f2aaaab, v13
	v_add_f32_e32 v13, -1.0, v94
	s_delay_alu instid0(VALU_DEP_1) | instskip(SKIP_2) | instid1(VALU_DEP_3)
	v_sub_f32_e32 v96, v13, v94
	v_sub_f32_e32 v13, v17, v13
	v_cmp_gt_f32_e64 s29, 0x33800000, v17
	v_add_f32_e32 v96, 1.0, v96
	s_delay_alu instid0(VALU_DEP_1) | instskip(SKIP_2) | instid1(VALU_DEP_2)
	v_add_f32_e32 v13, v13, v96
	v_subrev_co_ci_u32_e32 v12, vcc_lo, 0, v12, vcc_lo
	v_cmp_eq_f32_e32 vcc_lo, 0x7f800000, v17
	v_sub_nc_u32_e32 v95, 0, v12
	v_cvt_f32_i32_e32 v12, v12
	s_or_b32 vcc_lo, s29, vcc_lo
	s_delay_alu instid0(VALU_DEP_2) | instskip(SKIP_1) | instid1(VALU_DEP_2)
	v_ldexp_f32 v94, v94, v95
	v_ldexp_f32 v13, v13, v95
	v_add_f32_e32 v95, -1.0, v94
	s_delay_alu instid0(VALU_DEP_1) | instskip(NEXT) | instid1(VALU_DEP_1)
	v_dual_add_f32 v97, 1.0, v94 :: v_dual_add_f32 v98, 1.0, v95
	v_add_f32_e32 v96, -1.0, v97
	s_delay_alu instid0(VALU_DEP_1) | instskip(NEXT) | instid1(VALU_DEP_3)
	v_sub_f32_e32 v96, v94, v96
	v_sub_f32_e32 v94, v94, v98
	s_delay_alu instid0(VALU_DEP_2) | instskip(NEXT) | instid1(VALU_DEP_2)
	v_add_f32_e32 v96, v13, v96
	v_add_f32_e32 v13, v13, v94
	s_delay_alu instid0(VALU_DEP_1) | instskip(NEXT) | instid1(VALU_DEP_1)
	v_dual_add_f32 v99, v95, v13 :: v_dual_add_f32 v98, v97, v96
	v_sub_f32_e32 v95, v95, v99
	s_delay_alu instid0(VALU_DEP_2) | instskip(SKIP_1) | instid1(VALU_DEP_1)
	v_rcp_f32_e32 v94, v98
	v_sub_f32_e32 v97, v97, v98
	v_dual_add_f32 v13, v13, v95 :: v_dual_add_f32 v96, v96, v97
	s_waitcnt_depctr 0xfff
	v_mul_f32_e32 v100, v99, v94
	s_delay_alu instid0(VALU_DEP_1) | instskip(NEXT) | instid1(VALU_DEP_1)
	v_mul_f32_e32 v101, v98, v100
	v_fma_f32 v97, v100, v98, -v101
	s_delay_alu instid0(VALU_DEP_1) | instskip(NEXT) | instid1(VALU_DEP_1)
	v_fmac_f32_e32 v97, v100, v96
	v_add_f32_e32 v102, v101, v97
	s_delay_alu instid0(VALU_DEP_1) | instskip(SKIP_1) | instid1(VALU_DEP_2)
	v_sub_f32_e32 v103, v99, v102
	v_sub_f32_e32 v95, v102, v101
	;; [unrolled: 1-line block ×3, first 2 shown]
	s_delay_alu instid0(VALU_DEP_2) | instskip(NEXT) | instid1(VALU_DEP_2)
	v_sub_f32_e32 v95, v95, v97
	v_sub_f32_e32 v99, v99, v102
	s_delay_alu instid0(VALU_DEP_1) | instskip(NEXT) | instid1(VALU_DEP_1)
	v_add_f32_e32 v13, v13, v99
	v_add_f32_e32 v13, v95, v13
	s_delay_alu instid0(VALU_DEP_1) | instskip(NEXT) | instid1(VALU_DEP_1)
	v_add_f32_e32 v95, v103, v13
	v_mul_f32_e32 v97, v94, v95
	s_delay_alu instid0(VALU_DEP_1) | instskip(NEXT) | instid1(VALU_DEP_1)
	v_dual_sub_f32 v102, v103, v95 :: v_dual_mul_f32 v99, v98, v97
	v_add_f32_e32 v13, v13, v102
	s_delay_alu instid0(VALU_DEP_2) | instskip(NEXT) | instid1(VALU_DEP_1)
	v_fma_f32 v98, v97, v98, -v99
	v_fmac_f32_e32 v98, v97, v96
	s_delay_alu instid0(VALU_DEP_1) | instskip(NEXT) | instid1(VALU_DEP_1)
	v_add_f32_e32 v96, v99, v98
	v_sub_f32_e32 v101, v95, v96
	s_delay_alu instid0(VALU_DEP_1) | instskip(NEXT) | instid1(VALU_DEP_1)
	v_sub_f32_e32 v95, v95, v101
	v_sub_f32_e32 v95, v95, v96
	s_delay_alu instid0(VALU_DEP_1) | instskip(SKIP_2) | instid1(VALU_DEP_1)
	v_add_f32_e32 v13, v13, v95
	v_add_f32_e32 v95, v100, v97
	v_sub_f32_e32 v99, v96, v99
	v_sub_f32_e32 v96, v99, v98
	s_delay_alu instid0(VALU_DEP_1) | instskip(NEXT) | instid1(VALU_DEP_1)
	v_dual_add_f32 v13, v96, v13 :: v_dual_sub_f32 v96, v95, v100
	v_add_f32_e32 v13, v101, v13
	s_delay_alu instid0(VALU_DEP_1) | instskip(NEXT) | instid1(VALU_DEP_1)
	v_dual_sub_f32 v96, v97, v96 :: v_dual_mul_f32 v13, v94, v13
	v_add_f32_e32 v13, v96, v13
	s_delay_alu instid0(VALU_DEP_1) | instskip(NEXT) | instid1(VALU_DEP_1)
	v_add_f32_e32 v94, v95, v13
	v_mul_f32_e32 v96, v94, v94
	s_delay_alu instid0(VALU_DEP_1) | instskip(SKIP_1) | instid1(VALU_DEP_2)
	v_fmaak_f32 v97, s84, v96, 0x3ecc95a3
	v_mul_f32_e32 v98, v94, v96
	v_fmaak_f32 v96, v96, v97, 0x3f2aaada
	v_ldexp_f32 v97, v94, 1
	v_sub_f32_e32 v94, v94, v95
	s_delay_alu instid0(VALU_DEP_3) | instskip(NEXT) | instid1(VALU_DEP_2)
	v_mul_f32_e32 v96, v98, v96
	v_dual_mul_f32 v98, 0x3f317218, v12 :: v_dual_sub_f32 v13, v13, v94
	s_delay_alu instid0(VALU_DEP_2) | instskip(NEXT) | instid1(VALU_DEP_2)
	v_add_f32_e32 v95, v97, v96
	v_ldexp_f32 v13, v13, 1
	s_delay_alu instid0(VALU_DEP_2) | instskip(NEXT) | instid1(VALU_DEP_4)
	v_sub_f32_e32 v94, v95, v97
	v_fma_f32 v97, 0x3f317218, v12, -v98
	s_delay_alu instid0(VALU_DEP_1) | instskip(NEXT) | instid1(VALU_DEP_1)
	v_dual_sub_f32 v94, v96, v94 :: v_dual_fmac_f32 v97, 0xb102e308, v12
	v_add_f32_e32 v12, v13, v94
	s_delay_alu instid0(VALU_DEP_1) | instskip(NEXT) | instid1(VALU_DEP_1)
	v_add_f32_e32 v94, v95, v12
	v_sub_f32_e32 v95, v94, v95
	s_delay_alu instid0(VALU_DEP_1) | instskip(NEXT) | instid1(VALU_DEP_1)
	v_dual_sub_f32 v12, v12, v95 :: v_dual_add_f32 v13, v98, v97
	v_add_f32_e32 v96, v13, v94
	s_delay_alu instid0(VALU_DEP_1) | instskip(NEXT) | instid1(VALU_DEP_1)
	v_dual_sub_f32 v98, v13, v98 :: v_dual_sub_f32 v99, v96, v13
	v_dual_sub_f32 v97, v97, v98 :: v_dual_sub_f32 v100, v96, v99
	s_delay_alu instid0(VALU_DEP_1) | instskip(NEXT) | instid1(VALU_DEP_2)
	v_dual_sub_f32 v94, v94, v99 :: v_dual_add_f32 v95, v97, v12
	v_sub_f32_e32 v13, v13, v100
	s_delay_alu instid0(VALU_DEP_1) | instskip(NEXT) | instid1(VALU_DEP_3)
	v_add_f32_e32 v13, v94, v13
	v_sub_f32_e32 v94, v95, v97
	s_delay_alu instid0(VALU_DEP_2) | instskip(NEXT) | instid1(VALU_DEP_2)
	v_add_f32_e32 v13, v95, v13
	v_sub_f32_e32 v95, v95, v94
	v_sub_f32_e32 v12, v12, v94
	s_delay_alu instid0(VALU_DEP_2) | instskip(NEXT) | instid1(VALU_DEP_1)
	v_dual_add_f32 v98, v96, v13 :: v_dual_sub_f32 v95, v97, v95
	v_sub_f32_e32 v94, v98, v96
	s_delay_alu instid0(VALU_DEP_1) | instskip(NEXT) | instid1(VALU_DEP_1)
	v_dual_add_f32 v12, v12, v95 :: v_dual_sub_f32 v13, v13, v94
	v_add_f32_e32 v12, v12, v13
	s_delay_alu instid0(VALU_DEP_1) | instskip(NEXT) | instid1(VALU_DEP_1)
	v_add_f32_e32 v12, v98, v12
	v_cndmask_b32_e32 v94, v12, v17, vcc_lo
.LBB126_84:                             ;   in Loop: Header=BB126_12 Depth=1
	s_or_b32 exec_lo, exec_lo, s30
	v_lshrrev_b32_e32 v12, 16, v14
	s_delay_alu instid0(VALU_DEP_1) | instskip(NEXT) | instid1(VALU_DEP_1)
	v_cvt_f32_f16_e32 v12, v12
	v_add_f32_e32 v95, s67, v12
	s_delay_alu instid0(VALU_DEP_1) | instskip(SKIP_1) | instid1(SALU_CYCLE_1)
	v_cmp_ge_f32_e32 vcc_lo, 0x41a00000, v95
	s_and_b32 s29, s80, vcc_lo
	s_and_saveexec_b32 s30, s29
	s_cbranch_execz .LBB126_86
; %bb.85:                               ;   in Loop: Header=BB126_12 Depth=1
	v_mul_f32_e32 v12, 0x3fb8aa3b, v95
	v_cmp_ngt_f32_e32 vcc_lo, 0xc2ce8ed0, v95
	s_delay_alu instid0(VALU_DEP_2) | instskip(SKIP_1) | instid1(VALU_DEP_2)
	v_rndne_f32_e32 v13, v12
	v_fma_f32 v14, 0x3fb8aa3b, v95, -v12
	v_sub_f32_e32 v12, v12, v13
	s_delay_alu instid0(VALU_DEP_2) | instskip(SKIP_1) | instid1(VALU_DEP_2)
	v_fmac_f32_e32 v14, 0x32a5705f, v95
	v_cvt_i32_f32_e32 v13, v13
	v_add_f32_e32 v12, v12, v14
	s_delay_alu instid0(VALU_DEP_1) | instskip(SKIP_2) | instid1(VALU_DEP_1)
	v_exp_f32_e32 v12, v12
	s_waitcnt_depctr 0xfff
	v_ldexp_f32 v12, v12, v13
	v_cndmask_b32_e32 v12, 0, v12, vcc_lo
	v_cmp_nlt_f32_e32 vcc_lo, 0x42b17218, v95
	s_delay_alu instid0(VALU_DEP_2) | instskip(NEXT) | instid1(VALU_DEP_1)
	v_cndmask_b32_e32 v14, 0x7f800000, v12, vcc_lo
	v_add_f32_e32 v17, 1.0, v14
	s_delay_alu instid0(VALU_DEP_1) | instskip(NEXT) | instid1(VALU_DEP_1)
	v_cvt_f64_f32_e32 v[12:13], v17
	v_frexp_exp_i32_f64_e32 v12, v[12:13]
	v_frexp_mant_f32_e32 v13, v17
	s_delay_alu instid0(VALU_DEP_1) | instskip(SKIP_1) | instid1(VALU_DEP_1)
	v_cmp_gt_f32_e32 vcc_lo, 0x3f2aaaab, v13
	v_add_f32_e32 v13, -1.0, v17
	v_sub_f32_e32 v96, v13, v17
	v_sub_f32_e32 v13, v14, v13
	v_subrev_co_ci_u32_e32 v12, vcc_lo, 0, v12, vcc_lo
	s_delay_alu instid0(VALU_DEP_1) | instskip(SKIP_1) | instid1(VALU_DEP_2)
	v_sub_nc_u32_e32 v95, 0, v12
	v_cvt_f32_i32_e32 v12, v12
	v_ldexp_f32 v17, v17, v95
	s_delay_alu instid0(VALU_DEP_1) | instskip(NEXT) | instid1(VALU_DEP_1)
	v_dual_add_f32 v96, 1.0, v96 :: v_dual_add_f32 v97, 1.0, v17
	v_dual_add_f32 v13, v13, v96 :: v_dual_add_f32 v96, -1.0, v97
	s_delay_alu instid0(VALU_DEP_1) | instskip(SKIP_4) | instid1(VALU_DEP_4)
	v_ldexp_f32 v13, v13, v95
	v_add_f32_e32 v95, -1.0, v17
	v_cmp_eq_f32_e32 vcc_lo, 0x7f800000, v14
	v_cmp_gt_f32_e64 s29, 0x33800000, v14
	v_sub_f32_e32 v96, v17, v96
	v_add_f32_e32 v98, 1.0, v95
	s_delay_alu instid0(VALU_DEP_3) | instskip(NEXT) | instid1(VALU_DEP_2)
	s_or_b32 vcc_lo, s29, vcc_lo
	v_add_f32_e32 v96, v13, v96
	s_delay_alu instid0(VALU_DEP_2) | instskip(NEXT) | instid1(VALU_DEP_1)
	v_sub_f32_e32 v17, v17, v98
	v_add_f32_e32 v13, v13, v17
	s_delay_alu instid0(VALU_DEP_1) | instskip(NEXT) | instid1(VALU_DEP_1)
	v_dual_add_f32 v99, v95, v13 :: v_dual_add_f32 v98, v97, v96
	v_sub_f32_e32 v95, v95, v99
	s_delay_alu instid0(VALU_DEP_2) | instskip(SKIP_1) | instid1(VALU_DEP_1)
	v_rcp_f32_e32 v17, v98
	v_sub_f32_e32 v97, v97, v98
	v_dual_add_f32 v13, v13, v95 :: v_dual_add_f32 v96, v96, v97
	s_waitcnt_depctr 0xfff
	v_mul_f32_e32 v100, v99, v17
	s_delay_alu instid0(VALU_DEP_1) | instskip(NEXT) | instid1(VALU_DEP_1)
	v_mul_f32_e32 v101, v98, v100
	v_fma_f32 v97, v100, v98, -v101
	s_delay_alu instid0(VALU_DEP_1) | instskip(NEXT) | instid1(VALU_DEP_1)
	v_fmac_f32_e32 v97, v100, v96
	v_add_f32_e32 v102, v101, v97
	s_delay_alu instid0(VALU_DEP_1) | instskip(NEXT) | instid1(VALU_DEP_1)
	v_sub_f32_e32 v103, v99, v102
	v_sub_f32_e32 v99, v99, v103
	v_sub_f32_e32 v95, v102, v101
	s_delay_alu instid0(VALU_DEP_2) | instskip(NEXT) | instid1(VALU_DEP_2)
	v_sub_f32_e32 v99, v99, v102
	v_sub_f32_e32 v95, v95, v97
	s_delay_alu instid0(VALU_DEP_2) | instskip(NEXT) | instid1(VALU_DEP_1)
	v_add_f32_e32 v13, v13, v99
	v_add_f32_e32 v13, v95, v13
	s_delay_alu instid0(VALU_DEP_1) | instskip(NEXT) | instid1(VALU_DEP_1)
	v_add_f32_e32 v95, v103, v13
	v_mul_f32_e32 v97, v17, v95
	s_delay_alu instid0(VALU_DEP_1) | instskip(NEXT) | instid1(VALU_DEP_1)
	v_dual_sub_f32 v102, v103, v95 :: v_dual_mul_f32 v99, v98, v97
	v_add_f32_e32 v13, v13, v102
	s_delay_alu instid0(VALU_DEP_2) | instskip(NEXT) | instid1(VALU_DEP_1)
	v_fma_f32 v98, v97, v98, -v99
	v_fmac_f32_e32 v98, v97, v96
	s_delay_alu instid0(VALU_DEP_1) | instskip(NEXT) | instid1(VALU_DEP_1)
	v_add_f32_e32 v96, v99, v98
	v_sub_f32_e32 v101, v95, v96
	v_sub_f32_e32 v99, v96, v99
	s_delay_alu instid0(VALU_DEP_2) | instskip(NEXT) | instid1(VALU_DEP_1)
	v_sub_f32_e32 v95, v95, v101
	v_sub_f32_e32 v95, v95, v96
	s_delay_alu instid0(VALU_DEP_1) | instskip(SKIP_1) | instid1(VALU_DEP_1)
	v_dual_sub_f32 v96, v99, v98 :: v_dual_add_f32 v13, v13, v95
	v_add_f32_e32 v95, v100, v97
	v_dual_add_f32 v13, v96, v13 :: v_dual_sub_f32 v96, v95, v100
	s_delay_alu instid0(VALU_DEP_1) | instskip(NEXT) | instid1(VALU_DEP_2)
	v_add_f32_e32 v13, v101, v13
	v_sub_f32_e32 v96, v97, v96
	s_delay_alu instid0(VALU_DEP_2) | instskip(NEXT) | instid1(VALU_DEP_1)
	v_mul_f32_e32 v13, v17, v13
	v_add_f32_e32 v13, v96, v13
	s_delay_alu instid0(VALU_DEP_1) | instskip(NEXT) | instid1(VALU_DEP_1)
	v_add_f32_e32 v17, v95, v13
	v_mul_f32_e32 v96, v17, v17
	s_delay_alu instid0(VALU_DEP_1) | instskip(SKIP_1) | instid1(VALU_DEP_2)
	v_fmaak_f32 v97, s84, v96, 0x3ecc95a3
	v_mul_f32_e32 v98, v17, v96
	v_fmaak_f32 v96, v96, v97, 0x3f2aaada
	v_ldexp_f32 v97, v17, 1
	s_delay_alu instid0(VALU_DEP_2) | instskip(NEXT) | instid1(VALU_DEP_1)
	v_dual_sub_f32 v17, v17, v95 :: v_dual_mul_f32 v96, v98, v96
	v_dual_mul_f32 v98, 0x3f317218, v12 :: v_dual_sub_f32 v13, v13, v17
	s_delay_alu instid0(VALU_DEP_2) | instskip(NEXT) | instid1(VALU_DEP_2)
	v_add_f32_e32 v95, v97, v96
	v_ldexp_f32 v13, v13, 1
	s_delay_alu instid0(VALU_DEP_2) | instskip(NEXT) | instid1(VALU_DEP_4)
	v_sub_f32_e32 v17, v95, v97
	v_fma_f32 v97, 0x3f317218, v12, -v98
	s_delay_alu instid0(VALU_DEP_2) | instskip(NEXT) | instid1(VALU_DEP_1)
	v_sub_f32_e32 v17, v96, v17
	v_dual_fmac_f32 v97, 0xb102e308, v12 :: v_dual_add_f32 v12, v13, v17
	s_delay_alu instid0(VALU_DEP_1) | instskip(NEXT) | instid1(VALU_DEP_1)
	v_add_f32_e32 v13, v98, v97
	v_dual_add_f32 v17, v95, v12 :: v_dual_sub_f32 v98, v13, v98
	s_delay_alu instid0(VALU_DEP_1) | instskip(SKIP_1) | instid1(VALU_DEP_3)
	v_add_f32_e32 v96, v13, v17
	v_sub_f32_e32 v95, v17, v95
	v_sub_f32_e32 v97, v97, v98
	s_delay_alu instid0(VALU_DEP_3) | instskip(NEXT) | instid1(VALU_DEP_3)
	v_sub_f32_e32 v99, v96, v13
	v_sub_f32_e32 v12, v12, v95
	s_delay_alu instid0(VALU_DEP_2) | instskip(SKIP_1) | instid1(VALU_DEP_3)
	v_sub_f32_e32 v100, v96, v99
	v_sub_f32_e32 v17, v17, v99
	v_add_f32_e32 v95, v97, v12
	s_delay_alu instid0(VALU_DEP_3) | instskip(NEXT) | instid1(VALU_DEP_1)
	v_sub_f32_e32 v13, v13, v100
	v_add_f32_e32 v13, v17, v13
	s_delay_alu instid0(VALU_DEP_3) | instskip(NEXT) | instid1(VALU_DEP_2)
	v_sub_f32_e32 v17, v95, v97
	v_add_f32_e32 v13, v95, v13
	s_delay_alu instid0(VALU_DEP_2) | instskip(SKIP_1) | instid1(VALU_DEP_2)
	v_sub_f32_e32 v95, v95, v17
	v_sub_f32_e32 v12, v12, v17
	v_dual_add_f32 v98, v96, v13 :: v_dual_sub_f32 v95, v97, v95
	s_delay_alu instid0(VALU_DEP_1) | instskip(NEXT) | instid1(VALU_DEP_1)
	v_dual_sub_f32 v17, v98, v96 :: v_dual_add_f32 v12, v12, v95
	v_sub_f32_e32 v13, v13, v17
	s_delay_alu instid0(VALU_DEP_1) | instskip(NEXT) | instid1(VALU_DEP_1)
	v_add_f32_e32 v12, v12, v13
	v_add_f32_e32 v12, v98, v12
	s_delay_alu instid0(VALU_DEP_1)
	v_cndmask_b32_e32 v95, v12, v14, vcc_lo
.LBB126_86:                             ;   in Loop: Header=BB126_12 Depth=1
	s_or_b32 exec_lo, exec_lo, s30
	v_cvt_f32_f16_e32 v12, v15
	s_delay_alu instid0(VALU_DEP_1) | instskip(NEXT) | instid1(VALU_DEP_1)
	v_add_f32_e32 v96, s67, v12
	v_cmp_ge_f32_e32 vcc_lo, 0x41a00000, v96
	s_and_b32 s29, s80, vcc_lo
	s_delay_alu instid0(SALU_CYCLE_1)
	s_and_saveexec_b32 s30, s29
	s_cbranch_execz .LBB126_88
; %bb.87:                               ;   in Loop: Header=BB126_12 Depth=1
	v_mul_f32_e32 v12, 0x3fb8aa3b, v96
	v_cmp_ngt_f32_e32 vcc_lo, 0xc2ce8ed0, v96
	s_delay_alu instid0(VALU_DEP_2) | instskip(SKIP_1) | instid1(VALU_DEP_2)
	v_rndne_f32_e32 v13, v12
	v_fma_f32 v14, 0x3fb8aa3b, v96, -v12
	v_sub_f32_e32 v12, v12, v13
	s_delay_alu instid0(VALU_DEP_2) | instskip(SKIP_1) | instid1(VALU_DEP_2)
	v_fmac_f32_e32 v14, 0x32a5705f, v96
	v_cvt_i32_f32_e32 v13, v13
	v_add_f32_e32 v12, v12, v14
	s_delay_alu instid0(VALU_DEP_1) | instskip(SKIP_2) | instid1(VALU_DEP_1)
	v_exp_f32_e32 v12, v12
	s_waitcnt_depctr 0xfff
	v_ldexp_f32 v12, v12, v13
	v_cndmask_b32_e32 v12, 0, v12, vcc_lo
	v_cmp_nlt_f32_e32 vcc_lo, 0x42b17218, v96
	s_delay_alu instid0(VALU_DEP_2) | instskip(NEXT) | instid1(VALU_DEP_1)
	v_cndmask_b32_e32 v14, 0x7f800000, v12, vcc_lo
	v_add_f32_e32 v17, 1.0, v14
	s_delay_alu instid0(VALU_DEP_1) | instskip(NEXT) | instid1(VALU_DEP_1)
	v_cvt_f64_f32_e32 v[12:13], v17
	v_frexp_exp_i32_f64_e32 v12, v[12:13]
	v_frexp_mant_f32_e32 v13, v17
	s_delay_alu instid0(VALU_DEP_1) | instskip(SKIP_1) | instid1(VALU_DEP_1)
	v_cmp_gt_f32_e32 vcc_lo, 0x3f2aaaab, v13
	v_add_f32_e32 v13, -1.0, v17
	v_sub_f32_e32 v97, v13, v17
	s_delay_alu instid0(VALU_DEP_1) | instskip(SKIP_2) | instid1(VALU_DEP_2)
	v_add_f32_e32 v97, 1.0, v97
	v_sub_f32_e32 v13, v14, v13
	v_cmp_gt_f32_e64 s29, 0x33800000, v14
	v_add_f32_e32 v13, v13, v97
	v_subrev_co_ci_u32_e32 v12, vcc_lo, 0, v12, vcc_lo
	v_cmp_eq_f32_e32 vcc_lo, 0x7f800000, v14
	s_delay_alu instid0(VALU_DEP_2) | instskip(SKIP_2) | instid1(VALU_DEP_2)
	v_sub_nc_u32_e32 v96, 0, v12
	v_cvt_f32_i32_e32 v12, v12
	s_or_b32 vcc_lo, s29, vcc_lo
	v_ldexp_f32 v17, v17, v96
	v_ldexp_f32 v13, v13, v96
	s_delay_alu instid0(VALU_DEP_2) | instskip(NEXT) | instid1(VALU_DEP_1)
	v_add_f32_e32 v96, -1.0, v17
	v_dual_add_f32 v98, 1.0, v17 :: v_dual_add_f32 v99, 1.0, v96
	s_delay_alu instid0(VALU_DEP_1) | instskip(NEXT) | instid1(VALU_DEP_1)
	v_add_f32_e32 v97, -1.0, v98
	v_sub_f32_e32 v97, v17, v97
	s_delay_alu instid0(VALU_DEP_3) | instskip(NEXT) | instid1(VALU_DEP_2)
	v_sub_f32_e32 v17, v17, v99
	v_add_f32_e32 v97, v13, v97
	s_delay_alu instid0(VALU_DEP_2) | instskip(NEXT) | instid1(VALU_DEP_1)
	v_add_f32_e32 v13, v13, v17
	v_add_f32_e32 v100, v96, v13
	s_delay_alu instid0(VALU_DEP_1) | instskip(NEXT) | instid1(VALU_DEP_1)
	v_dual_sub_f32 v96, v96, v100 :: v_dual_add_f32 v99, v98, v97
	v_add_f32_e32 v13, v13, v96
	s_delay_alu instid0(VALU_DEP_2) | instskip(SKIP_1) | instid1(VALU_DEP_1)
	v_rcp_f32_e32 v17, v99
	v_sub_f32_e32 v98, v98, v99
	v_add_f32_e32 v97, v97, v98
	s_waitcnt_depctr 0xfff
	v_mul_f32_e32 v101, v100, v17
	s_delay_alu instid0(VALU_DEP_1) | instskip(NEXT) | instid1(VALU_DEP_1)
	v_mul_f32_e32 v102, v99, v101
	v_fma_f32 v98, v101, v99, -v102
	s_delay_alu instid0(VALU_DEP_1) | instskip(NEXT) | instid1(VALU_DEP_1)
	v_fmac_f32_e32 v98, v101, v97
	v_add_f32_e32 v103, v102, v98
	s_delay_alu instid0(VALU_DEP_1) | instskip(SKIP_1) | instid1(VALU_DEP_2)
	v_sub_f32_e32 v104, v100, v103
	v_sub_f32_e32 v96, v103, v102
	;; [unrolled: 1-line block ×3, first 2 shown]
	s_delay_alu instid0(VALU_DEP_1) | instskip(NEXT) | instid1(VALU_DEP_1)
	v_sub_f32_e32 v100, v100, v103
	v_dual_sub_f32 v96, v96, v98 :: v_dual_add_f32 v13, v13, v100
	s_delay_alu instid0(VALU_DEP_1) | instskip(NEXT) | instid1(VALU_DEP_1)
	v_add_f32_e32 v13, v96, v13
	v_add_f32_e32 v96, v104, v13
	s_delay_alu instid0(VALU_DEP_1) | instskip(NEXT) | instid1(VALU_DEP_1)
	v_mul_f32_e32 v98, v17, v96
	v_dual_sub_f32 v103, v104, v96 :: v_dual_mul_f32 v100, v99, v98
	s_delay_alu instid0(VALU_DEP_1) | instskip(NEXT) | instid1(VALU_DEP_2)
	v_add_f32_e32 v13, v13, v103
	v_fma_f32 v99, v98, v99, -v100
	s_delay_alu instid0(VALU_DEP_1) | instskip(NEXT) | instid1(VALU_DEP_1)
	v_fmac_f32_e32 v99, v98, v97
	v_add_f32_e32 v97, v100, v99
	s_delay_alu instid0(VALU_DEP_1) | instskip(NEXT) | instid1(VALU_DEP_1)
	v_sub_f32_e32 v102, v96, v97
	v_sub_f32_e32 v96, v96, v102
	s_delay_alu instid0(VALU_DEP_1) | instskip(NEXT) | instid1(VALU_DEP_1)
	v_sub_f32_e32 v96, v96, v97
	v_add_f32_e32 v13, v13, v96
	v_add_f32_e32 v96, v101, v98
	v_sub_f32_e32 v100, v97, v100
	s_delay_alu instid0(VALU_DEP_1) | instskip(NEXT) | instid1(VALU_DEP_1)
	v_sub_f32_e32 v97, v100, v99
	v_add_f32_e32 v13, v97, v13
	s_delay_alu instid0(VALU_DEP_4) | instskip(NEXT) | instid1(VALU_DEP_2)
	v_sub_f32_e32 v97, v96, v101
	v_add_f32_e32 v13, v102, v13
	s_delay_alu instid0(VALU_DEP_2) | instskip(NEXT) | instid1(VALU_DEP_2)
	v_sub_f32_e32 v97, v98, v97
	v_mul_f32_e32 v13, v17, v13
	s_delay_alu instid0(VALU_DEP_1) | instskip(NEXT) | instid1(VALU_DEP_1)
	v_add_f32_e32 v13, v97, v13
	v_add_f32_e32 v17, v96, v13
	s_delay_alu instid0(VALU_DEP_1) | instskip(NEXT) | instid1(VALU_DEP_1)
	v_mul_f32_e32 v97, v17, v17
	v_fmaak_f32 v98, s84, v97, 0x3ecc95a3
	v_mul_f32_e32 v99, v17, v97
	s_delay_alu instid0(VALU_DEP_2) | instskip(SKIP_1) | instid1(VALU_DEP_2)
	v_fmaak_f32 v97, v97, v98, 0x3f2aaada
	v_ldexp_f32 v98, v17, 1
	v_mul_f32_e32 v97, v99, v97
	s_delay_alu instid0(VALU_DEP_1) | instskip(NEXT) | instid1(VALU_DEP_1)
	v_dual_sub_f32 v17, v17, v96 :: v_dual_add_f32 v96, v98, v97
	v_sub_f32_e32 v13, v13, v17
	s_delay_alu instid0(VALU_DEP_2) | instskip(NEXT) | instid1(VALU_DEP_2)
	v_sub_f32_e32 v17, v96, v98
	v_ldexp_f32 v13, v13, 1
	s_delay_alu instid0(VALU_DEP_2) | instskip(SKIP_1) | instid1(VALU_DEP_1)
	v_sub_f32_e32 v17, v97, v17
	v_mul_f32_e32 v99, 0x3f317218, v12
	v_fma_f32 v98, 0x3f317218, v12, -v99
	s_delay_alu instid0(VALU_DEP_1) | instskip(NEXT) | instid1(VALU_DEP_1)
	v_fmac_f32_e32 v98, 0xb102e308, v12
	v_dual_add_f32 v12, v13, v17 :: v_dual_add_f32 v13, v99, v98
	s_delay_alu instid0(VALU_DEP_1) | instskip(NEXT) | instid1(VALU_DEP_1)
	v_add_f32_e32 v17, v96, v12
	v_add_f32_e32 v97, v13, v17
	v_sub_f32_e32 v96, v17, v96
	s_delay_alu instid0(VALU_DEP_2) | instskip(NEXT) | instid1(VALU_DEP_2)
	v_sub_f32_e32 v100, v97, v13
	v_dual_sub_f32 v12, v12, v96 :: v_dual_sub_f32 v99, v13, v99
	s_delay_alu instid0(VALU_DEP_2) | instskip(NEXT) | instid1(VALU_DEP_2)
	v_sub_f32_e32 v101, v97, v100
	v_dual_sub_f32 v17, v17, v100 :: v_dual_sub_f32 v98, v98, v99
	s_delay_alu instid0(VALU_DEP_1) | instskip(NEXT) | instid1(VALU_DEP_1)
	v_dual_sub_f32 v13, v13, v101 :: v_dual_add_f32 v96, v98, v12
	v_add_f32_e32 v13, v17, v13
	s_delay_alu instid0(VALU_DEP_2) | instskip(NEXT) | instid1(VALU_DEP_2)
	v_sub_f32_e32 v17, v96, v98
	v_add_f32_e32 v13, v96, v13
	s_delay_alu instid0(VALU_DEP_2) | instskip(SKIP_1) | instid1(VALU_DEP_2)
	v_sub_f32_e32 v96, v96, v17
	v_sub_f32_e32 v12, v12, v17
	v_dual_add_f32 v99, v97, v13 :: v_dual_sub_f32 v96, v98, v96
	s_delay_alu instid0(VALU_DEP_1) | instskip(NEXT) | instid1(VALU_DEP_1)
	v_dual_sub_f32 v17, v99, v97 :: v_dual_add_f32 v12, v12, v96
	v_sub_f32_e32 v13, v13, v17
	s_delay_alu instid0(VALU_DEP_1) | instskip(NEXT) | instid1(VALU_DEP_1)
	v_add_f32_e32 v12, v12, v13
	v_add_f32_e32 v12, v99, v12
	s_delay_alu instid0(VALU_DEP_1)
	v_cndmask_b32_e32 v96, v12, v14, vcc_lo
.LBB126_88:                             ;   in Loop: Header=BB126_12 Depth=1
	s_or_b32 exec_lo, exec_lo, s30
	v_lshrrev_b32_e32 v12, 16, v15
	s_delay_alu instid0(VALU_DEP_1) | instskip(NEXT) | instid1(VALU_DEP_1)
	v_cvt_f32_f16_e32 v12, v12
	v_add_f32_e32 v97, s67, v12
	s_delay_alu instid0(VALU_DEP_1) | instskip(SKIP_1) | instid1(SALU_CYCLE_1)
	v_cmp_ge_f32_e32 vcc_lo, 0x41a00000, v97
	s_and_b32 s29, s80, vcc_lo
	s_and_saveexec_b32 s30, s29
	s_cbranch_execz .LBB126_90
; %bb.89:                               ;   in Loop: Header=BB126_12 Depth=1
	v_mul_f32_e32 v12, 0x3fb8aa3b, v97
	v_cmp_ngt_f32_e32 vcc_lo, 0xc2ce8ed0, v97
	s_delay_alu instid0(VALU_DEP_2) | instskip(SKIP_1) | instid1(VALU_DEP_2)
	v_rndne_f32_e32 v13, v12
	v_fma_f32 v14, 0x3fb8aa3b, v97, -v12
	v_sub_f32_e32 v12, v12, v13
	s_delay_alu instid0(VALU_DEP_2) | instskip(SKIP_1) | instid1(VALU_DEP_2)
	v_fmac_f32_e32 v14, 0x32a5705f, v97
	v_cvt_i32_f32_e32 v13, v13
	v_add_f32_e32 v12, v12, v14
	s_delay_alu instid0(VALU_DEP_1) | instskip(SKIP_2) | instid1(VALU_DEP_1)
	v_exp_f32_e32 v12, v12
	s_waitcnt_depctr 0xfff
	v_ldexp_f32 v12, v12, v13
	v_cndmask_b32_e32 v12, 0, v12, vcc_lo
	v_cmp_nlt_f32_e32 vcc_lo, 0x42b17218, v97
	s_delay_alu instid0(VALU_DEP_2) | instskip(NEXT) | instid1(VALU_DEP_1)
	v_cndmask_b32_e32 v14, 0x7f800000, v12, vcc_lo
	v_add_f32_e32 v15, 1.0, v14
	s_delay_alu instid0(VALU_DEP_1) | instskip(NEXT) | instid1(VALU_DEP_1)
	v_cvt_f64_f32_e32 v[12:13], v15
	v_frexp_exp_i32_f64_e32 v12, v[12:13]
	v_frexp_mant_f32_e32 v13, v15
	s_delay_alu instid0(VALU_DEP_1) | instskip(SKIP_1) | instid1(VALU_DEP_1)
	v_cmp_gt_f32_e32 vcc_lo, 0x3f2aaaab, v13
	v_add_f32_e32 v13, -1.0, v15
	v_sub_f32_e32 v97, v13, v15
	v_sub_f32_e32 v13, v14, v13
	s_delay_alu instid0(VALU_DEP_2) | instskip(NEXT) | instid1(VALU_DEP_1)
	v_add_f32_e32 v97, 1.0, v97
	v_add_f32_e32 v13, v13, v97
	v_cmp_gt_f32_e64 s29, 0x33800000, v14
	v_subrev_co_ci_u32_e32 v12, vcc_lo, 0, v12, vcc_lo
	v_cmp_eq_f32_e32 vcc_lo, 0x7f800000, v14
	s_delay_alu instid0(VALU_DEP_2) | instskip(SKIP_2) | instid1(VALU_DEP_2)
	v_sub_nc_u32_e32 v17, 0, v12
	v_cvt_f32_i32_e32 v12, v12
	s_or_b32 vcc_lo, s29, vcc_lo
	v_ldexp_f32 v15, v15, v17
	v_ldexp_f32 v13, v13, v17
	s_delay_alu instid0(VALU_DEP_2) | instskip(SKIP_1) | instid1(VALU_DEP_2)
	v_add_f32_e32 v98, 1.0, v15
	v_add_f32_e32 v17, -1.0, v15
	v_add_f32_e32 v97, -1.0, v98
	s_delay_alu instid0(VALU_DEP_2) | instskip(NEXT) | instid1(VALU_DEP_2)
	v_add_f32_e32 v99, 1.0, v17
	v_sub_f32_e32 v97, v15, v97
	s_delay_alu instid0(VALU_DEP_2) | instskip(NEXT) | instid1(VALU_DEP_2)
	v_sub_f32_e32 v15, v15, v99
	v_add_f32_e32 v97, v13, v97
	s_delay_alu instid0(VALU_DEP_2) | instskip(NEXT) | instid1(VALU_DEP_1)
	v_add_f32_e32 v13, v13, v15
	v_add_f32_e32 v100, v17, v13
	s_delay_alu instid0(VALU_DEP_3) | instskip(NEXT) | instid1(VALU_DEP_1)
	v_add_f32_e32 v99, v98, v97
	v_rcp_f32_e32 v15, v99
	v_sub_f32_e32 v98, v98, v99
	s_delay_alu instid0(VALU_DEP_1) | instskip(SKIP_2) | instid1(VALU_DEP_1)
	v_add_f32_e32 v97, v97, v98
	s_waitcnt_depctr 0xfff
	v_mul_f32_e32 v101, v100, v15
	v_dual_mul_f32 v102, v99, v101 :: v_dual_sub_f32 v17, v17, v100
	s_delay_alu instid0(VALU_DEP_1) | instskip(NEXT) | instid1(VALU_DEP_2)
	v_fma_f32 v98, v101, v99, -v102
	v_add_f32_e32 v13, v13, v17
	s_delay_alu instid0(VALU_DEP_2) | instskip(NEXT) | instid1(VALU_DEP_1)
	v_fmac_f32_e32 v98, v101, v97
	v_add_f32_e32 v103, v102, v98
	s_delay_alu instid0(VALU_DEP_1) | instskip(NEXT) | instid1(VALU_DEP_1)
	v_dual_sub_f32 v104, v100, v103 :: v_dual_sub_f32 v17, v103, v102
	v_dual_sub_f32 v100, v100, v104 :: v_dual_sub_f32 v17, v17, v98
	s_delay_alu instid0(VALU_DEP_1) | instskip(NEXT) | instid1(VALU_DEP_1)
	v_sub_f32_e32 v100, v100, v103
	v_add_f32_e32 v13, v13, v100
	s_delay_alu instid0(VALU_DEP_1) | instskip(NEXT) | instid1(VALU_DEP_1)
	v_add_f32_e32 v13, v17, v13
	v_add_f32_e32 v17, v104, v13
	s_delay_alu instid0(VALU_DEP_1) | instskip(NEXT) | instid1(VALU_DEP_1)
	v_mul_f32_e32 v98, v15, v17
	v_dual_sub_f32 v103, v104, v17 :: v_dual_mul_f32 v100, v99, v98
	s_delay_alu instid0(VALU_DEP_1) | instskip(NEXT) | instid1(VALU_DEP_2)
	v_add_f32_e32 v13, v13, v103
	v_fma_f32 v99, v98, v99, -v100
	s_delay_alu instid0(VALU_DEP_1) | instskip(NEXT) | instid1(VALU_DEP_1)
	v_fmac_f32_e32 v99, v98, v97
	v_add_f32_e32 v97, v100, v99
	s_delay_alu instid0(VALU_DEP_1) | instskip(SKIP_1) | instid1(VALU_DEP_2)
	v_sub_f32_e32 v102, v17, v97
	v_sub_f32_e32 v100, v97, v100
	;; [unrolled: 1-line block ×3, first 2 shown]
	s_delay_alu instid0(VALU_DEP_1) | instskip(NEXT) | instid1(VALU_DEP_3)
	v_sub_f32_e32 v17, v17, v97
	v_sub_f32_e32 v97, v100, v99
	s_delay_alu instid0(VALU_DEP_2) | instskip(SKIP_1) | instid1(VALU_DEP_2)
	v_add_f32_e32 v13, v13, v17
	v_add_f32_e32 v17, v101, v98
	;; [unrolled: 1-line block ×3, first 2 shown]
	s_delay_alu instid0(VALU_DEP_2) | instskip(NEXT) | instid1(VALU_DEP_2)
	v_sub_f32_e32 v97, v17, v101
	v_add_f32_e32 v13, v102, v13
	s_delay_alu instid0(VALU_DEP_2) | instskip(NEXT) | instid1(VALU_DEP_2)
	v_sub_f32_e32 v97, v98, v97
	v_mul_f32_e32 v13, v15, v13
	s_delay_alu instid0(VALU_DEP_1) | instskip(NEXT) | instid1(VALU_DEP_1)
	v_add_f32_e32 v13, v97, v13
	v_add_f32_e32 v15, v17, v13
	s_delay_alu instid0(VALU_DEP_1) | instskip(NEXT) | instid1(VALU_DEP_1)
	v_mul_f32_e32 v97, v15, v15
	v_fmaak_f32 v98, s84, v97, 0x3ecc95a3
	v_mul_f32_e32 v99, v15, v97
	s_delay_alu instid0(VALU_DEP_2) | instskip(SKIP_2) | instid1(VALU_DEP_3)
	v_fmaak_f32 v97, v97, v98, 0x3f2aaada
	v_ldexp_f32 v98, v15, 1
	v_sub_f32_e32 v15, v15, v17
	v_mul_f32_e32 v97, v99, v97
	v_mul_f32_e32 v99, 0x3f317218, v12
	s_delay_alu instid0(VALU_DEP_3) | instskip(NEXT) | instid1(VALU_DEP_3)
	v_sub_f32_e32 v13, v13, v15
	v_add_f32_e32 v17, v98, v97
	s_delay_alu instid0(VALU_DEP_2) | instskip(NEXT) | instid1(VALU_DEP_2)
	v_ldexp_f32 v13, v13, 1
	v_sub_f32_e32 v15, v17, v98
	v_fma_f32 v98, 0x3f317218, v12, -v99
	s_delay_alu instid0(VALU_DEP_1) | instskip(NEXT) | instid1(VALU_DEP_1)
	v_dual_sub_f32 v15, v97, v15 :: v_dual_fmac_f32 v98, 0xb102e308, v12
	v_dual_add_f32 v12, v13, v15 :: v_dual_add_f32 v13, v99, v98
	s_delay_alu instid0(VALU_DEP_1) | instskip(NEXT) | instid1(VALU_DEP_1)
	v_add_f32_e32 v15, v17, v12
	v_add_f32_e32 v97, v13, v15
	v_sub_f32_e32 v17, v15, v17
	s_delay_alu instid0(VALU_DEP_2) | instskip(NEXT) | instid1(VALU_DEP_2)
	v_sub_f32_e32 v100, v97, v13
	v_dual_sub_f32 v99, v13, v99 :: v_dual_sub_f32 v12, v12, v17
	s_delay_alu instid0(VALU_DEP_1) | instskip(SKIP_1) | instid1(VALU_DEP_2)
	v_dual_sub_f32 v101, v97, v100 :: v_dual_sub_f32 v98, v98, v99
	v_sub_f32_e32 v15, v15, v100
	v_sub_f32_e32 v13, v13, v101
	s_delay_alu instid0(VALU_DEP_3) | instskip(NEXT) | instid1(VALU_DEP_2)
	v_add_f32_e32 v17, v98, v12
	v_add_f32_e32 v13, v15, v13
	s_delay_alu instid0(VALU_DEP_2) | instskip(NEXT) | instid1(VALU_DEP_2)
	v_sub_f32_e32 v15, v17, v98
	v_add_f32_e32 v13, v17, v13
	s_delay_alu instid0(VALU_DEP_2) | instskip(NEXT) | instid1(VALU_DEP_2)
	v_sub_f32_e32 v17, v17, v15
	v_dual_sub_f32 v12, v12, v15 :: v_dual_add_f32 v99, v97, v13
	s_delay_alu instid0(VALU_DEP_2) | instskip(NEXT) | instid1(VALU_DEP_2)
	v_sub_f32_e32 v17, v98, v17
	v_sub_f32_e32 v15, v99, v97
	s_delay_alu instid0(VALU_DEP_1) | instskip(NEXT) | instid1(VALU_DEP_1)
	v_dual_add_f32 v12, v12, v17 :: v_dual_sub_f32 v13, v13, v15
	v_add_f32_e32 v12, v12, v13
	s_delay_alu instid0(VALU_DEP_1) | instskip(NEXT) | instid1(VALU_DEP_1)
	v_add_f32_e32 v12, v99, v12
	v_cndmask_b32_e32 v97, v12, v14, vcc_lo
.LBB126_90:                             ;   in Loop: Header=BB126_12 Depth=1
	s_or_b32 exec_lo, exec_lo, s30
	s_waitcnt lgkmcnt(0)
	v_cvt_f32_f16_e32 v12, v8
	s_delay_alu instid0(VALU_DEP_1) | instskip(NEXT) | instid1(VALU_DEP_1)
	v_add_f32_e32 v98, s67, v12
	v_cmp_ge_f32_e32 vcc_lo, 0x41a00000, v98
	s_and_b32 s29, s80, vcc_lo
	s_delay_alu instid0(SALU_CYCLE_1)
	s_and_saveexec_b32 s30, s29
	s_cbranch_execz .LBB126_92
; %bb.91:                               ;   in Loop: Header=BB126_12 Depth=1
	v_mul_f32_e32 v12, 0x3fb8aa3b, v98
	v_cmp_ngt_f32_e32 vcc_lo, 0xc2ce8ed0, v98
	s_delay_alu instid0(VALU_DEP_2) | instskip(SKIP_1) | instid1(VALU_DEP_2)
	v_rndne_f32_e32 v13, v12
	v_fma_f32 v14, 0x3fb8aa3b, v98, -v12
	v_sub_f32_e32 v12, v12, v13
	s_delay_alu instid0(VALU_DEP_2) | instskip(SKIP_1) | instid1(VALU_DEP_2)
	v_fmac_f32_e32 v14, 0x32a5705f, v98
	v_cvt_i32_f32_e32 v13, v13
	v_add_f32_e32 v12, v12, v14
	s_delay_alu instid0(VALU_DEP_1) | instskip(SKIP_2) | instid1(VALU_DEP_1)
	v_exp_f32_e32 v12, v12
	s_waitcnt_depctr 0xfff
	v_ldexp_f32 v12, v12, v13
	v_cndmask_b32_e32 v12, 0, v12, vcc_lo
	v_cmp_nlt_f32_e32 vcc_lo, 0x42b17218, v98
	s_delay_alu instid0(VALU_DEP_2) | instskip(NEXT) | instid1(VALU_DEP_1)
	v_cndmask_b32_e32 v14, 0x7f800000, v12, vcc_lo
	v_add_f32_e32 v15, 1.0, v14
	s_delay_alu instid0(VALU_DEP_1) | instskip(NEXT) | instid1(VALU_DEP_1)
	v_cvt_f64_f32_e32 v[12:13], v15
	v_frexp_exp_i32_f64_e32 v12, v[12:13]
	v_frexp_mant_f32_e32 v13, v15
	s_delay_alu instid0(VALU_DEP_1) | instskip(SKIP_1) | instid1(VALU_DEP_1)
	v_cmp_gt_f32_e32 vcc_lo, 0x3f2aaaab, v13
	v_add_f32_e32 v13, -1.0, v15
	v_dual_sub_f32 v98, v13, v15 :: v_dual_sub_f32 v13, v14, v13
	s_delay_alu instid0(VALU_DEP_1) | instskip(NEXT) | instid1(VALU_DEP_1)
	v_add_f32_e32 v98, 1.0, v98
	v_add_f32_e32 v13, v13, v98
	v_subrev_co_ci_u32_e32 v12, vcc_lo, 0, v12, vcc_lo
	s_delay_alu instid0(VALU_DEP_1) | instskip(SKIP_1) | instid1(VALU_DEP_2)
	v_sub_nc_u32_e32 v17, 0, v12
	v_cvt_f32_i32_e32 v12, v12
	v_ldexp_f32 v15, v15, v17
	v_ldexp_f32 v13, v13, v17
	s_delay_alu instid0(VALU_DEP_2) | instskip(SKIP_3) | instid1(VALU_DEP_4)
	v_add_f32_e32 v99, 1.0, v15
	v_add_f32_e32 v17, -1.0, v15
	v_cmp_eq_f32_e32 vcc_lo, 0x7f800000, v14
	v_cmp_gt_f32_e64 s29, 0x33800000, v14
	v_add_f32_e32 v98, -1.0, v99
	s_delay_alu instid0(VALU_DEP_4) | instskip(NEXT) | instid1(VALU_DEP_3)
	v_add_f32_e32 v100, 1.0, v17
	s_or_b32 vcc_lo, s29, vcc_lo
	s_delay_alu instid0(VALU_DEP_2) | instskip(NEXT) | instid1(VALU_DEP_1)
	v_sub_f32_e32 v98, v15, v98
	v_dual_sub_f32 v15, v15, v100 :: v_dual_add_f32 v98, v13, v98
	s_delay_alu instid0(VALU_DEP_1) | instskip(NEXT) | instid1(VALU_DEP_1)
	v_add_f32_e32 v13, v13, v15
	v_dual_add_f32 v101, v17, v13 :: v_dual_add_f32 v100, v99, v98
	s_delay_alu instid0(VALU_DEP_1) | instskip(NEXT) | instid1(VALU_DEP_2)
	v_sub_f32_e32 v17, v17, v101
	v_rcp_f32_e32 v15, v100
	v_sub_f32_e32 v99, v99, v100
	s_delay_alu instid0(VALU_DEP_1) | instskip(SKIP_2) | instid1(VALU_DEP_1)
	v_dual_add_f32 v98, v98, v99 :: v_dual_add_f32 v13, v13, v17
	s_waitcnt_depctr 0xfff
	v_mul_f32_e32 v102, v101, v15
	v_mul_f32_e32 v103, v100, v102
	s_delay_alu instid0(VALU_DEP_1) | instskip(NEXT) | instid1(VALU_DEP_1)
	v_fma_f32 v99, v102, v100, -v103
	v_fmac_f32_e32 v99, v102, v98
	s_delay_alu instid0(VALU_DEP_1) | instskip(NEXT) | instid1(VALU_DEP_1)
	v_add_f32_e32 v104, v103, v99
	v_sub_f32_e32 v105, v101, v104
	s_delay_alu instid0(VALU_DEP_1) | instskip(SKIP_1) | instid1(VALU_DEP_2)
	v_sub_f32_e32 v101, v101, v105
	v_sub_f32_e32 v17, v104, v103
	;; [unrolled: 1-line block ×3, first 2 shown]
	s_delay_alu instid0(VALU_DEP_2) | instskip(NEXT) | instid1(VALU_DEP_2)
	v_sub_f32_e32 v17, v17, v99
	v_add_f32_e32 v13, v13, v101
	s_delay_alu instid0(VALU_DEP_1) | instskip(NEXT) | instid1(VALU_DEP_1)
	v_add_f32_e32 v13, v17, v13
	v_add_f32_e32 v17, v105, v13
	s_delay_alu instid0(VALU_DEP_1) | instskip(NEXT) | instid1(VALU_DEP_1)
	v_mul_f32_e32 v99, v15, v17
	v_dual_sub_f32 v104, v105, v17 :: v_dual_mul_f32 v101, v100, v99
	s_delay_alu instid0(VALU_DEP_1) | instskip(NEXT) | instid1(VALU_DEP_2)
	v_add_f32_e32 v13, v13, v104
	v_fma_f32 v100, v99, v100, -v101
	s_delay_alu instid0(VALU_DEP_1) | instskip(NEXT) | instid1(VALU_DEP_1)
	v_fmac_f32_e32 v100, v99, v98
	v_add_f32_e32 v98, v101, v100
	s_delay_alu instid0(VALU_DEP_1) | instskip(NEXT) | instid1(VALU_DEP_1)
	v_sub_f32_e32 v103, v17, v98
	v_sub_f32_e32 v17, v17, v103
	s_delay_alu instid0(VALU_DEP_1) | instskip(NEXT) | instid1(VALU_DEP_1)
	v_sub_f32_e32 v17, v17, v98
	v_add_f32_e32 v13, v13, v17
	v_add_f32_e32 v17, v102, v99
	v_sub_f32_e32 v101, v98, v101
	s_delay_alu instid0(VALU_DEP_1) | instskip(NEXT) | instid1(VALU_DEP_1)
	v_sub_f32_e32 v98, v101, v100
	v_dual_add_f32 v13, v98, v13 :: v_dual_sub_f32 v98, v17, v102
	s_delay_alu instid0(VALU_DEP_1) | instskip(NEXT) | instid1(VALU_DEP_2)
	v_add_f32_e32 v13, v103, v13
	v_sub_f32_e32 v98, v99, v98
	s_delay_alu instid0(VALU_DEP_2) | instskip(NEXT) | instid1(VALU_DEP_1)
	v_mul_f32_e32 v13, v15, v13
	v_add_f32_e32 v13, v98, v13
	s_delay_alu instid0(VALU_DEP_1) | instskip(NEXT) | instid1(VALU_DEP_1)
	v_add_f32_e32 v15, v17, v13
	v_mul_f32_e32 v98, v15, v15
	s_delay_alu instid0(VALU_DEP_1) | instskip(SKIP_1) | instid1(VALU_DEP_2)
	v_fmaak_f32 v99, s84, v98, 0x3ecc95a3
	v_mul_f32_e32 v100, v15, v98
	v_fmaak_f32 v98, v98, v99, 0x3f2aaada
	v_ldexp_f32 v99, v15, 1
	s_delay_alu instid0(VALU_DEP_2) | instskip(NEXT) | instid1(VALU_DEP_1)
	v_dual_sub_f32 v15, v15, v17 :: v_dual_mul_f32 v98, v100, v98
	v_dual_mul_f32 v100, 0x3f317218, v12 :: v_dual_sub_f32 v13, v13, v15
	s_delay_alu instid0(VALU_DEP_2) | instskip(NEXT) | instid1(VALU_DEP_2)
	v_add_f32_e32 v17, v99, v98
	v_ldexp_f32 v13, v13, 1
	s_delay_alu instid0(VALU_DEP_2) | instskip(NEXT) | instid1(VALU_DEP_4)
	v_sub_f32_e32 v15, v17, v99
	v_fma_f32 v99, 0x3f317218, v12, -v100
	s_delay_alu instid0(VALU_DEP_2) | instskip(NEXT) | instid1(VALU_DEP_1)
	v_sub_f32_e32 v15, v98, v15
	v_dual_fmac_f32 v99, 0xb102e308, v12 :: v_dual_add_f32 v12, v13, v15
	s_delay_alu instid0(VALU_DEP_1) | instskip(NEXT) | instid1(VALU_DEP_2)
	v_add_f32_e32 v13, v100, v99
	v_add_f32_e32 v15, v17, v12
	s_delay_alu instid0(VALU_DEP_2) | instskip(NEXT) | instid1(VALU_DEP_2)
	v_sub_f32_e32 v100, v13, v100
	v_dual_add_f32 v98, v13, v15 :: v_dual_sub_f32 v17, v15, v17
	s_delay_alu instid0(VALU_DEP_2) | instskip(NEXT) | instid1(VALU_DEP_2)
	v_sub_f32_e32 v99, v99, v100
	v_sub_f32_e32 v101, v98, v13
	s_delay_alu instid0(VALU_DEP_3) | instskip(NEXT) | instid1(VALU_DEP_2)
	v_sub_f32_e32 v12, v12, v17
	v_sub_f32_e32 v102, v98, v101
	;; [unrolled: 1-line block ×3, first 2 shown]
	s_delay_alu instid0(VALU_DEP_3) | instskip(NEXT) | instid1(VALU_DEP_3)
	v_add_f32_e32 v17, v99, v12
	v_sub_f32_e32 v13, v13, v102
	s_delay_alu instid0(VALU_DEP_1) | instskip(NEXT) | instid1(VALU_DEP_3)
	v_add_f32_e32 v13, v15, v13
	v_sub_f32_e32 v15, v17, v99
	s_delay_alu instid0(VALU_DEP_2) | instskip(NEXT) | instid1(VALU_DEP_2)
	v_add_f32_e32 v13, v17, v13
	v_sub_f32_e32 v17, v17, v15
	v_sub_f32_e32 v12, v12, v15
	s_delay_alu instid0(VALU_DEP_3) | instskip(NEXT) | instid1(VALU_DEP_3)
	v_add_f32_e32 v100, v98, v13
	v_sub_f32_e32 v17, v99, v17
	s_delay_alu instid0(VALU_DEP_2) | instskip(NEXT) | instid1(VALU_DEP_1)
	v_sub_f32_e32 v15, v100, v98
	v_dual_add_f32 v12, v12, v17 :: v_dual_sub_f32 v13, v13, v15
	s_delay_alu instid0(VALU_DEP_1) | instskip(NEXT) | instid1(VALU_DEP_1)
	v_add_f32_e32 v12, v12, v13
	v_add_f32_e32 v12, v100, v12
	s_delay_alu instid0(VALU_DEP_1)
	v_cndmask_b32_e32 v98, v12, v14, vcc_lo
.LBB126_92:                             ;   in Loop: Header=BB126_12 Depth=1
	s_or_b32 exec_lo, exec_lo, s30
	v_lshrrev_b32_e32 v8, 16, v8
	s_delay_alu instid0(VALU_DEP_1) | instskip(NEXT) | instid1(VALU_DEP_1)
	v_cvt_f32_f16_e32 v8, v8
	v_add_f32_e32 v99, s67, v8
	s_delay_alu instid0(VALU_DEP_1) | instskip(SKIP_1) | instid1(SALU_CYCLE_1)
	v_cmp_ge_f32_e32 vcc_lo, 0x41a00000, v99
	s_and_b32 s29, s80, vcc_lo
	s_and_saveexec_b32 s30, s29
	s_cbranch_execz .LBB126_94
; %bb.93:                               ;   in Loop: Header=BB126_12 Depth=1
	v_mul_f32_e32 v8, 0x3fb8aa3b, v99
	v_cmp_ngt_f32_e32 vcc_lo, 0xc2ce8ed0, v99
	s_delay_alu instid0(VALU_DEP_2) | instskip(SKIP_1) | instid1(VALU_DEP_1)
	v_rndne_f32_e32 v12, v8
	v_fma_f32 v13, 0x3fb8aa3b, v99, -v8
	v_dual_sub_f32 v8, v8, v12 :: v_dual_fmac_f32 v13, 0x32a5705f, v99
	v_cvt_i32_f32_e32 v12, v12
	s_delay_alu instid0(VALU_DEP_2) | instskip(NEXT) | instid1(VALU_DEP_1)
	v_add_f32_e32 v8, v8, v13
	v_exp_f32_e32 v8, v8
	s_waitcnt_depctr 0xfff
	v_ldexp_f32 v8, v8, v12
	s_delay_alu instid0(VALU_DEP_1) | instskip(SKIP_1) | instid1(VALU_DEP_2)
	v_cndmask_b32_e32 v8, 0, v8, vcc_lo
	v_cmp_nlt_f32_e32 vcc_lo, 0x42b17218, v99
	v_cndmask_b32_e32 v8, 0x7f800000, v8, vcc_lo
	s_delay_alu instid0(VALU_DEP_1) | instskip(NEXT) | instid1(VALU_DEP_1)
	v_add_f32_e32 v14, 1.0, v8
	v_cvt_f64_f32_e32 v[12:13], v14
	s_delay_alu instid0(VALU_DEP_1) | instskip(SKIP_1) | instid1(VALU_DEP_1)
	v_frexp_exp_i32_f64_e32 v12, v[12:13]
	v_frexp_mant_f32_e32 v13, v14
	v_cmp_gt_f32_e32 vcc_lo, 0x3f2aaaab, v13
	v_add_f32_e32 v13, -1.0, v14
	s_delay_alu instid0(VALU_DEP_1) | instskip(NEXT) | instid1(VALU_DEP_1)
	v_sub_f32_e32 v17, v13, v14
	v_add_f32_e32 v17, 1.0, v17
	v_subrev_co_ci_u32_e32 v12, vcc_lo, 0, v12, vcc_lo
	s_delay_alu instid0(VALU_DEP_1) | instskip(SKIP_1) | instid1(VALU_DEP_2)
	v_sub_nc_u32_e32 v15, 0, v12
	v_cvt_f32_i32_e32 v12, v12
	v_ldexp_f32 v14, v14, v15
	s_delay_alu instid0(VALU_DEP_1) | instskip(SKIP_3) | instid1(VALU_DEP_3)
	v_add_f32_e32 v99, 1.0, v14
	v_sub_f32_e32 v13, v8, v13
	v_cmp_eq_f32_e32 vcc_lo, 0x7f800000, v8
	v_cmp_gt_f32_e64 s29, 0x33800000, v8
	v_add_f32_e32 v13, v13, v17
	s_delay_alu instid0(VALU_DEP_2) | instskip(NEXT) | instid1(VALU_DEP_1)
	s_or_b32 vcc_lo, s29, vcc_lo
	v_ldexp_f32 v13, v13, v15
	v_add_f32_e32 v15, -1.0, v14
	s_delay_alu instid0(VALU_DEP_1) | instskip(SKIP_1) | instid1(VALU_DEP_1)
	v_add_f32_e32 v100, 1.0, v15
	v_add_f32_e32 v17, -1.0, v99
	v_sub_f32_e32 v17, v14, v17
	s_delay_alu instid0(VALU_DEP_1) | instskip(NEXT) | instid1(VALU_DEP_1)
	v_dual_sub_f32 v14, v14, v100 :: v_dual_add_f32 v17, v13, v17
	v_add_f32_e32 v100, v99, v17
	s_delay_alu instid0(VALU_DEP_1) | instskip(NEXT) | instid1(VALU_DEP_1)
	v_sub_f32_e32 v99, v99, v100
	v_add_f32_e32 v17, v17, v99
	s_delay_alu instid0(VALU_DEP_4) | instskip(SKIP_1) | instid1(VALU_DEP_1)
	v_add_f32_e32 v13, v13, v14
	v_rcp_f32_e32 v14, v100
	v_add_f32_e32 v101, v15, v13
	s_waitcnt_depctr 0xfff
	v_dual_sub_f32 v15, v15, v101 :: v_dual_mul_f32 v102, v101, v14
	s_delay_alu instid0(VALU_DEP_1) | instskip(NEXT) | instid1(VALU_DEP_2)
	v_add_f32_e32 v13, v13, v15
	v_mul_f32_e32 v103, v100, v102
	s_delay_alu instid0(VALU_DEP_1) | instskip(NEXT) | instid1(VALU_DEP_1)
	v_fma_f32 v99, v102, v100, -v103
	v_fmac_f32_e32 v99, v102, v17
	s_delay_alu instid0(VALU_DEP_1) | instskip(NEXT) | instid1(VALU_DEP_1)
	v_add_f32_e32 v104, v103, v99
	v_sub_f32_e32 v105, v101, v104
	v_sub_f32_e32 v15, v104, v103
	s_delay_alu instid0(VALU_DEP_2) | instskip(NEXT) | instid1(VALU_DEP_2)
	v_sub_f32_e32 v101, v101, v105
	v_sub_f32_e32 v15, v15, v99
	s_delay_alu instid0(VALU_DEP_2) | instskip(NEXT) | instid1(VALU_DEP_1)
	v_sub_f32_e32 v101, v101, v104
	v_add_f32_e32 v13, v13, v101
	s_delay_alu instid0(VALU_DEP_1) | instskip(NEXT) | instid1(VALU_DEP_1)
	v_add_f32_e32 v13, v15, v13
	v_add_f32_e32 v15, v105, v13
	s_delay_alu instid0(VALU_DEP_1) | instskip(SKIP_1) | instid1(VALU_DEP_2)
	v_mul_f32_e32 v99, v14, v15
	v_sub_f32_e32 v104, v105, v15
	v_mul_f32_e32 v101, v100, v99
	s_delay_alu instid0(VALU_DEP_2) | instskip(NEXT) | instid1(VALU_DEP_2)
	v_add_f32_e32 v13, v13, v104
	v_fma_f32 v100, v99, v100, -v101
	s_delay_alu instid0(VALU_DEP_1) | instskip(NEXT) | instid1(VALU_DEP_1)
	v_fmac_f32_e32 v100, v99, v17
	v_add_f32_e32 v17, v101, v100
	s_delay_alu instid0(VALU_DEP_1) | instskip(SKIP_1) | instid1(VALU_DEP_2)
	v_sub_f32_e32 v103, v15, v17
	v_sub_f32_e32 v101, v17, v101
	;; [unrolled: 1-line block ×3, first 2 shown]
	s_delay_alu instid0(VALU_DEP_1) | instskip(NEXT) | instid1(VALU_DEP_3)
	v_sub_f32_e32 v15, v15, v17
	v_sub_f32_e32 v17, v101, v100
	s_delay_alu instid0(VALU_DEP_2) | instskip(SKIP_1) | instid1(VALU_DEP_2)
	v_add_f32_e32 v13, v13, v15
	v_add_f32_e32 v15, v102, v99
	;; [unrolled: 1-line block ×3, first 2 shown]
	s_delay_alu instid0(VALU_DEP_2) | instskip(NEXT) | instid1(VALU_DEP_2)
	v_sub_f32_e32 v17, v15, v102
	v_add_f32_e32 v13, v103, v13
	s_delay_alu instid0(VALU_DEP_2) | instskip(NEXT) | instid1(VALU_DEP_2)
	v_sub_f32_e32 v17, v99, v17
	v_mul_f32_e32 v13, v14, v13
	s_delay_alu instid0(VALU_DEP_1) | instskip(NEXT) | instid1(VALU_DEP_1)
	v_add_f32_e32 v13, v17, v13
	v_add_f32_e32 v14, v15, v13
	s_delay_alu instid0(VALU_DEP_1) | instskip(NEXT) | instid1(VALU_DEP_1)
	v_mul_f32_e32 v17, v14, v14
	v_fmaak_f32 v99, s84, v17, 0x3ecc95a3
	s_delay_alu instid0(VALU_DEP_1) | instskip(SKIP_1) | instid1(VALU_DEP_2)
	v_dual_mul_f32 v100, v14, v17 :: v_dual_fmaak_f32 v17, v17, v99, 0x3f2aaada
	v_ldexp_f32 v99, v14, 1
	v_dual_sub_f32 v14, v14, v15 :: v_dual_mul_f32 v17, v100, v17
	s_delay_alu instid0(VALU_DEP_1) | instskip(NEXT) | instid1(VALU_DEP_2)
	v_dual_mul_f32 v100, 0x3f317218, v12 :: v_dual_sub_f32 v13, v13, v14
	v_add_f32_e32 v15, v99, v17
	s_delay_alu instid0(VALU_DEP_2) | instskip(NEXT) | instid1(VALU_DEP_2)
	v_ldexp_f32 v13, v13, 1
	v_sub_f32_e32 v14, v15, v99
	s_delay_alu instid0(VALU_DEP_4) | instskip(NEXT) | instid1(VALU_DEP_1)
	v_fma_f32 v99, 0x3f317218, v12, -v100
	v_dual_sub_f32 v14, v17, v14 :: v_dual_fmac_f32 v99, 0xb102e308, v12
	s_delay_alu instid0(VALU_DEP_1) | instskip(NEXT) | instid1(VALU_DEP_1)
	v_dual_add_f32 v12, v13, v14 :: v_dual_add_f32 v13, v100, v99
	v_add_f32_e32 v14, v15, v12
	s_delay_alu instid0(VALU_DEP_2) | instskip(NEXT) | instid1(VALU_DEP_2)
	v_sub_f32_e32 v100, v13, v100
	v_add_f32_e32 v17, v13, v14
	v_sub_f32_e32 v15, v14, v15
	s_delay_alu instid0(VALU_DEP_3) | instskip(NEXT) | instid1(VALU_DEP_2)
	v_sub_f32_e32 v99, v99, v100
	v_dual_sub_f32 v101, v17, v13 :: v_dual_sub_f32 v12, v12, v15
	s_delay_alu instid0(VALU_DEP_1) | instskip(NEXT) | instid1(VALU_DEP_2)
	v_sub_f32_e32 v102, v17, v101
	v_dual_sub_f32 v14, v14, v101 :: v_dual_add_f32 v15, v99, v12
	s_delay_alu instid0(VALU_DEP_2) | instskip(NEXT) | instid1(VALU_DEP_1)
	v_sub_f32_e32 v13, v13, v102
	v_dual_add_f32 v13, v14, v13 :: v_dual_sub_f32 v14, v15, v99
	s_delay_alu instid0(VALU_DEP_1) | instskip(NEXT) | instid1(VALU_DEP_2)
	v_add_f32_e32 v13, v15, v13
	v_sub_f32_e32 v15, v15, v14
	v_sub_f32_e32 v12, v12, v14
	s_delay_alu instid0(VALU_DEP_2) | instskip(NEXT) | instid1(VALU_DEP_1)
	v_dual_add_f32 v100, v17, v13 :: v_dual_sub_f32 v15, v99, v15
	v_sub_f32_e32 v14, v100, v17
	s_delay_alu instid0(VALU_DEP_1) | instskip(NEXT) | instid1(VALU_DEP_1)
	v_dual_add_f32 v12, v12, v15 :: v_dual_sub_f32 v13, v13, v14
	v_add_f32_e32 v12, v12, v13
	s_delay_alu instid0(VALU_DEP_1) | instskip(NEXT) | instid1(VALU_DEP_1)
	v_add_f32_e32 v12, v100, v12
	v_cndmask_b32_e32 v99, v12, v8, vcc_lo
.LBB126_94:                             ;   in Loop: Header=BB126_12 Depth=1
	s_or_b32 exec_lo, exec_lo, s30
	v_cvt_f32_f16_e32 v8, v9
	s_delay_alu instid0(VALU_DEP_1) | instskip(NEXT) | instid1(VALU_DEP_1)
	v_add_f32_e32 v100, s67, v8
	v_cmp_ge_f32_e32 vcc_lo, 0x41a00000, v100
	s_and_b32 s29, s80, vcc_lo
	s_delay_alu instid0(SALU_CYCLE_1)
	s_and_saveexec_b32 s30, s29
	s_cbranch_execz .LBB126_96
; %bb.95:                               ;   in Loop: Header=BB126_12 Depth=1
	v_mul_f32_e32 v8, 0x3fb8aa3b, v100
	v_cmp_ngt_f32_e32 vcc_lo, 0xc2ce8ed0, v100
	s_delay_alu instid0(VALU_DEP_2) | instskip(SKIP_1) | instid1(VALU_DEP_2)
	v_rndne_f32_e32 v12, v8
	v_fma_f32 v13, 0x3fb8aa3b, v100, -v8
	v_sub_f32_e32 v8, v8, v12
	s_delay_alu instid0(VALU_DEP_2) | instskip(SKIP_1) | instid1(VALU_DEP_2)
	v_fmac_f32_e32 v13, 0x32a5705f, v100
	v_cvt_i32_f32_e32 v12, v12
	v_add_f32_e32 v8, v8, v13
	s_delay_alu instid0(VALU_DEP_1) | instskip(SKIP_2) | instid1(VALU_DEP_1)
	v_exp_f32_e32 v8, v8
	s_waitcnt_depctr 0xfff
	v_ldexp_f32 v8, v8, v12
	v_cndmask_b32_e32 v8, 0, v8, vcc_lo
	v_cmp_nlt_f32_e32 vcc_lo, 0x42b17218, v100
	s_delay_alu instid0(VALU_DEP_2) | instskip(NEXT) | instid1(VALU_DEP_1)
	v_cndmask_b32_e32 v8, 0x7f800000, v8, vcc_lo
	v_add_f32_e32 v14, 1.0, v8
	s_delay_alu instid0(VALU_DEP_1) | instskip(NEXT) | instid1(VALU_DEP_1)
	v_cvt_f64_f32_e32 v[12:13], v14
	v_frexp_exp_i32_f64_e32 v12, v[12:13]
	v_frexp_mant_f32_e32 v13, v14
	s_delay_alu instid0(VALU_DEP_1) | instskip(SKIP_1) | instid1(VALU_DEP_1)
	v_cmp_gt_f32_e32 vcc_lo, 0x3f2aaaab, v13
	v_add_f32_e32 v13, -1.0, v14
	v_sub_f32_e32 v17, v13, v14
	v_sub_f32_e32 v13, v8, v13
	s_delay_alu instid0(VALU_DEP_2) | instskip(NEXT) | instid1(VALU_DEP_1)
	v_add_f32_e32 v17, 1.0, v17
	v_add_f32_e32 v13, v13, v17
	v_cmp_gt_f32_e64 s29, 0x33800000, v8
	v_subrev_co_ci_u32_e32 v12, vcc_lo, 0, v12, vcc_lo
	v_cmp_eq_f32_e32 vcc_lo, 0x7f800000, v8
	s_delay_alu instid0(VALU_DEP_2) | instskip(SKIP_2) | instid1(VALU_DEP_2)
	v_sub_nc_u32_e32 v15, 0, v12
	v_cvt_f32_i32_e32 v12, v12
	s_or_b32 vcc_lo, s29, vcc_lo
	v_ldexp_f32 v14, v14, v15
	v_ldexp_f32 v13, v13, v15
	s_delay_alu instid0(VALU_DEP_2) | instskip(SKIP_1) | instid1(VALU_DEP_2)
	v_add_f32_e32 v100, 1.0, v14
	v_add_f32_e32 v15, -1.0, v14
	v_add_f32_e32 v17, -1.0, v100
	s_delay_alu instid0(VALU_DEP_2) | instskip(NEXT) | instid1(VALU_DEP_2)
	v_add_f32_e32 v101, 1.0, v15
	v_sub_f32_e32 v17, v14, v17
	s_delay_alu instid0(VALU_DEP_2) | instskip(NEXT) | instid1(VALU_DEP_2)
	v_sub_f32_e32 v14, v14, v101
	v_add_f32_e32 v17, v13, v17
	s_delay_alu instid0(VALU_DEP_1) | instskip(NEXT) | instid1(VALU_DEP_1)
	v_add_f32_e32 v101, v100, v17
	v_dual_add_f32 v13, v13, v14 :: v_dual_sub_f32 v100, v100, v101
	v_rcp_f32_e32 v14, v101
	s_delay_alu instid0(VALU_DEP_1) | instskip(NEXT) | instid1(VALU_DEP_1)
	v_dual_add_f32 v102, v15, v13 :: v_dual_add_f32 v17, v17, v100
	v_sub_f32_e32 v15, v15, v102
	s_waitcnt_depctr 0xfff
	v_mul_f32_e32 v103, v102, v14
	v_add_f32_e32 v13, v13, v15
	s_delay_alu instid0(VALU_DEP_2) | instskip(NEXT) | instid1(VALU_DEP_1)
	v_mul_f32_e32 v104, v101, v103
	v_fma_f32 v100, v103, v101, -v104
	s_delay_alu instid0(VALU_DEP_1) | instskip(NEXT) | instid1(VALU_DEP_1)
	v_fmac_f32_e32 v100, v103, v17
	v_add_f32_e32 v105, v104, v100
	s_delay_alu instid0(VALU_DEP_1) | instskip(NEXT) | instid1(VALU_DEP_1)
	v_dual_sub_f32 v106, v102, v105 :: v_dual_sub_f32 v15, v105, v104
	v_dual_sub_f32 v102, v102, v106 :: v_dual_sub_f32 v15, v15, v100
	s_delay_alu instid0(VALU_DEP_1) | instskip(NEXT) | instid1(VALU_DEP_1)
	v_sub_f32_e32 v102, v102, v105
	v_add_f32_e32 v13, v13, v102
	s_delay_alu instid0(VALU_DEP_1) | instskip(NEXT) | instid1(VALU_DEP_1)
	v_add_f32_e32 v13, v15, v13
	v_add_f32_e32 v15, v106, v13
	s_delay_alu instid0(VALU_DEP_1) | instskip(NEXT) | instid1(VALU_DEP_1)
	v_mul_f32_e32 v100, v14, v15
	v_dual_sub_f32 v105, v106, v15 :: v_dual_mul_f32 v102, v101, v100
	s_delay_alu instid0(VALU_DEP_1) | instskip(NEXT) | instid1(VALU_DEP_2)
	v_add_f32_e32 v13, v13, v105
	v_fma_f32 v101, v100, v101, -v102
	s_delay_alu instid0(VALU_DEP_1) | instskip(NEXT) | instid1(VALU_DEP_1)
	v_fmac_f32_e32 v101, v100, v17
	v_add_f32_e32 v17, v102, v101
	s_delay_alu instid0(VALU_DEP_1) | instskip(NEXT) | instid1(VALU_DEP_1)
	v_sub_f32_e32 v104, v15, v17
	v_dual_sub_f32 v102, v17, v102 :: v_dual_sub_f32 v15, v15, v104
	s_delay_alu instid0(VALU_DEP_1) | instskip(NEXT) | instid1(VALU_DEP_2)
	v_sub_f32_e32 v15, v15, v17
	v_sub_f32_e32 v17, v102, v101
	s_delay_alu instid0(VALU_DEP_2) | instskip(SKIP_1) | instid1(VALU_DEP_2)
	v_add_f32_e32 v13, v13, v15
	v_add_f32_e32 v15, v103, v100
	;; [unrolled: 1-line block ×3, first 2 shown]
	s_delay_alu instid0(VALU_DEP_2) | instskip(NEXT) | instid1(VALU_DEP_2)
	v_sub_f32_e32 v17, v15, v103
	v_add_f32_e32 v13, v104, v13
	s_delay_alu instid0(VALU_DEP_2) | instskip(NEXT) | instid1(VALU_DEP_2)
	v_sub_f32_e32 v17, v100, v17
	v_mul_f32_e32 v13, v14, v13
	s_delay_alu instid0(VALU_DEP_1) | instskip(NEXT) | instid1(VALU_DEP_1)
	v_add_f32_e32 v13, v17, v13
	v_add_f32_e32 v14, v15, v13
	s_delay_alu instid0(VALU_DEP_1) | instskip(NEXT) | instid1(VALU_DEP_1)
	v_mul_f32_e32 v17, v14, v14
	v_fmaak_f32 v100, s84, v17, 0x3ecc95a3
	v_mul_f32_e32 v101, v14, v17
	s_delay_alu instid0(VALU_DEP_2) | instskip(SKIP_1) | instid1(VALU_DEP_2)
	v_fmaak_f32 v17, v17, v100, 0x3f2aaada
	v_ldexp_f32 v100, v14, 1
	v_dual_sub_f32 v14, v14, v15 :: v_dual_mul_f32 v17, v101, v17
	v_mul_f32_e32 v101, 0x3f317218, v12
	s_delay_alu instid0(VALU_DEP_2) | instskip(NEXT) | instid1(VALU_DEP_3)
	v_sub_f32_e32 v13, v13, v14
	v_add_f32_e32 v15, v100, v17
	s_delay_alu instid0(VALU_DEP_2) | instskip(NEXT) | instid1(VALU_DEP_2)
	v_ldexp_f32 v13, v13, 1
	v_sub_f32_e32 v14, v15, v100
	v_fma_f32 v100, 0x3f317218, v12, -v101
	s_delay_alu instid0(VALU_DEP_2) | instskip(NEXT) | instid1(VALU_DEP_2)
	v_sub_f32_e32 v14, v17, v14
	v_fmac_f32_e32 v100, 0xb102e308, v12
	s_delay_alu instid0(VALU_DEP_2) | instskip(NEXT) | instid1(VALU_DEP_2)
	v_add_f32_e32 v12, v13, v14
	v_add_f32_e32 v13, v101, v100
	s_delay_alu instid0(VALU_DEP_1) | instskip(NEXT) | instid1(VALU_DEP_1)
	v_dual_add_f32 v14, v15, v12 :: v_dual_sub_f32 v101, v13, v101
	v_add_f32_e32 v17, v13, v14
	s_delay_alu instid0(VALU_DEP_2) | instskip(NEXT) | instid1(VALU_DEP_2)
	v_dual_sub_f32 v15, v14, v15 :: v_dual_sub_f32 v100, v100, v101
	v_sub_f32_e32 v102, v17, v13
	s_delay_alu instid0(VALU_DEP_1) | instskip(NEXT) | instid1(VALU_DEP_1)
	v_dual_sub_f32 v12, v12, v15 :: v_dual_sub_f32 v103, v17, v102
	v_dual_sub_f32 v14, v14, v102 :: v_dual_add_f32 v15, v100, v12
	s_delay_alu instid0(VALU_DEP_2) | instskip(NEXT) | instid1(VALU_DEP_1)
	v_sub_f32_e32 v13, v13, v103
	v_dual_add_f32 v13, v14, v13 :: v_dual_sub_f32 v14, v15, v100
	s_delay_alu instid0(VALU_DEP_1) | instskip(NEXT) | instid1(VALU_DEP_2)
	v_add_f32_e32 v13, v15, v13
	v_sub_f32_e32 v15, v15, v14
	s_delay_alu instid0(VALU_DEP_2) | instskip(NEXT) | instid1(VALU_DEP_1)
	v_dual_sub_f32 v12, v12, v14 :: v_dual_add_f32 v101, v17, v13
	v_dual_sub_f32 v15, v100, v15 :: v_dual_sub_f32 v14, v101, v17
	s_delay_alu instid0(VALU_DEP_1) | instskip(NEXT) | instid1(VALU_DEP_1)
	v_dual_add_f32 v12, v12, v15 :: v_dual_sub_f32 v13, v13, v14
	v_add_f32_e32 v12, v12, v13
	s_delay_alu instid0(VALU_DEP_1) | instskip(NEXT) | instid1(VALU_DEP_1)
	v_add_f32_e32 v12, v101, v12
	v_cndmask_b32_e32 v100, v12, v8, vcc_lo
.LBB126_96:                             ;   in Loop: Header=BB126_12 Depth=1
	s_or_b32 exec_lo, exec_lo, s30
	v_lshrrev_b32_e32 v8, 16, v9
	s_delay_alu instid0(VALU_DEP_1) | instskip(NEXT) | instid1(VALU_DEP_1)
	v_cvt_f32_f16_e32 v8, v8
	v_add_f32_e32 v101, s67, v8
	s_delay_alu instid0(VALU_DEP_1) | instskip(SKIP_1) | instid1(SALU_CYCLE_1)
	v_cmp_ge_f32_e32 vcc_lo, 0x41a00000, v101
	s_and_b32 s29, s80, vcc_lo
	s_and_saveexec_b32 s30, s29
	s_cbranch_execz .LBB126_98
; %bb.97:                               ;   in Loop: Header=BB126_12 Depth=1
	v_mul_f32_e32 v8, 0x3fb8aa3b, v101
	v_cmp_ngt_f32_e32 vcc_lo, 0xc2ce8ed0, v101
	s_delay_alu instid0(VALU_DEP_2) | instskip(SKIP_1) | instid1(VALU_DEP_2)
	v_rndne_f32_e32 v9, v8
	v_fma_f32 v12, 0x3fb8aa3b, v101, -v8
	v_sub_f32_e32 v8, v8, v9
	s_delay_alu instid0(VALU_DEP_2) | instskip(SKIP_1) | instid1(VALU_DEP_2)
	v_fmac_f32_e32 v12, 0x32a5705f, v101
	v_cvt_i32_f32_e32 v9, v9
	v_add_f32_e32 v8, v8, v12
	s_delay_alu instid0(VALU_DEP_1) | instskip(SKIP_2) | instid1(VALU_DEP_1)
	v_exp_f32_e32 v8, v8
	s_waitcnt_depctr 0xfff
	v_ldexp_f32 v8, v8, v9
	v_cndmask_b32_e32 v8, 0, v8, vcc_lo
	v_cmp_nlt_f32_e32 vcc_lo, 0x42b17218, v101
	s_delay_alu instid0(VALU_DEP_2) | instskip(NEXT) | instid1(VALU_DEP_1)
	v_cndmask_b32_e32 v12, 0x7f800000, v8, vcc_lo
	v_add_f32_e32 v13, 1.0, v12
	s_delay_alu instid0(VALU_DEP_1) | instskip(NEXT) | instid1(VALU_DEP_1)
	v_cvt_f64_f32_e32 v[8:9], v13
	v_frexp_exp_i32_f64_e32 v8, v[8:9]
	v_frexp_mant_f32_e32 v9, v13
	s_delay_alu instid0(VALU_DEP_1) | instskip(SKIP_1) | instid1(VALU_DEP_1)
	v_cmp_gt_f32_e32 vcc_lo, 0x3f2aaaab, v9
	v_add_f32_e32 v9, -1.0, v13
	v_sub_f32_e32 v15, v9, v13
	s_delay_alu instid0(VALU_DEP_1) | instskip(SKIP_1) | instid1(VALU_DEP_1)
	v_add_f32_e32 v15, 1.0, v15
	v_subrev_co_ci_u32_e32 v8, vcc_lo, 0, v8, vcc_lo
	v_sub_nc_u32_e32 v14, 0, v8
	v_cvt_f32_i32_e32 v8, v8
	s_delay_alu instid0(VALU_DEP_2) | instskip(NEXT) | instid1(VALU_DEP_1)
	v_ldexp_f32 v13, v13, v14
	v_add_f32_e32 v17, 1.0, v13
	v_sub_f32_e32 v9, v12, v9
	v_cmp_eq_f32_e32 vcc_lo, 0x7f800000, v12
	v_cmp_gt_f32_e64 s29, 0x33800000, v12
	s_delay_alu instid0(VALU_DEP_3) | instskip(NEXT) | instid1(VALU_DEP_2)
	v_add_f32_e32 v9, v9, v15
	s_or_b32 vcc_lo, s29, vcc_lo
	s_delay_alu instid0(VALU_DEP_1) | instskip(SKIP_2) | instid1(VALU_DEP_1)
	v_ldexp_f32 v9, v9, v14
	v_add_f32_e32 v14, -1.0, v13
	v_add_f32_e32 v15, -1.0, v17
	v_sub_f32_e32 v15, v13, v15
	s_delay_alu instid0(VALU_DEP_3) | instskip(NEXT) | instid1(VALU_DEP_2)
	v_add_f32_e32 v101, 1.0, v14
	v_add_f32_e32 v15, v9, v15
	s_delay_alu instid0(VALU_DEP_2) | instskip(NEXT) | instid1(VALU_DEP_2)
	v_sub_f32_e32 v13, v13, v101
	v_add_f32_e32 v101, v17, v15
	s_delay_alu instid0(VALU_DEP_2) | instskip(NEXT) | instid1(VALU_DEP_2)
	v_add_f32_e32 v9, v9, v13
	v_rcp_f32_e32 v13, v101
	s_delay_alu instid0(VALU_DEP_1) | instskip(NEXT) | instid1(VALU_DEP_1)
	v_add_f32_e32 v102, v14, v9
	v_dual_sub_f32 v17, v17, v101 :: v_dual_sub_f32 v14, v14, v102
	s_delay_alu instid0(VALU_DEP_1) | instskip(SKIP_2) | instid1(VALU_DEP_1)
	v_add_f32_e32 v15, v15, v17
	s_waitcnt_depctr 0xfff
	v_mul_f32_e32 v103, v102, v13
	v_mul_f32_e32 v104, v101, v103
	s_delay_alu instid0(VALU_DEP_1) | instskip(NEXT) | instid1(VALU_DEP_1)
	v_fma_f32 v17, v103, v101, -v104
	v_fmac_f32_e32 v17, v103, v15
	v_add_f32_e32 v9, v9, v14
	s_delay_alu instid0(VALU_DEP_2) | instskip(NEXT) | instid1(VALU_DEP_1)
	v_add_f32_e32 v105, v104, v17
	v_sub_f32_e32 v106, v102, v105
	v_sub_f32_e32 v14, v105, v104
	s_delay_alu instid0(VALU_DEP_2) | instskip(NEXT) | instid1(VALU_DEP_2)
	v_sub_f32_e32 v102, v102, v106
	v_sub_f32_e32 v14, v14, v17
	s_delay_alu instid0(VALU_DEP_2) | instskip(NEXT) | instid1(VALU_DEP_1)
	v_sub_f32_e32 v102, v102, v105
	v_add_f32_e32 v9, v9, v102
	s_delay_alu instid0(VALU_DEP_1) | instskip(NEXT) | instid1(VALU_DEP_1)
	v_add_f32_e32 v9, v14, v9
	v_add_f32_e32 v14, v106, v9
	s_delay_alu instid0(VALU_DEP_1) | instskip(NEXT) | instid1(VALU_DEP_1)
	v_mul_f32_e32 v17, v13, v14
	v_dual_sub_f32 v105, v106, v14 :: v_dual_mul_f32 v102, v101, v17
	s_delay_alu instid0(VALU_DEP_1) | instskip(NEXT) | instid1(VALU_DEP_2)
	v_add_f32_e32 v9, v9, v105
	v_fma_f32 v101, v17, v101, -v102
	s_delay_alu instid0(VALU_DEP_1) | instskip(NEXT) | instid1(VALU_DEP_1)
	v_fmac_f32_e32 v101, v17, v15
	v_add_f32_e32 v15, v102, v101
	s_delay_alu instid0(VALU_DEP_1) | instskip(SKIP_1) | instid1(VALU_DEP_2)
	v_sub_f32_e32 v104, v14, v15
	v_sub_f32_e32 v102, v15, v102
	;; [unrolled: 1-line block ×3, first 2 shown]
	s_delay_alu instid0(VALU_DEP_1) | instskip(NEXT) | instid1(VALU_DEP_1)
	v_sub_f32_e32 v14, v14, v15
	v_dual_add_f32 v9, v9, v14 :: v_dual_add_f32 v14, v103, v17
	s_delay_alu instid0(VALU_DEP_4) | instskip(NEXT) | instid1(VALU_DEP_1)
	v_sub_f32_e32 v15, v102, v101
	v_add_f32_e32 v9, v15, v9
	s_delay_alu instid0(VALU_DEP_3) | instskip(NEXT) | instid1(VALU_DEP_2)
	v_sub_f32_e32 v15, v14, v103
	v_add_f32_e32 v9, v104, v9
	s_delay_alu instid0(VALU_DEP_2) | instskip(NEXT) | instid1(VALU_DEP_2)
	v_sub_f32_e32 v15, v17, v15
	v_mul_f32_e32 v9, v13, v9
	s_delay_alu instid0(VALU_DEP_1) | instskip(NEXT) | instid1(VALU_DEP_1)
	v_add_f32_e32 v9, v15, v9
	v_add_f32_e32 v13, v14, v9
	s_delay_alu instid0(VALU_DEP_1) | instskip(NEXT) | instid1(VALU_DEP_1)
	v_mul_f32_e32 v15, v13, v13
	v_fmaak_f32 v17, s84, v15, 0x3ecc95a3
	v_mul_f32_e32 v101, v13, v15
	s_delay_alu instid0(VALU_DEP_2) | instskip(SKIP_2) | instid1(VALU_DEP_3)
	v_fmaak_f32 v15, v15, v17, 0x3f2aaada
	v_ldexp_f32 v17, v13, 1
	v_sub_f32_e32 v13, v13, v14
	v_mul_f32_e32 v15, v101, v15
	v_mul_f32_e32 v101, 0x3f317218, v8
	s_delay_alu instid0(VALU_DEP_3) | instskip(NEXT) | instid1(VALU_DEP_3)
	v_sub_f32_e32 v9, v9, v13
	v_add_f32_e32 v14, v17, v15
	s_delay_alu instid0(VALU_DEP_2) | instskip(NEXT) | instid1(VALU_DEP_2)
	v_ldexp_f32 v9, v9, 1
	v_sub_f32_e32 v13, v14, v17
	v_fma_f32 v17, 0x3f317218, v8, -v101
	s_delay_alu instid0(VALU_DEP_2) | instskip(NEXT) | instid1(VALU_DEP_1)
	v_sub_f32_e32 v13, v15, v13
	v_dual_fmac_f32 v17, 0xb102e308, v8 :: v_dual_add_f32 v8, v9, v13
	s_delay_alu instid0(VALU_DEP_1) | instskip(NEXT) | instid1(VALU_DEP_2)
	v_add_f32_e32 v9, v101, v17
	v_add_f32_e32 v13, v14, v8
	s_delay_alu instid0(VALU_DEP_2) | instskip(NEXT) | instid1(VALU_DEP_2)
	v_sub_f32_e32 v101, v9, v101
	v_add_f32_e32 v15, v9, v13
	v_sub_f32_e32 v14, v13, v14
	s_delay_alu instid0(VALU_DEP_3) | instskip(NEXT) | instid1(VALU_DEP_3)
	v_sub_f32_e32 v17, v17, v101
	v_sub_f32_e32 v102, v15, v9
	s_delay_alu instid0(VALU_DEP_3) | instskip(NEXT) | instid1(VALU_DEP_2)
	v_sub_f32_e32 v8, v8, v14
	v_sub_f32_e32 v103, v15, v102
	;; [unrolled: 1-line block ×3, first 2 shown]
	s_delay_alu instid0(VALU_DEP_3) | instskip(NEXT) | instid1(VALU_DEP_3)
	v_add_f32_e32 v14, v17, v8
	v_sub_f32_e32 v9, v9, v103
	s_delay_alu instid0(VALU_DEP_1) | instskip(NEXT) | instid1(VALU_DEP_3)
	v_add_f32_e32 v9, v13, v9
	v_sub_f32_e32 v13, v14, v17
	s_delay_alu instid0(VALU_DEP_2) | instskip(NEXT) | instid1(VALU_DEP_2)
	v_add_f32_e32 v9, v14, v9
	v_sub_f32_e32 v14, v14, v13
	v_sub_f32_e32 v8, v8, v13
	s_delay_alu instid0(VALU_DEP_2) | instskip(NEXT) | instid1(VALU_DEP_1)
	v_dual_add_f32 v101, v15, v9 :: v_dual_sub_f32 v14, v17, v14
	v_dual_sub_f32 v13, v101, v15 :: v_dual_add_f32 v8, v8, v14
	s_delay_alu instid0(VALU_DEP_1) | instskip(NEXT) | instid1(VALU_DEP_1)
	v_sub_f32_e32 v9, v9, v13
	v_add_f32_e32 v8, v8, v9
	s_delay_alu instid0(VALU_DEP_1) | instskip(NEXT) | instid1(VALU_DEP_1)
	v_add_f32_e32 v8, v101, v8
	v_cndmask_b32_e32 v101, v8, v12, vcc_lo
.LBB126_98:                             ;   in Loop: Header=BB126_12 Depth=1
	s_or_b32 exec_lo, exec_lo, s30
	v_cvt_f32_f16_e32 v8, v10
	s_delay_alu instid0(VALU_DEP_1) | instskip(NEXT) | instid1(VALU_DEP_1)
	v_add_f32_e32 v102, s67, v8
	v_cmp_ge_f32_e32 vcc_lo, 0x41a00000, v102
	s_and_b32 s29, s80, vcc_lo
	s_delay_alu instid0(SALU_CYCLE_1)
	s_and_saveexec_b32 s30, s29
	s_cbranch_execz .LBB126_100
; %bb.99:                               ;   in Loop: Header=BB126_12 Depth=1
	v_mul_f32_e32 v8, 0x3fb8aa3b, v102
	v_cmp_ngt_f32_e32 vcc_lo, 0xc2ce8ed0, v102
	s_delay_alu instid0(VALU_DEP_2) | instskip(SKIP_1) | instid1(VALU_DEP_2)
	v_rndne_f32_e32 v9, v8
	v_fma_f32 v12, 0x3fb8aa3b, v102, -v8
	v_sub_f32_e32 v8, v8, v9
	s_delay_alu instid0(VALU_DEP_2) | instskip(SKIP_1) | instid1(VALU_DEP_2)
	v_fmac_f32_e32 v12, 0x32a5705f, v102
	v_cvt_i32_f32_e32 v9, v9
	v_add_f32_e32 v8, v8, v12
	s_delay_alu instid0(VALU_DEP_1) | instskip(SKIP_2) | instid1(VALU_DEP_1)
	v_exp_f32_e32 v8, v8
	s_waitcnt_depctr 0xfff
	v_ldexp_f32 v8, v8, v9
	v_cndmask_b32_e32 v8, 0, v8, vcc_lo
	v_cmp_nlt_f32_e32 vcc_lo, 0x42b17218, v102
	s_delay_alu instid0(VALU_DEP_2) | instskip(NEXT) | instid1(VALU_DEP_1)
	v_cndmask_b32_e32 v12, 0x7f800000, v8, vcc_lo
	v_add_f32_e32 v13, 1.0, v12
	s_delay_alu instid0(VALU_DEP_1) | instskip(NEXT) | instid1(VALU_DEP_1)
	v_cvt_f64_f32_e32 v[8:9], v13
	v_frexp_exp_i32_f64_e32 v8, v[8:9]
	v_frexp_mant_f32_e32 v9, v13
	s_delay_alu instid0(VALU_DEP_1) | instskip(SKIP_1) | instid1(VALU_DEP_1)
	v_cmp_gt_f32_e32 vcc_lo, 0x3f2aaaab, v9
	v_add_f32_e32 v9, -1.0, v13
	v_sub_f32_e32 v15, v9, v13
	s_delay_alu instid0(VALU_DEP_1) | instskip(SKIP_1) | instid1(VALU_DEP_1)
	v_add_f32_e32 v15, 1.0, v15
	v_subrev_co_ci_u32_e32 v8, vcc_lo, 0, v8, vcc_lo
	v_sub_nc_u32_e32 v14, 0, v8
	v_cvt_f32_i32_e32 v8, v8
	s_delay_alu instid0(VALU_DEP_2) | instskip(NEXT) | instid1(VALU_DEP_1)
	v_ldexp_f32 v13, v13, v14
	v_add_f32_e32 v17, 1.0, v13
	v_sub_f32_e32 v9, v12, v9
	v_cmp_eq_f32_e32 vcc_lo, 0x7f800000, v12
	v_cmp_gt_f32_e64 s29, 0x33800000, v12
	s_delay_alu instid0(VALU_DEP_3) | instskip(NEXT) | instid1(VALU_DEP_2)
	v_add_f32_e32 v9, v9, v15
	s_or_b32 vcc_lo, s29, vcc_lo
	s_delay_alu instid0(VALU_DEP_1) | instskip(SKIP_1) | instid1(VALU_DEP_1)
	v_ldexp_f32 v9, v9, v14
	v_add_f32_e32 v14, -1.0, v13
	v_dual_add_f32 v15, -1.0, v17 :: v_dual_add_f32 v102, 1.0, v14
	s_delay_alu instid0(VALU_DEP_1) | instskip(NEXT) | instid1(VALU_DEP_2)
	v_sub_f32_e32 v15, v13, v15
	v_sub_f32_e32 v13, v13, v102
	s_delay_alu instid0(VALU_DEP_2) | instskip(NEXT) | instid1(VALU_DEP_2)
	v_add_f32_e32 v15, v9, v15
	v_add_f32_e32 v9, v9, v13
	s_delay_alu instid0(VALU_DEP_1) | instskip(NEXT) | instid1(VALU_DEP_1)
	v_dual_add_f32 v102, v17, v15 :: v_dual_add_f32 v103, v14, v9
	v_rcp_f32_e32 v13, v102
	s_delay_alu instid0(VALU_DEP_1) | instskip(NEXT) | instid1(VALU_DEP_1)
	v_dual_sub_f32 v17, v17, v102 :: v_dual_sub_f32 v14, v14, v103
	v_add_f32_e32 v15, v15, v17
	s_waitcnt_depctr 0xfff
	v_dual_add_f32 v9, v9, v14 :: v_dual_mul_f32 v104, v103, v13
	s_delay_alu instid0(VALU_DEP_1) | instskip(NEXT) | instid1(VALU_DEP_1)
	v_mul_f32_e32 v105, v102, v104
	v_fma_f32 v17, v104, v102, -v105
	s_delay_alu instid0(VALU_DEP_1) | instskip(NEXT) | instid1(VALU_DEP_1)
	v_fmac_f32_e32 v17, v104, v15
	v_add_f32_e32 v106, v105, v17
	s_delay_alu instid0(VALU_DEP_1) | instskip(NEXT) | instid1(VALU_DEP_1)
	v_sub_f32_e32 v107, v103, v106
	v_dual_sub_f32 v103, v103, v107 :: v_dual_sub_f32 v14, v106, v105
	s_delay_alu instid0(VALU_DEP_1) | instskip(NEXT) | instid1(VALU_DEP_1)
	v_dual_sub_f32 v103, v103, v106 :: v_dual_sub_f32 v14, v14, v17
	v_add_f32_e32 v9, v9, v103
	s_delay_alu instid0(VALU_DEP_1) | instskip(NEXT) | instid1(VALU_DEP_1)
	v_add_f32_e32 v9, v14, v9
	v_add_f32_e32 v14, v107, v9
	s_delay_alu instid0(VALU_DEP_1) | instskip(NEXT) | instid1(VALU_DEP_1)
	v_mul_f32_e32 v17, v13, v14
	v_dual_sub_f32 v106, v107, v14 :: v_dual_mul_f32 v103, v102, v17
	s_delay_alu instid0(VALU_DEP_1) | instskip(NEXT) | instid1(VALU_DEP_2)
	v_add_f32_e32 v9, v9, v106
	v_fma_f32 v102, v17, v102, -v103
	s_delay_alu instid0(VALU_DEP_1) | instskip(NEXT) | instid1(VALU_DEP_1)
	v_fmac_f32_e32 v102, v17, v15
	v_add_f32_e32 v15, v103, v102
	s_delay_alu instid0(VALU_DEP_1) | instskip(NEXT) | instid1(VALU_DEP_1)
	v_sub_f32_e32 v105, v14, v15
	v_dual_sub_f32 v103, v15, v103 :: v_dual_sub_f32 v14, v14, v105
	s_delay_alu instid0(VALU_DEP_1) | instskip(NEXT) | instid1(VALU_DEP_1)
	v_dual_sub_f32 v14, v14, v15 :: v_dual_sub_f32 v15, v103, v102
	v_dual_add_f32 v9, v9, v14 :: v_dual_add_f32 v14, v104, v17
	s_delay_alu instid0(VALU_DEP_1) | instskip(NEXT) | instid1(VALU_DEP_2)
	v_add_f32_e32 v9, v15, v9
	v_sub_f32_e32 v15, v14, v104
	s_delay_alu instid0(VALU_DEP_2) | instskip(NEXT) | instid1(VALU_DEP_2)
	v_add_f32_e32 v9, v105, v9
	v_sub_f32_e32 v15, v17, v15
	s_delay_alu instid0(VALU_DEP_2) | instskip(NEXT) | instid1(VALU_DEP_1)
	v_mul_f32_e32 v9, v13, v9
	v_add_f32_e32 v9, v15, v9
	s_delay_alu instid0(VALU_DEP_1) | instskip(NEXT) | instid1(VALU_DEP_1)
	v_add_f32_e32 v13, v14, v9
	v_mul_f32_e32 v15, v13, v13
	s_delay_alu instid0(VALU_DEP_1) | instskip(NEXT) | instid1(VALU_DEP_1)
	v_fmaak_f32 v17, s84, v15, 0x3ecc95a3
	v_dual_mul_f32 v102, v13, v15 :: v_dual_fmaak_f32 v15, v15, v17, 0x3f2aaada
	v_ldexp_f32 v17, v13, 1
	v_sub_f32_e32 v13, v13, v14
	s_delay_alu instid0(VALU_DEP_3) | instskip(NEXT) | instid1(VALU_DEP_2)
	v_dual_mul_f32 v15, v102, v15 :: v_dual_mul_f32 v102, 0x3f317218, v8
	v_sub_f32_e32 v9, v9, v13
	s_delay_alu instid0(VALU_DEP_2) | instskip(NEXT) | instid1(VALU_DEP_2)
	v_add_f32_e32 v14, v17, v15
	v_ldexp_f32 v9, v9, 1
	s_delay_alu instid0(VALU_DEP_2) | instskip(SKIP_1) | instid1(VALU_DEP_2)
	v_sub_f32_e32 v13, v14, v17
	v_fma_f32 v17, 0x3f317218, v8, -v102
	v_sub_f32_e32 v13, v15, v13
	s_delay_alu instid0(VALU_DEP_1) | instskip(NEXT) | instid1(VALU_DEP_1)
	v_dual_fmac_f32 v17, 0xb102e308, v8 :: v_dual_add_f32 v8, v9, v13
	v_add_f32_e32 v9, v102, v17
	s_delay_alu instid0(VALU_DEP_1) | instskip(NEXT) | instid1(VALU_DEP_1)
	v_dual_add_f32 v13, v14, v8 :: v_dual_sub_f32 v102, v9, v102
	v_add_f32_e32 v15, v9, v13
	v_sub_f32_e32 v14, v13, v14
	s_delay_alu instid0(VALU_DEP_3) | instskip(NEXT) | instid1(VALU_DEP_2)
	v_sub_f32_e32 v17, v17, v102
	v_dual_sub_f32 v103, v15, v9 :: v_dual_sub_f32 v8, v8, v14
	s_delay_alu instid0(VALU_DEP_1) | instskip(SKIP_1) | instid1(VALU_DEP_3)
	v_sub_f32_e32 v104, v15, v103
	v_sub_f32_e32 v13, v13, v103
	v_add_f32_e32 v14, v17, v8
	s_delay_alu instid0(VALU_DEP_3) | instskip(NEXT) | instid1(VALU_DEP_1)
	v_sub_f32_e32 v9, v9, v104
	v_add_f32_e32 v9, v13, v9
	s_delay_alu instid0(VALU_DEP_3) | instskip(NEXT) | instid1(VALU_DEP_2)
	v_sub_f32_e32 v13, v14, v17
	v_add_f32_e32 v9, v14, v9
	s_delay_alu instid0(VALU_DEP_2) | instskip(SKIP_1) | instid1(VALU_DEP_3)
	v_sub_f32_e32 v14, v14, v13
	v_sub_f32_e32 v8, v8, v13
	v_add_f32_e32 v102, v15, v9
	s_delay_alu instid0(VALU_DEP_1) | instskip(NEXT) | instid1(VALU_DEP_1)
	v_dual_sub_f32 v14, v17, v14 :: v_dual_sub_f32 v13, v102, v15
	v_dual_add_f32 v8, v8, v14 :: v_dual_sub_f32 v9, v9, v13
	s_delay_alu instid0(VALU_DEP_1) | instskip(NEXT) | instid1(VALU_DEP_1)
	v_add_f32_e32 v8, v8, v9
	v_add_f32_e32 v8, v102, v8
	s_delay_alu instid0(VALU_DEP_1)
	v_cndmask_b32_e32 v102, v8, v12, vcc_lo
.LBB126_100:                            ;   in Loop: Header=BB126_12 Depth=1
	s_or_b32 exec_lo, exec_lo, s30
	v_lshrrev_b32_e32 v8, 16, v10
	s_delay_alu instid0(VALU_DEP_1) | instskip(NEXT) | instid1(VALU_DEP_1)
	v_cvt_f32_f16_e32 v8, v8
	v_add_f32_e32 v103, s67, v8
	s_delay_alu instid0(VALU_DEP_1) | instskip(SKIP_1) | instid1(SALU_CYCLE_1)
	v_cmp_ge_f32_e32 vcc_lo, 0x41a00000, v103
	s_and_b32 s29, s80, vcc_lo
	s_and_saveexec_b32 s30, s29
	s_cbranch_execz .LBB126_102
; %bb.101:                              ;   in Loop: Header=BB126_12 Depth=1
	v_mul_f32_e32 v8, 0x3fb8aa3b, v103
	v_cmp_ngt_f32_e32 vcc_lo, 0xc2ce8ed0, v103
	s_delay_alu instid0(VALU_DEP_2) | instskip(SKIP_1) | instid1(VALU_DEP_2)
	v_rndne_f32_e32 v9, v8
	v_fma_f32 v10, 0x3fb8aa3b, v103, -v8
	v_sub_f32_e32 v8, v8, v9
	s_delay_alu instid0(VALU_DEP_2) | instskip(SKIP_1) | instid1(VALU_DEP_2)
	v_fmac_f32_e32 v10, 0x32a5705f, v103
	v_cvt_i32_f32_e32 v9, v9
	v_add_f32_e32 v8, v8, v10
	s_delay_alu instid0(VALU_DEP_1) | instskip(SKIP_2) | instid1(VALU_DEP_1)
	v_exp_f32_e32 v8, v8
	s_waitcnt_depctr 0xfff
	v_ldexp_f32 v8, v8, v9
	v_cndmask_b32_e32 v8, 0, v8, vcc_lo
	v_cmp_nlt_f32_e32 vcc_lo, 0x42b17218, v103
	s_delay_alu instid0(VALU_DEP_2) | instskip(NEXT) | instid1(VALU_DEP_1)
	v_cndmask_b32_e32 v10, 0x7f800000, v8, vcc_lo
	v_add_f32_e32 v12, 1.0, v10
	s_delay_alu instid0(VALU_DEP_1) | instskip(NEXT) | instid1(VALU_DEP_1)
	v_cvt_f64_f32_e32 v[8:9], v12
	v_frexp_exp_i32_f64_e32 v8, v[8:9]
	v_frexp_mant_f32_e32 v9, v12
	s_delay_alu instid0(VALU_DEP_1) | instskip(SKIP_1) | instid1(VALU_DEP_1)
	v_cmp_gt_f32_e32 vcc_lo, 0x3f2aaaab, v9
	v_add_f32_e32 v9, -1.0, v12
	v_dual_sub_f32 v14, v9, v12 :: v_dual_sub_f32 v9, v10, v9
	v_subrev_co_ci_u32_e32 v8, vcc_lo, 0, v8, vcc_lo
	s_delay_alu instid0(VALU_DEP_1) | instskip(SKIP_1) | instid1(VALU_DEP_2)
	v_sub_nc_u32_e32 v13, 0, v8
	v_cvt_f32_i32_e32 v8, v8
	v_ldexp_f32 v12, v12, v13
	s_delay_alu instid0(VALU_DEP_1) | instskip(NEXT) | instid1(VALU_DEP_1)
	v_dual_add_f32 v14, 1.0, v14 :: v_dual_add_f32 v15, 1.0, v12
	v_add_f32_e32 v9, v9, v14
	s_delay_alu instid0(VALU_DEP_1) | instskip(NEXT) | instid1(VALU_DEP_3)
	v_ldexp_f32 v9, v9, v13
	v_dual_add_f32 v13, -1.0, v12 :: v_dual_add_f32 v14, -1.0, v15
	s_delay_alu instid0(VALU_DEP_1) | instskip(NEXT) | instid1(VALU_DEP_1)
	v_dual_add_f32 v17, 1.0, v13 :: v_dual_sub_f32 v14, v12, v14
	v_sub_f32_e32 v12, v12, v17
	s_delay_alu instid0(VALU_DEP_2) | instskip(NEXT) | instid1(VALU_DEP_2)
	v_add_f32_e32 v14, v9, v14
	v_add_f32_e32 v9, v9, v12
	s_delay_alu instid0(VALU_DEP_2) | instskip(SKIP_2) | instid1(VALU_DEP_4)
	v_add_f32_e32 v17, v15, v14
	v_cmp_eq_f32_e32 vcc_lo, 0x7f800000, v10
	v_cmp_gt_f32_e64 s29, 0x33800000, v10
	v_add_f32_e32 v103, v13, v9
	s_delay_alu instid0(VALU_DEP_4) | instskip(SKIP_1) | instid1(VALU_DEP_3)
	v_rcp_f32_e32 v12, v17
	v_sub_f32_e32 v15, v15, v17
	s_or_b32 vcc_lo, s29, vcc_lo
	s_delay_alu instid0(VALU_DEP_2) | instskip(NEXT) | instid1(VALU_DEP_1)
	v_sub_f32_e32 v13, v13, v103
	v_dual_add_f32 v14, v14, v15 :: v_dual_add_f32 v9, v9, v13
	s_waitcnt_depctr 0xfff
	v_mul_f32_e32 v104, v103, v12
	s_delay_alu instid0(VALU_DEP_1) | instskip(NEXT) | instid1(VALU_DEP_1)
	v_mul_f32_e32 v105, v17, v104
	v_fma_f32 v15, v104, v17, -v105
	s_delay_alu instid0(VALU_DEP_1) | instskip(NEXT) | instid1(VALU_DEP_1)
	v_fmac_f32_e32 v15, v104, v14
	v_add_f32_e32 v106, v105, v15
	s_delay_alu instid0(VALU_DEP_1) | instskip(SKIP_1) | instid1(VALU_DEP_2)
	v_sub_f32_e32 v107, v103, v106
	v_sub_f32_e32 v13, v106, v105
	;; [unrolled: 1-line block ×3, first 2 shown]
	s_delay_alu instid0(VALU_DEP_2) | instskip(NEXT) | instid1(VALU_DEP_2)
	v_sub_f32_e32 v13, v13, v15
	v_sub_f32_e32 v103, v103, v106
	s_delay_alu instid0(VALU_DEP_1) | instskip(NEXT) | instid1(VALU_DEP_1)
	v_add_f32_e32 v9, v9, v103
	v_add_f32_e32 v9, v13, v9
	s_delay_alu instid0(VALU_DEP_1) | instskip(NEXT) | instid1(VALU_DEP_1)
	v_add_f32_e32 v13, v107, v9
	v_mul_f32_e32 v15, v12, v13
	s_delay_alu instid0(VALU_DEP_1) | instskip(NEXT) | instid1(VALU_DEP_1)
	v_dual_sub_f32 v106, v107, v13 :: v_dual_mul_f32 v103, v17, v15
	v_add_f32_e32 v9, v9, v106
	s_delay_alu instid0(VALU_DEP_2) | instskip(NEXT) | instid1(VALU_DEP_1)
	v_fma_f32 v17, v15, v17, -v103
	v_fmac_f32_e32 v17, v15, v14
	s_delay_alu instid0(VALU_DEP_1) | instskip(NEXT) | instid1(VALU_DEP_1)
	v_add_f32_e32 v14, v103, v17
	v_sub_f32_e32 v105, v13, v14
	v_sub_f32_e32 v103, v14, v103
	s_delay_alu instid0(VALU_DEP_2) | instskip(NEXT) | instid1(VALU_DEP_1)
	v_sub_f32_e32 v13, v13, v105
	v_dual_sub_f32 v13, v13, v14 :: v_dual_sub_f32 v14, v103, v17
	s_delay_alu instid0(VALU_DEP_1) | instskip(SKIP_1) | instid1(VALU_DEP_1)
	v_add_f32_e32 v9, v9, v13
	v_add_f32_e32 v13, v104, v15
	v_dual_add_f32 v9, v14, v9 :: v_dual_sub_f32 v14, v13, v104
	s_delay_alu instid0(VALU_DEP_1) | instskip(NEXT) | instid1(VALU_DEP_1)
	v_dual_add_f32 v9, v105, v9 :: v_dual_sub_f32 v14, v15, v14
	v_mul_f32_e32 v9, v12, v9
	s_delay_alu instid0(VALU_DEP_1) | instskip(NEXT) | instid1(VALU_DEP_1)
	v_add_f32_e32 v9, v14, v9
	v_add_f32_e32 v12, v13, v9
	s_delay_alu instid0(VALU_DEP_1) | instskip(NEXT) | instid1(VALU_DEP_1)
	v_mul_f32_e32 v14, v12, v12
	v_fmaak_f32 v15, s84, v14, 0x3ecc95a3
	s_delay_alu instid0(VALU_DEP_1) | instskip(SKIP_2) | instid1(VALU_DEP_3)
	v_dual_mul_f32 v17, v12, v14 :: v_dual_fmaak_f32 v14, v14, v15, 0x3f2aaada
	v_ldexp_f32 v15, v12, 1
	v_sub_f32_e32 v12, v12, v13
	v_dual_mul_f32 v14, v17, v14 :: v_dual_mul_f32 v17, 0x3f317218, v8
	s_delay_alu instid0(VALU_DEP_2) | instskip(NEXT) | instid1(VALU_DEP_2)
	v_sub_f32_e32 v9, v9, v12
	v_add_f32_e32 v13, v15, v14
	s_delay_alu instid0(VALU_DEP_2) | instskip(NEXT) | instid1(VALU_DEP_2)
	v_ldexp_f32 v9, v9, 1
	v_sub_f32_e32 v12, v13, v15
	v_fma_f32 v15, 0x3f317218, v8, -v17
	s_delay_alu instid0(VALU_DEP_2) | instskip(NEXT) | instid1(VALU_DEP_2)
	v_sub_f32_e32 v12, v14, v12
	v_fmac_f32_e32 v15, 0xb102e308, v8
	s_delay_alu instid0(VALU_DEP_2) | instskip(NEXT) | instid1(VALU_DEP_2)
	v_add_f32_e32 v8, v9, v12
	v_add_f32_e32 v9, v17, v15
	s_delay_alu instid0(VALU_DEP_2) | instskip(NEXT) | instid1(VALU_DEP_2)
	v_add_f32_e32 v12, v13, v8
	v_sub_f32_e32 v17, v9, v17
	s_delay_alu instid0(VALU_DEP_2) | instskip(NEXT) | instid1(VALU_DEP_2)
	v_dual_add_f32 v14, v9, v12 :: v_dual_sub_f32 v13, v12, v13
	v_sub_f32_e32 v15, v15, v17
	s_delay_alu instid0(VALU_DEP_2) | instskip(NEXT) | instid1(VALU_DEP_3)
	v_sub_f32_e32 v103, v14, v9
	v_sub_f32_e32 v8, v8, v13
	s_delay_alu instid0(VALU_DEP_2) | instskip(NEXT) | instid1(VALU_DEP_2)
	v_sub_f32_e32 v104, v14, v103
	v_dual_sub_f32 v12, v12, v103 :: v_dual_add_f32 v13, v15, v8
	s_delay_alu instid0(VALU_DEP_2) | instskip(NEXT) | instid1(VALU_DEP_1)
	v_sub_f32_e32 v9, v9, v104
	v_dual_add_f32 v9, v12, v9 :: v_dual_sub_f32 v12, v13, v15
	s_delay_alu instid0(VALU_DEP_1) | instskip(NEXT) | instid1(VALU_DEP_2)
	v_add_f32_e32 v9, v13, v9
	v_sub_f32_e32 v13, v13, v12
	s_delay_alu instid0(VALU_DEP_2) | instskip(NEXT) | instid1(VALU_DEP_1)
	v_dual_sub_f32 v8, v8, v12 :: v_dual_add_f32 v17, v14, v9
	v_dual_sub_f32 v13, v15, v13 :: v_dual_sub_f32 v12, v17, v14
	s_delay_alu instid0(VALU_DEP_1) | instskip(NEXT) | instid1(VALU_DEP_1)
	v_dual_add_f32 v8, v8, v13 :: v_dual_sub_f32 v9, v9, v12
	v_add_f32_e32 v8, v8, v9
	s_delay_alu instid0(VALU_DEP_1) | instskip(NEXT) | instid1(VALU_DEP_1)
	v_add_f32_e32 v8, v17, v8
	v_cndmask_b32_e32 v103, v8, v10, vcc_lo
.LBB126_102:                            ;   in Loop: Header=BB126_12 Depth=1
	s_or_b32 exec_lo, exec_lo, s30
	v_cvt_f32_f16_e32 v8, v11
	s_delay_alu instid0(VALU_DEP_1) | instskip(NEXT) | instid1(VALU_DEP_1)
	v_add_f32_e32 v104, s67, v8
	v_cmp_ge_f32_e32 vcc_lo, 0x41a00000, v104
	s_and_b32 s29, s80, vcc_lo
	s_delay_alu instid0(SALU_CYCLE_1)
	s_and_saveexec_b32 s30, s29
	s_cbranch_execz .LBB126_104
; %bb.103:                              ;   in Loop: Header=BB126_12 Depth=1
	v_mul_f32_e32 v8, 0x3fb8aa3b, v104
	v_cmp_ngt_f32_e32 vcc_lo, 0xc2ce8ed0, v104
	s_delay_alu instid0(VALU_DEP_2) | instskip(SKIP_1) | instid1(VALU_DEP_2)
	v_rndne_f32_e32 v9, v8
	v_fma_f32 v10, 0x3fb8aa3b, v104, -v8
	v_sub_f32_e32 v8, v8, v9
	s_delay_alu instid0(VALU_DEP_2) | instskip(SKIP_1) | instid1(VALU_DEP_2)
	v_fmac_f32_e32 v10, 0x32a5705f, v104
	v_cvt_i32_f32_e32 v9, v9
	v_add_f32_e32 v8, v8, v10
	s_delay_alu instid0(VALU_DEP_1) | instskip(SKIP_2) | instid1(VALU_DEP_1)
	v_exp_f32_e32 v8, v8
	s_waitcnt_depctr 0xfff
	v_ldexp_f32 v8, v8, v9
	v_cndmask_b32_e32 v8, 0, v8, vcc_lo
	v_cmp_nlt_f32_e32 vcc_lo, 0x42b17218, v104
	s_delay_alu instid0(VALU_DEP_2) | instskip(NEXT) | instid1(VALU_DEP_1)
	v_cndmask_b32_e32 v10, 0x7f800000, v8, vcc_lo
	v_add_f32_e32 v12, 1.0, v10
	s_delay_alu instid0(VALU_DEP_1) | instskip(NEXT) | instid1(VALU_DEP_1)
	v_cvt_f64_f32_e32 v[8:9], v12
	v_frexp_exp_i32_f64_e32 v8, v[8:9]
	v_frexp_mant_f32_e32 v9, v12
	s_delay_alu instid0(VALU_DEP_1) | instskip(SKIP_1) | instid1(VALU_DEP_1)
	v_cmp_gt_f32_e32 vcc_lo, 0x3f2aaaab, v9
	v_add_f32_e32 v9, -1.0, v12
	v_dual_sub_f32 v14, v9, v12 :: v_dual_sub_f32 v9, v10, v9
	v_subrev_co_ci_u32_e32 v8, vcc_lo, 0, v8, vcc_lo
	s_delay_alu instid0(VALU_DEP_1) | instskip(SKIP_1) | instid1(VALU_DEP_2)
	v_sub_nc_u32_e32 v13, 0, v8
	v_cvt_f32_i32_e32 v8, v8
	v_ldexp_f32 v12, v12, v13
	s_delay_alu instid0(VALU_DEP_1) | instskip(NEXT) | instid1(VALU_DEP_1)
	v_dual_add_f32 v14, 1.0, v14 :: v_dual_add_f32 v15, 1.0, v12
	v_add_f32_e32 v9, v9, v14
	s_delay_alu instid0(VALU_DEP_1) | instskip(NEXT) | instid1(VALU_DEP_3)
	v_ldexp_f32 v9, v9, v13
	v_dual_add_f32 v13, -1.0, v12 :: v_dual_add_f32 v14, -1.0, v15
	s_delay_alu instid0(VALU_DEP_1) | instskip(NEXT) | instid1(VALU_DEP_1)
	v_dual_add_f32 v17, 1.0, v13 :: v_dual_sub_f32 v14, v12, v14
	v_sub_f32_e32 v12, v12, v17
	s_delay_alu instid0(VALU_DEP_2) | instskip(NEXT) | instid1(VALU_DEP_2)
	v_add_f32_e32 v14, v9, v14
	v_add_f32_e32 v9, v9, v12
	s_delay_alu instid0(VALU_DEP_2) | instskip(SKIP_2) | instid1(VALU_DEP_4)
	v_add_f32_e32 v17, v15, v14
	v_cmp_eq_f32_e32 vcc_lo, 0x7f800000, v10
	v_cmp_gt_f32_e64 s29, 0x33800000, v10
	v_add_f32_e32 v104, v13, v9
	s_delay_alu instid0(VALU_DEP_4) | instskip(SKIP_1) | instid1(VALU_DEP_3)
	v_rcp_f32_e32 v12, v17
	v_sub_f32_e32 v15, v15, v17
	s_or_b32 vcc_lo, s29, vcc_lo
	s_delay_alu instid0(VALU_DEP_2) | instskip(NEXT) | instid1(VALU_DEP_1)
	v_sub_f32_e32 v13, v13, v104
	v_add_f32_e32 v9, v9, v13
	s_waitcnt_depctr 0xfff
	v_dual_mul_f32 v105, v104, v12 :: v_dual_add_f32 v14, v14, v15
	s_delay_alu instid0(VALU_DEP_1) | instskip(NEXT) | instid1(VALU_DEP_1)
	v_mul_f32_e32 v106, v17, v105
	v_fma_f32 v15, v105, v17, -v106
	s_delay_alu instid0(VALU_DEP_1) | instskip(NEXT) | instid1(VALU_DEP_1)
	v_fmac_f32_e32 v15, v105, v14
	v_add_f32_e32 v107, v106, v15
	s_delay_alu instid0(VALU_DEP_1) | instskip(NEXT) | instid1(VALU_DEP_1)
	v_dual_sub_f32 v13, v107, v106 :: v_dual_sub_f32 v108, v104, v107
	v_dual_sub_f32 v13, v13, v15 :: v_dual_sub_f32 v104, v104, v108
	s_delay_alu instid0(VALU_DEP_1) | instskip(NEXT) | instid1(VALU_DEP_1)
	v_sub_f32_e32 v104, v104, v107
	v_add_f32_e32 v9, v9, v104
	s_delay_alu instid0(VALU_DEP_1) | instskip(NEXT) | instid1(VALU_DEP_1)
	v_add_f32_e32 v9, v13, v9
	v_add_f32_e32 v13, v108, v9
	s_delay_alu instid0(VALU_DEP_1) | instskip(NEXT) | instid1(VALU_DEP_1)
	v_mul_f32_e32 v15, v12, v13
	v_mul_f32_e32 v104, v17, v15
	s_delay_alu instid0(VALU_DEP_1) | instskip(NEXT) | instid1(VALU_DEP_1)
	v_fma_f32 v17, v15, v17, -v104
	v_fmac_f32_e32 v17, v15, v14
	s_delay_alu instid0(VALU_DEP_1) | instskip(NEXT) | instid1(VALU_DEP_1)
	v_add_f32_e32 v14, v104, v17
	v_dual_sub_f32 v107, v108, v13 :: v_dual_sub_f32 v106, v13, v14
	s_delay_alu instid0(VALU_DEP_1) | instskip(NEXT) | instid1(VALU_DEP_2)
	v_dual_sub_f32 v13, v13, v106 :: v_dual_sub_f32 v104, v14, v104
	v_add_f32_e32 v9, v9, v107
	s_delay_alu instid0(VALU_DEP_2) | instskip(NEXT) | instid1(VALU_DEP_1)
	v_dual_sub_f32 v13, v13, v14 :: v_dual_sub_f32 v14, v104, v17
	v_add_f32_e32 v9, v9, v13
	v_add_f32_e32 v13, v105, v15
	s_delay_alu instid0(VALU_DEP_2) | instskip(NEXT) | instid1(VALU_DEP_2)
	v_add_f32_e32 v9, v14, v9
	v_sub_f32_e32 v14, v13, v105
	s_delay_alu instid0(VALU_DEP_1) | instskip(NEXT) | instid1(VALU_DEP_1)
	v_dual_add_f32 v9, v106, v9 :: v_dual_sub_f32 v14, v15, v14
	v_mul_f32_e32 v9, v12, v9
	s_delay_alu instid0(VALU_DEP_1) | instskip(NEXT) | instid1(VALU_DEP_1)
	v_add_f32_e32 v9, v14, v9
	v_add_f32_e32 v12, v13, v9
	s_delay_alu instid0(VALU_DEP_1) | instskip(NEXT) | instid1(VALU_DEP_1)
	v_mul_f32_e32 v14, v12, v12
	v_fmaak_f32 v15, s84, v14, 0x3ecc95a3
	s_delay_alu instid0(VALU_DEP_1) | instskip(SKIP_1) | instid1(VALU_DEP_2)
	v_dual_mul_f32 v17, v12, v14 :: v_dual_fmaak_f32 v14, v14, v15, 0x3f2aaada
	v_ldexp_f32 v15, v12, 1
	v_mul_f32_e32 v14, v17, v14
	v_dual_sub_f32 v12, v12, v13 :: v_dual_mul_f32 v17, 0x3f317218, v8
	s_delay_alu instid0(VALU_DEP_2) | instskip(NEXT) | instid1(VALU_DEP_2)
	v_add_f32_e32 v13, v15, v14
	v_sub_f32_e32 v9, v9, v12
	s_delay_alu instid0(VALU_DEP_2) | instskip(NEXT) | instid1(VALU_DEP_4)
	v_sub_f32_e32 v12, v13, v15
	v_fma_f32 v15, 0x3f317218, v8, -v17
	s_delay_alu instid0(VALU_DEP_3) | instskip(NEXT) | instid1(VALU_DEP_3)
	v_ldexp_f32 v9, v9, 1
	v_sub_f32_e32 v12, v14, v12
	s_delay_alu instid0(VALU_DEP_3) | instskip(NEXT) | instid1(VALU_DEP_2)
	v_fmac_f32_e32 v15, 0xb102e308, v8
	v_add_f32_e32 v8, v9, v12
	s_delay_alu instid0(VALU_DEP_1) | instskip(NEXT) | instid1(VALU_DEP_3)
	v_add_f32_e32 v12, v13, v8
	v_add_f32_e32 v9, v17, v15
	s_delay_alu instid0(VALU_DEP_1) | instskip(NEXT) | instid1(VALU_DEP_1)
	v_dual_sub_f32 v13, v12, v13 :: v_dual_add_f32 v14, v9, v12
	v_sub_f32_e32 v8, v8, v13
	s_delay_alu instid0(VALU_DEP_2) | instskip(NEXT) | instid1(VALU_DEP_1)
	v_sub_f32_e32 v104, v14, v9
	v_dual_sub_f32 v12, v12, v104 :: v_dual_sub_f32 v17, v9, v17
	s_delay_alu instid0(VALU_DEP_1) | instskip(NEXT) | instid1(VALU_DEP_1)
	v_sub_f32_e32 v15, v15, v17
	v_add_f32_e32 v13, v15, v8
	v_sub_f32_e32 v105, v14, v104
	s_delay_alu instid0(VALU_DEP_1) | instskip(NEXT) | instid1(VALU_DEP_1)
	v_sub_f32_e32 v9, v9, v105
	v_dual_add_f32 v9, v12, v9 :: v_dual_sub_f32 v12, v13, v15
	s_delay_alu instid0(VALU_DEP_1) | instskip(NEXT) | instid1(VALU_DEP_2)
	v_add_f32_e32 v9, v13, v9
	v_sub_f32_e32 v13, v13, v12
	s_delay_alu instid0(VALU_DEP_2) | instskip(NEXT) | instid1(VALU_DEP_1)
	v_dual_sub_f32 v8, v8, v12 :: v_dual_add_f32 v17, v14, v9
	v_dual_sub_f32 v12, v17, v14 :: v_dual_sub_f32 v13, v15, v13
	s_delay_alu instid0(VALU_DEP_1) | instskip(NEXT) | instid1(VALU_DEP_1)
	v_dual_sub_f32 v9, v9, v12 :: v_dual_add_f32 v8, v8, v13
	v_add_f32_e32 v8, v8, v9
	s_delay_alu instid0(VALU_DEP_1) | instskip(NEXT) | instid1(VALU_DEP_1)
	v_add_f32_e32 v8, v17, v8
	v_cndmask_b32_e32 v104, v8, v10, vcc_lo
.LBB126_104:                            ;   in Loop: Header=BB126_12 Depth=1
	s_or_b32 exec_lo, exec_lo, s30
	v_lshrrev_b32_e32 v8, 16, v11
	s_delay_alu instid0(VALU_DEP_1) | instskip(NEXT) | instid1(VALU_DEP_1)
	v_cvt_f32_f16_e32 v8, v8
	v_add_f32_e32 v111, s67, v8
	s_delay_alu instid0(VALU_DEP_1) | instskip(SKIP_1) | instid1(SALU_CYCLE_1)
	v_cmp_ge_f32_e32 vcc_lo, 0x41a00000, v111
	s_and_b32 s29, s80, vcc_lo
	s_and_saveexec_b32 s30, s29
	s_cbranch_execz .LBB126_106
; %bb.105:                              ;   in Loop: Header=BB126_12 Depth=1
	v_mul_f32_e32 v8, 0x3fb8aa3b, v111
	v_cmp_ngt_f32_e32 vcc_lo, 0xc2ce8ed0, v111
	s_delay_alu instid0(VALU_DEP_2) | instskip(SKIP_1) | instid1(VALU_DEP_2)
	v_rndne_f32_e32 v9, v8
	v_fma_f32 v10, 0x3fb8aa3b, v111, -v8
	v_sub_f32_e32 v8, v8, v9
	s_delay_alu instid0(VALU_DEP_2) | instskip(SKIP_1) | instid1(VALU_DEP_2)
	v_fmac_f32_e32 v10, 0x32a5705f, v111
	v_cvt_i32_f32_e32 v9, v9
	v_add_f32_e32 v8, v8, v10
	s_delay_alu instid0(VALU_DEP_1) | instskip(SKIP_2) | instid1(VALU_DEP_1)
	v_exp_f32_e32 v8, v8
	s_waitcnt_depctr 0xfff
	v_ldexp_f32 v8, v8, v9
	v_cndmask_b32_e32 v8, 0, v8, vcc_lo
	v_cmp_nlt_f32_e32 vcc_lo, 0x42b17218, v111
	s_delay_alu instid0(VALU_DEP_2) | instskip(NEXT) | instid1(VALU_DEP_1)
	v_cndmask_b32_e32 v10, 0x7f800000, v8, vcc_lo
	v_add_f32_e32 v11, 1.0, v10
	s_delay_alu instid0(VALU_DEP_1) | instskip(NEXT) | instid1(VALU_DEP_1)
	v_cvt_f64_f32_e32 v[8:9], v11
	v_frexp_exp_i32_f64_e32 v8, v[8:9]
	v_frexp_mant_f32_e32 v9, v11
	s_delay_alu instid0(VALU_DEP_1) | instskip(SKIP_1) | instid1(VALU_DEP_1)
	v_cmp_gt_f32_e32 vcc_lo, 0x3f2aaaab, v9
	v_add_f32_e32 v9, -1.0, v11
	v_sub_f32_e32 v13, v9, v11
	v_sub_f32_e32 v9, v10, v9
	s_delay_alu instid0(VALU_DEP_2) | instskip(NEXT) | instid1(VALU_DEP_1)
	v_add_f32_e32 v13, 1.0, v13
	v_add_f32_e32 v9, v9, v13
	v_cmp_gt_f32_e64 s29, 0x33800000, v10
	v_subrev_co_ci_u32_e32 v8, vcc_lo, 0, v8, vcc_lo
	v_cmp_eq_f32_e32 vcc_lo, 0x7f800000, v10
	s_delay_alu instid0(VALU_DEP_2) | instskip(SKIP_2) | instid1(VALU_DEP_2)
	v_sub_nc_u32_e32 v12, 0, v8
	v_cvt_f32_i32_e32 v8, v8
	s_or_b32 vcc_lo, s29, vcc_lo
	v_ldexp_f32 v11, v11, v12
	v_ldexp_f32 v9, v9, v12
	s_delay_alu instid0(VALU_DEP_2) | instskip(NEXT) | instid1(VALU_DEP_1)
	v_add_f32_e32 v14, 1.0, v11
	v_dual_add_f32 v12, -1.0, v11 :: v_dual_add_f32 v13, -1.0, v14
	s_delay_alu instid0(VALU_DEP_1) | instskip(NEXT) | instid1(VALU_DEP_2)
	v_add_f32_e32 v15, 1.0, v12
	v_sub_f32_e32 v13, v11, v13
	s_delay_alu instid0(VALU_DEP_2) | instskip(NEXT) | instid1(VALU_DEP_2)
	v_sub_f32_e32 v11, v11, v15
	v_add_f32_e32 v13, v9, v13
	s_delay_alu instid0(VALU_DEP_2) | instskip(NEXT) | instid1(VALU_DEP_1)
	v_add_f32_e32 v9, v9, v11
	v_add_f32_e32 v17, v12, v9
	s_delay_alu instid0(VALU_DEP_3) | instskip(NEXT) | instid1(VALU_DEP_2)
	v_add_f32_e32 v15, v14, v13
	v_sub_f32_e32 v12, v12, v17
	s_delay_alu instid0(VALU_DEP_2) | instskip(SKIP_1) | instid1(VALU_DEP_1)
	v_rcp_f32_e32 v11, v15
	v_sub_f32_e32 v14, v14, v15
	v_add_f32_e32 v13, v13, v14
	s_waitcnt_depctr 0xfff
	v_mul_f32_e32 v105, v17, v11
	s_delay_alu instid0(VALU_DEP_1) | instskip(NEXT) | instid1(VALU_DEP_1)
	v_dual_mul_f32 v106, v15, v105 :: v_dual_add_f32 v9, v9, v12
	v_fma_f32 v14, v105, v15, -v106
	s_delay_alu instid0(VALU_DEP_1) | instskip(NEXT) | instid1(VALU_DEP_1)
	v_fmac_f32_e32 v14, v105, v13
	v_add_f32_e32 v107, v106, v14
	s_delay_alu instid0(VALU_DEP_1) | instskip(SKIP_1) | instid1(VALU_DEP_1)
	v_sub_f32_e32 v12, v107, v106
	v_sub_f32_e32 v108, v17, v107
	v_dual_sub_f32 v12, v12, v14 :: v_dual_sub_f32 v17, v17, v108
	s_delay_alu instid0(VALU_DEP_1) | instskip(NEXT) | instid1(VALU_DEP_1)
	v_sub_f32_e32 v17, v17, v107
	v_add_f32_e32 v9, v9, v17
	s_delay_alu instid0(VALU_DEP_1) | instskip(NEXT) | instid1(VALU_DEP_1)
	v_add_f32_e32 v9, v12, v9
	v_add_f32_e32 v12, v108, v9
	s_delay_alu instid0(VALU_DEP_1) | instskip(SKIP_1) | instid1(VALU_DEP_2)
	v_mul_f32_e32 v14, v11, v12
	v_sub_f32_e32 v107, v108, v12
	v_mul_f32_e32 v17, v15, v14
	s_delay_alu instid0(VALU_DEP_2) | instskip(NEXT) | instid1(VALU_DEP_2)
	v_add_f32_e32 v9, v9, v107
	v_fma_f32 v15, v14, v15, -v17
	s_delay_alu instid0(VALU_DEP_1) | instskip(NEXT) | instid1(VALU_DEP_1)
	v_fmac_f32_e32 v15, v14, v13
	v_add_f32_e32 v13, v17, v15
	s_delay_alu instid0(VALU_DEP_1) | instskip(NEXT) | instid1(VALU_DEP_1)
	v_sub_f32_e32 v106, v12, v13
	v_dual_sub_f32 v17, v13, v17 :: v_dual_sub_f32 v12, v12, v106
	s_delay_alu instid0(VALU_DEP_1) | instskip(NEXT) | instid1(VALU_DEP_1)
	v_dual_sub_f32 v12, v12, v13 :: v_dual_sub_f32 v13, v17, v15
	v_add_f32_e32 v9, v9, v12
	v_add_f32_e32 v12, v105, v14
	s_delay_alu instid0(VALU_DEP_2) | instskip(NEXT) | instid1(VALU_DEP_2)
	v_add_f32_e32 v9, v13, v9
	v_sub_f32_e32 v13, v12, v105
	s_delay_alu instid0(VALU_DEP_2) | instskip(NEXT) | instid1(VALU_DEP_2)
	v_add_f32_e32 v9, v106, v9
	v_sub_f32_e32 v13, v14, v13
	s_delay_alu instid0(VALU_DEP_2) | instskip(NEXT) | instid1(VALU_DEP_1)
	v_mul_f32_e32 v9, v11, v9
	v_add_f32_e32 v9, v13, v9
	s_delay_alu instid0(VALU_DEP_1) | instskip(NEXT) | instid1(VALU_DEP_1)
	v_add_f32_e32 v11, v12, v9
	v_mul_f32_e32 v13, v11, v11
	s_delay_alu instid0(VALU_DEP_1) | instskip(SKIP_1) | instid1(VALU_DEP_2)
	v_fmaak_f32 v14, s84, v13, 0x3ecc95a3
	v_mul_f32_e32 v15, v11, v13
	v_fmaak_f32 v13, v13, v14, 0x3f2aaada
	v_ldexp_f32 v14, v11, 1
	v_sub_f32_e32 v11, v11, v12
	s_delay_alu instid0(VALU_DEP_3) | instskip(SKIP_1) | instid1(VALU_DEP_2)
	v_mul_f32_e32 v13, v15, v13
	v_mul_f32_e32 v15, 0x3f317218, v8
	v_dual_sub_f32 v9, v9, v11 :: v_dual_add_f32 v12, v14, v13
	s_delay_alu instid0(VALU_DEP_1) | instskip(NEXT) | instid1(VALU_DEP_2)
	v_ldexp_f32 v9, v9, 1
	v_sub_f32_e32 v11, v12, v14
	s_delay_alu instid0(VALU_DEP_4) | instskip(NEXT) | instid1(VALU_DEP_1)
	v_fma_f32 v14, 0x3f317218, v8, -v15
	v_dual_sub_f32 v11, v13, v11 :: v_dual_fmac_f32 v14, 0xb102e308, v8
	s_delay_alu instid0(VALU_DEP_1) | instskip(NEXT) | instid1(VALU_DEP_1)
	v_dual_add_f32 v8, v9, v11 :: v_dual_add_f32 v9, v15, v14
	v_add_f32_e32 v11, v12, v8
	s_delay_alu instid0(VALU_DEP_2) | instskip(NEXT) | instid1(VALU_DEP_2)
	v_sub_f32_e32 v15, v9, v15
	v_dual_add_f32 v13, v9, v11 :: v_dual_sub_f32 v12, v11, v12
	s_delay_alu instid0(VALU_DEP_1) | instskip(NEXT) | instid1(VALU_DEP_1)
	v_dual_sub_f32 v14, v14, v15 :: v_dual_sub_f32 v17, v13, v9
	v_dual_sub_f32 v8, v8, v12 :: v_dual_sub_f32 v105, v13, v17
	s_delay_alu instid0(VALU_DEP_1) | instskip(NEXT) | instid1(VALU_DEP_2)
	v_dual_sub_f32 v11, v11, v17 :: v_dual_add_f32 v12, v14, v8
	v_sub_f32_e32 v9, v9, v105
	s_delay_alu instid0(VALU_DEP_1) | instskip(NEXT) | instid1(VALU_DEP_3)
	v_add_f32_e32 v9, v11, v9
	v_sub_f32_e32 v11, v12, v14
	s_delay_alu instid0(VALU_DEP_2) | instskip(NEXT) | instid1(VALU_DEP_2)
	v_add_f32_e32 v9, v12, v9
	v_sub_f32_e32 v12, v12, v11
	s_delay_alu instid0(VALU_DEP_2) | instskip(NEXT) | instid1(VALU_DEP_1)
	v_dual_sub_f32 v8, v8, v11 :: v_dual_add_f32 v15, v13, v9
	v_dual_sub_f32 v12, v14, v12 :: v_dual_sub_f32 v11, v15, v13
	s_delay_alu instid0(VALU_DEP_1) | instskip(NEXT) | instid1(VALU_DEP_1)
	v_dual_add_f32 v8, v8, v12 :: v_dual_sub_f32 v9, v9, v11
	v_add_f32_e32 v8, v8, v9
	s_delay_alu instid0(VALU_DEP_1) | instskip(NEXT) | instid1(VALU_DEP_1)
	v_add_f32_e32 v8, v15, v8
	v_cndmask_b32_e32 v111, v8, v10, vcc_lo
.LBB126_106:                            ;   in Loop: Header=BB126_12 Depth=1
	s_or_b32 exec_lo, exec_lo, s30
	v_lshrrev_b32_e32 v9, 16, v6
	v_lshrrev_b32_e32 v10, 16, v7
	;; [unrolled: 1-line block ×6, first 2 shown]
	v_cvt_f32_f16_e32 v8, v7
	v_cvt_f32_f16_e32 v7, v9
	;; [unrolled: 1-line block ×7, first 2 shown]
	v_lshrrev_b32_e32 v14, 16, v1
	v_lshrrev_b32_e32 v15, 16, v0
	v_cvt_f32_f16_e32 v6, v6
	v_cvt_f32_f16_e32 v5, v5
	;; [unrolled: 1-line block ×9, first 2 shown]
	v_dual_mul_f32 v105, s68, v8 :: v_dual_mul_f32 v106, s68, v7
	v_dual_mul_f32 v107, s68, v6 :: v_dual_mul_f32 v108, s68, v9
	;; [unrolled: 1-line block ×8, first 2 shown]
	s_and_b32 vcc_lo, exec_lo, s81
	s_barrier
	buffer_gl0_inv
	s_cbranch_vccz .LBB126_204
; %bb.107:                              ;   in Loop: Header=BB126_12 Depth=1
	v_dual_mul_f32 v122, v111, v11 :: v_dual_mul_f32 v127, v104, v8
	v_add_co_u32 v11, s29, s53, v16
	s_delay_alu instid0(VALU_DEP_1) | instskip(SKIP_1) | instid1(VALU_DEP_1)
	v_add_co_ci_u32_e64 v17, null, s74, 0, s29
	v_add_co_u32 v16, s29, s57, v16
	v_add_co_ci_u32_e64 v126, null, s75, 0, s29
	s_delay_alu instid0(VALU_DEP_4) | instskip(NEXT) | instid1(VALU_DEP_4)
	v_add_co_u32 v123, vcc_lo, v11, v89
	v_add_co_ci_u32_e32 v124, vcc_lo, 0, v17, vcc_lo
	s_delay_alu instid0(VALU_DEP_4) | instskip(NEXT) | instid1(VALU_DEP_4)
	v_add_co_u32 v125, vcc_lo, v16, v89
	v_add_co_ci_u32_e32 v126, vcc_lo, 0, v126, vcc_lo
	v_cmp_gt_u32_e32 vcc_lo, s41, v18
	s_cmp_lg_u32 s86, 0
	v_cmp_gt_u32_e64 s31, s41, v75
	s_cselect_b32 s51, -1, 0
	s_cmp_eq_u32 s86, s83
	v_cmp_gt_u32_e64 s33, s41, v76
	s_cselect_b32 s87, -1, 0
	s_or_b32 s29, s82, vcc_lo
	v_cmp_gt_u32_e32 vcc_lo, s41, v74
	v_cmp_gt_u32_e64 s34, s41, v77
	v_cmp_gt_u32_e64 s35, s41, v78
	;; [unrolled: 1-line block ×4, first 2 shown]
	s_or_b32 s30, s82, vcc_lo
	v_cmp_gt_u32_e32 vcc_lo, s41, v79
	v_cmp_gt_u32_e64 s39, s41, v82
	v_cmp_gt_u32_e64 s40, s41, v83
	;; [unrolled: 1-line block ×4, first 2 shown]
	s_or_b32 s36, s82, vcc_lo
	v_cmp_gt_u32_e32 vcc_lo, s41, v84
	v_cmp_gt_u32_e64 s44, s41, v87
	v_cmp_gt_u32_e64 s45, s41, v88
	v_dual_mul_f32 v128, v103, v7 :: v_dual_mul_f32 v129, v102, v6
	v_dual_mul_f32 v130, v101, v9 :: v_dual_mul_f32 v133, v98, v4
	;; [unrolled: 1-line block ×7, first 2 shown]
	s_mov_b32 s64, 0
	s_or_b32 s31, s82, s31
	s_or_b32 s33, s82, s33
	;; [unrolled: 1-line block ×8, first 2 shown]
	s_or_b32 s41, s82, vcc_lo
	s_or_b32 s42, s82, s42
	s_or_b32 s43, s82, s43
	;; [unrolled: 1-line block ×4, first 2 shown]
	s_mov_b32 s54, s64
	s_mov_b32 s58, s64
	;; [unrolled: 1-line block ×5, first 2 shown]
	s_branch .LBB126_109
.LBB126_108:                            ;   in Loop: Header=BB126_109 Depth=2
	s_or_b32 exec_lo, exec_lo, s46
	v_cndmask_b32_e64 v9, v171, v11, s12
	v_cndmask_b32_e64 v10, v170, v10, s12
	s_add_i32 s88, s88, -1
	s_add_i32 s89, s89, 8
	s_add_i32 s60, s60, s62
	v_fma_f32 v9, v9, v142, v15
	v_mul_f32_e32 v10, v10, v142
	s_add_i32 s58, s58, s56
	s_add_i32 s54, s54, s52
	;; [unrolled: 1-line block ×3, first 2 shown]
	v_cndmask_b32_e64 v9, v9, v15, s11
	v_cndmask_b32_e64 v10, v10, v142, s11
	s_cmp_eq_u32 s88, 0
	s_waitcnt lgkmcnt(0)
	s_delay_alu instid0(VALU_DEP_1) | instskip(NEXT) | instid1(VALU_DEP_1)
	v_fmac_f32_e32 v9, v8, v10
	v_fmac_f32_e32 v12, v9, v144
	s_delay_alu instid0(VALU_DEP_1) | instskip(NEXT) | instid1(VALU_DEP_1)
	v_fmac_f32_e32 v13, v12, v146
	v_fmac_f32_e32 v14, v13, v148
	v_fma_mix_f32 v121, v9, v4, v121 op_sel_hi:[0,1,0]
	s_delay_alu instid0(VALU_DEP_2) | instskip(SKIP_2) | instid1(VALU_DEP_3)
	v_fmac_f32_e32 v143, v14, v150
	v_fma_mix_f32 v120, v12, v4, v120 op_sel:[0,1,0] op_sel_hi:[0,1,0]
	v_fma_mix_f32 v118, v14, v5, v118 op_sel:[0,1,0] op_sel_hi:[0,1,0]
	v_fmac_f32_e32 v145, v143, v151
	v_fma_mix_f32 v117, v143, v6, v117 op_sel_hi:[0,1,0]
	s_delay_alu instid0(VALU_DEP_2) | instskip(SKIP_1) | instid1(VALU_DEP_2)
	v_fmac_f32_e32 v147, v145, v153
	v_fma_mix_f32 v115, v145, v6, v115 op_sel:[0,1,0] op_sel_hi:[0,1,0]
	v_fmac_f32_e32 v149, v147, v156
	s_delay_alu instid0(VALU_DEP_1) | instskip(SKIP_1) | instid1(VALU_DEP_2)
	v_fmac_f32_e32 v152, v149, v157
	v_fma_mix_f32 v119, v13, v5, v119 op_sel_hi:[0,1,0]
	v_fmac_f32_e32 v154, v152, v158
	v_fma_mix_f32 v114, v147, v7, v114 op_sel_hi:[0,1,0]
	v_fma_mix_f32 v112, v152, v0, v112 op_sel_hi:[0,1,0]
	s_delay_alu instid0(VALU_DEP_3) | instskip(SKIP_1) | instid1(VALU_DEP_2)
	v_fmac_f32_e32 v155, v154, v159
	v_fma_mix_f32 v110, v154, v0, v110 op_sel:[0,1,0] op_sel_hi:[0,1,0]
	v_fmac_f32_e32 v160, v155, v166
	v_fma_mix_f32 v109, v155, v1, v109 op_sel_hi:[0,1,0]
	s_delay_alu instid0(VALU_DEP_2) | instskip(NEXT) | instid1(VALU_DEP_1)
	v_fmac_f32_e32 v161, v160, v163
	v_fmac_f32_e32 v162, v161, v165
	v_fma_mix_f32 v113, v149, v7, v113 op_sel:[0,1,0] op_sel_hi:[0,1,0]
	s_delay_alu instid0(VALU_DEP_2) | instskip(SKIP_2) | instid1(VALU_DEP_3)
	v_fmac_f32_e32 v164, v162, v168
	v_fma_mix_f32 v107, v161, v2, v107 op_sel_hi:[0,1,0]
	v_fma_mix_f32 v106, v162, v2, v106 op_sel:[0,1,0] op_sel_hi:[0,1,0]
	v_fmac_f32_e32 v167, v164, v169
	v_fma_mix_f32 v108, v160, v1, v108 op_sel:[0,1,0] op_sel_hi:[0,1,0]
	v_fma_mix_f32 v105, v164, v3, v105 op_sel_hi:[0,1,0]
	s_delay_alu instid0(VALU_DEP_3)
	v_fma_mix_f32 v116, v167, v3, v116 op_sel:[0,1,0] op_sel_hi:[0,1,0]
	s_cbranch_scc1 .LBB126_204
.LBB126_109:                            ;   Parent Loop BB126_12 Depth=1
                                        ; =>  This Inner Loop Header: Depth=2
	s_lshl_b64 s[46:47], s[64:65], 2
	s_mov_b32 s55, s65
	s_add_u32 s46, s73, s46
	s_addc_u32 s47, s63, s47
	v_dual_mov_b32 v2, 0 :: v_dual_mov_b32 v3, 0
	global_load_b32 v142, v21, s[46:47]
	s_lshl_b64 s[46:47], s[54:55], 1
	s_delay_alu instid0(SALU_CYCLE_1)
	v_add_co_u32 v0, vcc_lo, v123, s46
	v_add_co_ci_u32_e32 v1, vcc_lo, s47, v124, vcc_lo
	s_and_saveexec_b32 s46, s13
	s_cbranch_execnz .LBB126_145
; %bb.110:                              ;   in Loop: Header=BB126_109 Depth=2
	s_or_b32 exec_lo, exec_lo, s46
	s_and_saveexec_b32 s46, s14
	s_cbranch_execnz .LBB126_146
.LBB126_111:                            ;   in Loop: Header=BB126_109 Depth=2
	s_or_b32 exec_lo, exec_lo, s46
	v_mov_b32_e32 v4, 0
	s_and_saveexec_b32 s46, s15
	s_cbranch_execnz .LBB126_147
.LBB126_112:                            ;   in Loop: Header=BB126_109 Depth=2
	s_or_b32 exec_lo, exec_lo, s46
	s_and_saveexec_b32 s46, s16
	s_cbranch_execnz .LBB126_148
.LBB126_113:                            ;   in Loop: Header=BB126_109 Depth=2
	s_or_b32 exec_lo, exec_lo, s46
	v_mov_b32_e32 v5, 0
	s_and_saveexec_b32 s46, s17
	s_cbranch_execnz .LBB126_149
.LBB126_114:                            ;   in Loop: Header=BB126_109 Depth=2
	s_or_b32 exec_lo, exec_lo, s46
	s_and_saveexec_b32 s46, s18
	s_cbranch_execnz .LBB126_150
.LBB126_115:                            ;   in Loop: Header=BB126_109 Depth=2
	s_or_b32 exec_lo, exec_lo, s46
	v_mov_b32_e32 v6, 0
	s_and_saveexec_b32 s46, s19
	s_cbranch_execnz .LBB126_151
.LBB126_116:                            ;   in Loop: Header=BB126_109 Depth=2
	s_or_b32 exec_lo, exec_lo, s46
	s_and_saveexec_b32 s46, s20
	s_cbranch_execnz .LBB126_152
.LBB126_117:                            ;   in Loop: Header=BB126_109 Depth=2
	s_or_b32 exec_lo, exec_lo, s46
	v_mov_b32_e32 v7, 0
	s_and_saveexec_b32 s46, s21
	s_cbranch_execnz .LBB126_153
.LBB126_118:                            ;   in Loop: Header=BB126_109 Depth=2
	s_or_b32 exec_lo, exec_lo, s46
	s_and_saveexec_b32 s46, s22
	s_cbranch_execnz .LBB126_154
.LBB126_119:                            ;   in Loop: Header=BB126_109 Depth=2
	s_or_b32 exec_lo, exec_lo, s46
	v_mov_b32_e32 v8, 0
	s_and_saveexec_b32 s46, s23
	s_cbranch_execnz .LBB126_155
.LBB126_120:                            ;   in Loop: Header=BB126_109 Depth=2
	s_or_b32 exec_lo, exec_lo, s46
	s_and_saveexec_b32 s46, s24
	s_cbranch_execnz .LBB126_156
.LBB126_121:                            ;   in Loop: Header=BB126_109 Depth=2
	s_or_b32 exec_lo, exec_lo, s46
	v_mov_b32_e32 v9, 0
	s_and_saveexec_b32 s46, s25
	s_cbranch_execnz .LBB126_157
.LBB126_122:                            ;   in Loop: Header=BB126_109 Depth=2
	s_or_b32 exec_lo, exec_lo, s46
	s_and_saveexec_b32 s46, s26
	s_cbranch_execnz .LBB126_158
.LBB126_123:                            ;   in Loop: Header=BB126_109 Depth=2
	s_or_b32 exec_lo, exec_lo, s46
	v_mov_b32_e32 v10, 0
	s_and_saveexec_b32 s46, s27
	s_cbranch_execnz .LBB126_159
.LBB126_124:                            ;   in Loop: Header=BB126_109 Depth=2
	s_or_b32 exec_lo, exec_lo, s46
	s_and_saveexec_b32 s46, s28
	s_cbranch_execz .LBB126_126
.LBB126_125:                            ;   in Loop: Header=BB126_109 Depth=2
	global_load_u16 v0, v[0:1], off offset:960
	s_waitcnt vmcnt(0)
	v_lshl_or_b32 v10, v0, 16, v10
.LBB126_126:                            ;   in Loop: Header=BB126_109 Depth=2
	s_or_b32 exec_lo, exec_lo, s46
	s_waitcnt vmcnt(0)
	ds_store_b16 v37, v3
	ds_store_b16 v37, v2 offset:64
	ds_store_b16 v38, v4 offset:128
	ds_store_b16_d16_hi v39, v4 offset:192
	ds_store_b16 v40, v5 offset:256
	ds_store_b16_d16_hi v41, v5 offset:320
	;; [unrolled: 2-line block ×7, first 2 shown]
	; wave barrier
	ds_load_b128 v[12:15], v52
	ds_load_b128 v[8:11], v52 offset:16
	s_mov_b32 s59, s65
	v_dual_mov_b32 v2, 0 :: v_dual_mov_b32 v3, 0
	s_lshl_b64 s[46:47], s[58:59], 1
	s_delay_alu instid0(SALU_CYCLE_1)
	v_add_co_u32 v0, vcc_lo, v125, s46
	v_add_co_ci_u32_e32 v1, vcc_lo, s47, v126, vcc_lo
	s_and_saveexec_b32 s46, s13
	s_cbranch_execnz .LBB126_160
; %bb.127:                              ;   in Loop: Header=BB126_109 Depth=2
	s_or_b32 exec_lo, exec_lo, s46
	s_and_saveexec_b32 s46, s14
	s_cbranch_execnz .LBB126_161
.LBB126_128:                            ;   in Loop: Header=BB126_109 Depth=2
	s_or_b32 exec_lo, exec_lo, s46
	v_mov_b32_e32 v4, 0
	s_and_saveexec_b32 s46, s15
	s_cbranch_execnz .LBB126_162
.LBB126_129:                            ;   in Loop: Header=BB126_109 Depth=2
	s_or_b32 exec_lo, exec_lo, s46
	s_and_saveexec_b32 s46, s16
	s_cbranch_execnz .LBB126_163
.LBB126_130:                            ;   in Loop: Header=BB126_109 Depth=2
	s_or_b32 exec_lo, exec_lo, s46
	v_mov_b32_e32 v5, 0
	s_and_saveexec_b32 s46, s17
	s_cbranch_execnz .LBB126_164
.LBB126_131:                            ;   in Loop: Header=BB126_109 Depth=2
	s_or_b32 exec_lo, exec_lo, s46
	s_and_saveexec_b32 s46, s18
	s_cbranch_execnz .LBB126_165
.LBB126_132:                            ;   in Loop: Header=BB126_109 Depth=2
	s_or_b32 exec_lo, exec_lo, s46
	v_mov_b32_e32 v6, 0
	s_and_saveexec_b32 s46, s19
	s_cbranch_execnz .LBB126_166
.LBB126_133:                            ;   in Loop: Header=BB126_109 Depth=2
	s_or_b32 exec_lo, exec_lo, s46
	s_and_saveexec_b32 s46, s20
	s_cbranch_execnz .LBB126_167
.LBB126_134:                            ;   in Loop: Header=BB126_109 Depth=2
	s_or_b32 exec_lo, exec_lo, s46
	v_mov_b32_e32 v7, 0
	s_and_saveexec_b32 s46, s21
	s_cbranch_execnz .LBB126_168
.LBB126_135:                            ;   in Loop: Header=BB126_109 Depth=2
	s_or_b32 exec_lo, exec_lo, s46
	s_and_saveexec_b32 s46, s22
	s_cbranch_execnz .LBB126_169
.LBB126_136:                            ;   in Loop: Header=BB126_109 Depth=2
	s_or_b32 exec_lo, exec_lo, s46
	v_mov_b32_e32 v16, 0
	s_and_saveexec_b32 s46, s23
	s_cbranch_execnz .LBB126_170
.LBB126_137:                            ;   in Loop: Header=BB126_109 Depth=2
	s_or_b32 exec_lo, exec_lo, s46
	s_and_saveexec_b32 s46, s24
	s_cbranch_execnz .LBB126_171
.LBB126_138:                            ;   in Loop: Header=BB126_109 Depth=2
	s_or_b32 exec_lo, exec_lo, s46
	v_mov_b32_e32 v17, 0
	s_and_saveexec_b32 s46, s25
	s_cbranch_execnz .LBB126_172
.LBB126_139:                            ;   in Loop: Header=BB126_109 Depth=2
	s_or_b32 exec_lo, exec_lo, s46
	s_and_saveexec_b32 s46, s26
	s_cbranch_execnz .LBB126_173
.LBB126_140:                            ;   in Loop: Header=BB126_109 Depth=2
	s_or_b32 exec_lo, exec_lo, s46
	v_mov_b32_e32 v143, 0
	s_and_saveexec_b32 s46, s27
	s_cbranch_execnz .LBB126_174
.LBB126_141:                            ;   in Loop: Header=BB126_109 Depth=2
	s_or_b32 exec_lo, exec_lo, s46
	s_and_saveexec_b32 s46, s28
	s_cbranch_execz .LBB126_143
.LBB126_142:                            ;   in Loop: Header=BB126_109 Depth=2
	global_load_u16 v0, v[0:1], off offset:960
	s_waitcnt vmcnt(0)
	v_lshl_or_b32 v143, v0, 16, v143
.LBB126_143:                            ;   in Loop: Header=BB126_109 Depth=2
	s_or_b32 exec_lo, exec_lo, s46
	s_waitcnt vmcnt(0)
	ds_store_b16 v37, v3 offset:4224
	ds_store_b16 v53, v2 offset:64
	;; [unrolled: 1-line block ×3, first 2 shown]
	ds_store_b16_d16_hi v55, v4 offset:192
	ds_store_b16 v56, v5 offset:256
	ds_store_b16_d16_hi v57, v5 offset:320
	ds_store_b16 v58, v6 offset:384
	;; [unrolled: 2-line block ×6, first 2 shown]
	ds_store_b16_d16_hi v67, v143 offset:960
	; wave barrier
	ds_load_b128 v[4:7], v52 offset:4224
	ds_load_b128 v[0:3], v68 offset:16
	s_and_not1_b32 vcc_lo, exec_lo, s51
	s_cbranch_vccnz .LBB126_175
; %bb.144:                              ;   in Loop: Header=BB126_109 Depth=2
	v_mov_b32_e32 v16, s89
	ds_load_b64 v[16:17], v16
	s_cbranch_execz .LBB126_176
	s_branch .LBB126_179
.LBB126_145:                            ;   in Loop: Header=BB126_109 Depth=2
	global_load_u16 v3, v[0:1], off
	s_or_b32 exec_lo, exec_lo, s46
	s_and_saveexec_b32 s46, s14
	s_cbranch_execz .LBB126_111
.LBB126_146:                            ;   in Loop: Header=BB126_109 Depth=2
	global_load_u16 v2, v[0:1], off offset:64
	s_or_b32 exec_lo, exec_lo, s46
	v_mov_b32_e32 v4, 0
	s_and_saveexec_b32 s46, s15
	s_cbranch_execz .LBB126_112
.LBB126_147:                            ;   in Loop: Header=BB126_109 Depth=2
	global_load_u16 v4, v[0:1], off offset:128
	s_or_b32 exec_lo, exec_lo, s46
	s_and_saveexec_b32 s46, s16
	s_cbranch_execz .LBB126_113
.LBB126_148:                            ;   in Loop: Header=BB126_109 Depth=2
	global_load_u16 v5, v[0:1], off offset:192
	s_waitcnt vmcnt(0)
	v_lshl_or_b32 v4, v5, 16, v4
	s_or_b32 exec_lo, exec_lo, s46
	v_mov_b32_e32 v5, 0
	s_and_saveexec_b32 s46, s17
	s_cbranch_execz .LBB126_114
.LBB126_149:                            ;   in Loop: Header=BB126_109 Depth=2
	global_load_u16 v5, v[0:1], off offset:256
	s_or_b32 exec_lo, exec_lo, s46
	s_and_saveexec_b32 s46, s18
	s_cbranch_execz .LBB126_115
.LBB126_150:                            ;   in Loop: Header=BB126_109 Depth=2
	global_load_u16 v6, v[0:1], off offset:320
	s_waitcnt vmcnt(0)
	v_lshl_or_b32 v5, v6, 16, v5
	s_or_b32 exec_lo, exec_lo, s46
	v_mov_b32_e32 v6, 0
	s_and_saveexec_b32 s46, s19
	s_cbranch_execz .LBB126_116
.LBB126_151:                            ;   in Loop: Header=BB126_109 Depth=2
	global_load_u16 v6, v[0:1], off offset:384
	s_or_b32 exec_lo, exec_lo, s46
	s_and_saveexec_b32 s46, s20
	s_cbranch_execz .LBB126_117
.LBB126_152:                            ;   in Loop: Header=BB126_109 Depth=2
	global_load_u16 v7, v[0:1], off offset:448
	s_waitcnt vmcnt(0)
	v_lshl_or_b32 v6, v7, 16, v6
	s_or_b32 exec_lo, exec_lo, s46
	v_mov_b32_e32 v7, 0
	s_and_saveexec_b32 s46, s21
	s_cbranch_execz .LBB126_118
.LBB126_153:                            ;   in Loop: Header=BB126_109 Depth=2
	global_load_u16 v7, v[0:1], off offset:512
	s_or_b32 exec_lo, exec_lo, s46
	s_and_saveexec_b32 s46, s22
	s_cbranch_execz .LBB126_119
.LBB126_154:                            ;   in Loop: Header=BB126_109 Depth=2
	global_load_u16 v8, v[0:1], off offset:576
	s_waitcnt vmcnt(0)
	v_lshl_or_b32 v7, v8, 16, v7
	s_or_b32 exec_lo, exec_lo, s46
	v_mov_b32_e32 v8, 0
	s_and_saveexec_b32 s46, s23
	s_cbranch_execz .LBB126_120
.LBB126_155:                            ;   in Loop: Header=BB126_109 Depth=2
	global_load_u16 v8, v[0:1], off offset:640
	s_or_b32 exec_lo, exec_lo, s46
	s_and_saveexec_b32 s46, s24
	s_cbranch_execz .LBB126_121
.LBB126_156:                            ;   in Loop: Header=BB126_109 Depth=2
	global_load_u16 v9, v[0:1], off offset:704
	s_waitcnt vmcnt(0)
	v_lshl_or_b32 v8, v9, 16, v8
	s_or_b32 exec_lo, exec_lo, s46
	v_mov_b32_e32 v9, 0
	s_and_saveexec_b32 s46, s25
	s_cbranch_execz .LBB126_122
.LBB126_157:                            ;   in Loop: Header=BB126_109 Depth=2
	global_load_u16 v9, v[0:1], off offset:768
	s_or_b32 exec_lo, exec_lo, s46
	s_and_saveexec_b32 s46, s26
	s_cbranch_execz .LBB126_123
.LBB126_158:                            ;   in Loop: Header=BB126_109 Depth=2
	global_load_u16 v10, v[0:1], off offset:832
	s_waitcnt vmcnt(0)
	v_lshl_or_b32 v9, v10, 16, v9
	s_or_b32 exec_lo, exec_lo, s46
	v_mov_b32_e32 v10, 0
	s_and_saveexec_b32 s46, s27
	s_cbranch_execz .LBB126_124
.LBB126_159:                            ;   in Loop: Header=BB126_109 Depth=2
	global_load_u16 v10, v[0:1], off offset:896
	s_or_b32 exec_lo, exec_lo, s46
	s_and_saveexec_b32 s46, s28
	s_cbranch_execnz .LBB126_125
	s_branch .LBB126_126
.LBB126_160:                            ;   in Loop: Header=BB126_109 Depth=2
	global_load_u16 v3, v[0:1], off
	s_or_b32 exec_lo, exec_lo, s46
	s_and_saveexec_b32 s46, s14
	s_cbranch_execz .LBB126_128
.LBB126_161:                            ;   in Loop: Header=BB126_109 Depth=2
	global_load_u16 v2, v[0:1], off offset:64
	s_or_b32 exec_lo, exec_lo, s46
	v_mov_b32_e32 v4, 0
	s_and_saveexec_b32 s46, s15
	s_cbranch_execz .LBB126_129
.LBB126_162:                            ;   in Loop: Header=BB126_109 Depth=2
	global_load_u16 v4, v[0:1], off offset:128
	s_or_b32 exec_lo, exec_lo, s46
	s_and_saveexec_b32 s46, s16
	s_cbranch_execz .LBB126_130
.LBB126_163:                            ;   in Loop: Header=BB126_109 Depth=2
	global_load_u16 v5, v[0:1], off offset:192
	s_waitcnt vmcnt(0)
	v_lshl_or_b32 v4, v5, 16, v4
	s_or_b32 exec_lo, exec_lo, s46
	v_mov_b32_e32 v5, 0
	s_and_saveexec_b32 s46, s17
	s_cbranch_execz .LBB126_131
.LBB126_164:                            ;   in Loop: Header=BB126_109 Depth=2
	global_load_u16 v5, v[0:1], off offset:256
	s_or_b32 exec_lo, exec_lo, s46
	s_and_saveexec_b32 s46, s18
	s_cbranch_execz .LBB126_132
.LBB126_165:                            ;   in Loop: Header=BB126_109 Depth=2
	global_load_u16 v6, v[0:1], off offset:320
	s_waitcnt vmcnt(0)
	v_lshl_or_b32 v5, v6, 16, v5
	s_or_b32 exec_lo, exec_lo, s46
	v_mov_b32_e32 v6, 0
	s_and_saveexec_b32 s46, s19
	s_cbranch_execz .LBB126_133
.LBB126_166:                            ;   in Loop: Header=BB126_109 Depth=2
	global_load_u16 v6, v[0:1], off offset:384
	s_or_b32 exec_lo, exec_lo, s46
	s_and_saveexec_b32 s46, s20
	s_cbranch_execz .LBB126_134
.LBB126_167:                            ;   in Loop: Header=BB126_109 Depth=2
	global_load_u16 v7, v[0:1], off offset:448
	s_waitcnt vmcnt(0)
	v_lshl_or_b32 v6, v7, 16, v6
	s_or_b32 exec_lo, exec_lo, s46
	v_mov_b32_e32 v7, 0
	s_and_saveexec_b32 s46, s21
	s_cbranch_execz .LBB126_135
.LBB126_168:                            ;   in Loop: Header=BB126_109 Depth=2
	global_load_u16 v7, v[0:1], off offset:512
	s_or_b32 exec_lo, exec_lo, s46
	s_and_saveexec_b32 s46, s22
	s_cbranch_execz .LBB126_136
.LBB126_169:                            ;   in Loop: Header=BB126_109 Depth=2
	global_load_u16 v16, v[0:1], off offset:576
	s_waitcnt vmcnt(0)
	v_lshl_or_b32 v7, v16, 16, v7
	s_or_b32 exec_lo, exec_lo, s46
	v_mov_b32_e32 v16, 0
	s_and_saveexec_b32 s46, s23
	s_cbranch_execz .LBB126_137
.LBB126_170:                            ;   in Loop: Header=BB126_109 Depth=2
	global_load_u16 v16, v[0:1], off offset:640
	s_or_b32 exec_lo, exec_lo, s46
	s_and_saveexec_b32 s46, s24
	s_cbranch_execz .LBB126_138
.LBB126_171:                            ;   in Loop: Header=BB126_109 Depth=2
	global_load_u16 v17, v[0:1], off offset:704
	s_waitcnt vmcnt(0)
	v_lshl_or_b32 v16, v17, 16, v16
	s_or_b32 exec_lo, exec_lo, s46
	v_mov_b32_e32 v17, 0
	s_and_saveexec_b32 s46, s25
	s_cbranch_execz .LBB126_139
.LBB126_172:                            ;   in Loop: Header=BB126_109 Depth=2
	global_load_u16 v17, v[0:1], off offset:768
	s_or_b32 exec_lo, exec_lo, s46
	s_and_saveexec_b32 s46, s26
	s_cbranch_execz .LBB126_140
.LBB126_173:                            ;   in Loop: Header=BB126_109 Depth=2
	global_load_u16 v143, v[0:1], off offset:832
	s_waitcnt vmcnt(0)
	v_lshl_or_b32 v17, v143, 16, v17
	s_or_b32 exec_lo, exec_lo, s46
	v_mov_b32_e32 v143, 0
	s_and_saveexec_b32 s46, s27
	s_cbranch_execz .LBB126_141
.LBB126_174:                            ;   in Loop: Header=BB126_109 Depth=2
	global_load_u16 v143, v[0:1], off offset:896
	s_or_b32 exec_lo, exec_lo, s46
	s_and_saveexec_b32 s46, s28
	s_cbranch_execnz .LBB126_142
	s_branch .LBB126_143
.LBB126_175:                            ;   in Loop: Header=BB126_109 Depth=2
                                        ; implicit-def: $vgpr16
.LBB126_176:                            ;   in Loop: Header=BB126_109 Depth=2
	s_waitcnt lgkmcnt(0)
	v_mov_b32_e32 v17, 0
	s_and_not1_b32 vcc_lo, exec_lo, s66
	s_cbranch_vccnz .LBB126_178
; %bb.177:                              ;   in Loop: Header=BB126_109 Depth=2
	s_mov_b32 s61, s65
	s_delay_alu instid0(SALU_CYCLE_1) | instskip(NEXT) | instid1(SALU_CYCLE_1)
	s_lshl_b64 s[46:47], s[60:61], 2
	s_add_u32 s46, s76, s46
	s_addc_u32 s47, s77, s47
	global_load_b32 v17, v21, s[46:47]
.LBB126_178:                            ;   in Loop: Header=BB126_109 Depth=2
	v_mov_b32_e32 v16, 1.0
.LBB126_179:                            ;   in Loop: Header=BB126_109 Depth=2
	v_mul_f32_e32 v164, 0x3fb8aa3b, v142
	s_waitcnt lgkmcnt(19)
	v_lshrrev_b32_e32 v144, 16, v13
	v_lshrrev_b32_e32 v145, 16, v14
	v_cvt_f32_f16_e32 v13, v13
	v_cvt_f32_f16_e64 v152, v14
	v_mul_f32_e32 v14, v164, v90
	v_lshrrev_b32_e32 v143, 16, v12
	v_lshrrev_b32_e32 v146, 16, v15
	v_mul_f32_e32 v13, v139, v13
	v_cvt_f32_f16_e32 v12, v12
	v_cmp_gt_f32_e32 vcc_lo, 0xc2fc0000, v14
	v_cvt_f32_f16_e64 v153, v15
	v_mul_f32_e32 v15, v164, v91
	v_cvt_f32_f16_e64 v151, v144
	v_mul_f32_e32 v12, v141, v12
	v_cndmask_b32_e64 v14, 0, 0x42800000, vcc_lo
	v_mul_f32_e32 v142, v164, v92
	v_cmp_gt_f32_e64 s46, 0xc2fc0000, v15
	v_cndmask_b32_e64 v144, 1.0, 0x1f800000, vcc_lo
	s_waitcnt lgkmcnt(18)
	v_lshrrev_b32_e32 v147, 16, v8
	v_fmac_f32_e32 v14, v164, v90
	v_cvt_f32_f16_e64 v143, v143
	v_cndmask_b32_e64 v15, 0, 0x42800000, s46
	v_cvt_f32_f16_e64 v154, v146
	v_cmp_gt_f32_e32 vcc_lo, 0xc2fc0000, v142
	v_exp_f32_e32 v14, v14
	v_mul_f32_e32 v142, v164, v93
	v_fmac_f32_e32 v15, v164, v91
	v_cvt_f32_f16_e64 v155, v147
	v_cndmask_b32_e64 v147, 0, 0x42800000, vcc_lo
	v_lshrrev_b32_e32 v148, 16, v9
	v_lshrrev_b32_e32 v149, 16, v10
	;; [unrolled: 1-line block ×3, first 2 shown]
	v_cvt_f32_f16_e32 v9, v9
	v_cvt_f32_f16_e32 v8, v8
	v_mul_f32_e32 v14, v14, v144
	v_exp_f32_e32 v146, v15
	v_cndmask_b32_e64 v15, 0, v12, s29
	v_cndmask_b32_e64 v12, 1.0, 0x1f800000, s46
	v_cmp_gt_f32_e64 s46, 0xc2fc0000, v142
	v_cndmask_b32_e64 v142, 1.0, v14, s29
	v_mul_f32_e32 v14, v140, v143
	v_cvt_f32_f16_e64 v160, v148
	v_cvt_f32_f16_e64 v162, v149
	v_cndmask_b32_e64 v144, 0, 0x42800000, s46
	v_cvt_f32_f16_e64 v167, v150
	v_mul_f32_e32 v143, v146, v12
	v_cndmask_b32_e64 v12, 0, v14, s30
	v_cndmask_b32_e64 v14, 1.0, 0x1f800000, vcc_lo
	v_fmac_f32_e32 v147, v164, v92
	v_fmac_f32_e32 v144, v164, v93
	v_dual_mul_f32 v149, v164, v95 :: v_dual_mul_f32 v154, v134, v154
	v_dual_mul_f32 v150, v164, v96 :: v_dual_mul_f32 v9, v131, v9
	s_delay_alu instid0(VALU_DEP_4)
	v_exp_f32_e32 v146, v147
	v_mul_f32_e32 v147, v164, v94
	v_exp_f32_e32 v148, v144
	v_cndmask_b32_e64 v144, 1.0, v143, s30
	v_cndmask_b32_e64 v143, 1.0, 0x1f800000, s46
	v_cmp_gt_f32_e64 s46, 0xc2fc0000, v149
	v_cvt_f32_f16_e32 v10, v10
	v_cvt_f32_f16_e32 v11, v11
	v_mul_f32_e32 v165, v164, v102
	s_delay_alu instid0(TRANS32_DEP_2) | instskip(SKIP_1) | instid1(TRANS32_DEP_1)
	v_dual_mul_f32 v155, v132, v155 :: v_dual_mul_f32 v14, v146, v14
	v_cndmask_b32_e64 v149, 0, 0x42800000, s46
	v_dual_mul_f32 v143, v148, v143 :: v_dual_mul_f32 v10, v129, v10
	v_cndmask_b32_e64 v13, 0, v13, s31
	s_delay_alu instid0(VALU_DEP_4)
	v_cndmask_b32_e64 v146, 1.0, v14, s31
	v_mul_f32_e32 v14, v138, v151
	v_cmp_gt_f32_e32 vcc_lo, 0xc2fc0000, v147
	v_cndmask_b32_e64 v148, 1.0, v143, s33
	v_dual_fmac_f32 v149, v164, v95 :: v_dual_mul_f32 v8, v133, v8
	v_mul_f32_e32 v151, v164, v97
	v_cndmask_b32_e64 v147, 0, 0x42800000, vcc_lo
	v_cndmask_b32_e64 v143, 1.0, 0x1f800000, vcc_lo
	v_cmp_gt_f32_e32 vcc_lo, 0xc2fc0000, v150
	v_exp_f32_e32 v149, v149
	v_cmp_gt_f32_e64 s47, 0xc2fc0000, v151
	v_fmac_f32_e32 v147, v164, v94
	v_mul_f32_e32 v158, v164, v99
	v_cndmask_b32_e64 v150, 0, 0x42800000, vcc_lo
	v_cvt_f32_f16_e64 v145, v145
	v_cndmask_b32_e64 v151, 0, 0x42800000, s47
	v_exp_f32_e32 v147, v147
	v_cndmask_b32_e64 v14, 0, v14, s33
	v_dual_fmac_f32 v150, v164, v96 :: v_dual_mul_f32 v11, v127, v11
	s_delay_alu instid0(VALU_DEP_3) | instskip(SKIP_2) | instid1(VALU_DEP_4)
	v_fmac_f32_e32 v151, v164, v97
	v_mul_f32_e32 v166, v164, v103
	v_mul_f32_e32 v162, v128, v162
	v_exp_f32_e32 v156, v150
	s_delay_alu instid0(TRANS32_DEP_2)
	v_mul_f32_e32 v147, v147, v143
	v_mul_f32_e32 v143, v137, v152
	v_cndmask_b32_e64 v152, 1.0, 0x1f800000, s46
	v_cmp_gt_f32_e64 s46, 0xc2fc0000, v158
	v_mul_f32_e32 v158, v164, v101
	v_cndmask_b32_e64 v150, 1.0, v147, s34
	v_cndmask_b32_e64 v143, 0, v143, s34
	v_mul_f32_e32 v147, v149, v152
	v_cndmask_b32_e64 v149, 1.0, 0x1f800000, vcc_lo
	v_exp_f32_e32 v152, v151
	v_cndmask_b32_e64 v162, 0, v162, s43
	s_delay_alu instid0(VALU_DEP_3) | instskip(NEXT) | instid1(VALU_DEP_3)
	v_cndmask_b32_e64 v151, 1.0, v147, s35
	v_mul_f32_e32 v149, v156, v149
	v_mul_f32_e32 v147, v135, v153
	v_cndmask_b32_e64 v156, 1.0, 0x1f800000, s47
	s_delay_alu instid0(VALU_DEP_3)
	v_cndmask_b32_e64 v153, 1.0, v149, s36
	v_mul_f32_e32 v157, v164, v98
	v_cndmask_b32_e64 v149, 0, v154, s37
	v_mul_f32_e32 v154, v164, v100
	v_mul_f32_e32 v152, v152, v156
	v_cndmask_b32_e64 v147, 0, v147, s36
	v_cmp_gt_f32_e32 vcc_lo, 0xc2fc0000, v157
	s_delay_alu instid0(VALU_DEP_4) | instskip(NEXT) | instid1(VALU_DEP_4)
	v_cmp_gt_f32_e64 s47, 0xc2fc0000, v154
	v_cndmask_b32_e64 v156, 1.0, v152, s37
	v_cndmask_b32_e64 v157, 0, 0x42800000, vcc_lo
	v_cndmask_b32_e64 v159, 1.0, 0x1f800000, vcc_lo
	s_delay_alu instid0(VALU_DEP_4) | instskip(SKIP_1) | instid1(VALU_DEP_4)
	v_cndmask_b32_e64 v154, 0, 0x42800000, s47
	v_cmp_gt_f32_e32 vcc_lo, 0xc2fc0000, v158
	v_fmac_f32_e32 v157, v164, v98
	s_delay_alu instid0(VALU_DEP_3) | instskip(SKIP_1) | instid1(VALU_DEP_3)
	v_fmac_f32_e32 v154, v164, v100
	v_cndmask_b32_e64 v158, 0, 0x42800000, vcc_lo
	v_exp_f32_e32 v152, v157
	v_cndmask_b32_e64 v157, 0, 0x42800000, s46
	s_delay_alu instid0(VALU_DEP_2) | instskip(NEXT) | instid1(VALU_DEP_2)
	v_fmac_f32_e32 v158, v164, v101
	v_fmac_f32_e32 v157, v164, v99
	s_delay_alu instid0(VALU_DEP_2) | instskip(NEXT) | instid1(VALU_DEP_1)
	v_exp_f32_e32 v163, v158
	v_exp_f32_e32 v161, v157
	s_delay_alu instid0(TRANS32_DEP_3)
	v_mul_f32_e32 v157, v152, v159
	v_cndmask_b32_e64 v152, 0, v8, s38
	v_exp_f32_e32 v8, v154
	v_cndmask_b32_e64 v154, 1.0, 0x1f800000, s46
	v_cndmask_b32_e64 v159, 1.0, 0x1f800000, s47
	v_cmp_gt_f32_e64 s46, 0xc2fc0000, v166
	v_cndmask_b32_e64 v157, 1.0, v157, s38
	s_delay_alu instid0(TRANS32_DEP_2) | instid1(VALU_DEP_4)
	v_mul_f32_e32 v158, v161, v154
	v_cndmask_b32_e64 v161, 1.0, 0x1f800000, vcc_lo
	v_cmp_gt_f32_e32 vcc_lo, 0xc2fc0000, v165
	s_delay_alu instid0(TRANS32_DEP_1)
	v_mul_f32_e32 v8, v8, v159
	v_cndmask_b32_e64 v154, 0, v155, s39
	v_cndmask_b32_e64 v155, 0, v9, s40
	v_mul_f32_e32 v9, v130, v160
	v_fma_f32 v165, v144, v15, v12
	v_cndmask_b32_e64 v159, 1.0, v8, s40
	v_mul_f32_e32 v8, v163, v161
	v_cndmask_b32_e64 v161, 0, 0x42800000, vcc_lo
	v_mul_f32_e32 v163, v144, v142
	v_cndmask_b32_e64 v160, 0, v9, s41
	v_cndmask_b32_e64 v158, 1.0, v158, s39
	v_cndmask_b32_e64 v166, 1.0, v8, s41
	v_fmac_f32_e32 v161, v164, v102
	v_mul_f32_e32 v9, v163, v146
	v_fma_f32 v163, v165, v146, v13
	v_cndmask_b32_e64 v8, 1.0, 0x1f800000, vcc_lo
	v_cndmask_b32_e64 v165, 0, 0x42800000, s46
	v_exp_f32_e32 v161, v161
	v_mul_f32_e32 v145, v136, v145
	v_mul_f32_e32 v9, v9, v148
	v_fma_f32 v163, v163, v148, v14
	v_fmac_f32_e32 v165, v164, v103
	s_delay_alu instid0(VALU_DEP_3) | instskip(NEXT) | instid1(VALU_DEP_3)
	v_mul_f32_e32 v9, v9, v150
	v_fma_f32 v163, v163, v150, v143
	s_delay_alu instid0(VALU_DEP_3) | instskip(NEXT) | instid1(TRANS32_DEP_2)
	v_exp_f32_e32 v165, v165
	v_mul_f32_e32 v8, v161, v8
	v_cndmask_b32_e64 v145, 0, v145, s35
	v_mul_f32_e32 v9, v9, v151
	v_cndmask_b32_e64 v161, 0, v10, s42
	v_cndmask_b32_e64 v10, 1.0, 0x1f800000, s46
	s_delay_alu instid0(VALU_DEP_4)
	v_fma_f32 v168, v163, v151, v145
	v_cndmask_b32_e64 v163, 1.0, v8, s42
	v_mul_f32_e32 v8, v9, v153
	s_delay_alu instid0(TRANS32_DEP_1) | instid1(VALU_DEP_4)
	v_mul_f32_e32 v10, v165, v10
	s_delay_alu instid0(VALU_DEP_4) | instskip(SKIP_1) | instid1(VALU_DEP_4)
	v_fma_f32 v9, v168, v153, v147
	v_mul_f32_e32 v168, v164, v104
	v_mul_f32_e32 v8, v8, v156
	s_delay_alu instid0(VALU_DEP_3) | instskip(NEXT) | instid1(VALU_DEP_3)
	v_fma_f32 v9, v9, v156, v149
	v_cmp_gt_f32_e32 vcc_lo, 0xc2fc0000, v168
	v_mul_f32_e32 v168, v164, v111
	s_delay_alu instid0(VALU_DEP_4) | instskip(NEXT) | instid1(VALU_DEP_4)
	v_mul_f32_e32 v8, v8, v157
	v_fma_f32 v9, v9, v157, v152
	v_cndmask_b32_e64 v165, 0, 0x42800000, vcc_lo
	s_delay_alu instid0(VALU_DEP_4) | instskip(NEXT) | instid1(VALU_DEP_4)
	v_cmp_gt_f32_e64 s46, 0xc2fc0000, v168
	v_mul_f32_e32 v8, v8, v158
	s_delay_alu instid0(VALU_DEP_4) | instskip(NEXT) | instid1(VALU_DEP_4)
	v_fma_f32 v9, v9, v158, v154
	v_fmac_f32_e32 v165, v164, v104
	s_delay_alu instid0(VALU_DEP_4) | instskip(NEXT) | instid1(VALU_DEP_4)
	v_cndmask_b32_e64 v168, 0, 0x42800000, s46
	v_mul_f32_e32 v8, v8, v159
	s_delay_alu instid0(VALU_DEP_4) | instskip(NEXT) | instid1(VALU_DEP_4)
	v_fma_f32 v9, v9, v159, v155
	v_exp_f32_e32 v169, v165
	s_delay_alu instid0(VALU_DEP_3)
	v_fmac_f32_e32 v168, v164, v111
	v_cndmask_b32_e64 v165, 1.0, v10, s43
	v_cndmask_b32_e64 v10, 1.0, 0x1f800000, vcc_lo
	v_mul_f32_e32 v8, v8, v166
	v_fma_f32 v9, v9, v166, v160
	v_exp_f32_e32 v170, v168
	v_cndmask_b32_e64 v164, 0, v11, s44
	v_cndmask_b32_e64 v11, 1.0, 0x1f800000, s46
	v_mul_f32_e32 v8, v8, v163
	v_mul_f32_e32 v10, v169, v10
	v_fma_f32 v9, v9, v163, v161
	s_delay_alu instid0(VALU_DEP_3) | instskip(NEXT) | instid1(VALU_DEP_3)
	v_mul_f32_e32 v8, v8, v165
	v_cndmask_b32_e64 v168, 1.0, v10, s44
	v_mul_f32_e32 v10, v122, v167
	s_delay_alu instid0(TRANS32_DEP_1) | instskip(SKIP_1) | instid1(VALU_DEP_4)
	v_mul_f32_e32 v11, v170, v11
	v_fma_f32 v9, v9, v165, v162
	v_mul_f32_e32 v8, v8, v168
	s_delay_alu instid0(VALU_DEP_4) | instskip(NEXT) | instid1(VALU_DEP_4)
	v_cndmask_b32_e64 v167, 0, v10, s45
	v_cndmask_b32_e64 v169, 1.0, v11, s45
	s_delay_alu instid0(VALU_DEP_4) | instskip(NEXT) | instid1(VALU_DEP_2)
	v_fma_f32 v9, v9, v168, v164
	v_mul_f32_e32 v8, v8, v169
	s_delay_alu instid0(VALU_DEP_2) | instskip(NEXT) | instid1(VALU_DEP_2)
	v_fma_f32 v9, v9, v169, v167
	v_mov_b32_dpp v11, v8 row_shr:1 row_mask:0xf bank_mask:0xf
	s_delay_alu instid0(VALU_DEP_2)
	v_mov_b32_dpp v10, v9 row_shr:1 row_mask:0xf bank_mask:0xf
	s_and_saveexec_b32 s46, s0
; %bb.180:                              ;   in Loop: Header=BB126_109 Depth=2
	s_delay_alu instid0(VALU_DEP_2) | instskip(NEXT) | instid1(VALU_DEP_1)
	v_mul_f32_e32 v11, v8, v11
	v_dual_fmac_f32 v9, v8, v10 :: v_dual_mov_b32 v8, v11
; %bb.181:                              ;   in Loop: Header=BB126_109 Depth=2
	s_or_b32 exec_lo, exec_lo, s46
	s_delay_alu instid0(VALU_DEP_1) | instskip(NEXT) | instid1(VALU_DEP_2)
	v_mov_b32_dpp v10, v8 row_shr:2 row_mask:0xf bank_mask:0xf
	v_mov_b32_dpp v11, v9 row_shr:2 row_mask:0xf bank_mask:0xf
	s_and_saveexec_b32 s46, s1
; %bb.182:                              ;   in Loop: Header=BB126_109 Depth=2
	s_delay_alu instid0(VALU_DEP_1) | instskip(NEXT) | instid1(VALU_DEP_3)
	v_fmac_f32_e32 v9, v8, v11
	v_mul_f32_e32 v8, v8, v10
; %bb.183:                              ;   in Loop: Header=BB126_109 Depth=2
	s_or_b32 exec_lo, exec_lo, s46
	s_delay_alu instid0(VALU_DEP_1) | instskip(NEXT) | instid1(VALU_DEP_3)
	v_mov_b32_dpp v10, v8 row_shr:4 row_mask:0xf bank_mask:0xf
	v_mov_b32_dpp v11, v9 row_shr:4 row_mask:0xf bank_mask:0xf
	s_and_saveexec_b32 s46, s2
; %bb.184:                              ;   in Loop: Header=BB126_109 Depth=2
	s_delay_alu instid0(VALU_DEP_1) | instskip(NEXT) | instid1(VALU_DEP_3)
	v_fmac_f32_e32 v9, v8, v11
	v_mul_f32_e32 v8, v8, v10
; %bb.185:                              ;   in Loop: Header=BB126_109 Depth=2
	s_or_b32 exec_lo, exec_lo, s46
	s_delay_alu instid0(VALU_DEP_1) | instskip(NEXT) | instid1(VALU_DEP_3)
	v_mov_b32_dpp v10, v8 row_shr:8 row_mask:0xf bank_mask:0xf
	v_mov_b32_dpp v11, v9 row_shr:8 row_mask:0xf bank_mask:0xf
	s_and_saveexec_b32 s46, s3
; %bb.186:                              ;   in Loop: Header=BB126_109 Depth=2
	s_delay_alu instid0(VALU_DEP_1) | instskip(NEXT) | instid1(VALU_DEP_3)
	v_fmac_f32_e32 v9, v8, v11
	v_mul_f32_e32 v8, v8, v10
; %bb.187:                              ;   in Loop: Header=BB126_109 Depth=2
	s_or_b32 exec_lo, exec_lo, s46
	ds_swizzle_b32 v11, v8 offset:swizzle(BROADCAST,32,15)
	ds_swizzle_b32 v10, v9 offset:swizzle(BROADCAST,32,15)
	s_and_saveexec_b32 s46, s4
	s_cbranch_execz .LBB126_189
; %bb.188:                              ;   in Loop: Header=BB126_109 Depth=2
	s_waitcnt lgkmcnt(1)
	v_mul_f32_e32 v11, v8, v11
	s_waitcnt lgkmcnt(0)
	s_delay_alu instid0(VALU_DEP_1)
	v_dual_fmac_f32 v9, v8, v10 :: v_dual_mov_b32 v8, v11
.LBB126_189:                            ;   in Loop: Header=BB126_109 Depth=2
	s_or_b32 exec_lo, exec_lo, s46
	s_and_saveexec_b32 s46, s5
	s_cbranch_execz .LBB126_191
; %bb.190:                              ;   in Loop: Header=BB126_109 Depth=2
	ds_store_b64 v69, v[8:9] offset:8448
.LBB126_191:                            ;   in Loop: Header=BB126_109 Depth=2
	s_or_b32 exec_lo, exec_lo, s46
	s_waitcnt vmcnt(0) lgkmcnt(0)
	s_waitcnt_vscnt null, 0x0
	s_barrier
	buffer_gl0_inv
	s_and_saveexec_b32 s46, s6
	s_cbranch_execz .LBB126_195
; %bb.192:                              ;   in Loop: Header=BB126_109 Depth=2
	ds_load_b64 v[10:11], v70 offset:8448
	s_waitcnt lgkmcnt(0)
	v_mov_b32_dpp v172, v10 row_shr:1 row_mask:0xf bank_mask:0xf
	v_mov_b32_dpp v171, v11 row_shr:1 row_mask:0xf bank_mask:0xf
	v_mov_b32_e32 v170, v10
	s_and_saveexec_b32 s47, s7
; %bb.193:                              ;   in Loop: Header=BB126_109 Depth=2
	s_delay_alu instid0(VALU_DEP_3) | instskip(NEXT) | instid1(VALU_DEP_3)
	v_mul_f32_e32 v170, v10, v172
	v_fmac_f32_e32 v11, v10, v171
	s_delay_alu instid0(VALU_DEP_2)
	v_mov_b32_e32 v10, v170
; %bb.194:                              ;   in Loop: Header=BB126_109 Depth=2
	s_or_b32 exec_lo, exec_lo, s47
	v_mov_b32_dpp v170, v170 row_shr:2 row_mask:0xf bank_mask:0xf
	s_delay_alu instid0(VALU_DEP_3) | instskip(NEXT) | instid1(VALU_DEP_2)
	v_mov_b32_dpp v171, v11 row_shr:2 row_mask:0xf bank_mask:0xf
	v_mul_f32_e32 v170, v10, v170
	s_delay_alu instid0(VALU_DEP_2) | instskip(NEXT) | instid1(VALU_DEP_2)
	v_fma_f32 v171, v10, v171, v11
	v_cndmask_b32_e64 v10, v10, v170, s8
	s_delay_alu instid0(VALU_DEP_2)
	v_cndmask_b32_e64 v11, v11, v171, s8
	ds_store_b64 v70, v[10:11] offset:8448
.LBB126_195:                            ;   in Loop: Header=BB126_109 Depth=2
	s_or_b32 exec_lo, exec_lo, s46
	s_waitcnt lgkmcnt(0)
	s_barrier
	buffer_gl0_inv
                                        ; implicit-def: $vgpr11
	s_and_saveexec_b32 s46, s10
	s_cbranch_execz .LBB126_197
; %bb.196:                              ;   in Loop: Header=BB126_109 Depth=2
	ds_load_b64 v[10:11], v69 offset:8440
	s_waitcnt lgkmcnt(0)
	v_mul_f32_e32 v170, v8, v10
	s_delay_alu instid0(VALU_DEP_1)
	v_dual_fmac_f32 v9, v8, v11 :: v_dual_mov_b32 v8, v170
.LBB126_197:                            ;   in Loop: Header=BB126_109 Depth=2
	s_or_b32 exec_lo, exec_lo, s46
	ds_bpermute_b32 v170, v71, v8
	ds_bpermute_b32 v171, v71, v9
	s_and_saveexec_b32 s46, s9
	s_cbranch_execz .LBB126_201
; %bb.198:                              ;   in Loop: Header=BB126_109 Depth=2
	ds_load_b64 v[8:9], v21 offset:8472
	s_and_saveexec_b32 s47, s11
	s_cbranch_execz .LBB126_200
; %bb.199:                              ;   in Loop: Header=BB126_109 Depth=2
	ds_store_b64 v21, v[16:17] offset:8472
.LBB126_200:                            ;   in Loop: Header=BB126_109 Depth=2
	s_or_b32 exec_lo, exec_lo, s47
	s_waitcnt lgkmcnt(0)
	v_fmac_f32_e32 v9, v17, v8
	s_delay_alu instid0(VALU_DEP_1)
	v_dual_mul_f32 v16, v16, v8 :: v_dual_mov_b32 v17, v9
.LBB126_201:                            ;   in Loop: Header=BB126_109 Depth=2
	s_or_b32 exec_lo, exec_lo, s46
	s_waitcnt lgkmcnt(0)
	s_barrier
	buffer_gl0_inv
	ds_load_b32 v8, v21 offset:8476
	s_and_saveexec_b32 s46, s11
	s_cbranch_execz .LBB126_108
; %bb.202:                              ;   in Loop: Header=BB126_109 Depth=2
	v_mov_b32_e32 v9, s89
	s_and_not1_b32 vcc_lo, exec_lo, s87
	ds_store_b64 v9, v[16:17]
	s_cbranch_vccnz .LBB126_108
; %bb.203:                              ;   in Loop: Header=BB126_109 Depth=2
	s_mov_b32 s61, s65
	s_delay_alu instid0(SALU_CYCLE_1) | instskip(NEXT) | instid1(SALU_CYCLE_1)
	s_lshl_b64 s[90:91], s[60:61], 2
	s_add_u32 s90, s76, s90
	s_addc_u32 s91, s77, s91
	global_store_b32 v21, v17, s[90:91]
	s_branch .LBB126_108
.LBB126_204:                            ;   in Loop: Header=BB126_12 Depth=1
	v_cvt_f16_f32_e32 v0, v121
	v_cvt_f16_f32_e32 v4, v120
	;; [unrolled: 1-line block ×16, first 2 shown]
	v_pack_b32_f16 v3, v3, v7
	v_pack_b32_f16 v2, v2, v6
	;; [unrolled: 1-line block ×8, first 2 shown]
	s_waitcnt_vscnt null, 0x0
	s_barrier
	buffer_gl0_inv
	ds_store_b128 v52, v[0:3]
	ds_store_b128 v52, v[4:7] offset:16
	; wave barrier
	ds_load_u16 v16, v37 offset:64
	ds_load_u16 v15, v38 offset:128
	;; [unrolled: 1-line block ×15, first 2 shown]
	s_mov_b32 s51, s65
	s_delay_alu instid0(SALU_CYCLE_1) | instskip(NEXT) | instid1(SALU_CYCLE_1)
	s_lshl_b64 s[30:31], s[50:51], 1
	v_add_co_u32 v0, vcc_lo, v72, s30
	v_add_co_ci_u32_e32 v1, vcc_lo, s31, v73, vcc_lo
	s_and_saveexec_b32 s29, s13
	s_cbranch_execnz .LBB126_222
; %bb.205:                              ;   in Loop: Header=BB126_12 Depth=1
	s_or_b32 exec_lo, exec_lo, s29
	s_and_saveexec_b32 s13, s14
	s_cbranch_execnz .LBB126_223
.LBB126_206:                            ;   in Loop: Header=BB126_12 Depth=1
	s_or_b32 exec_lo, exec_lo, s13
	s_and_saveexec_b32 s13, s15
	s_cbranch_execnz .LBB126_224
.LBB126_207:                            ;   in Loop: Header=BB126_12 Depth=1
	s_or_b32 exec_lo, exec_lo, s13
	s_and_saveexec_b32 s13, s16
	s_cbranch_execnz .LBB126_225
.LBB126_208:                            ;   in Loop: Header=BB126_12 Depth=1
	s_or_b32 exec_lo, exec_lo, s13
	s_and_saveexec_b32 s13, s17
	s_cbranch_execnz .LBB126_226
.LBB126_209:                            ;   in Loop: Header=BB126_12 Depth=1
	s_or_b32 exec_lo, exec_lo, s13
	s_and_saveexec_b32 s13, s18
	s_cbranch_execnz .LBB126_227
.LBB126_210:                            ;   in Loop: Header=BB126_12 Depth=1
	s_or_b32 exec_lo, exec_lo, s13
	s_and_saveexec_b32 s13, s19
	s_cbranch_execnz .LBB126_228
.LBB126_211:                            ;   in Loop: Header=BB126_12 Depth=1
	s_or_b32 exec_lo, exec_lo, s13
	s_and_saveexec_b32 s13, s20
	s_cbranch_execnz .LBB126_229
.LBB126_212:                            ;   in Loop: Header=BB126_12 Depth=1
	s_or_b32 exec_lo, exec_lo, s13
	s_and_saveexec_b32 s13, s21
	s_cbranch_execnz .LBB126_230
.LBB126_213:                            ;   in Loop: Header=BB126_12 Depth=1
	s_or_b32 exec_lo, exec_lo, s13
	s_and_saveexec_b32 s13, s22
	s_cbranch_execnz .LBB126_231
.LBB126_214:                            ;   in Loop: Header=BB126_12 Depth=1
	s_or_b32 exec_lo, exec_lo, s13
	s_and_saveexec_b32 s13, s23
	s_cbranch_execnz .LBB126_232
.LBB126_215:                            ;   in Loop: Header=BB126_12 Depth=1
	s_or_b32 exec_lo, exec_lo, s13
	s_and_saveexec_b32 s13, s24
	s_cbranch_execnz .LBB126_233
.LBB126_216:                            ;   in Loop: Header=BB126_12 Depth=1
	s_or_b32 exec_lo, exec_lo, s13
	s_and_saveexec_b32 s13, s25
	s_cbranch_execnz .LBB126_234
.LBB126_217:                            ;   in Loop: Header=BB126_12 Depth=1
	s_or_b32 exec_lo, exec_lo, s13
	s_and_saveexec_b32 s13, s26
	s_cbranch_execnz .LBB126_235
.LBB126_218:                            ;   in Loop: Header=BB126_12 Depth=1
	s_or_b32 exec_lo, exec_lo, s13
	s_and_saveexec_b32 s13, s27
	s_cbranch_execnz .LBB126_236
.LBB126_219:                            ;   in Loop: Header=BB126_12 Depth=1
	s_or_b32 exec_lo, exec_lo, s13
	s_and_saveexec_b32 s13, s28
	s_cbranch_execz .LBB126_11
	s_branch .LBB126_237
.LBB126_220:                            ;   in Loop: Header=BB126_12 Depth=1
	global_load_u16 v97, v[8:9], off offset:832
	s_or_b32 exec_lo, exec_lo, s29
	s_and_saveexec_b32 s29, s27
	s_cbranch_execz .LBB126_72
.LBB126_221:                            ;   in Loop: Header=BB126_12 Depth=1
	global_load_u16 v96, v[8:9], off offset:896
	s_or_b32 exec_lo, exec_lo, s29
	v_mov_b32_e32 v98, 0
	s_and_saveexec_b32 s29, s28
	s_cbranch_execnz .LBB126_73
	s_branch .LBB126_74
.LBB126_222:                            ;   in Loop: Header=BB126_12 Depth=1
	ds_load_u16 v17, v37
	s_waitcnt lgkmcnt(0)
	global_store_b16 v[0:1], v17, off
	s_or_b32 exec_lo, exec_lo, s29
	s_and_saveexec_b32 s13, s14
	s_cbranch_execz .LBB126_206
.LBB126_223:                            ;   in Loop: Header=BB126_12 Depth=1
	s_waitcnt lgkmcnt(14)
	global_store_b16 v[0:1], v16, off offset:64
	s_or_b32 exec_lo, exec_lo, s13
	s_and_saveexec_b32 s13, s15
	s_cbranch_execz .LBB126_207
.LBB126_224:                            ;   in Loop: Header=BB126_12 Depth=1
	s_waitcnt lgkmcnt(13)
	global_store_b16 v[0:1], v15, off offset:128
	s_or_b32 exec_lo, exec_lo, s13
	s_and_saveexec_b32 s13, s16
	s_cbranch_execz .LBB126_208
.LBB126_225:                            ;   in Loop: Header=BB126_12 Depth=1
	s_waitcnt lgkmcnt(12)
	global_store_b16 v[0:1], v14, off offset:192
	s_or_b32 exec_lo, exec_lo, s13
	s_and_saveexec_b32 s13, s17
	s_cbranch_execz .LBB126_209
.LBB126_226:                            ;   in Loop: Header=BB126_12 Depth=1
	s_waitcnt lgkmcnt(11)
	global_store_b16 v[0:1], v13, off offset:256
	s_or_b32 exec_lo, exec_lo, s13
	s_and_saveexec_b32 s13, s18
	s_cbranch_execz .LBB126_210
.LBB126_227:                            ;   in Loop: Header=BB126_12 Depth=1
	s_waitcnt lgkmcnt(10)
	global_store_b16 v[0:1], v12, off offset:320
	s_or_b32 exec_lo, exec_lo, s13
	s_and_saveexec_b32 s13, s19
	s_cbranch_execz .LBB126_211
.LBB126_228:                            ;   in Loop: Header=BB126_12 Depth=1
	s_waitcnt lgkmcnt(9)
	global_store_b16 v[0:1], v11, off offset:384
	s_or_b32 exec_lo, exec_lo, s13
	s_and_saveexec_b32 s13, s20
	s_cbranch_execz .LBB126_212
.LBB126_229:                            ;   in Loop: Header=BB126_12 Depth=1
	s_waitcnt lgkmcnt(8)
	global_store_b16 v[0:1], v10, off offset:448
	s_or_b32 exec_lo, exec_lo, s13
	s_and_saveexec_b32 s13, s21
	s_cbranch_execz .LBB126_213
.LBB126_230:                            ;   in Loop: Header=BB126_12 Depth=1
	s_waitcnt lgkmcnt(7)
	global_store_b16 v[0:1], v9, off offset:512
	s_or_b32 exec_lo, exec_lo, s13
	s_and_saveexec_b32 s13, s22
	s_cbranch_execz .LBB126_214
.LBB126_231:                            ;   in Loop: Header=BB126_12 Depth=1
	s_waitcnt lgkmcnt(6)
	global_store_b16 v[0:1], v8, off offset:576
	s_or_b32 exec_lo, exec_lo, s13
	s_and_saveexec_b32 s13, s23
	s_cbranch_execz .LBB126_215
.LBB126_232:                            ;   in Loop: Header=BB126_12 Depth=1
	s_waitcnt lgkmcnt(5)
	global_store_b16 v[0:1], v7, off offset:640
	s_or_b32 exec_lo, exec_lo, s13
	s_and_saveexec_b32 s13, s24
	s_cbranch_execz .LBB126_216
.LBB126_233:                            ;   in Loop: Header=BB126_12 Depth=1
	s_waitcnt lgkmcnt(4)
	global_store_b16 v[0:1], v6, off offset:704
	s_or_b32 exec_lo, exec_lo, s13
	s_and_saveexec_b32 s13, s25
	s_cbranch_execz .LBB126_217
.LBB126_234:                            ;   in Loop: Header=BB126_12 Depth=1
	s_waitcnt lgkmcnt(3)
	global_store_b16 v[0:1], v5, off offset:768
	s_or_b32 exec_lo, exec_lo, s13
	s_and_saveexec_b32 s13, s26
	s_cbranch_execz .LBB126_218
.LBB126_235:                            ;   in Loop: Header=BB126_12 Depth=1
	s_waitcnt lgkmcnt(2)
	global_store_b16 v[0:1], v4, off offset:832
	s_or_b32 exec_lo, exec_lo, s13
	s_and_saveexec_b32 s13, s27
	s_cbranch_execz .LBB126_219
.LBB126_236:                            ;   in Loop: Header=BB126_12 Depth=1
	s_waitcnt lgkmcnt(1)
	global_store_b16 v[0:1], v3, off offset:896
	s_or_b32 exec_lo, exec_lo, s13
	s_and_saveexec_b32 s13, s28
	s_cbranch_execz .LBB126_11
.LBB126_237:                            ;   in Loop: Header=BB126_12 Depth=1
	s_waitcnt lgkmcnt(0)
	global_store_b16 v[0:1], v2, off offset:960
	s_branch .LBB126_11
.LBB126_238:
	s_nop 0
	s_sendmsg sendmsg(MSG_DEALLOC_VGPRS)
	s_endpgm
	.section	.rodata,"a",@progbits
	.p2align	6, 0x0
	.amdhsa_kernel _Z25selective_scan_fwd_kernelI32Selective_Scan_fwd_kernel_traitsILi128ELi16ELi1ELb0ELb1ELb1ELb0ELb1EN3c104HalfEffEEv13SSMParamsBase
		.amdhsa_group_segment_fixed_size 0
		.amdhsa_private_segment_fixed_size 0
		.amdhsa_kernarg_size 248
		.amdhsa_user_sgpr_count 14
		.amdhsa_user_sgpr_dispatch_ptr 0
		.amdhsa_user_sgpr_queue_ptr 0
		.amdhsa_user_sgpr_kernarg_segment_ptr 1
		.amdhsa_user_sgpr_dispatch_id 0
		.amdhsa_user_sgpr_private_segment_size 0
		.amdhsa_wavefront_size32 1
		.amdhsa_uses_dynamic_stack 0
		.amdhsa_enable_private_segment 0
		.amdhsa_system_sgpr_workgroup_id_x 1
		.amdhsa_system_sgpr_workgroup_id_y 1
		.amdhsa_system_sgpr_workgroup_id_z 0
		.amdhsa_system_sgpr_workgroup_info 0
		.amdhsa_system_vgpr_workitem_id 0
		.amdhsa_next_free_vgpr 173
		.amdhsa_next_free_sgpr 92
		.amdhsa_reserve_vcc 1
		.amdhsa_float_round_mode_32 0
		.amdhsa_float_round_mode_16_64 0
		.amdhsa_float_denorm_mode_32 3
		.amdhsa_float_denorm_mode_16_64 3
		.amdhsa_dx10_clamp 1
		.amdhsa_ieee_mode 1
		.amdhsa_fp16_overflow 0
		.amdhsa_workgroup_processor_mode 1
		.amdhsa_memory_ordered 1
		.amdhsa_forward_progress 0
		.amdhsa_shared_vgpr_count 0
		.amdhsa_exception_fp_ieee_invalid_op 0
		.amdhsa_exception_fp_denorm_src 0
		.amdhsa_exception_fp_ieee_div_zero 0
		.amdhsa_exception_fp_ieee_overflow 0
		.amdhsa_exception_fp_ieee_underflow 0
		.amdhsa_exception_fp_ieee_inexact 0
		.amdhsa_exception_int_div_zero 0
	.end_amdhsa_kernel
	.section	.text._Z25selective_scan_fwd_kernelI32Selective_Scan_fwd_kernel_traitsILi128ELi16ELi1ELb0ELb1ELb1ELb0ELb1EN3c104HalfEffEEv13SSMParamsBase,"axG",@progbits,_Z25selective_scan_fwd_kernelI32Selective_Scan_fwd_kernel_traitsILi128ELi16ELi1ELb0ELb1ELb1ELb0ELb1EN3c104HalfEffEEv13SSMParamsBase,comdat
.Lfunc_end126:
	.size	_Z25selective_scan_fwd_kernelI32Selective_Scan_fwd_kernel_traitsILi128ELi16ELi1ELb0ELb1ELb1ELb0ELb1EN3c104HalfEffEEv13SSMParamsBase, .Lfunc_end126-_Z25selective_scan_fwd_kernelI32Selective_Scan_fwd_kernel_traitsILi128ELi16ELi1ELb0ELb1ELb1ELb0ELb1EN3c104HalfEffEEv13SSMParamsBase
                                        ; -- End function
	.section	.AMDGPU.csdata,"",@progbits
; Kernel info:
; codeLenInByte = 21472
; NumSgprs: 94
; NumVgprs: 173
; ScratchSize: 0
; MemoryBound: 0
; FloatMode: 240
; IeeeMode: 1
; LDSByteSize: 0 bytes/workgroup (compile time only)
; SGPRBlocks: 11
; VGPRBlocks: 21
; NumSGPRsForWavesPerEU: 94
; NumVGPRsForWavesPerEU: 173
; Occupancy: 8
; WaveLimiterHint : 1
; COMPUTE_PGM_RSRC2:SCRATCH_EN: 0
; COMPUTE_PGM_RSRC2:USER_SGPR: 14
; COMPUTE_PGM_RSRC2:TRAP_HANDLER: 0
; COMPUTE_PGM_RSRC2:TGID_X_EN: 1
; COMPUTE_PGM_RSRC2:TGID_Y_EN: 1
; COMPUTE_PGM_RSRC2:TGID_Z_EN: 0
; COMPUTE_PGM_RSRC2:TIDIG_COMP_CNT: 0
	.section	.text._Z25selective_scan_fwd_kernelI32Selective_Scan_fwd_kernel_traitsILi128ELi16ELi1ELb0ELb1ELb1ELb0ELb0EN3c104HalfEffEEv13SSMParamsBase,"axG",@progbits,_Z25selective_scan_fwd_kernelI32Selective_Scan_fwd_kernel_traitsILi128ELi16ELi1ELb0ELb1ELb1ELb0ELb0EN3c104HalfEffEEv13SSMParamsBase,comdat
	.protected	_Z25selective_scan_fwd_kernelI32Selective_Scan_fwd_kernel_traitsILi128ELi16ELi1ELb0ELb1ELb1ELb0ELb0EN3c104HalfEffEEv13SSMParamsBase ; -- Begin function _Z25selective_scan_fwd_kernelI32Selective_Scan_fwd_kernel_traitsILi128ELi16ELi1ELb0ELb1ELb1ELb0ELb0EN3c104HalfEffEEv13SSMParamsBase
	.globl	_Z25selective_scan_fwd_kernelI32Selective_Scan_fwd_kernel_traitsILi128ELi16ELi1ELb0ELb1ELb1ELb0ELb0EN3c104HalfEffEEv13SSMParamsBase
	.p2align	8
	.type	_Z25selective_scan_fwd_kernelI32Selective_Scan_fwd_kernel_traitsILi128ELi16ELi1ELb0ELb1ELb1ELb0ELb0EN3c104HalfEffEEv13SSMParamsBase,@function
_Z25selective_scan_fwd_kernelI32Selective_Scan_fwd_kernel_traitsILi128ELi16ELi1ELb0ELb1ELb1ELb0ELb0EN3c104HalfEffEEv13SSMParamsBase: ; @_Z25selective_scan_fwd_kernelI32Selective_Scan_fwd_kernel_traitsILi128ELi16ELi1ELb0ELb1ELb1ELb0ELb0EN3c104HalfEffEEv13SSMParamsBase
; %bb.0:
	s_clause 0x1
	s_load_b32 s9, s[0:1], 0x18
	s_load_b128 s[4:7], s[0:1], 0xe8
	s_mov_b32 s12, s15
	s_mov_b32 s68, 0
	s_waitcnt lgkmcnt(0)
	s_abs_i32 s8, s9
	s_cmp_eq_u64 s[6:7], 0
	v_cvt_f32_u32_e32 v1, s8
	s_delay_alu instid0(VALU_DEP_1) | instskip(SKIP_2) | instid1(VALU_DEP_1)
	v_rcp_iflag_f32_e32 v1, v1
	s_waitcnt_depctr 0xfff
	v_mul_f32_e32 v1, 0x4f7ffffe, v1
	v_cvt_u32_f32_e32 v1, v1
	s_delay_alu instid0(VALU_DEP_1)
	v_readfirstlane_b32 s10, v1
	s_cbranch_scc1 .LBB127_2
; %bb.1:
	v_mov_b32_e32 v1, 0
	s_ashr_i32 s3, s14, 31
	s_add_u32 s2, s6, s14
	s_addc_u32 s3, s7, s3
	global_load_u8 v1, v1, s[2:3]
	s_waitcnt vmcnt(0)
	v_and_b32_e32 v1, 1, v1
	s_delay_alu instid0(VALU_DEP_1)
	v_cmp_eq_u32_e64 s68, 1, v1
.LBB127_2:
	s_load_b64 s[6:7], s[0:1], 0x20
	s_cmp_eq_u64 s[4:5], 0
	s_cbranch_scc1 .LBB127_4
; %bb.3:
	s_ashr_i32 s15, s14, 31
	s_delay_alu instid0(SALU_CYCLE_1) | instskip(NEXT) | instid1(SALU_CYCLE_1)
	s_lshl_b64 s[2:3], s[14:15], 2
	s_add_u32 s2, s4, s2
	s_addc_u32 s3, s5, s3
	s_load_b32 s2, s[2:3], 0x0
	s_waitcnt lgkmcnt(0)
	s_ashr_i32 s3, s2, 31
	s_delay_alu instid0(SALU_CYCLE_1)
	s_cmp_eq_u64 s[6:7], s[2:3]
	s_cbranch_scc0 .LBB127_5
	s_branch .LBB127_238
.LBB127_4:
	s_mov_b32 s2, s14
	s_delay_alu instid0(SALU_CYCLE_1)
	s_ashr_i32 s3, s2, 31
	s_waitcnt lgkmcnt(0)
	s_cmp_eq_u64 s[6:7], s[2:3]
	s_cbranch_scc1 .LBB127_238
.LBB127_5:
	s_clause 0x1
	s_load_b512 s[16:31], s[0:1], 0x88
	s_load_b64 s[64:65], s[0:1], 0x8
	s_mov_b32 s69, 0
	s_mov_b32 s70, 0
	s_waitcnt lgkmcnt(0)
	s_cmp_eq_u64 s[22:23], 0
	s_cbranch_scc1 .LBB127_7
; %bb.6:
	s_ashr_i32 s13, s12, 31
	s_delay_alu instid0(SALU_CYCLE_1) | instskip(NEXT) | instid1(SALU_CYCLE_1)
	s_lshl_b64 s[4:5], s[12:13], 2
	s_add_u32 s4, s22, s4
	s_addc_u32 s5, s23, s5
	s_load_b32 s70, s[4:5], 0x0
.LBB127_7:
	s_cmp_eq_u64 s[28:29], 0
	s_cbranch_scc1 .LBB127_9
; %bb.8:
	s_ashr_i32 s13, s12, 31
	s_delay_alu instid0(SALU_CYCLE_1) | instskip(NEXT) | instid1(SALU_CYCLE_1)
	s_lshl_b64 s[4:5], s[12:13], 2
	s_add_u32 s4, s28, s4
	s_addc_u32 s5, s29, s5
	s_load_b32 s69, s[4:5], 0x0
.LBB127_9:
	s_cmp_lt_i32 s64, 1
	s_cbranch_scc1 .LBB127_238
; %bb.10:
	s_sub_i32 s3, 0, s8
	s_clause 0x1
	s_load_b64 s[4:5], s[0:1], 0x5c
	s_load_b128 s[56:59], s[0:1], 0x4c
	s_mul_i32 s3, s3, s10
	s_abs_i32 s6, s12
	s_mul_hi_u32 s3, s10, s3
	s_ashr_i32 s9, s9, 31
	s_add_i32 s10, s10, s3
	s_ashr_i32 s3, s12, 31
	s_mul_hi_u32 s7, s6, s10
	s_xor_b32 s3, s3, s9
	s_mul_i32 s10, s7, s8
	s_add_i32 s9, s7, 1
	s_sub_i32 s6, s6, s10
	s_load_b256 s[48:55], s[0:1], 0x2c
	s_sub_i32 s10, s6, s8
	s_cmp_ge_u32 s6, s8
	s_mov_b32 s67, 0
	s_cselect_b32 s7, s9, s7
	s_cselect_b32 s6, s10, s6
	s_add_i32 s9, s7, 1
	s_cmp_ge_u32 s6, s8
	s_waitcnt lgkmcnt(0)
	s_mul_i32 s66, s58, s14
	s_cselect_b32 s6, s9, s7
	s_load_b128 s[60:63], s[0:1], 0x7c
	s_xor_b32 s8, s6, s3
	s_lshl_b64 s[6:7], s[66:67], 1
	s_sub_i32 s3, s8, s3
	s_mul_i32 s66, s59, s12
	s_add_u32 s8, s24, s6
	s_addc_u32 s9, s25, s7
	s_lshl_b64 s[6:7], s[66:67], 1
	s_mul_i32 s66, s4, s14
	s_add_u32 s71, s8, s6
	s_addc_u32 s72, s9, s7
	s_lshl_b64 s[6:7], s[66:67], 1
	;; [unrolled: 4-line block ×3, first 2 shown]
	v_dual_mov_b32 v21, 0 :: v_dual_lshlrev_b32 v18, 4, v0
	s_add_u32 s73, s6, s4
	s_mul_i32 s66, s48, s12
	s_addc_u32 s48, s7, s5
	s_load_b64 s[6:7], s[0:1], 0xc8
	s_lshl_b64 s[4:5], s[66:67], 2
	v_mbcnt_lo_u32_b32 v19, -1, 0
	v_and_b32_e32 v1, 0x600, v18
	s_mul_i32 s66, s50, s14
	s_add_u32 s74, s16, s4
	s_waitcnt lgkmcnt(0)
	s_addc_u32 s63, s17, s5
	s_lshl_b64 s[4:5], s[66:67], 1
	s_mul_i32 s66, s3, s53
	s_clause 0x1
	s_load_b64 s[16:17], s[0:1], 0x6c
	s_load_b32 s0, s[0:1], 0x28
	s_add_u32 s8, s18, s4
	v_or_b32_e32 v20, v19, v1
	s_addc_u32 s9, s19, s5
	s_lshl_b64 s[4:5], s[66:67], 1
	s_mul_i32 s66, s54, s14
	s_add_u32 s53, s8, s4
	s_addc_u32 s75, s9, s5
	s_lshl_b64 s[4:5], s[66:67], 1
	s_mul_i32 s66, s3, s57
	v_or_b32_e32 v24, 0x60, v20
	v_and_b32_e32 v14, 0x60, v0
	s_add_u32 s8, s20, s4
	s_addc_u32 s3, s21, s5
	s_lshl_b64 s[4:5], s[66:67], 1
	s_mul_i32 s66, s2, s60
	s_add_u32 s57, s8, s4
	s_addc_u32 s76, s3, s5
	s_lshl_b64 s[2:3], s[66:67], 2
	v_or_b32_e32 v26, 0xa0, v20
	v_or_b32_e32 v28, 0xe0, v20
	;; [unrolled: 1-line block ×5, first 2 shown]
	v_lshrrev_b32_e32 v2, 5, v24
	v_or_b32_e32 v36, 0x1e0, v20
	v_or_b32_e32 v16, v19, v14
	s_mul_i32 s66, s61, s12
	s_add_u32 s4, s6, s2
	s_addc_u32 s5, s7, s3
	s_lshl_b64 s[2:3], s[66:67], 2
	v_or_b32_e32 v23, 64, v20
	s_add_u32 s77, s4, s2
	v_or_b32_e32 v25, 0x80, v20
	v_or_b32_e32 v27, 0xc0, v20
	;; [unrolled: 1-line block ×6, first 2 shown]
	v_and_b32_e32 v2, 50, v2
	v_lshrrev_b32_e32 v5, 5, v26
	v_lshrrev_b32_e32 v8, 5, v28
	;; [unrolled: 1-line block ×6, first 2 shown]
	v_lshrrev_b16 v50, 1, v16
	s_addc_u32 s78, s5, s3
	s_add_i32 s2, s64, 0x7ff
	v_lshrrev_b32_e32 v3, 5, v1
	s_lshr_b32 s79, s2, 11
	s_waitcnt lgkmcnt(0)
	s_bitcmp1_b32 s0, 0
	v_lshrrev_b32_e32 v4, 5, v23
	v_lshrrev_b32_e32 v6, 5, v25
	v_add_lshl_u32 v2, v2, v20, 1
	v_and_b32_e32 v5, 52, v5
	v_lshrrev_b32_e32 v7, 5, v27
	v_and_b32_e32 v8, 54, v8
	v_lshrrev_b32_e32 v10, 5, v29
	;; [unrolled: 2-line block ×5, first 2 shown]
	v_and_b32_e32 v51, 62, v49
	v_lshlrev_b32_e32 v16, 4, v16
	v_and_b32_e32 v52, 62, v50
	s_cselect_b32 s80, -1, 0
	s_cmp_gt_i32 s65, 0
	v_add_lshl_u32 v3, v3, v20, 1
	s_cselect_b32 s81, -1, 0
	s_add_i32 s0, 0, 0x1080
	v_add_lshl_u32 v4, v4, v20, 1
	v_add_lshl_u32 v6, v6, v20, 1
	v_add_nc_u32_e32 v39, 0, v2
	v_add_lshl_u32 v5, v5, v20, 1
	v_add_lshl_u32 v7, v7, v20, 1
	;; [unrolled: 1-line block ×12, first 2 shown]
	v_add_nc_u32_e32 v55, s0, v2
	v_and_b32_e32 v2, 15, v19
	s_and_b32 s1, s64, 0x7ff
	v_add_nc_u32_e32 v51, 0, v67
	v_add_nc_u32_e32 v53, s0, v3
	;; [unrolled: 1-line block ×15, first 2 shown]
	s_cmp_eq_u32 s1, 0
	v_add_nc_u32_e32 v68, s0, v16
	v_cmp_ne_u32_e64 s0, 0, v2
	v_cmp_lt_u32_e64 s1, 1, v2
	v_cmp_lt_u32_e64 s2, 3, v2
	;; [unrolled: 1-line block ×3, first 2 shown]
	v_add_nc_u32_e32 v2, -1, v19
	v_add_nc_u32_e32 v37, 0, v3
	v_lshrrev_b32_e32 v3, 2, v0
	v_add_nc_u32_e32 v41, 0, v5
	v_or_b32_e32 v5, 31, v14
	v_cmp_gt_i32_e32 vcc_lo, 0, v2
	s_mul_i32 s66, s16, s14
	v_and_b32_e32 v3, 24, v3
	s_cselect_b32 s82, -1, 0
	s_lshl_b64 s[14:15], s[66:67], 1
	v_cndmask_b32_e32 v2, v2, v19, vcc_lo
	s_add_i32 s83, s79, -1
	s_mul_i32 s66, s17, s12
	v_cmp_eq_u32_e64 s5, v5, v0
	v_cmp_gt_u32_e64 s6, 4, v0
	v_lshl_add_u32 v70, v0, 3, 0
	v_cmp_gt_u32_e64 s9, 32, v0
	v_cmp_lt_u32_e64 s10, 31, v0
	v_cmp_eq_u32_e64 s11, 0, v0
	s_add_u32 s14, s30, s14
	v_lshlrev_b32_e32 v0, 1, v19
	s_addc_u32 s15, s31, s15
	s_lshl_b64 s[12:13], s[66:67], 1
	v_add_nc_u32_e32 v69, 0, v3
	v_and_b32_e32 v3, 3, v19
	s_add_u32 s12, s14, s12
	v_lshlrev_b32_e32 v71, 2, v2
	s_addc_u32 s13, s15, s13
	v_lshlrev_b32_e32 v2, 1, v1
	v_add_co_u32 v0, s12, s12, v0
	v_add_nc_u32_e32 v38, 0, v4
	v_and_b32_e32 v4, 16, v19
	v_cmp_ne_u32_e64 s7, 0, v3
	v_cmp_lt_u32_e64 s8, 1, v3
	v_add_co_ci_u32_e64 v3, null, s13, 0, s12
	v_add_co_u32 v72, vcc_lo, v0, v2
	v_or_b32_e32 v22, 32, v20
	v_add_nc_u32_e32 v40, 0, v6
	v_add_nc_u32_e32 v42, 0, v7
	;; [unrolled: 1-line block ×11, first 2 shown]
	v_cmp_ne_u32_e64 s4, 0, v4
	v_cmp_eq_u32_e64 s12, 0, v19
	v_add_co_ci_u32_e32 v73, vcc_lo, 0, v3, vcc_lo
	v_or_b32_e32 v74, 1, v18
	v_or_b32_e32 v75, 2, v18
	;; [unrolled: 1-line block ×15, first 2 shown]
	v_lshlrev_b32_e32 v89, 1, v1
	s_mov_b32 s84, 0x3e9b6dac
	s_add_i32 s85, 0, 0x2120
	s_mov_b32 s86, 0
	s_branch .LBB127_12
.LBB127_11:                             ;   in Loop: Header=BB127_12 Depth=1
	s_or_b32 exec_lo, exec_lo, s13
	s_add_u32 s73, s73, 0x1000
	s_addc_u32 s48, s48, 0
	s_add_u32 s71, s71, 0x1000
	s_addc_u32 s72, s72, 0
	s_add_u32 s53, s53, 0x1000
	s_addc_u32 s75, s75, 0
	s_add_u32 s57, s57, 0x1000
	s_addc_u32 s76, s76, 0
	s_add_i32 s86, s86, 1
	s_delay_alu instid0(SALU_CYCLE_1)
	s_cmp_eq_u32 s86, s79
	s_cbranch_scc1 .LBB127_238
.LBB127_12:                             ; =>This Loop Header: Depth=1
                                        ;     Child Loop BB127_109 Depth 2
	s_waitcnt lgkmcnt(14)
	v_lshlrev_b32_e32 v16, 1, v19
	s_lshl_b32 s50, s86, 11
	s_waitcnt lgkmcnt(0)
	v_mov_b32_e32 v2, 0
	s_sub_i32 s41, s64, s50
	v_add_co_u32 v0, s13, s71, v16
	s_delay_alu instid0(VALU_DEP_1) | instskip(SKIP_1) | instid1(VALU_DEP_3)
	v_add_co_ci_u32_e64 v1, null, s72, 0, s13
	v_cmp_gt_u32_e64 s13, s41, v20
	v_add_co_u32 v0, vcc_lo, v0, v89
	s_delay_alu instid0(VALU_DEP_3)
	v_add_co_ci_u32_e32 v1, vcc_lo, 0, v1, vcc_lo
	s_waitcnt_vscnt null, 0x0
	s_barrier
	buffer_gl0_inv
	s_and_saveexec_b32 s14, s13
	s_cbranch_execz .LBB127_14
; %bb.13:                               ;   in Loop: Header=BB127_12 Depth=1
	global_load_u16 v2, v[0:1], off
.LBB127_14:                             ;   in Loop: Header=BB127_12 Depth=1
	s_or_b32 exec_lo, exec_lo, s14
	v_cmp_gt_u32_e64 s14, s41, v22
	v_dual_mov_b32 v3, 0 :: v_dual_mov_b32 v4, 0
	s_delay_alu instid0(VALU_DEP_2)
	s_and_saveexec_b32 s15, s14
	s_cbranch_execz .LBB127_16
; %bb.15:                               ;   in Loop: Header=BB127_12 Depth=1
	global_load_u16 v4, v[0:1], off offset:64
.LBB127_16:                             ;   in Loop: Header=BB127_12 Depth=1
	s_or_b32 exec_lo, exec_lo, s15
	v_cmp_gt_u32_e64 s15, s41, v23
	s_delay_alu instid0(VALU_DEP_1)
	s_and_saveexec_b32 s16, s15
	s_cbranch_execz .LBB127_18
; %bb.17:                               ;   in Loop: Header=BB127_12 Depth=1
	global_load_u16 v3, v[0:1], off offset:128
.LBB127_18:                             ;   in Loop: Header=BB127_12 Depth=1
	s_or_b32 exec_lo, exec_lo, s16
	v_cmp_gt_u32_e64 s16, s41, v24
	v_dual_mov_b32 v5, 0 :: v_dual_mov_b32 v6, 0
	s_delay_alu instid0(VALU_DEP_2)
	s_and_saveexec_b32 s17, s16
	s_cbranch_execz .LBB127_20
; %bb.19:                               ;   in Loop: Header=BB127_12 Depth=1
	global_load_u16 v6, v[0:1], off offset:192
.LBB127_20:                             ;   in Loop: Header=BB127_12 Depth=1
	s_or_b32 exec_lo, exec_lo, s17
	v_cmp_gt_u32_e64 s17, s41, v25
	s_delay_alu instid0(VALU_DEP_1)
	s_and_saveexec_b32 s18, s17
	s_cbranch_execz .LBB127_22
; %bb.21:                               ;   in Loop: Header=BB127_12 Depth=1
	global_load_u16 v5, v[0:1], off offset:256
.LBB127_22:                             ;   in Loop: Header=BB127_12 Depth=1
	;; [unrolled: 17-line block ×3, first 2 shown]
	s_or_b32 exec_lo, exec_lo, s20
	v_cmp_gt_u32_e64 s20, s41, v28
	v_mov_b32_e32 v9, 0
	v_mov_b32_e32 v11, 0
	s_delay_alu instid0(VALU_DEP_3)
	s_and_saveexec_b32 s21, s20
	s_cbranch_execz .LBB127_28
; %bb.27:                               ;   in Loop: Header=BB127_12 Depth=1
	global_load_u16 v11, v[0:1], off offset:448
.LBB127_28:                             ;   in Loop: Header=BB127_12 Depth=1
	s_or_b32 exec_lo, exec_lo, s21
	v_cmp_gt_u32_e64 s21, s41, v29
	s_delay_alu instid0(VALU_DEP_1)
	s_and_saveexec_b32 s22, s21
	s_cbranch_execz .LBB127_30
; %bb.29:                               ;   in Loop: Header=BB127_12 Depth=1
	global_load_u16 v9, v[0:1], off offset:512
.LBB127_30:                             ;   in Loop: Header=BB127_12 Depth=1
	s_or_b32 exec_lo, exec_lo, s22
	v_cmp_gt_u32_e64 s22, s41, v30
	v_dual_mov_b32 v12, 0 :: v_dual_mov_b32 v13, 0
	s_delay_alu instid0(VALU_DEP_2)
	s_and_saveexec_b32 s23, s22
	s_cbranch_execz .LBB127_32
; %bb.31:                               ;   in Loop: Header=BB127_12 Depth=1
	global_load_u16 v13, v[0:1], off offset:576
.LBB127_32:                             ;   in Loop: Header=BB127_12 Depth=1
	s_or_b32 exec_lo, exec_lo, s23
	v_cmp_gt_u32_e64 s23, s41, v31
	s_delay_alu instid0(VALU_DEP_1)
	s_and_saveexec_b32 s24, s23
	s_cbranch_execz .LBB127_34
; %bb.33:                               ;   in Loop: Header=BB127_12 Depth=1
	global_load_u16 v12, v[0:1], off offset:640
.LBB127_34:                             ;   in Loop: Header=BB127_12 Depth=1
	s_or_b32 exec_lo, exec_lo, s24
	v_cmp_gt_u32_e64 s24, s41, v32
	v_dual_mov_b32 v14, 0 :: v_dual_mov_b32 v15, 0
	s_delay_alu instid0(VALU_DEP_2)
	;; [unrolled: 17-line block ×4, first 2 shown]
	s_and_saveexec_b32 s29, s28
	s_cbranch_execz .LBB127_44
; %bb.43:                               ;   in Loop: Header=BB127_12 Depth=1
	global_load_u16 v91, v[0:1], off offset:960
.LBB127_44:                             ;   in Loop: Header=BB127_12 Depth=1
	s_or_b32 exec_lo, exec_lo, s29
	s_waitcnt vmcnt(0)
	ds_store_b16 v37, v2
	ds_store_b16 v37, v4 offset:64
	ds_store_b16 v38, v3 offset:128
	;; [unrolled: 1-line block ×15, first 2 shown]
	; wave barrier
	ds_load_b128 v[0:3], v52
	ds_load_b128 v[4:7], v52 offset:16
	v_add_co_u32 v8, s29, s73, v16
	s_delay_alu instid0(VALU_DEP_1) | instskip(SKIP_1) | instid1(VALU_DEP_2)
	v_add_co_ci_u32_e64 v9, null, s48, 0, s29
	s_waitcnt lgkmcnt(0)
	v_add_co_u32 v8, vcc_lo, v8, v89
	s_delay_alu instid0(VALU_DEP_2)
	v_add_co_ci_u32_e32 v9, vcc_lo, 0, v9, vcc_lo
	s_barrier
	buffer_gl0_inv
	s_and_saveexec_b32 s29, s13
	s_cbranch_execz .LBB127_46
; %bb.45:                               ;   in Loop: Header=BB127_12 Depth=1
	global_load_u16 v10, v[8:9], off
.LBB127_46:                             ;   in Loop: Header=BB127_12 Depth=1
	s_or_b32 exec_lo, exec_lo, s29
	v_dual_mov_b32 v11, 0 :: v_dual_mov_b32 v12, 0
	s_and_saveexec_b32 s29, s14
	s_cbranch_execz .LBB127_48
; %bb.47:                               ;   in Loop: Header=BB127_12 Depth=1
	global_load_u16 v12, v[8:9], off offset:64
.LBB127_48:                             ;   in Loop: Header=BB127_12 Depth=1
	s_or_b32 exec_lo, exec_lo, s29
	s_and_saveexec_b32 s29, s15
	s_cbranch_execz .LBB127_50
; %bb.49:                               ;   in Loop: Header=BB127_12 Depth=1
	global_load_u16 v11, v[8:9], off offset:128
.LBB127_50:                             ;   in Loop: Header=BB127_12 Depth=1
	s_or_b32 exec_lo, exec_lo, s29
	v_dual_mov_b32 v13, 0 :: v_dual_mov_b32 v14, 0
	s_and_saveexec_b32 s29, s16
	s_cbranch_execz .LBB127_52
; %bb.51:                               ;   in Loop: Header=BB127_12 Depth=1
	global_load_u16 v14, v[8:9], off offset:192
.LBB127_52:                             ;   in Loop: Header=BB127_12 Depth=1
	s_or_b32 exec_lo, exec_lo, s29
	s_and_saveexec_b32 s29, s17
	s_cbranch_execz .LBB127_54
; %bb.53:                               ;   in Loop: Header=BB127_12 Depth=1
	global_load_u16 v13, v[8:9], off offset:256
.LBB127_54:                             ;   in Loop: Header=BB127_12 Depth=1
	s_or_b32 exec_lo, exec_lo, s29
	v_mov_b32_e32 v15, 0
	v_mov_b32_e32 v17, 0
	s_and_saveexec_b32 s29, s18
	s_cbranch_execz .LBB127_56
; %bb.55:                               ;   in Loop: Header=BB127_12 Depth=1
	global_load_u16 v17, v[8:9], off offset:320
.LBB127_56:                             ;   in Loop: Header=BB127_12 Depth=1
	s_or_b32 exec_lo, exec_lo, s29
	s_and_saveexec_b32 s29, s19
	s_cbranch_execz .LBB127_58
; %bb.57:                               ;   in Loop: Header=BB127_12 Depth=1
	global_load_u16 v15, v[8:9], off offset:384
.LBB127_58:                             ;   in Loop: Header=BB127_12 Depth=1
	s_or_b32 exec_lo, exec_lo, s29
	v_dual_mov_b32 v90, 0 :: v_dual_mov_b32 v91, 0
	s_and_saveexec_b32 s29, s20
	s_cbranch_execz .LBB127_60
; %bb.59:                               ;   in Loop: Header=BB127_12 Depth=1
	global_load_u16 v91, v[8:9], off offset:448
.LBB127_60:                             ;   in Loop: Header=BB127_12 Depth=1
	s_or_b32 exec_lo, exec_lo, s29
	s_and_saveexec_b32 s29, s21
	s_cbranch_execz .LBB127_62
; %bb.61:                               ;   in Loop: Header=BB127_12 Depth=1
	global_load_u16 v90, v[8:9], off offset:512
.LBB127_62:                             ;   in Loop: Header=BB127_12 Depth=1
	s_or_b32 exec_lo, exec_lo, s29
	v_dual_mov_b32 v92, 0 :: v_dual_mov_b32 v93, 0
	;; [unrolled: 13-line block ×4, first 2 shown]
	s_and_saveexec_b32 s29, s26
	s_cbranch_execnz .LBB127_220
; %bb.71:                               ;   in Loop: Header=BB127_12 Depth=1
	s_or_b32 exec_lo, exec_lo, s29
	s_and_saveexec_b32 s29, s27
	s_cbranch_execnz .LBB127_221
.LBB127_72:                             ;   in Loop: Header=BB127_12 Depth=1
	s_or_b32 exec_lo, exec_lo, s29
	v_mov_b32_e32 v98, 0
	s_and_saveexec_b32 s29, s28
	s_cbranch_execz .LBB127_74
.LBB127_73:                             ;   in Loop: Header=BB127_12 Depth=1
	global_load_u16 v98, v[8:9], off offset:960
.LBB127_74:                             ;   in Loop: Header=BB127_12 Depth=1
	s_or_b32 exec_lo, exec_lo, s29
	s_waitcnt vmcnt(0)
	ds_store_b16 v37, v10
	ds_store_b16 v37, v12 offset:64
	ds_store_b16 v38, v11 offset:128
	;; [unrolled: 1-line block ×15, first 2 shown]
	; wave barrier
	ds_load_b128 v[12:15], v52
	ds_load_b128 v[8:11], v52 offset:16
	s_waitcnt lgkmcnt(1)
	v_cvt_f32_f16_e32 v17, v12
	s_delay_alu instid0(VALU_DEP_1) | instskip(NEXT) | instid1(VALU_DEP_1)
	v_add_f32_e32 v90, s69, v17
	v_cmp_ge_f32_e32 vcc_lo, 0x41a00000, v90
	s_and_b32 s29, s80, vcc_lo
	s_delay_alu instid0(SALU_CYCLE_1)
	s_and_saveexec_b32 s30, s29
	s_cbranch_execz .LBB127_76
; %bb.75:                               ;   in Loop: Header=BB127_12 Depth=1
	v_mul_f32_e32 v17, 0x3fb8aa3b, v90
	v_cmp_ngt_f32_e32 vcc_lo, 0xc2ce8ed0, v90
	s_delay_alu instid0(VALU_DEP_2) | instskip(SKIP_1) | instid1(VALU_DEP_1)
	v_rndne_f32_e32 v91, v17
	v_fma_f32 v92, 0x3fb8aa3b, v90, -v17
	v_dual_sub_f32 v17, v17, v91 :: v_dual_fmac_f32 v92, 0x32a5705f, v90
	v_cvt_i32_f32_e32 v91, v91
	s_delay_alu instid0(VALU_DEP_2) | instskip(NEXT) | instid1(VALU_DEP_1)
	v_add_f32_e32 v17, v17, v92
	v_exp_f32_e32 v17, v17
	s_waitcnt_depctr 0xfff
	v_ldexp_f32 v17, v17, v91
	s_delay_alu instid0(VALU_DEP_1) | instskip(SKIP_1) | instid1(VALU_DEP_2)
	v_cndmask_b32_e32 v17, 0, v17, vcc_lo
	v_cmp_nlt_f32_e32 vcc_lo, 0x42b17218, v90
	v_cndmask_b32_e32 v17, 0x7f800000, v17, vcc_lo
	s_delay_alu instid0(VALU_DEP_1) | instskip(NEXT) | instid1(VALU_DEP_1)
	v_add_f32_e32 v92, 1.0, v17
	v_cvt_f64_f32_e32 v[90:91], v92
	s_delay_alu instid0(VALU_DEP_1) | instskip(SKIP_1) | instid1(VALU_DEP_1)
	v_frexp_exp_i32_f64_e32 v90, v[90:91]
	v_frexp_mant_f32_e32 v91, v92
	v_cmp_gt_f32_e32 vcc_lo, 0x3f2aaaab, v91
	v_add_f32_e32 v91, -1.0, v92
	s_delay_alu instid0(VALU_DEP_1) | instskip(NEXT) | instid1(VALU_DEP_1)
	v_dual_sub_f32 v94, v91, v92 :: v_dual_sub_f32 v91, v17, v91
	v_add_f32_e32 v94, 1.0, v94
	v_subrev_co_ci_u32_e32 v90, vcc_lo, 0, v90, vcc_lo
	s_delay_alu instid0(VALU_DEP_1) | instskip(SKIP_1) | instid1(VALU_DEP_2)
	v_sub_nc_u32_e32 v93, 0, v90
	v_cvt_f32_i32_e32 v90, v90
	v_ldexp_f32 v92, v92, v93
	v_add_f32_e32 v91, v91, v94
	s_delay_alu instid0(VALU_DEP_1) | instskip(NEXT) | instid1(VALU_DEP_3)
	v_ldexp_f32 v91, v91, v93
	v_add_f32_e32 v95, 1.0, v92
	s_delay_alu instid0(VALU_DEP_1) | instskip(NEXT) | instid1(VALU_DEP_1)
	v_add_f32_e32 v94, -1.0, v95
	v_sub_f32_e32 v94, v92, v94
	v_cmp_eq_f32_e32 vcc_lo, 0x7f800000, v17
	v_cmp_gt_f32_e64 s29, 0x33800000, v17
	s_delay_alu instid0(VALU_DEP_3) | instskip(NEXT) | instid1(VALU_DEP_2)
	v_dual_add_f32 v94, v91, v94 :: v_dual_add_f32 v93, -1.0, v92
	s_or_b32 vcc_lo, s29, vcc_lo
	s_delay_alu instid0(VALU_DEP_1) | instskip(NEXT) | instid1(VALU_DEP_1)
	v_add_f32_e32 v96, 1.0, v93
	v_sub_f32_e32 v92, v92, v96
	s_delay_alu instid0(VALU_DEP_3) | instskip(NEXT) | instid1(VALU_DEP_1)
	v_add_f32_e32 v96, v95, v94
	v_sub_f32_e32 v95, v95, v96
	s_delay_alu instid0(VALU_DEP_3) | instskip(SKIP_1) | instid1(VALU_DEP_2)
	v_add_f32_e32 v91, v91, v92
	v_rcp_f32_e32 v92, v96
	v_add_f32_e32 v94, v94, v95
	s_delay_alu instid0(VALU_DEP_2) | instskip(NEXT) | instid1(VALU_DEP_1)
	v_add_f32_e32 v97, v93, v91
	v_sub_f32_e32 v93, v93, v97
	s_waitcnt_depctr 0xfff
	v_dual_mul_f32 v98, v97, v92 :: v_dual_add_f32 v91, v91, v93
	s_delay_alu instid0(VALU_DEP_1) | instskip(NEXT) | instid1(VALU_DEP_1)
	v_mul_f32_e32 v99, v96, v98
	v_fma_f32 v95, v98, v96, -v99
	s_delay_alu instid0(VALU_DEP_1) | instskip(NEXT) | instid1(VALU_DEP_1)
	v_fmac_f32_e32 v95, v98, v94
	v_add_f32_e32 v100, v99, v95
	s_delay_alu instid0(VALU_DEP_1) | instskip(NEXT) | instid1(VALU_DEP_1)
	v_sub_f32_e32 v101, v97, v100
	v_sub_f32_e32 v97, v97, v101
	;; [unrolled: 1-line block ×3, first 2 shown]
	s_delay_alu instid0(VALU_DEP_2) | instskip(NEXT) | instid1(VALU_DEP_2)
	v_sub_f32_e32 v97, v97, v100
	v_sub_f32_e32 v93, v93, v95
	s_delay_alu instid0(VALU_DEP_2) | instskip(NEXT) | instid1(VALU_DEP_1)
	v_add_f32_e32 v91, v91, v97
	v_add_f32_e32 v91, v93, v91
	s_delay_alu instid0(VALU_DEP_1) | instskip(NEXT) | instid1(VALU_DEP_1)
	v_add_f32_e32 v93, v101, v91
	v_mul_f32_e32 v95, v92, v93
	s_delay_alu instid0(VALU_DEP_1) | instskip(NEXT) | instid1(VALU_DEP_1)
	v_dual_sub_f32 v100, v101, v93 :: v_dual_mul_f32 v97, v96, v95
	v_add_f32_e32 v91, v91, v100
	s_delay_alu instid0(VALU_DEP_2) | instskip(NEXT) | instid1(VALU_DEP_1)
	v_fma_f32 v96, v95, v96, -v97
	v_fmac_f32_e32 v96, v95, v94
	s_delay_alu instid0(VALU_DEP_1) | instskip(NEXT) | instid1(VALU_DEP_1)
	v_add_f32_e32 v94, v97, v96
	v_sub_f32_e32 v99, v93, v94
	v_sub_f32_e32 v97, v94, v97
	s_delay_alu instid0(VALU_DEP_2) | instskip(NEXT) | instid1(VALU_DEP_1)
	v_sub_f32_e32 v93, v93, v99
	v_sub_f32_e32 v93, v93, v94
	s_delay_alu instid0(VALU_DEP_1) | instskip(SKIP_1) | instid1(VALU_DEP_1)
	v_dual_sub_f32 v94, v97, v96 :: v_dual_add_f32 v91, v91, v93
	v_add_f32_e32 v93, v98, v95
	v_dual_add_f32 v91, v94, v91 :: v_dual_sub_f32 v94, v93, v98
	s_delay_alu instid0(VALU_DEP_1) | instskip(NEXT) | instid1(VALU_DEP_1)
	v_add_f32_e32 v91, v99, v91
	v_dual_sub_f32 v94, v95, v94 :: v_dual_mul_f32 v91, v92, v91
	s_delay_alu instid0(VALU_DEP_1) | instskip(NEXT) | instid1(VALU_DEP_1)
	v_add_f32_e32 v91, v94, v91
	v_add_f32_e32 v92, v93, v91
	s_delay_alu instid0(VALU_DEP_1) | instskip(NEXT) | instid1(VALU_DEP_1)
	v_mul_f32_e32 v94, v92, v92
	v_fmaak_f32 v95, s84, v94, 0x3ecc95a3
	v_mul_f32_e32 v96, v92, v94
	s_delay_alu instid0(VALU_DEP_2) | instskip(SKIP_2) | instid1(VALU_DEP_3)
	v_fmaak_f32 v94, v94, v95, 0x3f2aaada
	v_ldexp_f32 v95, v92, 1
	v_sub_f32_e32 v92, v92, v93
	v_mul_f32_e32 v94, v96, v94
	s_delay_alu instid0(VALU_DEP_2) | instskip(NEXT) | instid1(VALU_DEP_2)
	v_dual_mul_f32 v96, 0x3f317218, v90 :: v_dual_sub_f32 v91, v91, v92
	v_add_f32_e32 v93, v95, v94
	s_delay_alu instid0(VALU_DEP_2) | instskip(NEXT) | instid1(VALU_DEP_2)
	v_ldexp_f32 v91, v91, 1
	v_sub_f32_e32 v92, v93, v95
	s_delay_alu instid0(VALU_DEP_4) | instskip(NEXT) | instid1(VALU_DEP_1)
	v_fma_f32 v95, 0x3f317218, v90, -v96
	v_dual_sub_f32 v92, v94, v92 :: v_dual_fmac_f32 v95, 0xb102e308, v90
	s_delay_alu instid0(VALU_DEP_1) | instskip(NEXT) | instid1(VALU_DEP_1)
	v_dual_add_f32 v90, v91, v92 :: v_dual_add_f32 v91, v96, v95
	v_add_f32_e32 v92, v93, v90
	s_delay_alu instid0(VALU_DEP_2) | instskip(NEXT) | instid1(VALU_DEP_2)
	v_sub_f32_e32 v96, v91, v96
	v_dual_add_f32 v94, v91, v92 :: v_dual_sub_f32 v93, v92, v93
	s_delay_alu instid0(VALU_DEP_2) | instskip(NEXT) | instid1(VALU_DEP_2)
	v_sub_f32_e32 v95, v95, v96
	v_sub_f32_e32 v97, v94, v91
	s_delay_alu instid0(VALU_DEP_3) | instskip(NEXT) | instid1(VALU_DEP_2)
	v_sub_f32_e32 v90, v90, v93
	v_sub_f32_e32 v98, v94, v97
	s_delay_alu instid0(VALU_DEP_2) | instskip(NEXT) | instid1(VALU_DEP_2)
	v_dual_sub_f32 v92, v92, v97 :: v_dual_add_f32 v93, v95, v90
	v_sub_f32_e32 v91, v91, v98
	s_delay_alu instid0(VALU_DEP_1) | instskip(NEXT) | instid1(VALU_DEP_3)
	v_add_f32_e32 v91, v92, v91
	v_sub_f32_e32 v92, v93, v95
	s_delay_alu instid0(VALU_DEP_2) | instskip(NEXT) | instid1(VALU_DEP_2)
	v_add_f32_e32 v91, v93, v91
	v_sub_f32_e32 v93, v93, v92
	v_sub_f32_e32 v90, v90, v92
	s_delay_alu instid0(VALU_DEP_2) | instskip(NEXT) | instid1(VALU_DEP_1)
	v_dual_add_f32 v96, v94, v91 :: v_dual_sub_f32 v93, v95, v93
	v_sub_f32_e32 v92, v96, v94
	s_delay_alu instid0(VALU_DEP_1) | instskip(NEXT) | instid1(VALU_DEP_1)
	v_dual_add_f32 v90, v90, v93 :: v_dual_sub_f32 v91, v91, v92
	v_add_f32_e32 v90, v90, v91
	s_delay_alu instid0(VALU_DEP_1) | instskip(NEXT) | instid1(VALU_DEP_1)
	v_add_f32_e32 v90, v96, v90
	v_cndmask_b32_e32 v90, v90, v17, vcc_lo
.LBB127_76:                             ;   in Loop: Header=BB127_12 Depth=1
	s_or_b32 exec_lo, exec_lo, s30
	v_lshrrev_b32_e32 v12, 16, v12
	s_delay_alu instid0(VALU_DEP_1) | instskip(NEXT) | instid1(VALU_DEP_1)
	v_cvt_f32_f16_e32 v12, v12
	v_add_f32_e32 v91, s69, v12
	s_delay_alu instid0(VALU_DEP_1) | instskip(SKIP_1) | instid1(SALU_CYCLE_1)
	v_cmp_ge_f32_e32 vcc_lo, 0x41a00000, v91
	s_and_b32 s29, s80, vcc_lo
	s_and_saveexec_b32 s30, s29
	s_cbranch_execz .LBB127_78
; %bb.77:                               ;   in Loop: Header=BB127_12 Depth=1
	v_mul_f32_e32 v12, 0x3fb8aa3b, v91
	v_cmp_ngt_f32_e32 vcc_lo, 0xc2ce8ed0, v91
	s_delay_alu instid0(VALU_DEP_2) | instskip(SKIP_1) | instid1(VALU_DEP_2)
	v_rndne_f32_e32 v17, v12
	v_fma_f32 v92, 0x3fb8aa3b, v91, -v12
	v_sub_f32_e32 v12, v12, v17
	s_delay_alu instid0(VALU_DEP_2) | instskip(SKIP_1) | instid1(VALU_DEP_2)
	v_fmac_f32_e32 v92, 0x32a5705f, v91
	v_cvt_i32_f32_e32 v17, v17
	v_add_f32_e32 v12, v12, v92
	s_delay_alu instid0(VALU_DEP_1) | instskip(SKIP_2) | instid1(VALU_DEP_1)
	v_exp_f32_e32 v12, v12
	s_waitcnt_depctr 0xfff
	v_ldexp_f32 v12, v12, v17
	v_cndmask_b32_e32 v12, 0, v12, vcc_lo
	v_cmp_nlt_f32_e32 vcc_lo, 0x42b17218, v91
	s_delay_alu instid0(VALU_DEP_2) | instskip(NEXT) | instid1(VALU_DEP_1)
	v_cndmask_b32_e32 v12, 0x7f800000, v12, vcc_lo
	v_add_f32_e32 v17, 1.0, v12
	s_delay_alu instid0(VALU_DEP_1) | instskip(NEXT) | instid1(VALU_DEP_1)
	v_cvt_f64_f32_e32 v[91:92], v17
	v_frexp_exp_i32_f64_e32 v91, v[91:92]
	v_frexp_mant_f32_e32 v92, v17
	s_delay_alu instid0(VALU_DEP_1) | instskip(SKIP_1) | instid1(VALU_DEP_1)
	v_cmp_gt_f32_e32 vcc_lo, 0x3f2aaaab, v92
	v_add_f32_e32 v92, -1.0, v17
	v_sub_f32_e32 v94, v92, v17
	v_sub_f32_e32 v92, v12, v92
	s_delay_alu instid0(VALU_DEP_2) | instskip(NEXT) | instid1(VALU_DEP_1)
	v_add_f32_e32 v94, 1.0, v94
	v_add_f32_e32 v92, v92, v94
	v_subrev_co_ci_u32_e32 v91, vcc_lo, 0, v91, vcc_lo
	s_delay_alu instid0(VALU_DEP_1) | instskip(SKIP_1) | instid1(VALU_DEP_2)
	v_sub_nc_u32_e32 v93, 0, v91
	v_cvt_f32_i32_e32 v91, v91
	v_ldexp_f32 v17, v17, v93
	v_ldexp_f32 v92, v92, v93
	s_delay_alu instid0(VALU_DEP_2) | instskip(NEXT) | instid1(VALU_DEP_1)
	v_add_f32_e32 v95, 1.0, v17
	v_dual_add_f32 v93, -1.0, v17 :: v_dual_add_f32 v94, -1.0, v95
	s_delay_alu instid0(VALU_DEP_1) | instskip(NEXT) | instid1(VALU_DEP_2)
	v_add_f32_e32 v96, 1.0, v93
	v_sub_f32_e32 v94, v17, v94
	s_delay_alu instid0(VALU_DEP_2) | instskip(NEXT) | instid1(VALU_DEP_1)
	v_sub_f32_e32 v17, v17, v96
	v_add_f32_e32 v17, v92, v17
	s_delay_alu instid0(VALU_DEP_1) | instskip(SKIP_2) | instid1(VALU_DEP_3)
	v_add_f32_e32 v97, v93, v17
	v_cmp_eq_f32_e32 vcc_lo, 0x7f800000, v12
	v_cmp_gt_f32_e64 s29, 0x33800000, v12
	v_dual_sub_f32 v93, v93, v97 :: v_dual_add_f32 v94, v92, v94
	s_delay_alu instid0(VALU_DEP_2) | instskip(NEXT) | instid1(VALU_DEP_1)
	s_or_b32 vcc_lo, s29, vcc_lo
	v_dual_add_f32 v17, v17, v93 :: v_dual_add_f32 v96, v95, v94
	s_delay_alu instid0(VALU_DEP_1) | instskip(SKIP_1) | instid1(VALU_DEP_1)
	v_rcp_f32_e32 v92, v96
	v_sub_f32_e32 v95, v95, v96
	v_add_f32_e32 v94, v94, v95
	s_waitcnt_depctr 0xfff
	v_mul_f32_e32 v98, v97, v92
	s_delay_alu instid0(VALU_DEP_1) | instskip(NEXT) | instid1(VALU_DEP_1)
	v_mul_f32_e32 v99, v96, v98
	v_fma_f32 v95, v98, v96, -v99
	s_delay_alu instid0(VALU_DEP_1) | instskip(NEXT) | instid1(VALU_DEP_1)
	v_fmac_f32_e32 v95, v98, v94
	v_add_f32_e32 v100, v99, v95
	s_delay_alu instid0(VALU_DEP_1) | instskip(SKIP_1) | instid1(VALU_DEP_2)
	v_sub_f32_e32 v101, v97, v100
	v_sub_f32_e32 v93, v100, v99
	;; [unrolled: 1-line block ×3, first 2 shown]
	s_delay_alu instid0(VALU_DEP_2) | instskip(NEXT) | instid1(VALU_DEP_2)
	v_sub_f32_e32 v93, v93, v95
	v_sub_f32_e32 v97, v97, v100
	s_delay_alu instid0(VALU_DEP_1) | instskip(NEXT) | instid1(VALU_DEP_1)
	v_add_f32_e32 v17, v17, v97
	v_add_f32_e32 v17, v93, v17
	s_delay_alu instid0(VALU_DEP_1) | instskip(NEXT) | instid1(VALU_DEP_1)
	v_add_f32_e32 v93, v101, v17
	v_mul_f32_e32 v95, v92, v93
	s_delay_alu instid0(VALU_DEP_1) | instskip(NEXT) | instid1(VALU_DEP_1)
	v_mul_f32_e32 v97, v96, v95
	v_fma_f32 v96, v95, v96, -v97
	s_delay_alu instid0(VALU_DEP_1) | instskip(SKIP_1) | instid1(VALU_DEP_2)
	v_fmac_f32_e32 v96, v95, v94
	v_sub_f32_e32 v100, v101, v93
	v_add_f32_e32 v94, v97, v96
	s_delay_alu instid0(VALU_DEP_2) | instskip(NEXT) | instid1(VALU_DEP_2)
	v_add_f32_e32 v17, v17, v100
	v_sub_f32_e32 v99, v93, v94
	s_delay_alu instid0(VALU_DEP_1) | instskip(NEXT) | instid1(VALU_DEP_1)
	v_sub_f32_e32 v93, v93, v99
	v_sub_f32_e32 v93, v93, v94
	s_delay_alu instid0(VALU_DEP_1) | instskip(SKIP_2) | instid1(VALU_DEP_1)
	v_add_f32_e32 v17, v17, v93
	v_add_f32_e32 v93, v98, v95
	v_sub_f32_e32 v97, v94, v97
	v_sub_f32_e32 v94, v97, v96
	s_delay_alu instid0(VALU_DEP_1) | instskip(NEXT) | instid1(VALU_DEP_1)
	v_dual_add_f32 v17, v94, v17 :: v_dual_sub_f32 v94, v93, v98
	v_add_f32_e32 v17, v99, v17
	s_delay_alu instid0(VALU_DEP_1) | instskip(NEXT) | instid1(VALU_DEP_1)
	v_dual_sub_f32 v94, v95, v94 :: v_dual_mul_f32 v17, v92, v17
	v_add_f32_e32 v17, v94, v17
	s_delay_alu instid0(VALU_DEP_1) | instskip(NEXT) | instid1(VALU_DEP_1)
	v_add_f32_e32 v92, v93, v17
	v_mul_f32_e32 v94, v92, v92
	s_delay_alu instid0(VALU_DEP_1) | instskip(SKIP_1) | instid1(VALU_DEP_2)
	v_fmaak_f32 v95, s84, v94, 0x3ecc95a3
	v_mul_f32_e32 v96, v92, v94
	v_fmaak_f32 v94, v94, v95, 0x3f2aaada
	v_ldexp_f32 v95, v92, 1
	s_delay_alu instid0(VALU_DEP_2) | instskip(SKIP_1) | instid1(VALU_DEP_2)
	v_mul_f32_e32 v94, v96, v94
	v_sub_f32_e32 v92, v92, v93
	v_dual_mul_f32 v96, 0x3f317218, v91 :: v_dual_add_f32 v93, v95, v94
	s_delay_alu instid0(VALU_DEP_2) | instskip(NEXT) | instid1(VALU_DEP_2)
	v_sub_f32_e32 v17, v17, v92
	v_sub_f32_e32 v92, v93, v95
	s_delay_alu instid0(VALU_DEP_3) | instskip(NEXT) | instid1(VALU_DEP_3)
	v_fma_f32 v95, 0x3f317218, v91, -v96
	v_ldexp_f32 v17, v17, 1
	s_delay_alu instid0(VALU_DEP_2) | instskip(NEXT) | instid1(VALU_DEP_1)
	v_dual_sub_f32 v92, v94, v92 :: v_dual_fmac_f32 v95, 0xb102e308, v91
	v_add_f32_e32 v17, v17, v92
	s_delay_alu instid0(VALU_DEP_1) | instskip(NEXT) | instid1(VALU_DEP_1)
	v_dual_add_f32 v91, v96, v95 :: v_dual_add_f32 v92, v93, v17
	v_sub_f32_e32 v96, v91, v96
	s_delay_alu instid0(VALU_DEP_2) | instskip(NEXT) | instid1(VALU_DEP_2)
	v_dual_add_f32 v94, v91, v92 :: v_dual_sub_f32 v93, v92, v93
	v_sub_f32_e32 v95, v95, v96
	s_delay_alu instid0(VALU_DEP_2) | instskip(NEXT) | instid1(VALU_DEP_1)
	v_sub_f32_e32 v97, v94, v91
	v_sub_f32_e32 v98, v94, v97
	v_sub_f32_e32 v92, v92, v97
	v_sub_f32_e32 v17, v17, v93
	s_delay_alu instid0(VALU_DEP_1) | instskip(NEXT) | instid1(VALU_DEP_4)
	v_add_f32_e32 v93, v95, v17
	v_sub_f32_e32 v91, v91, v98
	s_delay_alu instid0(VALU_DEP_1) | instskip(NEXT) | instid1(VALU_DEP_3)
	v_add_f32_e32 v91, v92, v91
	v_sub_f32_e32 v92, v93, v95
	s_delay_alu instid0(VALU_DEP_2) | instskip(NEXT) | instid1(VALU_DEP_2)
	v_add_f32_e32 v91, v93, v91
	v_sub_f32_e32 v93, v93, v92
	s_delay_alu instid0(VALU_DEP_2) | instskip(NEXT) | instid1(VALU_DEP_1)
	v_dual_sub_f32 v17, v17, v92 :: v_dual_add_f32 v96, v94, v91
	v_dual_sub_f32 v92, v96, v94 :: v_dual_sub_f32 v93, v95, v93
	s_delay_alu instid0(VALU_DEP_1) | instskip(NEXT) | instid1(VALU_DEP_2)
	v_sub_f32_e32 v91, v91, v92
	v_add_f32_e32 v17, v17, v93
	s_delay_alu instid0(VALU_DEP_1) | instskip(NEXT) | instid1(VALU_DEP_1)
	v_add_f32_e32 v17, v17, v91
	v_add_f32_e32 v17, v96, v17
	s_delay_alu instid0(VALU_DEP_1)
	v_cndmask_b32_e32 v91, v17, v12, vcc_lo
.LBB127_78:                             ;   in Loop: Header=BB127_12 Depth=1
	s_or_b32 exec_lo, exec_lo, s30
	v_cvt_f32_f16_e32 v12, v13
	s_delay_alu instid0(VALU_DEP_1) | instskip(NEXT) | instid1(VALU_DEP_1)
	v_add_f32_e32 v92, s69, v12
	v_cmp_ge_f32_e32 vcc_lo, 0x41a00000, v92
	s_and_b32 s29, s80, vcc_lo
	s_delay_alu instid0(SALU_CYCLE_1)
	s_and_saveexec_b32 s30, s29
	s_cbranch_execz .LBB127_80
; %bb.79:                               ;   in Loop: Header=BB127_12 Depth=1
	v_mul_f32_e32 v12, 0x3fb8aa3b, v92
	v_cmp_ngt_f32_e32 vcc_lo, 0xc2ce8ed0, v92
	s_delay_alu instid0(VALU_DEP_2) | instskip(SKIP_1) | instid1(VALU_DEP_1)
	v_rndne_f32_e32 v17, v12
	v_fma_f32 v93, 0x3fb8aa3b, v92, -v12
	v_dual_sub_f32 v12, v12, v17 :: v_dual_fmac_f32 v93, 0x32a5705f, v92
	v_cvt_i32_f32_e32 v17, v17
	s_delay_alu instid0(VALU_DEP_2) | instskip(NEXT) | instid1(VALU_DEP_1)
	v_add_f32_e32 v12, v12, v93
	v_exp_f32_e32 v12, v12
	s_waitcnt_depctr 0xfff
	v_ldexp_f32 v12, v12, v17
	s_delay_alu instid0(VALU_DEP_1) | instskip(SKIP_1) | instid1(VALU_DEP_2)
	v_cndmask_b32_e32 v12, 0, v12, vcc_lo
	v_cmp_nlt_f32_e32 vcc_lo, 0x42b17218, v92
	v_cndmask_b32_e32 v12, 0x7f800000, v12, vcc_lo
	s_delay_alu instid0(VALU_DEP_1) | instskip(NEXT) | instid1(VALU_DEP_1)
	v_add_f32_e32 v17, 1.0, v12
	v_cvt_f64_f32_e32 v[92:93], v17
	s_delay_alu instid0(VALU_DEP_1) | instskip(SKIP_1) | instid1(VALU_DEP_1)
	v_frexp_exp_i32_f64_e32 v92, v[92:93]
	v_frexp_mant_f32_e32 v93, v17
	v_cmp_gt_f32_e32 vcc_lo, 0x3f2aaaab, v93
	v_add_f32_e32 v93, -1.0, v17
	s_delay_alu instid0(VALU_DEP_1) | instskip(SKIP_1) | instid1(VALU_DEP_2)
	v_sub_f32_e32 v95, v93, v17
	v_sub_f32_e32 v93, v12, v93
	v_add_f32_e32 v95, 1.0, v95
	s_delay_alu instid0(VALU_DEP_1) | instskip(SKIP_3) | instid1(VALU_DEP_2)
	v_add_f32_e32 v93, v93, v95
	v_cmp_gt_f32_e64 s29, 0x33800000, v12
	v_subrev_co_ci_u32_e32 v92, vcc_lo, 0, v92, vcc_lo
	v_cmp_eq_f32_e32 vcc_lo, 0x7f800000, v12
	v_sub_nc_u32_e32 v94, 0, v92
	v_cvt_f32_i32_e32 v92, v92
	s_or_b32 vcc_lo, s29, vcc_lo
	s_delay_alu instid0(VALU_DEP_2) | instskip(SKIP_1) | instid1(VALU_DEP_2)
	v_ldexp_f32 v17, v17, v94
	v_ldexp_f32 v93, v93, v94
	v_add_f32_e32 v96, 1.0, v17
	s_delay_alu instid0(VALU_DEP_1) | instskip(NEXT) | instid1(VALU_DEP_1)
	v_dual_add_f32 v94, -1.0, v17 :: v_dual_add_f32 v95, -1.0, v96
	v_add_f32_e32 v97, 1.0, v94
	s_delay_alu instid0(VALU_DEP_2) | instskip(NEXT) | instid1(VALU_DEP_2)
	v_sub_f32_e32 v95, v17, v95
	v_sub_f32_e32 v17, v17, v97
	s_delay_alu instid0(VALU_DEP_1) | instskip(NEXT) | instid1(VALU_DEP_1)
	v_add_f32_e32 v17, v93, v17
	v_dual_add_f32 v98, v94, v17 :: v_dual_add_f32 v95, v93, v95
	s_delay_alu instid0(VALU_DEP_1) | instskip(NEXT) | instid1(VALU_DEP_1)
	v_dual_sub_f32 v94, v94, v98 :: v_dual_add_f32 v97, v96, v95
	v_rcp_f32_e32 v93, v97
	v_sub_f32_e32 v96, v96, v97
	s_delay_alu instid0(VALU_DEP_1) | instskip(SKIP_2) | instid1(VALU_DEP_1)
	v_add_f32_e32 v95, v95, v96
	s_waitcnt_depctr 0xfff
	v_mul_f32_e32 v99, v98, v93
	v_mul_f32_e32 v100, v97, v99
	s_delay_alu instid0(VALU_DEP_1) | instskip(NEXT) | instid1(VALU_DEP_1)
	v_fma_f32 v96, v99, v97, -v100
	v_fmac_f32_e32 v96, v99, v95
	s_delay_alu instid0(VALU_DEP_1) | instskip(NEXT) | instid1(VALU_DEP_1)
	v_add_f32_e32 v101, v100, v96
	v_sub_f32_e32 v102, v98, v101
	s_delay_alu instid0(VALU_DEP_1) | instskip(SKIP_2) | instid1(VALU_DEP_3)
	v_sub_f32_e32 v98, v98, v102
	v_add_f32_e32 v17, v17, v94
	v_sub_f32_e32 v94, v101, v100
	v_sub_f32_e32 v98, v98, v101
	s_delay_alu instid0(VALU_DEP_1) | instskip(NEXT) | instid1(VALU_DEP_1)
	v_dual_sub_f32 v94, v94, v96 :: v_dual_add_f32 v17, v17, v98
	v_add_f32_e32 v17, v94, v17
	s_delay_alu instid0(VALU_DEP_1) | instskip(NEXT) | instid1(VALU_DEP_1)
	v_add_f32_e32 v94, v102, v17
	v_mul_f32_e32 v96, v93, v94
	s_delay_alu instid0(VALU_DEP_1) | instskip(NEXT) | instid1(VALU_DEP_1)
	v_dual_sub_f32 v101, v102, v94 :: v_dual_mul_f32 v98, v97, v96
	v_add_f32_e32 v17, v17, v101
	s_delay_alu instid0(VALU_DEP_2) | instskip(NEXT) | instid1(VALU_DEP_1)
	v_fma_f32 v97, v96, v97, -v98
	v_fmac_f32_e32 v97, v96, v95
	s_delay_alu instid0(VALU_DEP_1) | instskip(NEXT) | instid1(VALU_DEP_1)
	v_add_f32_e32 v95, v98, v97
	v_sub_f32_e32 v100, v94, v95
	s_delay_alu instid0(VALU_DEP_1) | instskip(NEXT) | instid1(VALU_DEP_1)
	v_sub_f32_e32 v94, v94, v100
	v_sub_f32_e32 v94, v94, v95
	s_delay_alu instid0(VALU_DEP_1) | instskip(SKIP_1) | instid1(VALU_DEP_1)
	v_dual_add_f32 v17, v17, v94 :: v_dual_add_f32 v94, v99, v96
	v_sub_f32_e32 v98, v95, v98
	v_sub_f32_e32 v95, v98, v97
	s_delay_alu instid0(VALU_DEP_1) | instskip(NEXT) | instid1(VALU_DEP_4)
	v_add_f32_e32 v17, v95, v17
	v_sub_f32_e32 v95, v94, v99
	s_delay_alu instid0(VALU_DEP_2) | instskip(NEXT) | instid1(VALU_DEP_2)
	v_add_f32_e32 v17, v100, v17
	v_sub_f32_e32 v95, v96, v95
	s_delay_alu instid0(VALU_DEP_2) | instskip(NEXT) | instid1(VALU_DEP_1)
	v_mul_f32_e32 v17, v93, v17
	v_add_f32_e32 v17, v95, v17
	s_delay_alu instid0(VALU_DEP_1) | instskip(NEXT) | instid1(VALU_DEP_1)
	v_add_f32_e32 v93, v94, v17
	v_mul_f32_e32 v95, v93, v93
	s_delay_alu instid0(VALU_DEP_1) | instskip(SKIP_1) | instid1(VALU_DEP_2)
	v_fmaak_f32 v96, s84, v95, 0x3ecc95a3
	v_mul_f32_e32 v97, v93, v95
	v_fmaak_f32 v95, v95, v96, 0x3f2aaada
	v_ldexp_f32 v96, v93, 1
	v_sub_f32_e32 v93, v93, v94
	s_delay_alu instid0(VALU_DEP_3) | instskip(SKIP_1) | instid1(VALU_DEP_2)
	v_mul_f32_e32 v95, v97, v95
	v_mul_f32_e32 v97, 0x3f317218, v92
	v_dual_sub_f32 v17, v17, v93 :: v_dual_add_f32 v94, v96, v95
	s_delay_alu instid0(VALU_DEP_1) | instskip(NEXT) | instid1(VALU_DEP_2)
	v_ldexp_f32 v17, v17, 1
	v_sub_f32_e32 v93, v94, v96
	s_delay_alu instid0(VALU_DEP_4) | instskip(NEXT) | instid1(VALU_DEP_1)
	v_fma_f32 v96, 0x3f317218, v92, -v97
	v_dual_sub_f32 v93, v95, v93 :: v_dual_fmac_f32 v96, 0xb102e308, v92
	s_delay_alu instid0(VALU_DEP_1) | instskip(NEXT) | instid1(VALU_DEP_1)
	v_add_f32_e32 v17, v17, v93
	v_dual_add_f32 v92, v97, v96 :: v_dual_add_f32 v93, v94, v17
	s_delay_alu instid0(VALU_DEP_1) | instskip(NEXT) | instid1(VALU_DEP_2)
	v_sub_f32_e32 v97, v92, v97
	v_dual_add_f32 v95, v92, v93 :: v_dual_sub_f32 v94, v93, v94
	s_delay_alu instid0(VALU_DEP_2) | instskip(NEXT) | instid1(VALU_DEP_2)
	v_sub_f32_e32 v96, v96, v97
	v_dual_sub_f32 v98, v95, v92 :: v_dual_sub_f32 v17, v17, v94
	s_delay_alu instid0(VALU_DEP_1) | instskip(NEXT) | instid1(VALU_DEP_2)
	v_sub_f32_e32 v99, v95, v98
	v_dual_sub_f32 v93, v93, v98 :: v_dual_add_f32 v94, v96, v17
	s_delay_alu instid0(VALU_DEP_2) | instskip(NEXT) | instid1(VALU_DEP_1)
	v_sub_f32_e32 v92, v92, v99
	v_add_f32_e32 v92, v93, v92
	s_delay_alu instid0(VALU_DEP_3) | instskip(NEXT) | instid1(VALU_DEP_2)
	v_sub_f32_e32 v93, v94, v96
	v_add_f32_e32 v92, v94, v92
	s_delay_alu instid0(VALU_DEP_2) | instskip(SKIP_1) | instid1(VALU_DEP_2)
	v_sub_f32_e32 v94, v94, v93
	v_sub_f32_e32 v17, v17, v93
	v_dual_add_f32 v97, v95, v92 :: v_dual_sub_f32 v94, v96, v94
	s_delay_alu instid0(VALU_DEP_1) | instskip(NEXT) | instid1(VALU_DEP_1)
	v_sub_f32_e32 v93, v97, v95
	v_dual_add_f32 v17, v17, v94 :: v_dual_sub_f32 v92, v92, v93
	s_delay_alu instid0(VALU_DEP_1) | instskip(NEXT) | instid1(VALU_DEP_1)
	v_add_f32_e32 v17, v17, v92
	v_add_f32_e32 v17, v97, v17
	s_delay_alu instid0(VALU_DEP_1)
	v_cndmask_b32_e32 v92, v17, v12, vcc_lo
.LBB127_80:                             ;   in Loop: Header=BB127_12 Depth=1
	s_or_b32 exec_lo, exec_lo, s30
	v_lshrrev_b32_e32 v12, 16, v13
	s_delay_alu instid0(VALU_DEP_1) | instskip(NEXT) | instid1(VALU_DEP_1)
	v_cvt_f32_f16_e32 v12, v12
	v_add_f32_e32 v93, s69, v12
	s_delay_alu instid0(VALU_DEP_1) | instskip(SKIP_1) | instid1(SALU_CYCLE_1)
	v_cmp_ge_f32_e32 vcc_lo, 0x41a00000, v93
	s_and_b32 s29, s80, vcc_lo
	s_and_saveexec_b32 s30, s29
	s_cbranch_execz .LBB127_82
; %bb.81:                               ;   in Loop: Header=BB127_12 Depth=1
	v_mul_f32_e32 v12, 0x3fb8aa3b, v93
	v_cmp_ngt_f32_e32 vcc_lo, 0xc2ce8ed0, v93
	s_delay_alu instid0(VALU_DEP_2) | instskip(SKIP_1) | instid1(VALU_DEP_2)
	v_rndne_f32_e32 v13, v12
	v_fma_f32 v17, 0x3fb8aa3b, v93, -v12
	v_sub_f32_e32 v12, v12, v13
	s_delay_alu instid0(VALU_DEP_2) | instskip(SKIP_1) | instid1(VALU_DEP_2)
	v_fmac_f32_e32 v17, 0x32a5705f, v93
	v_cvt_i32_f32_e32 v13, v13
	v_add_f32_e32 v12, v12, v17
	s_delay_alu instid0(VALU_DEP_1) | instskip(SKIP_2) | instid1(VALU_DEP_1)
	v_exp_f32_e32 v12, v12
	s_waitcnt_depctr 0xfff
	v_ldexp_f32 v12, v12, v13
	v_cndmask_b32_e32 v12, 0, v12, vcc_lo
	v_cmp_nlt_f32_e32 vcc_lo, 0x42b17218, v93
	s_delay_alu instid0(VALU_DEP_2) | instskip(NEXT) | instid1(VALU_DEP_1)
	v_cndmask_b32_e32 v17, 0x7f800000, v12, vcc_lo
	v_add_f32_e32 v93, 1.0, v17
	s_delay_alu instid0(VALU_DEP_1) | instskip(NEXT) | instid1(VALU_DEP_1)
	v_cvt_f64_f32_e32 v[12:13], v93
	v_frexp_exp_i32_f64_e32 v12, v[12:13]
	v_frexp_mant_f32_e32 v13, v93
	s_delay_alu instid0(VALU_DEP_1) | instskip(SKIP_1) | instid1(VALU_DEP_1)
	v_cmp_gt_f32_e32 vcc_lo, 0x3f2aaaab, v13
	v_add_f32_e32 v13, -1.0, v93
	v_sub_f32_e32 v95, v13, v93
	s_delay_alu instid0(VALU_DEP_1) | instskip(SKIP_1) | instid1(VALU_DEP_1)
	v_add_f32_e32 v95, 1.0, v95
	v_subrev_co_ci_u32_e32 v12, vcc_lo, 0, v12, vcc_lo
	v_sub_nc_u32_e32 v94, 0, v12
	v_cvt_f32_i32_e32 v12, v12
	s_delay_alu instid0(VALU_DEP_2) | instskip(NEXT) | instid1(VALU_DEP_1)
	v_ldexp_f32 v93, v93, v94
	v_add_f32_e32 v96, 1.0, v93
	v_sub_f32_e32 v13, v17, v13
	v_cmp_eq_f32_e32 vcc_lo, 0x7f800000, v17
	v_cmp_gt_f32_e64 s29, 0x33800000, v17
	s_delay_alu instid0(VALU_DEP_3) | instskip(SKIP_1) | instid1(VALU_DEP_3)
	v_add_f32_e32 v13, v13, v95
	v_add_f32_e32 v95, -1.0, v96
	s_or_b32 vcc_lo, s29, vcc_lo
	s_delay_alu instid0(VALU_DEP_2) | instskip(NEXT) | instid1(VALU_DEP_2)
	v_ldexp_f32 v13, v13, v94
	v_dual_add_f32 v94, -1.0, v93 :: v_dual_sub_f32 v95, v93, v95
	s_delay_alu instid0(VALU_DEP_1) | instskip(NEXT) | instid1(VALU_DEP_2)
	v_add_f32_e32 v97, 1.0, v94
	v_add_f32_e32 v95, v13, v95
	s_delay_alu instid0(VALU_DEP_2) | instskip(NEXT) | instid1(VALU_DEP_1)
	v_sub_f32_e32 v93, v93, v97
	v_add_f32_e32 v13, v13, v93
	s_delay_alu instid0(VALU_DEP_1) | instskip(NEXT) | instid1(VALU_DEP_1)
	v_dual_add_f32 v98, v94, v13 :: v_dual_add_f32 v97, v96, v95
	v_sub_f32_e32 v94, v94, v98
	s_delay_alu instid0(VALU_DEP_2) | instskip(NEXT) | instid1(VALU_DEP_1)
	v_rcp_f32_e32 v93, v97
	v_dual_sub_f32 v96, v96, v97 :: v_dual_add_f32 v13, v13, v94
	s_delay_alu instid0(VALU_DEP_1) | instskip(SKIP_2) | instid1(VALU_DEP_1)
	v_add_f32_e32 v95, v95, v96
	s_waitcnt_depctr 0xfff
	v_mul_f32_e32 v99, v98, v93
	v_mul_f32_e32 v100, v97, v99
	s_delay_alu instid0(VALU_DEP_1) | instskip(NEXT) | instid1(VALU_DEP_1)
	v_fma_f32 v96, v99, v97, -v100
	v_fmac_f32_e32 v96, v99, v95
	s_delay_alu instid0(VALU_DEP_1) | instskip(NEXT) | instid1(VALU_DEP_1)
	v_add_f32_e32 v101, v100, v96
	v_sub_f32_e32 v102, v98, v101
	v_sub_f32_e32 v94, v101, v100
	s_delay_alu instid0(VALU_DEP_2) | instskip(NEXT) | instid1(VALU_DEP_2)
	v_sub_f32_e32 v98, v98, v102
	v_sub_f32_e32 v94, v94, v96
	s_delay_alu instid0(VALU_DEP_2) | instskip(NEXT) | instid1(VALU_DEP_1)
	v_sub_f32_e32 v98, v98, v101
	v_add_f32_e32 v13, v13, v98
	s_delay_alu instid0(VALU_DEP_1) | instskip(NEXT) | instid1(VALU_DEP_1)
	v_add_f32_e32 v13, v94, v13
	v_add_f32_e32 v94, v102, v13
	s_delay_alu instid0(VALU_DEP_1) | instskip(NEXT) | instid1(VALU_DEP_1)
	v_mul_f32_e32 v96, v93, v94
	v_dual_sub_f32 v101, v102, v94 :: v_dual_mul_f32 v98, v97, v96
	s_delay_alu instid0(VALU_DEP_1) | instskip(NEXT) | instid1(VALU_DEP_1)
	v_fma_f32 v97, v96, v97, -v98
	v_fmac_f32_e32 v97, v96, v95
	s_delay_alu instid0(VALU_DEP_1) | instskip(NEXT) | instid1(VALU_DEP_1)
	v_add_f32_e32 v95, v98, v97
	v_dual_add_f32 v13, v13, v101 :: v_dual_sub_f32 v100, v94, v95
	s_delay_alu instid0(VALU_DEP_1) | instskip(NEXT) | instid1(VALU_DEP_1)
	v_sub_f32_e32 v94, v94, v100
	v_sub_f32_e32 v94, v94, v95
	s_delay_alu instid0(VALU_DEP_1) | instskip(SKIP_1) | instid1(VALU_DEP_1)
	v_dual_add_f32 v13, v13, v94 :: v_dual_add_f32 v94, v99, v96
	v_sub_f32_e32 v98, v95, v98
	v_sub_f32_e32 v95, v98, v97
	s_delay_alu instid0(VALU_DEP_1) | instskip(NEXT) | instid1(VALU_DEP_4)
	v_add_f32_e32 v13, v95, v13
	v_sub_f32_e32 v95, v94, v99
	s_delay_alu instid0(VALU_DEP_2) | instskip(NEXT) | instid1(VALU_DEP_2)
	v_add_f32_e32 v13, v100, v13
	v_sub_f32_e32 v95, v96, v95
	s_delay_alu instid0(VALU_DEP_2) | instskip(NEXT) | instid1(VALU_DEP_1)
	v_mul_f32_e32 v13, v93, v13
	v_add_f32_e32 v13, v95, v13
	s_delay_alu instid0(VALU_DEP_1) | instskip(NEXT) | instid1(VALU_DEP_1)
	v_add_f32_e32 v93, v94, v13
	v_mul_f32_e32 v95, v93, v93
	s_delay_alu instid0(VALU_DEP_1) | instskip(SKIP_1) | instid1(VALU_DEP_2)
	v_fmaak_f32 v96, s84, v95, 0x3ecc95a3
	v_mul_f32_e32 v97, v93, v95
	v_fmaak_f32 v95, v95, v96, 0x3f2aaada
	v_ldexp_f32 v96, v93, 1
	v_sub_f32_e32 v93, v93, v94
	s_delay_alu instid0(VALU_DEP_3) | instskip(SKIP_1) | instid1(VALU_DEP_2)
	v_mul_f32_e32 v95, v97, v95
	v_mul_f32_e32 v97, 0x3f317218, v12
	v_dual_sub_f32 v13, v13, v93 :: v_dual_add_f32 v94, v96, v95
	s_delay_alu instid0(VALU_DEP_1) | instskip(NEXT) | instid1(VALU_DEP_2)
	v_ldexp_f32 v13, v13, 1
	v_sub_f32_e32 v93, v94, v96
	s_delay_alu instid0(VALU_DEP_4) | instskip(NEXT) | instid1(VALU_DEP_1)
	v_fma_f32 v96, 0x3f317218, v12, -v97
	v_dual_sub_f32 v93, v95, v93 :: v_dual_fmac_f32 v96, 0xb102e308, v12
	s_delay_alu instid0(VALU_DEP_1) | instskip(NEXT) | instid1(VALU_DEP_2)
	v_add_f32_e32 v12, v13, v93
	v_add_f32_e32 v13, v97, v96
	s_delay_alu instid0(VALU_DEP_2) | instskip(NEXT) | instid1(VALU_DEP_2)
	v_add_f32_e32 v93, v94, v12
	v_sub_f32_e32 v97, v13, v97
	s_delay_alu instid0(VALU_DEP_2) | instskip(SKIP_1) | instid1(VALU_DEP_3)
	v_add_f32_e32 v95, v13, v93
	v_sub_f32_e32 v94, v93, v94
	v_sub_f32_e32 v96, v96, v97
	s_delay_alu instid0(VALU_DEP_3) | instskip(NEXT) | instid1(VALU_DEP_3)
	v_sub_f32_e32 v98, v95, v13
	v_sub_f32_e32 v12, v12, v94
	s_delay_alu instid0(VALU_DEP_2) | instskip(NEXT) | instid1(VALU_DEP_2)
	v_sub_f32_e32 v99, v95, v98
	v_dual_sub_f32 v93, v93, v98 :: v_dual_add_f32 v94, v96, v12
	s_delay_alu instid0(VALU_DEP_2) | instskip(NEXT) | instid1(VALU_DEP_1)
	v_sub_f32_e32 v13, v13, v99
	v_add_f32_e32 v13, v93, v13
	s_delay_alu instid0(VALU_DEP_3) | instskip(NEXT) | instid1(VALU_DEP_2)
	v_sub_f32_e32 v93, v94, v96
	v_add_f32_e32 v13, v94, v13
	s_delay_alu instid0(VALU_DEP_2) | instskip(SKIP_1) | instid1(VALU_DEP_1)
	v_sub_f32_e32 v12, v12, v93
	v_sub_f32_e32 v94, v94, v93
	v_dual_add_f32 v97, v95, v13 :: v_dual_sub_f32 v94, v96, v94
	s_delay_alu instid0(VALU_DEP_1) | instskip(NEXT) | instid1(VALU_DEP_1)
	v_dual_sub_f32 v93, v97, v95 :: v_dual_add_f32 v12, v12, v94
	v_sub_f32_e32 v13, v13, v93
	s_delay_alu instid0(VALU_DEP_1) | instskip(NEXT) | instid1(VALU_DEP_1)
	v_add_f32_e32 v12, v12, v13
	v_add_f32_e32 v12, v97, v12
	s_delay_alu instid0(VALU_DEP_1)
	v_cndmask_b32_e32 v93, v12, v17, vcc_lo
.LBB127_82:                             ;   in Loop: Header=BB127_12 Depth=1
	s_or_b32 exec_lo, exec_lo, s30
	v_cvt_f32_f16_e32 v12, v14
	s_delay_alu instid0(VALU_DEP_1) | instskip(NEXT) | instid1(VALU_DEP_1)
	v_add_f32_e32 v94, s69, v12
	v_cmp_ge_f32_e32 vcc_lo, 0x41a00000, v94
	s_and_b32 s29, s80, vcc_lo
	s_delay_alu instid0(SALU_CYCLE_1)
	s_and_saveexec_b32 s30, s29
	s_cbranch_execz .LBB127_84
; %bb.83:                               ;   in Loop: Header=BB127_12 Depth=1
	v_mul_f32_e32 v12, 0x3fb8aa3b, v94
	v_cmp_ngt_f32_e32 vcc_lo, 0xc2ce8ed0, v94
	s_delay_alu instid0(VALU_DEP_2) | instskip(SKIP_1) | instid1(VALU_DEP_1)
	v_rndne_f32_e32 v13, v12
	v_fma_f32 v17, 0x3fb8aa3b, v94, -v12
	v_dual_sub_f32 v12, v12, v13 :: v_dual_fmac_f32 v17, 0x32a5705f, v94
	v_cvt_i32_f32_e32 v13, v13
	s_delay_alu instid0(VALU_DEP_2) | instskip(NEXT) | instid1(VALU_DEP_1)
	v_add_f32_e32 v12, v12, v17
	v_exp_f32_e32 v12, v12
	s_waitcnt_depctr 0xfff
	v_ldexp_f32 v12, v12, v13
	s_delay_alu instid0(VALU_DEP_1) | instskip(SKIP_1) | instid1(VALU_DEP_2)
	v_cndmask_b32_e32 v12, 0, v12, vcc_lo
	v_cmp_nlt_f32_e32 vcc_lo, 0x42b17218, v94
	v_cndmask_b32_e32 v17, 0x7f800000, v12, vcc_lo
	s_delay_alu instid0(VALU_DEP_1) | instskip(NEXT) | instid1(VALU_DEP_1)
	v_add_f32_e32 v94, 1.0, v17
	v_cvt_f64_f32_e32 v[12:13], v94
	s_delay_alu instid0(VALU_DEP_1) | instskip(SKIP_1) | instid1(VALU_DEP_1)
	v_frexp_exp_i32_f64_e32 v12, v[12:13]
	v_frexp_mant_f32_e32 v13, v94
	v_cmp_gt_f32_e32 vcc_lo, 0x3f2aaaab, v13
	v_add_f32_e32 v13, -1.0, v94
	s_delay_alu instid0(VALU_DEP_1) | instskip(SKIP_2) | instid1(VALU_DEP_3)
	v_sub_f32_e32 v96, v13, v94
	v_sub_f32_e32 v13, v17, v13
	v_cmp_gt_f32_e64 s29, 0x33800000, v17
	v_add_f32_e32 v96, 1.0, v96
	s_delay_alu instid0(VALU_DEP_1) | instskip(SKIP_2) | instid1(VALU_DEP_2)
	v_add_f32_e32 v13, v13, v96
	v_subrev_co_ci_u32_e32 v12, vcc_lo, 0, v12, vcc_lo
	v_cmp_eq_f32_e32 vcc_lo, 0x7f800000, v17
	v_sub_nc_u32_e32 v95, 0, v12
	v_cvt_f32_i32_e32 v12, v12
	s_or_b32 vcc_lo, s29, vcc_lo
	s_delay_alu instid0(VALU_DEP_2) | instskip(SKIP_1) | instid1(VALU_DEP_2)
	v_ldexp_f32 v94, v94, v95
	v_ldexp_f32 v13, v13, v95
	v_add_f32_e32 v95, -1.0, v94
	s_delay_alu instid0(VALU_DEP_1) | instskip(NEXT) | instid1(VALU_DEP_1)
	v_dual_add_f32 v97, 1.0, v94 :: v_dual_add_f32 v98, 1.0, v95
	v_add_f32_e32 v96, -1.0, v97
	s_delay_alu instid0(VALU_DEP_1) | instskip(NEXT) | instid1(VALU_DEP_3)
	v_sub_f32_e32 v96, v94, v96
	v_sub_f32_e32 v94, v94, v98
	s_delay_alu instid0(VALU_DEP_2) | instskip(NEXT) | instid1(VALU_DEP_2)
	v_add_f32_e32 v96, v13, v96
	v_add_f32_e32 v13, v13, v94
	s_delay_alu instid0(VALU_DEP_1) | instskip(NEXT) | instid1(VALU_DEP_1)
	v_dual_add_f32 v99, v95, v13 :: v_dual_add_f32 v98, v97, v96
	v_sub_f32_e32 v95, v95, v99
	s_delay_alu instid0(VALU_DEP_2) | instskip(SKIP_1) | instid1(VALU_DEP_1)
	v_rcp_f32_e32 v94, v98
	v_sub_f32_e32 v97, v97, v98
	v_dual_add_f32 v13, v13, v95 :: v_dual_add_f32 v96, v96, v97
	s_waitcnt_depctr 0xfff
	v_mul_f32_e32 v100, v99, v94
	s_delay_alu instid0(VALU_DEP_1) | instskip(NEXT) | instid1(VALU_DEP_1)
	v_mul_f32_e32 v101, v98, v100
	v_fma_f32 v97, v100, v98, -v101
	s_delay_alu instid0(VALU_DEP_1) | instskip(NEXT) | instid1(VALU_DEP_1)
	v_fmac_f32_e32 v97, v100, v96
	v_add_f32_e32 v102, v101, v97
	s_delay_alu instid0(VALU_DEP_1) | instskip(SKIP_1) | instid1(VALU_DEP_2)
	v_sub_f32_e32 v103, v99, v102
	v_sub_f32_e32 v95, v102, v101
	;; [unrolled: 1-line block ×3, first 2 shown]
	s_delay_alu instid0(VALU_DEP_2) | instskip(NEXT) | instid1(VALU_DEP_2)
	v_sub_f32_e32 v95, v95, v97
	v_sub_f32_e32 v99, v99, v102
	s_delay_alu instid0(VALU_DEP_1) | instskip(NEXT) | instid1(VALU_DEP_1)
	v_add_f32_e32 v13, v13, v99
	v_add_f32_e32 v13, v95, v13
	s_delay_alu instid0(VALU_DEP_1) | instskip(NEXT) | instid1(VALU_DEP_1)
	v_add_f32_e32 v95, v103, v13
	v_mul_f32_e32 v97, v94, v95
	s_delay_alu instid0(VALU_DEP_1) | instskip(NEXT) | instid1(VALU_DEP_1)
	v_dual_sub_f32 v102, v103, v95 :: v_dual_mul_f32 v99, v98, v97
	v_add_f32_e32 v13, v13, v102
	s_delay_alu instid0(VALU_DEP_2) | instskip(NEXT) | instid1(VALU_DEP_1)
	v_fma_f32 v98, v97, v98, -v99
	v_fmac_f32_e32 v98, v97, v96
	s_delay_alu instid0(VALU_DEP_1) | instskip(NEXT) | instid1(VALU_DEP_1)
	v_add_f32_e32 v96, v99, v98
	v_sub_f32_e32 v101, v95, v96
	s_delay_alu instid0(VALU_DEP_1) | instskip(NEXT) | instid1(VALU_DEP_1)
	v_sub_f32_e32 v95, v95, v101
	v_sub_f32_e32 v95, v95, v96
	s_delay_alu instid0(VALU_DEP_1) | instskip(SKIP_2) | instid1(VALU_DEP_1)
	v_add_f32_e32 v13, v13, v95
	v_add_f32_e32 v95, v100, v97
	v_sub_f32_e32 v99, v96, v99
	v_sub_f32_e32 v96, v99, v98
	s_delay_alu instid0(VALU_DEP_1) | instskip(NEXT) | instid1(VALU_DEP_1)
	v_dual_add_f32 v13, v96, v13 :: v_dual_sub_f32 v96, v95, v100
	v_add_f32_e32 v13, v101, v13
	s_delay_alu instid0(VALU_DEP_1) | instskip(NEXT) | instid1(VALU_DEP_1)
	v_dual_sub_f32 v96, v97, v96 :: v_dual_mul_f32 v13, v94, v13
	v_add_f32_e32 v13, v96, v13
	s_delay_alu instid0(VALU_DEP_1) | instskip(NEXT) | instid1(VALU_DEP_1)
	v_add_f32_e32 v94, v95, v13
	v_mul_f32_e32 v96, v94, v94
	s_delay_alu instid0(VALU_DEP_1) | instskip(SKIP_1) | instid1(VALU_DEP_2)
	v_fmaak_f32 v97, s84, v96, 0x3ecc95a3
	v_mul_f32_e32 v98, v94, v96
	v_fmaak_f32 v96, v96, v97, 0x3f2aaada
	v_ldexp_f32 v97, v94, 1
	v_sub_f32_e32 v94, v94, v95
	s_delay_alu instid0(VALU_DEP_3) | instskip(NEXT) | instid1(VALU_DEP_2)
	v_mul_f32_e32 v96, v98, v96
	v_dual_mul_f32 v98, 0x3f317218, v12 :: v_dual_sub_f32 v13, v13, v94
	s_delay_alu instid0(VALU_DEP_2) | instskip(NEXT) | instid1(VALU_DEP_2)
	v_add_f32_e32 v95, v97, v96
	v_ldexp_f32 v13, v13, 1
	s_delay_alu instid0(VALU_DEP_2) | instskip(NEXT) | instid1(VALU_DEP_4)
	v_sub_f32_e32 v94, v95, v97
	v_fma_f32 v97, 0x3f317218, v12, -v98
	s_delay_alu instid0(VALU_DEP_1) | instskip(NEXT) | instid1(VALU_DEP_1)
	v_dual_sub_f32 v94, v96, v94 :: v_dual_fmac_f32 v97, 0xb102e308, v12
	v_add_f32_e32 v12, v13, v94
	s_delay_alu instid0(VALU_DEP_1) | instskip(NEXT) | instid1(VALU_DEP_1)
	v_add_f32_e32 v94, v95, v12
	v_sub_f32_e32 v95, v94, v95
	s_delay_alu instid0(VALU_DEP_1) | instskip(NEXT) | instid1(VALU_DEP_1)
	v_dual_sub_f32 v12, v12, v95 :: v_dual_add_f32 v13, v98, v97
	v_add_f32_e32 v96, v13, v94
	s_delay_alu instid0(VALU_DEP_1) | instskip(NEXT) | instid1(VALU_DEP_1)
	v_dual_sub_f32 v98, v13, v98 :: v_dual_sub_f32 v99, v96, v13
	v_dual_sub_f32 v97, v97, v98 :: v_dual_sub_f32 v100, v96, v99
	s_delay_alu instid0(VALU_DEP_1) | instskip(NEXT) | instid1(VALU_DEP_2)
	v_dual_sub_f32 v94, v94, v99 :: v_dual_add_f32 v95, v97, v12
	v_sub_f32_e32 v13, v13, v100
	s_delay_alu instid0(VALU_DEP_1) | instskip(NEXT) | instid1(VALU_DEP_3)
	v_add_f32_e32 v13, v94, v13
	v_sub_f32_e32 v94, v95, v97
	s_delay_alu instid0(VALU_DEP_2) | instskip(NEXT) | instid1(VALU_DEP_2)
	v_add_f32_e32 v13, v95, v13
	v_sub_f32_e32 v95, v95, v94
	v_sub_f32_e32 v12, v12, v94
	s_delay_alu instid0(VALU_DEP_2) | instskip(NEXT) | instid1(VALU_DEP_1)
	v_dual_add_f32 v98, v96, v13 :: v_dual_sub_f32 v95, v97, v95
	v_sub_f32_e32 v94, v98, v96
	s_delay_alu instid0(VALU_DEP_1) | instskip(NEXT) | instid1(VALU_DEP_1)
	v_dual_add_f32 v12, v12, v95 :: v_dual_sub_f32 v13, v13, v94
	v_add_f32_e32 v12, v12, v13
	s_delay_alu instid0(VALU_DEP_1) | instskip(NEXT) | instid1(VALU_DEP_1)
	v_add_f32_e32 v12, v98, v12
	v_cndmask_b32_e32 v94, v12, v17, vcc_lo
.LBB127_84:                             ;   in Loop: Header=BB127_12 Depth=1
	s_or_b32 exec_lo, exec_lo, s30
	v_lshrrev_b32_e32 v12, 16, v14
	s_delay_alu instid0(VALU_DEP_1) | instskip(NEXT) | instid1(VALU_DEP_1)
	v_cvt_f32_f16_e32 v12, v12
	v_add_f32_e32 v95, s69, v12
	s_delay_alu instid0(VALU_DEP_1) | instskip(SKIP_1) | instid1(SALU_CYCLE_1)
	v_cmp_ge_f32_e32 vcc_lo, 0x41a00000, v95
	s_and_b32 s29, s80, vcc_lo
	s_and_saveexec_b32 s30, s29
	s_cbranch_execz .LBB127_86
; %bb.85:                               ;   in Loop: Header=BB127_12 Depth=1
	v_mul_f32_e32 v12, 0x3fb8aa3b, v95
	v_cmp_ngt_f32_e32 vcc_lo, 0xc2ce8ed0, v95
	s_delay_alu instid0(VALU_DEP_2) | instskip(SKIP_1) | instid1(VALU_DEP_2)
	v_rndne_f32_e32 v13, v12
	v_fma_f32 v14, 0x3fb8aa3b, v95, -v12
	v_sub_f32_e32 v12, v12, v13
	s_delay_alu instid0(VALU_DEP_2) | instskip(SKIP_1) | instid1(VALU_DEP_2)
	v_fmac_f32_e32 v14, 0x32a5705f, v95
	v_cvt_i32_f32_e32 v13, v13
	v_add_f32_e32 v12, v12, v14
	s_delay_alu instid0(VALU_DEP_1) | instskip(SKIP_2) | instid1(VALU_DEP_1)
	v_exp_f32_e32 v12, v12
	s_waitcnt_depctr 0xfff
	v_ldexp_f32 v12, v12, v13
	v_cndmask_b32_e32 v12, 0, v12, vcc_lo
	v_cmp_nlt_f32_e32 vcc_lo, 0x42b17218, v95
	s_delay_alu instid0(VALU_DEP_2) | instskip(NEXT) | instid1(VALU_DEP_1)
	v_cndmask_b32_e32 v14, 0x7f800000, v12, vcc_lo
	v_add_f32_e32 v17, 1.0, v14
	s_delay_alu instid0(VALU_DEP_1) | instskip(NEXT) | instid1(VALU_DEP_1)
	v_cvt_f64_f32_e32 v[12:13], v17
	v_frexp_exp_i32_f64_e32 v12, v[12:13]
	v_frexp_mant_f32_e32 v13, v17
	s_delay_alu instid0(VALU_DEP_1) | instskip(SKIP_1) | instid1(VALU_DEP_1)
	v_cmp_gt_f32_e32 vcc_lo, 0x3f2aaaab, v13
	v_add_f32_e32 v13, -1.0, v17
	v_sub_f32_e32 v96, v13, v17
	v_sub_f32_e32 v13, v14, v13
	v_subrev_co_ci_u32_e32 v12, vcc_lo, 0, v12, vcc_lo
	s_delay_alu instid0(VALU_DEP_1) | instskip(SKIP_1) | instid1(VALU_DEP_2)
	v_sub_nc_u32_e32 v95, 0, v12
	v_cvt_f32_i32_e32 v12, v12
	v_ldexp_f32 v17, v17, v95
	s_delay_alu instid0(VALU_DEP_1) | instskip(NEXT) | instid1(VALU_DEP_1)
	v_dual_add_f32 v96, 1.0, v96 :: v_dual_add_f32 v97, 1.0, v17
	v_dual_add_f32 v13, v13, v96 :: v_dual_add_f32 v96, -1.0, v97
	s_delay_alu instid0(VALU_DEP_1) | instskip(SKIP_4) | instid1(VALU_DEP_4)
	v_ldexp_f32 v13, v13, v95
	v_add_f32_e32 v95, -1.0, v17
	v_cmp_eq_f32_e32 vcc_lo, 0x7f800000, v14
	v_cmp_gt_f32_e64 s29, 0x33800000, v14
	v_sub_f32_e32 v96, v17, v96
	v_add_f32_e32 v98, 1.0, v95
	s_delay_alu instid0(VALU_DEP_3) | instskip(NEXT) | instid1(VALU_DEP_2)
	s_or_b32 vcc_lo, s29, vcc_lo
	v_add_f32_e32 v96, v13, v96
	s_delay_alu instid0(VALU_DEP_2) | instskip(NEXT) | instid1(VALU_DEP_1)
	v_sub_f32_e32 v17, v17, v98
	v_add_f32_e32 v13, v13, v17
	s_delay_alu instid0(VALU_DEP_1) | instskip(NEXT) | instid1(VALU_DEP_1)
	v_dual_add_f32 v99, v95, v13 :: v_dual_add_f32 v98, v97, v96
	v_sub_f32_e32 v95, v95, v99
	s_delay_alu instid0(VALU_DEP_2) | instskip(SKIP_1) | instid1(VALU_DEP_1)
	v_rcp_f32_e32 v17, v98
	v_sub_f32_e32 v97, v97, v98
	v_dual_add_f32 v13, v13, v95 :: v_dual_add_f32 v96, v96, v97
	s_waitcnt_depctr 0xfff
	v_mul_f32_e32 v100, v99, v17
	s_delay_alu instid0(VALU_DEP_1) | instskip(NEXT) | instid1(VALU_DEP_1)
	v_mul_f32_e32 v101, v98, v100
	v_fma_f32 v97, v100, v98, -v101
	s_delay_alu instid0(VALU_DEP_1) | instskip(NEXT) | instid1(VALU_DEP_1)
	v_fmac_f32_e32 v97, v100, v96
	v_add_f32_e32 v102, v101, v97
	s_delay_alu instid0(VALU_DEP_1) | instskip(NEXT) | instid1(VALU_DEP_1)
	v_sub_f32_e32 v103, v99, v102
	v_sub_f32_e32 v99, v99, v103
	;; [unrolled: 1-line block ×3, first 2 shown]
	s_delay_alu instid0(VALU_DEP_2) | instskip(NEXT) | instid1(VALU_DEP_2)
	v_sub_f32_e32 v99, v99, v102
	v_sub_f32_e32 v95, v95, v97
	s_delay_alu instid0(VALU_DEP_2) | instskip(NEXT) | instid1(VALU_DEP_1)
	v_add_f32_e32 v13, v13, v99
	v_add_f32_e32 v13, v95, v13
	s_delay_alu instid0(VALU_DEP_1) | instskip(NEXT) | instid1(VALU_DEP_1)
	v_add_f32_e32 v95, v103, v13
	v_mul_f32_e32 v97, v17, v95
	s_delay_alu instid0(VALU_DEP_1) | instskip(NEXT) | instid1(VALU_DEP_1)
	v_dual_sub_f32 v102, v103, v95 :: v_dual_mul_f32 v99, v98, v97
	v_add_f32_e32 v13, v13, v102
	s_delay_alu instid0(VALU_DEP_2) | instskip(NEXT) | instid1(VALU_DEP_1)
	v_fma_f32 v98, v97, v98, -v99
	v_fmac_f32_e32 v98, v97, v96
	s_delay_alu instid0(VALU_DEP_1) | instskip(NEXT) | instid1(VALU_DEP_1)
	v_add_f32_e32 v96, v99, v98
	v_sub_f32_e32 v101, v95, v96
	v_sub_f32_e32 v99, v96, v99
	s_delay_alu instid0(VALU_DEP_2) | instskip(NEXT) | instid1(VALU_DEP_1)
	v_sub_f32_e32 v95, v95, v101
	v_sub_f32_e32 v95, v95, v96
	s_delay_alu instid0(VALU_DEP_1) | instskip(SKIP_1) | instid1(VALU_DEP_1)
	v_dual_sub_f32 v96, v99, v98 :: v_dual_add_f32 v13, v13, v95
	v_add_f32_e32 v95, v100, v97
	v_dual_add_f32 v13, v96, v13 :: v_dual_sub_f32 v96, v95, v100
	s_delay_alu instid0(VALU_DEP_1) | instskip(NEXT) | instid1(VALU_DEP_2)
	v_add_f32_e32 v13, v101, v13
	v_sub_f32_e32 v96, v97, v96
	s_delay_alu instid0(VALU_DEP_2) | instskip(NEXT) | instid1(VALU_DEP_1)
	v_mul_f32_e32 v13, v17, v13
	v_add_f32_e32 v13, v96, v13
	s_delay_alu instid0(VALU_DEP_1) | instskip(NEXT) | instid1(VALU_DEP_1)
	v_add_f32_e32 v17, v95, v13
	v_mul_f32_e32 v96, v17, v17
	s_delay_alu instid0(VALU_DEP_1) | instskip(SKIP_1) | instid1(VALU_DEP_2)
	v_fmaak_f32 v97, s84, v96, 0x3ecc95a3
	v_mul_f32_e32 v98, v17, v96
	v_fmaak_f32 v96, v96, v97, 0x3f2aaada
	v_ldexp_f32 v97, v17, 1
	s_delay_alu instid0(VALU_DEP_2) | instskip(NEXT) | instid1(VALU_DEP_1)
	v_dual_sub_f32 v17, v17, v95 :: v_dual_mul_f32 v96, v98, v96
	v_dual_mul_f32 v98, 0x3f317218, v12 :: v_dual_sub_f32 v13, v13, v17
	s_delay_alu instid0(VALU_DEP_2) | instskip(NEXT) | instid1(VALU_DEP_2)
	v_add_f32_e32 v95, v97, v96
	v_ldexp_f32 v13, v13, 1
	s_delay_alu instid0(VALU_DEP_2) | instskip(NEXT) | instid1(VALU_DEP_4)
	v_sub_f32_e32 v17, v95, v97
	v_fma_f32 v97, 0x3f317218, v12, -v98
	s_delay_alu instid0(VALU_DEP_2) | instskip(NEXT) | instid1(VALU_DEP_1)
	v_sub_f32_e32 v17, v96, v17
	v_dual_fmac_f32 v97, 0xb102e308, v12 :: v_dual_add_f32 v12, v13, v17
	s_delay_alu instid0(VALU_DEP_1) | instskip(NEXT) | instid1(VALU_DEP_1)
	v_add_f32_e32 v13, v98, v97
	v_dual_add_f32 v17, v95, v12 :: v_dual_sub_f32 v98, v13, v98
	s_delay_alu instid0(VALU_DEP_1) | instskip(SKIP_1) | instid1(VALU_DEP_3)
	v_add_f32_e32 v96, v13, v17
	v_sub_f32_e32 v95, v17, v95
	v_sub_f32_e32 v97, v97, v98
	s_delay_alu instid0(VALU_DEP_3) | instskip(NEXT) | instid1(VALU_DEP_3)
	v_sub_f32_e32 v99, v96, v13
	v_sub_f32_e32 v12, v12, v95
	s_delay_alu instid0(VALU_DEP_2) | instskip(SKIP_1) | instid1(VALU_DEP_3)
	v_sub_f32_e32 v100, v96, v99
	v_sub_f32_e32 v17, v17, v99
	v_add_f32_e32 v95, v97, v12
	s_delay_alu instid0(VALU_DEP_3) | instskip(NEXT) | instid1(VALU_DEP_1)
	v_sub_f32_e32 v13, v13, v100
	v_add_f32_e32 v13, v17, v13
	s_delay_alu instid0(VALU_DEP_3) | instskip(NEXT) | instid1(VALU_DEP_2)
	v_sub_f32_e32 v17, v95, v97
	v_add_f32_e32 v13, v95, v13
	s_delay_alu instid0(VALU_DEP_2) | instskip(SKIP_1) | instid1(VALU_DEP_2)
	v_sub_f32_e32 v95, v95, v17
	v_sub_f32_e32 v12, v12, v17
	v_dual_add_f32 v98, v96, v13 :: v_dual_sub_f32 v95, v97, v95
	s_delay_alu instid0(VALU_DEP_1) | instskip(NEXT) | instid1(VALU_DEP_1)
	v_dual_sub_f32 v17, v98, v96 :: v_dual_add_f32 v12, v12, v95
	v_sub_f32_e32 v13, v13, v17
	s_delay_alu instid0(VALU_DEP_1) | instskip(NEXT) | instid1(VALU_DEP_1)
	v_add_f32_e32 v12, v12, v13
	v_add_f32_e32 v12, v98, v12
	s_delay_alu instid0(VALU_DEP_1)
	v_cndmask_b32_e32 v95, v12, v14, vcc_lo
.LBB127_86:                             ;   in Loop: Header=BB127_12 Depth=1
	s_or_b32 exec_lo, exec_lo, s30
	v_cvt_f32_f16_e32 v12, v15
	s_delay_alu instid0(VALU_DEP_1) | instskip(NEXT) | instid1(VALU_DEP_1)
	v_add_f32_e32 v96, s69, v12
	v_cmp_ge_f32_e32 vcc_lo, 0x41a00000, v96
	s_and_b32 s29, s80, vcc_lo
	s_delay_alu instid0(SALU_CYCLE_1)
	s_and_saveexec_b32 s30, s29
	s_cbranch_execz .LBB127_88
; %bb.87:                               ;   in Loop: Header=BB127_12 Depth=1
	v_mul_f32_e32 v12, 0x3fb8aa3b, v96
	v_cmp_ngt_f32_e32 vcc_lo, 0xc2ce8ed0, v96
	s_delay_alu instid0(VALU_DEP_2) | instskip(SKIP_1) | instid1(VALU_DEP_2)
	v_rndne_f32_e32 v13, v12
	v_fma_f32 v14, 0x3fb8aa3b, v96, -v12
	v_sub_f32_e32 v12, v12, v13
	s_delay_alu instid0(VALU_DEP_2) | instskip(SKIP_1) | instid1(VALU_DEP_2)
	v_fmac_f32_e32 v14, 0x32a5705f, v96
	v_cvt_i32_f32_e32 v13, v13
	v_add_f32_e32 v12, v12, v14
	s_delay_alu instid0(VALU_DEP_1) | instskip(SKIP_2) | instid1(VALU_DEP_1)
	v_exp_f32_e32 v12, v12
	s_waitcnt_depctr 0xfff
	v_ldexp_f32 v12, v12, v13
	v_cndmask_b32_e32 v12, 0, v12, vcc_lo
	v_cmp_nlt_f32_e32 vcc_lo, 0x42b17218, v96
	s_delay_alu instid0(VALU_DEP_2) | instskip(NEXT) | instid1(VALU_DEP_1)
	v_cndmask_b32_e32 v14, 0x7f800000, v12, vcc_lo
	v_add_f32_e32 v17, 1.0, v14
	s_delay_alu instid0(VALU_DEP_1) | instskip(NEXT) | instid1(VALU_DEP_1)
	v_cvt_f64_f32_e32 v[12:13], v17
	v_frexp_exp_i32_f64_e32 v12, v[12:13]
	v_frexp_mant_f32_e32 v13, v17
	s_delay_alu instid0(VALU_DEP_1) | instskip(SKIP_1) | instid1(VALU_DEP_1)
	v_cmp_gt_f32_e32 vcc_lo, 0x3f2aaaab, v13
	v_add_f32_e32 v13, -1.0, v17
	v_sub_f32_e32 v97, v13, v17
	s_delay_alu instid0(VALU_DEP_1) | instskip(SKIP_2) | instid1(VALU_DEP_2)
	v_add_f32_e32 v97, 1.0, v97
	v_sub_f32_e32 v13, v14, v13
	v_cmp_gt_f32_e64 s29, 0x33800000, v14
	v_add_f32_e32 v13, v13, v97
	v_subrev_co_ci_u32_e32 v12, vcc_lo, 0, v12, vcc_lo
	v_cmp_eq_f32_e32 vcc_lo, 0x7f800000, v14
	s_delay_alu instid0(VALU_DEP_2) | instskip(SKIP_2) | instid1(VALU_DEP_2)
	v_sub_nc_u32_e32 v96, 0, v12
	v_cvt_f32_i32_e32 v12, v12
	s_or_b32 vcc_lo, s29, vcc_lo
	v_ldexp_f32 v17, v17, v96
	v_ldexp_f32 v13, v13, v96
	s_delay_alu instid0(VALU_DEP_2) | instskip(NEXT) | instid1(VALU_DEP_1)
	v_add_f32_e32 v96, -1.0, v17
	v_dual_add_f32 v98, 1.0, v17 :: v_dual_add_f32 v99, 1.0, v96
	s_delay_alu instid0(VALU_DEP_1) | instskip(NEXT) | instid1(VALU_DEP_1)
	v_add_f32_e32 v97, -1.0, v98
	v_sub_f32_e32 v97, v17, v97
	s_delay_alu instid0(VALU_DEP_3) | instskip(NEXT) | instid1(VALU_DEP_2)
	v_sub_f32_e32 v17, v17, v99
	v_add_f32_e32 v97, v13, v97
	s_delay_alu instid0(VALU_DEP_2) | instskip(NEXT) | instid1(VALU_DEP_1)
	v_add_f32_e32 v13, v13, v17
	v_add_f32_e32 v100, v96, v13
	s_delay_alu instid0(VALU_DEP_1) | instskip(NEXT) | instid1(VALU_DEP_1)
	v_dual_sub_f32 v96, v96, v100 :: v_dual_add_f32 v99, v98, v97
	v_add_f32_e32 v13, v13, v96
	s_delay_alu instid0(VALU_DEP_2) | instskip(SKIP_1) | instid1(VALU_DEP_1)
	v_rcp_f32_e32 v17, v99
	v_sub_f32_e32 v98, v98, v99
	v_add_f32_e32 v97, v97, v98
	s_waitcnt_depctr 0xfff
	v_mul_f32_e32 v101, v100, v17
	s_delay_alu instid0(VALU_DEP_1) | instskip(NEXT) | instid1(VALU_DEP_1)
	v_mul_f32_e32 v102, v99, v101
	v_fma_f32 v98, v101, v99, -v102
	s_delay_alu instid0(VALU_DEP_1) | instskip(NEXT) | instid1(VALU_DEP_1)
	v_fmac_f32_e32 v98, v101, v97
	v_add_f32_e32 v103, v102, v98
	s_delay_alu instid0(VALU_DEP_1) | instskip(SKIP_1) | instid1(VALU_DEP_2)
	v_sub_f32_e32 v104, v100, v103
	v_sub_f32_e32 v96, v103, v102
	;; [unrolled: 1-line block ×3, first 2 shown]
	s_delay_alu instid0(VALU_DEP_1) | instskip(NEXT) | instid1(VALU_DEP_1)
	v_sub_f32_e32 v100, v100, v103
	v_dual_sub_f32 v96, v96, v98 :: v_dual_add_f32 v13, v13, v100
	s_delay_alu instid0(VALU_DEP_1) | instskip(NEXT) | instid1(VALU_DEP_1)
	v_add_f32_e32 v13, v96, v13
	v_add_f32_e32 v96, v104, v13
	s_delay_alu instid0(VALU_DEP_1) | instskip(NEXT) | instid1(VALU_DEP_1)
	v_mul_f32_e32 v98, v17, v96
	v_dual_sub_f32 v103, v104, v96 :: v_dual_mul_f32 v100, v99, v98
	s_delay_alu instid0(VALU_DEP_1) | instskip(NEXT) | instid1(VALU_DEP_2)
	v_add_f32_e32 v13, v13, v103
	v_fma_f32 v99, v98, v99, -v100
	s_delay_alu instid0(VALU_DEP_1) | instskip(NEXT) | instid1(VALU_DEP_1)
	v_fmac_f32_e32 v99, v98, v97
	v_add_f32_e32 v97, v100, v99
	s_delay_alu instid0(VALU_DEP_1) | instskip(NEXT) | instid1(VALU_DEP_1)
	v_sub_f32_e32 v102, v96, v97
	v_sub_f32_e32 v96, v96, v102
	s_delay_alu instid0(VALU_DEP_1) | instskip(NEXT) | instid1(VALU_DEP_1)
	v_sub_f32_e32 v96, v96, v97
	v_add_f32_e32 v13, v13, v96
	v_add_f32_e32 v96, v101, v98
	v_sub_f32_e32 v100, v97, v100
	s_delay_alu instid0(VALU_DEP_1) | instskip(NEXT) | instid1(VALU_DEP_1)
	v_sub_f32_e32 v97, v100, v99
	v_add_f32_e32 v13, v97, v13
	s_delay_alu instid0(VALU_DEP_4) | instskip(NEXT) | instid1(VALU_DEP_2)
	v_sub_f32_e32 v97, v96, v101
	v_add_f32_e32 v13, v102, v13
	s_delay_alu instid0(VALU_DEP_2) | instskip(NEXT) | instid1(VALU_DEP_2)
	v_sub_f32_e32 v97, v98, v97
	v_mul_f32_e32 v13, v17, v13
	s_delay_alu instid0(VALU_DEP_1) | instskip(NEXT) | instid1(VALU_DEP_1)
	v_add_f32_e32 v13, v97, v13
	v_add_f32_e32 v17, v96, v13
	s_delay_alu instid0(VALU_DEP_1) | instskip(NEXT) | instid1(VALU_DEP_1)
	v_mul_f32_e32 v97, v17, v17
	v_fmaak_f32 v98, s84, v97, 0x3ecc95a3
	v_mul_f32_e32 v99, v17, v97
	s_delay_alu instid0(VALU_DEP_2) | instskip(SKIP_1) | instid1(VALU_DEP_2)
	v_fmaak_f32 v97, v97, v98, 0x3f2aaada
	v_ldexp_f32 v98, v17, 1
	v_mul_f32_e32 v97, v99, v97
	s_delay_alu instid0(VALU_DEP_1) | instskip(NEXT) | instid1(VALU_DEP_1)
	v_dual_sub_f32 v17, v17, v96 :: v_dual_add_f32 v96, v98, v97
	v_sub_f32_e32 v13, v13, v17
	s_delay_alu instid0(VALU_DEP_2) | instskip(NEXT) | instid1(VALU_DEP_2)
	v_sub_f32_e32 v17, v96, v98
	v_ldexp_f32 v13, v13, 1
	s_delay_alu instid0(VALU_DEP_2) | instskip(SKIP_1) | instid1(VALU_DEP_1)
	v_sub_f32_e32 v17, v97, v17
	v_mul_f32_e32 v99, 0x3f317218, v12
	v_fma_f32 v98, 0x3f317218, v12, -v99
	s_delay_alu instid0(VALU_DEP_1) | instskip(NEXT) | instid1(VALU_DEP_1)
	v_fmac_f32_e32 v98, 0xb102e308, v12
	v_dual_add_f32 v12, v13, v17 :: v_dual_add_f32 v13, v99, v98
	s_delay_alu instid0(VALU_DEP_1) | instskip(NEXT) | instid1(VALU_DEP_1)
	v_add_f32_e32 v17, v96, v12
	v_add_f32_e32 v97, v13, v17
	v_sub_f32_e32 v96, v17, v96
	s_delay_alu instid0(VALU_DEP_2) | instskip(NEXT) | instid1(VALU_DEP_2)
	v_sub_f32_e32 v100, v97, v13
	v_dual_sub_f32 v12, v12, v96 :: v_dual_sub_f32 v99, v13, v99
	s_delay_alu instid0(VALU_DEP_2) | instskip(NEXT) | instid1(VALU_DEP_2)
	v_sub_f32_e32 v101, v97, v100
	v_dual_sub_f32 v17, v17, v100 :: v_dual_sub_f32 v98, v98, v99
	s_delay_alu instid0(VALU_DEP_1) | instskip(NEXT) | instid1(VALU_DEP_1)
	v_dual_sub_f32 v13, v13, v101 :: v_dual_add_f32 v96, v98, v12
	v_add_f32_e32 v13, v17, v13
	s_delay_alu instid0(VALU_DEP_2) | instskip(NEXT) | instid1(VALU_DEP_2)
	v_sub_f32_e32 v17, v96, v98
	v_add_f32_e32 v13, v96, v13
	s_delay_alu instid0(VALU_DEP_2) | instskip(SKIP_1) | instid1(VALU_DEP_2)
	v_sub_f32_e32 v96, v96, v17
	v_sub_f32_e32 v12, v12, v17
	v_dual_add_f32 v99, v97, v13 :: v_dual_sub_f32 v96, v98, v96
	s_delay_alu instid0(VALU_DEP_1) | instskip(NEXT) | instid1(VALU_DEP_1)
	v_dual_sub_f32 v17, v99, v97 :: v_dual_add_f32 v12, v12, v96
	v_sub_f32_e32 v13, v13, v17
	s_delay_alu instid0(VALU_DEP_1) | instskip(NEXT) | instid1(VALU_DEP_1)
	v_add_f32_e32 v12, v12, v13
	v_add_f32_e32 v12, v99, v12
	s_delay_alu instid0(VALU_DEP_1)
	v_cndmask_b32_e32 v96, v12, v14, vcc_lo
.LBB127_88:                             ;   in Loop: Header=BB127_12 Depth=1
	s_or_b32 exec_lo, exec_lo, s30
	v_lshrrev_b32_e32 v12, 16, v15
	s_delay_alu instid0(VALU_DEP_1) | instskip(NEXT) | instid1(VALU_DEP_1)
	v_cvt_f32_f16_e32 v12, v12
	v_add_f32_e32 v97, s69, v12
	s_delay_alu instid0(VALU_DEP_1) | instskip(SKIP_1) | instid1(SALU_CYCLE_1)
	v_cmp_ge_f32_e32 vcc_lo, 0x41a00000, v97
	s_and_b32 s29, s80, vcc_lo
	s_and_saveexec_b32 s30, s29
	s_cbranch_execz .LBB127_90
; %bb.89:                               ;   in Loop: Header=BB127_12 Depth=1
	v_mul_f32_e32 v12, 0x3fb8aa3b, v97
	v_cmp_ngt_f32_e32 vcc_lo, 0xc2ce8ed0, v97
	s_delay_alu instid0(VALU_DEP_2) | instskip(SKIP_1) | instid1(VALU_DEP_2)
	v_rndne_f32_e32 v13, v12
	v_fma_f32 v14, 0x3fb8aa3b, v97, -v12
	v_sub_f32_e32 v12, v12, v13
	s_delay_alu instid0(VALU_DEP_2) | instskip(SKIP_1) | instid1(VALU_DEP_2)
	v_fmac_f32_e32 v14, 0x32a5705f, v97
	v_cvt_i32_f32_e32 v13, v13
	v_add_f32_e32 v12, v12, v14
	s_delay_alu instid0(VALU_DEP_1) | instskip(SKIP_2) | instid1(VALU_DEP_1)
	v_exp_f32_e32 v12, v12
	s_waitcnt_depctr 0xfff
	v_ldexp_f32 v12, v12, v13
	v_cndmask_b32_e32 v12, 0, v12, vcc_lo
	v_cmp_nlt_f32_e32 vcc_lo, 0x42b17218, v97
	s_delay_alu instid0(VALU_DEP_2) | instskip(NEXT) | instid1(VALU_DEP_1)
	v_cndmask_b32_e32 v14, 0x7f800000, v12, vcc_lo
	v_add_f32_e32 v15, 1.0, v14
	s_delay_alu instid0(VALU_DEP_1) | instskip(NEXT) | instid1(VALU_DEP_1)
	v_cvt_f64_f32_e32 v[12:13], v15
	v_frexp_exp_i32_f64_e32 v12, v[12:13]
	v_frexp_mant_f32_e32 v13, v15
	s_delay_alu instid0(VALU_DEP_1) | instskip(SKIP_1) | instid1(VALU_DEP_1)
	v_cmp_gt_f32_e32 vcc_lo, 0x3f2aaaab, v13
	v_add_f32_e32 v13, -1.0, v15
	v_sub_f32_e32 v97, v13, v15
	v_sub_f32_e32 v13, v14, v13
	s_delay_alu instid0(VALU_DEP_2) | instskip(NEXT) | instid1(VALU_DEP_1)
	v_add_f32_e32 v97, 1.0, v97
	v_add_f32_e32 v13, v13, v97
	v_cmp_gt_f32_e64 s29, 0x33800000, v14
	v_subrev_co_ci_u32_e32 v12, vcc_lo, 0, v12, vcc_lo
	v_cmp_eq_f32_e32 vcc_lo, 0x7f800000, v14
	s_delay_alu instid0(VALU_DEP_2) | instskip(SKIP_2) | instid1(VALU_DEP_2)
	v_sub_nc_u32_e32 v17, 0, v12
	v_cvt_f32_i32_e32 v12, v12
	s_or_b32 vcc_lo, s29, vcc_lo
	v_ldexp_f32 v15, v15, v17
	v_ldexp_f32 v13, v13, v17
	s_delay_alu instid0(VALU_DEP_2) | instskip(SKIP_1) | instid1(VALU_DEP_2)
	v_add_f32_e32 v98, 1.0, v15
	v_add_f32_e32 v17, -1.0, v15
	v_add_f32_e32 v97, -1.0, v98
	s_delay_alu instid0(VALU_DEP_2) | instskip(NEXT) | instid1(VALU_DEP_2)
	v_add_f32_e32 v99, 1.0, v17
	v_sub_f32_e32 v97, v15, v97
	s_delay_alu instid0(VALU_DEP_2) | instskip(NEXT) | instid1(VALU_DEP_2)
	v_sub_f32_e32 v15, v15, v99
	v_add_f32_e32 v97, v13, v97
	s_delay_alu instid0(VALU_DEP_2) | instskip(NEXT) | instid1(VALU_DEP_1)
	v_add_f32_e32 v13, v13, v15
	v_add_f32_e32 v100, v17, v13
	s_delay_alu instid0(VALU_DEP_3) | instskip(NEXT) | instid1(VALU_DEP_1)
	v_add_f32_e32 v99, v98, v97
	v_rcp_f32_e32 v15, v99
	v_sub_f32_e32 v98, v98, v99
	s_delay_alu instid0(VALU_DEP_1) | instskip(SKIP_2) | instid1(VALU_DEP_1)
	v_add_f32_e32 v97, v97, v98
	s_waitcnt_depctr 0xfff
	v_mul_f32_e32 v101, v100, v15
	v_dual_mul_f32 v102, v99, v101 :: v_dual_sub_f32 v17, v17, v100
	s_delay_alu instid0(VALU_DEP_1) | instskip(NEXT) | instid1(VALU_DEP_2)
	v_fma_f32 v98, v101, v99, -v102
	v_add_f32_e32 v13, v13, v17
	s_delay_alu instid0(VALU_DEP_2) | instskip(NEXT) | instid1(VALU_DEP_1)
	v_fmac_f32_e32 v98, v101, v97
	v_add_f32_e32 v103, v102, v98
	s_delay_alu instid0(VALU_DEP_1) | instskip(NEXT) | instid1(VALU_DEP_1)
	v_dual_sub_f32 v104, v100, v103 :: v_dual_sub_f32 v17, v103, v102
	v_dual_sub_f32 v100, v100, v104 :: v_dual_sub_f32 v17, v17, v98
	s_delay_alu instid0(VALU_DEP_1) | instskip(NEXT) | instid1(VALU_DEP_1)
	v_sub_f32_e32 v100, v100, v103
	v_add_f32_e32 v13, v13, v100
	s_delay_alu instid0(VALU_DEP_1) | instskip(NEXT) | instid1(VALU_DEP_1)
	v_add_f32_e32 v13, v17, v13
	v_add_f32_e32 v17, v104, v13
	s_delay_alu instid0(VALU_DEP_1) | instskip(NEXT) | instid1(VALU_DEP_1)
	v_mul_f32_e32 v98, v15, v17
	v_dual_sub_f32 v103, v104, v17 :: v_dual_mul_f32 v100, v99, v98
	s_delay_alu instid0(VALU_DEP_1) | instskip(NEXT) | instid1(VALU_DEP_2)
	v_add_f32_e32 v13, v13, v103
	v_fma_f32 v99, v98, v99, -v100
	s_delay_alu instid0(VALU_DEP_1) | instskip(NEXT) | instid1(VALU_DEP_1)
	v_fmac_f32_e32 v99, v98, v97
	v_add_f32_e32 v97, v100, v99
	s_delay_alu instid0(VALU_DEP_1) | instskip(SKIP_1) | instid1(VALU_DEP_2)
	v_sub_f32_e32 v102, v17, v97
	v_sub_f32_e32 v100, v97, v100
	;; [unrolled: 1-line block ×3, first 2 shown]
	s_delay_alu instid0(VALU_DEP_1) | instskip(NEXT) | instid1(VALU_DEP_3)
	v_sub_f32_e32 v17, v17, v97
	v_sub_f32_e32 v97, v100, v99
	s_delay_alu instid0(VALU_DEP_2) | instskip(SKIP_1) | instid1(VALU_DEP_2)
	v_add_f32_e32 v13, v13, v17
	v_add_f32_e32 v17, v101, v98
	;; [unrolled: 1-line block ×3, first 2 shown]
	s_delay_alu instid0(VALU_DEP_2) | instskip(NEXT) | instid1(VALU_DEP_2)
	v_sub_f32_e32 v97, v17, v101
	v_add_f32_e32 v13, v102, v13
	s_delay_alu instid0(VALU_DEP_2) | instskip(NEXT) | instid1(VALU_DEP_2)
	v_sub_f32_e32 v97, v98, v97
	v_mul_f32_e32 v13, v15, v13
	s_delay_alu instid0(VALU_DEP_1) | instskip(NEXT) | instid1(VALU_DEP_1)
	v_add_f32_e32 v13, v97, v13
	v_add_f32_e32 v15, v17, v13
	s_delay_alu instid0(VALU_DEP_1) | instskip(NEXT) | instid1(VALU_DEP_1)
	v_mul_f32_e32 v97, v15, v15
	v_fmaak_f32 v98, s84, v97, 0x3ecc95a3
	v_mul_f32_e32 v99, v15, v97
	s_delay_alu instid0(VALU_DEP_2) | instskip(SKIP_2) | instid1(VALU_DEP_3)
	v_fmaak_f32 v97, v97, v98, 0x3f2aaada
	v_ldexp_f32 v98, v15, 1
	v_sub_f32_e32 v15, v15, v17
	v_mul_f32_e32 v97, v99, v97
	v_mul_f32_e32 v99, 0x3f317218, v12
	s_delay_alu instid0(VALU_DEP_3) | instskip(NEXT) | instid1(VALU_DEP_3)
	v_sub_f32_e32 v13, v13, v15
	v_add_f32_e32 v17, v98, v97
	s_delay_alu instid0(VALU_DEP_2) | instskip(NEXT) | instid1(VALU_DEP_2)
	v_ldexp_f32 v13, v13, 1
	v_sub_f32_e32 v15, v17, v98
	v_fma_f32 v98, 0x3f317218, v12, -v99
	s_delay_alu instid0(VALU_DEP_1) | instskip(NEXT) | instid1(VALU_DEP_1)
	v_dual_sub_f32 v15, v97, v15 :: v_dual_fmac_f32 v98, 0xb102e308, v12
	v_dual_add_f32 v12, v13, v15 :: v_dual_add_f32 v13, v99, v98
	s_delay_alu instid0(VALU_DEP_1) | instskip(NEXT) | instid1(VALU_DEP_1)
	v_add_f32_e32 v15, v17, v12
	v_add_f32_e32 v97, v13, v15
	v_sub_f32_e32 v17, v15, v17
	s_delay_alu instid0(VALU_DEP_2) | instskip(NEXT) | instid1(VALU_DEP_2)
	v_sub_f32_e32 v100, v97, v13
	v_dual_sub_f32 v99, v13, v99 :: v_dual_sub_f32 v12, v12, v17
	s_delay_alu instid0(VALU_DEP_1) | instskip(SKIP_1) | instid1(VALU_DEP_2)
	v_dual_sub_f32 v101, v97, v100 :: v_dual_sub_f32 v98, v98, v99
	v_sub_f32_e32 v15, v15, v100
	v_sub_f32_e32 v13, v13, v101
	s_delay_alu instid0(VALU_DEP_3) | instskip(NEXT) | instid1(VALU_DEP_2)
	v_add_f32_e32 v17, v98, v12
	v_add_f32_e32 v13, v15, v13
	s_delay_alu instid0(VALU_DEP_2) | instskip(NEXT) | instid1(VALU_DEP_2)
	v_sub_f32_e32 v15, v17, v98
	v_add_f32_e32 v13, v17, v13
	s_delay_alu instid0(VALU_DEP_2) | instskip(NEXT) | instid1(VALU_DEP_2)
	v_sub_f32_e32 v17, v17, v15
	v_dual_sub_f32 v12, v12, v15 :: v_dual_add_f32 v99, v97, v13
	s_delay_alu instid0(VALU_DEP_2) | instskip(NEXT) | instid1(VALU_DEP_2)
	v_sub_f32_e32 v17, v98, v17
	v_sub_f32_e32 v15, v99, v97
	s_delay_alu instid0(VALU_DEP_1) | instskip(NEXT) | instid1(VALU_DEP_1)
	v_dual_add_f32 v12, v12, v17 :: v_dual_sub_f32 v13, v13, v15
	v_add_f32_e32 v12, v12, v13
	s_delay_alu instid0(VALU_DEP_1) | instskip(NEXT) | instid1(VALU_DEP_1)
	v_add_f32_e32 v12, v99, v12
	v_cndmask_b32_e32 v97, v12, v14, vcc_lo
.LBB127_90:                             ;   in Loop: Header=BB127_12 Depth=1
	s_or_b32 exec_lo, exec_lo, s30
	s_waitcnt lgkmcnt(0)
	v_cvt_f32_f16_e32 v12, v8
	s_delay_alu instid0(VALU_DEP_1) | instskip(NEXT) | instid1(VALU_DEP_1)
	v_add_f32_e32 v98, s69, v12
	v_cmp_ge_f32_e32 vcc_lo, 0x41a00000, v98
	s_and_b32 s29, s80, vcc_lo
	s_delay_alu instid0(SALU_CYCLE_1)
	s_and_saveexec_b32 s30, s29
	s_cbranch_execz .LBB127_92
; %bb.91:                               ;   in Loop: Header=BB127_12 Depth=1
	v_mul_f32_e32 v12, 0x3fb8aa3b, v98
	v_cmp_ngt_f32_e32 vcc_lo, 0xc2ce8ed0, v98
	s_delay_alu instid0(VALU_DEP_2) | instskip(SKIP_1) | instid1(VALU_DEP_2)
	v_rndne_f32_e32 v13, v12
	v_fma_f32 v14, 0x3fb8aa3b, v98, -v12
	v_sub_f32_e32 v12, v12, v13
	s_delay_alu instid0(VALU_DEP_2) | instskip(SKIP_1) | instid1(VALU_DEP_2)
	v_fmac_f32_e32 v14, 0x32a5705f, v98
	v_cvt_i32_f32_e32 v13, v13
	v_add_f32_e32 v12, v12, v14
	s_delay_alu instid0(VALU_DEP_1) | instskip(SKIP_2) | instid1(VALU_DEP_1)
	v_exp_f32_e32 v12, v12
	s_waitcnt_depctr 0xfff
	v_ldexp_f32 v12, v12, v13
	v_cndmask_b32_e32 v12, 0, v12, vcc_lo
	v_cmp_nlt_f32_e32 vcc_lo, 0x42b17218, v98
	s_delay_alu instid0(VALU_DEP_2) | instskip(NEXT) | instid1(VALU_DEP_1)
	v_cndmask_b32_e32 v14, 0x7f800000, v12, vcc_lo
	v_add_f32_e32 v15, 1.0, v14
	s_delay_alu instid0(VALU_DEP_1) | instskip(NEXT) | instid1(VALU_DEP_1)
	v_cvt_f64_f32_e32 v[12:13], v15
	v_frexp_exp_i32_f64_e32 v12, v[12:13]
	v_frexp_mant_f32_e32 v13, v15
	s_delay_alu instid0(VALU_DEP_1) | instskip(SKIP_1) | instid1(VALU_DEP_1)
	v_cmp_gt_f32_e32 vcc_lo, 0x3f2aaaab, v13
	v_add_f32_e32 v13, -1.0, v15
	v_dual_sub_f32 v98, v13, v15 :: v_dual_sub_f32 v13, v14, v13
	s_delay_alu instid0(VALU_DEP_1) | instskip(NEXT) | instid1(VALU_DEP_1)
	v_add_f32_e32 v98, 1.0, v98
	v_add_f32_e32 v13, v13, v98
	v_subrev_co_ci_u32_e32 v12, vcc_lo, 0, v12, vcc_lo
	s_delay_alu instid0(VALU_DEP_1) | instskip(SKIP_1) | instid1(VALU_DEP_2)
	v_sub_nc_u32_e32 v17, 0, v12
	v_cvt_f32_i32_e32 v12, v12
	v_ldexp_f32 v15, v15, v17
	v_ldexp_f32 v13, v13, v17
	s_delay_alu instid0(VALU_DEP_2) | instskip(SKIP_3) | instid1(VALU_DEP_4)
	v_add_f32_e32 v99, 1.0, v15
	v_add_f32_e32 v17, -1.0, v15
	v_cmp_eq_f32_e32 vcc_lo, 0x7f800000, v14
	v_cmp_gt_f32_e64 s29, 0x33800000, v14
	v_add_f32_e32 v98, -1.0, v99
	s_delay_alu instid0(VALU_DEP_4) | instskip(NEXT) | instid1(VALU_DEP_3)
	v_add_f32_e32 v100, 1.0, v17
	s_or_b32 vcc_lo, s29, vcc_lo
	s_delay_alu instid0(VALU_DEP_2) | instskip(NEXT) | instid1(VALU_DEP_1)
	v_sub_f32_e32 v98, v15, v98
	v_dual_sub_f32 v15, v15, v100 :: v_dual_add_f32 v98, v13, v98
	s_delay_alu instid0(VALU_DEP_1) | instskip(NEXT) | instid1(VALU_DEP_1)
	v_add_f32_e32 v13, v13, v15
	v_dual_add_f32 v101, v17, v13 :: v_dual_add_f32 v100, v99, v98
	s_delay_alu instid0(VALU_DEP_1) | instskip(NEXT) | instid1(VALU_DEP_2)
	v_sub_f32_e32 v17, v17, v101
	v_rcp_f32_e32 v15, v100
	v_sub_f32_e32 v99, v99, v100
	s_delay_alu instid0(VALU_DEP_1) | instskip(SKIP_2) | instid1(VALU_DEP_1)
	v_dual_add_f32 v98, v98, v99 :: v_dual_add_f32 v13, v13, v17
	s_waitcnt_depctr 0xfff
	v_mul_f32_e32 v102, v101, v15
	v_mul_f32_e32 v103, v100, v102
	s_delay_alu instid0(VALU_DEP_1) | instskip(NEXT) | instid1(VALU_DEP_1)
	v_fma_f32 v99, v102, v100, -v103
	v_fmac_f32_e32 v99, v102, v98
	s_delay_alu instid0(VALU_DEP_1) | instskip(NEXT) | instid1(VALU_DEP_1)
	v_add_f32_e32 v104, v103, v99
	v_sub_f32_e32 v105, v101, v104
	s_delay_alu instid0(VALU_DEP_1) | instskip(SKIP_1) | instid1(VALU_DEP_2)
	v_sub_f32_e32 v101, v101, v105
	v_sub_f32_e32 v17, v104, v103
	;; [unrolled: 1-line block ×3, first 2 shown]
	s_delay_alu instid0(VALU_DEP_2) | instskip(NEXT) | instid1(VALU_DEP_2)
	v_sub_f32_e32 v17, v17, v99
	v_add_f32_e32 v13, v13, v101
	s_delay_alu instid0(VALU_DEP_1) | instskip(NEXT) | instid1(VALU_DEP_1)
	v_add_f32_e32 v13, v17, v13
	v_add_f32_e32 v17, v105, v13
	s_delay_alu instid0(VALU_DEP_1) | instskip(NEXT) | instid1(VALU_DEP_1)
	v_mul_f32_e32 v99, v15, v17
	v_dual_sub_f32 v104, v105, v17 :: v_dual_mul_f32 v101, v100, v99
	s_delay_alu instid0(VALU_DEP_1) | instskip(NEXT) | instid1(VALU_DEP_2)
	v_add_f32_e32 v13, v13, v104
	v_fma_f32 v100, v99, v100, -v101
	s_delay_alu instid0(VALU_DEP_1) | instskip(NEXT) | instid1(VALU_DEP_1)
	v_fmac_f32_e32 v100, v99, v98
	v_add_f32_e32 v98, v101, v100
	s_delay_alu instid0(VALU_DEP_1) | instskip(NEXT) | instid1(VALU_DEP_1)
	v_sub_f32_e32 v103, v17, v98
	v_sub_f32_e32 v17, v17, v103
	s_delay_alu instid0(VALU_DEP_1) | instskip(NEXT) | instid1(VALU_DEP_1)
	v_sub_f32_e32 v17, v17, v98
	v_add_f32_e32 v13, v13, v17
	v_add_f32_e32 v17, v102, v99
	v_sub_f32_e32 v101, v98, v101
	s_delay_alu instid0(VALU_DEP_1) | instskip(NEXT) | instid1(VALU_DEP_1)
	v_sub_f32_e32 v98, v101, v100
	v_dual_add_f32 v13, v98, v13 :: v_dual_sub_f32 v98, v17, v102
	s_delay_alu instid0(VALU_DEP_1) | instskip(NEXT) | instid1(VALU_DEP_2)
	v_add_f32_e32 v13, v103, v13
	v_sub_f32_e32 v98, v99, v98
	s_delay_alu instid0(VALU_DEP_2) | instskip(NEXT) | instid1(VALU_DEP_1)
	v_mul_f32_e32 v13, v15, v13
	v_add_f32_e32 v13, v98, v13
	s_delay_alu instid0(VALU_DEP_1) | instskip(NEXT) | instid1(VALU_DEP_1)
	v_add_f32_e32 v15, v17, v13
	v_mul_f32_e32 v98, v15, v15
	s_delay_alu instid0(VALU_DEP_1) | instskip(SKIP_1) | instid1(VALU_DEP_2)
	v_fmaak_f32 v99, s84, v98, 0x3ecc95a3
	v_mul_f32_e32 v100, v15, v98
	v_fmaak_f32 v98, v98, v99, 0x3f2aaada
	v_ldexp_f32 v99, v15, 1
	s_delay_alu instid0(VALU_DEP_2) | instskip(NEXT) | instid1(VALU_DEP_1)
	v_dual_sub_f32 v15, v15, v17 :: v_dual_mul_f32 v98, v100, v98
	v_dual_mul_f32 v100, 0x3f317218, v12 :: v_dual_sub_f32 v13, v13, v15
	s_delay_alu instid0(VALU_DEP_2) | instskip(NEXT) | instid1(VALU_DEP_2)
	v_add_f32_e32 v17, v99, v98
	v_ldexp_f32 v13, v13, 1
	s_delay_alu instid0(VALU_DEP_2) | instskip(NEXT) | instid1(VALU_DEP_4)
	v_sub_f32_e32 v15, v17, v99
	v_fma_f32 v99, 0x3f317218, v12, -v100
	s_delay_alu instid0(VALU_DEP_2) | instskip(NEXT) | instid1(VALU_DEP_1)
	v_sub_f32_e32 v15, v98, v15
	v_dual_fmac_f32 v99, 0xb102e308, v12 :: v_dual_add_f32 v12, v13, v15
	s_delay_alu instid0(VALU_DEP_1) | instskip(NEXT) | instid1(VALU_DEP_2)
	v_add_f32_e32 v13, v100, v99
	v_add_f32_e32 v15, v17, v12
	s_delay_alu instid0(VALU_DEP_2) | instskip(NEXT) | instid1(VALU_DEP_2)
	v_sub_f32_e32 v100, v13, v100
	v_dual_add_f32 v98, v13, v15 :: v_dual_sub_f32 v17, v15, v17
	s_delay_alu instid0(VALU_DEP_2) | instskip(NEXT) | instid1(VALU_DEP_2)
	v_sub_f32_e32 v99, v99, v100
	v_sub_f32_e32 v101, v98, v13
	s_delay_alu instid0(VALU_DEP_3) | instskip(NEXT) | instid1(VALU_DEP_2)
	v_sub_f32_e32 v12, v12, v17
	v_sub_f32_e32 v102, v98, v101
	;; [unrolled: 1-line block ×3, first 2 shown]
	s_delay_alu instid0(VALU_DEP_3) | instskip(NEXT) | instid1(VALU_DEP_3)
	v_add_f32_e32 v17, v99, v12
	v_sub_f32_e32 v13, v13, v102
	s_delay_alu instid0(VALU_DEP_1) | instskip(NEXT) | instid1(VALU_DEP_3)
	v_add_f32_e32 v13, v15, v13
	v_sub_f32_e32 v15, v17, v99
	s_delay_alu instid0(VALU_DEP_2) | instskip(NEXT) | instid1(VALU_DEP_2)
	v_add_f32_e32 v13, v17, v13
	v_sub_f32_e32 v17, v17, v15
	v_sub_f32_e32 v12, v12, v15
	s_delay_alu instid0(VALU_DEP_3) | instskip(NEXT) | instid1(VALU_DEP_3)
	v_add_f32_e32 v100, v98, v13
	v_sub_f32_e32 v17, v99, v17
	s_delay_alu instid0(VALU_DEP_2) | instskip(NEXT) | instid1(VALU_DEP_1)
	v_sub_f32_e32 v15, v100, v98
	v_dual_add_f32 v12, v12, v17 :: v_dual_sub_f32 v13, v13, v15
	s_delay_alu instid0(VALU_DEP_1) | instskip(NEXT) | instid1(VALU_DEP_1)
	v_add_f32_e32 v12, v12, v13
	v_add_f32_e32 v12, v100, v12
	s_delay_alu instid0(VALU_DEP_1)
	v_cndmask_b32_e32 v98, v12, v14, vcc_lo
.LBB127_92:                             ;   in Loop: Header=BB127_12 Depth=1
	s_or_b32 exec_lo, exec_lo, s30
	v_lshrrev_b32_e32 v8, 16, v8
	s_delay_alu instid0(VALU_DEP_1) | instskip(NEXT) | instid1(VALU_DEP_1)
	v_cvt_f32_f16_e32 v8, v8
	v_add_f32_e32 v99, s69, v8
	s_delay_alu instid0(VALU_DEP_1) | instskip(SKIP_1) | instid1(SALU_CYCLE_1)
	v_cmp_ge_f32_e32 vcc_lo, 0x41a00000, v99
	s_and_b32 s29, s80, vcc_lo
	s_and_saveexec_b32 s30, s29
	s_cbranch_execz .LBB127_94
; %bb.93:                               ;   in Loop: Header=BB127_12 Depth=1
	v_mul_f32_e32 v8, 0x3fb8aa3b, v99
	v_cmp_ngt_f32_e32 vcc_lo, 0xc2ce8ed0, v99
	s_delay_alu instid0(VALU_DEP_2) | instskip(SKIP_1) | instid1(VALU_DEP_1)
	v_rndne_f32_e32 v12, v8
	v_fma_f32 v13, 0x3fb8aa3b, v99, -v8
	v_dual_sub_f32 v8, v8, v12 :: v_dual_fmac_f32 v13, 0x32a5705f, v99
	v_cvt_i32_f32_e32 v12, v12
	s_delay_alu instid0(VALU_DEP_2) | instskip(NEXT) | instid1(VALU_DEP_1)
	v_add_f32_e32 v8, v8, v13
	v_exp_f32_e32 v8, v8
	s_waitcnt_depctr 0xfff
	v_ldexp_f32 v8, v8, v12
	s_delay_alu instid0(VALU_DEP_1) | instskip(SKIP_1) | instid1(VALU_DEP_2)
	v_cndmask_b32_e32 v8, 0, v8, vcc_lo
	v_cmp_nlt_f32_e32 vcc_lo, 0x42b17218, v99
	v_cndmask_b32_e32 v8, 0x7f800000, v8, vcc_lo
	s_delay_alu instid0(VALU_DEP_1) | instskip(NEXT) | instid1(VALU_DEP_1)
	v_add_f32_e32 v14, 1.0, v8
	v_cvt_f64_f32_e32 v[12:13], v14
	s_delay_alu instid0(VALU_DEP_1) | instskip(SKIP_1) | instid1(VALU_DEP_1)
	v_frexp_exp_i32_f64_e32 v12, v[12:13]
	v_frexp_mant_f32_e32 v13, v14
	v_cmp_gt_f32_e32 vcc_lo, 0x3f2aaaab, v13
	v_add_f32_e32 v13, -1.0, v14
	s_delay_alu instid0(VALU_DEP_1) | instskip(NEXT) | instid1(VALU_DEP_1)
	v_sub_f32_e32 v17, v13, v14
	v_add_f32_e32 v17, 1.0, v17
	v_subrev_co_ci_u32_e32 v12, vcc_lo, 0, v12, vcc_lo
	s_delay_alu instid0(VALU_DEP_1) | instskip(SKIP_1) | instid1(VALU_DEP_2)
	v_sub_nc_u32_e32 v15, 0, v12
	v_cvt_f32_i32_e32 v12, v12
	v_ldexp_f32 v14, v14, v15
	s_delay_alu instid0(VALU_DEP_1) | instskip(SKIP_3) | instid1(VALU_DEP_3)
	v_add_f32_e32 v99, 1.0, v14
	v_sub_f32_e32 v13, v8, v13
	v_cmp_eq_f32_e32 vcc_lo, 0x7f800000, v8
	v_cmp_gt_f32_e64 s29, 0x33800000, v8
	v_add_f32_e32 v13, v13, v17
	s_delay_alu instid0(VALU_DEP_2) | instskip(NEXT) | instid1(VALU_DEP_1)
	s_or_b32 vcc_lo, s29, vcc_lo
	v_ldexp_f32 v13, v13, v15
	v_add_f32_e32 v15, -1.0, v14
	s_delay_alu instid0(VALU_DEP_1) | instskip(SKIP_1) | instid1(VALU_DEP_1)
	v_add_f32_e32 v100, 1.0, v15
	v_add_f32_e32 v17, -1.0, v99
	v_sub_f32_e32 v17, v14, v17
	s_delay_alu instid0(VALU_DEP_1) | instskip(NEXT) | instid1(VALU_DEP_1)
	v_dual_sub_f32 v14, v14, v100 :: v_dual_add_f32 v17, v13, v17
	v_add_f32_e32 v100, v99, v17
	s_delay_alu instid0(VALU_DEP_1) | instskip(NEXT) | instid1(VALU_DEP_1)
	v_sub_f32_e32 v99, v99, v100
	v_add_f32_e32 v17, v17, v99
	s_delay_alu instid0(VALU_DEP_4) | instskip(SKIP_1) | instid1(VALU_DEP_1)
	v_add_f32_e32 v13, v13, v14
	v_rcp_f32_e32 v14, v100
	v_add_f32_e32 v101, v15, v13
	s_waitcnt_depctr 0xfff
	v_dual_sub_f32 v15, v15, v101 :: v_dual_mul_f32 v102, v101, v14
	s_delay_alu instid0(VALU_DEP_1) | instskip(NEXT) | instid1(VALU_DEP_2)
	v_add_f32_e32 v13, v13, v15
	v_mul_f32_e32 v103, v100, v102
	s_delay_alu instid0(VALU_DEP_1) | instskip(NEXT) | instid1(VALU_DEP_1)
	v_fma_f32 v99, v102, v100, -v103
	v_fmac_f32_e32 v99, v102, v17
	s_delay_alu instid0(VALU_DEP_1) | instskip(NEXT) | instid1(VALU_DEP_1)
	v_add_f32_e32 v104, v103, v99
	v_sub_f32_e32 v105, v101, v104
	v_sub_f32_e32 v15, v104, v103
	s_delay_alu instid0(VALU_DEP_2) | instskip(NEXT) | instid1(VALU_DEP_2)
	v_sub_f32_e32 v101, v101, v105
	v_sub_f32_e32 v15, v15, v99
	s_delay_alu instid0(VALU_DEP_2) | instskip(NEXT) | instid1(VALU_DEP_1)
	v_sub_f32_e32 v101, v101, v104
	v_add_f32_e32 v13, v13, v101
	s_delay_alu instid0(VALU_DEP_1) | instskip(NEXT) | instid1(VALU_DEP_1)
	v_add_f32_e32 v13, v15, v13
	v_add_f32_e32 v15, v105, v13
	s_delay_alu instid0(VALU_DEP_1) | instskip(SKIP_1) | instid1(VALU_DEP_2)
	v_mul_f32_e32 v99, v14, v15
	v_sub_f32_e32 v104, v105, v15
	v_mul_f32_e32 v101, v100, v99
	s_delay_alu instid0(VALU_DEP_2) | instskip(NEXT) | instid1(VALU_DEP_2)
	v_add_f32_e32 v13, v13, v104
	v_fma_f32 v100, v99, v100, -v101
	s_delay_alu instid0(VALU_DEP_1) | instskip(NEXT) | instid1(VALU_DEP_1)
	v_fmac_f32_e32 v100, v99, v17
	v_add_f32_e32 v17, v101, v100
	s_delay_alu instid0(VALU_DEP_1) | instskip(SKIP_1) | instid1(VALU_DEP_2)
	v_sub_f32_e32 v103, v15, v17
	v_sub_f32_e32 v101, v17, v101
	;; [unrolled: 1-line block ×3, first 2 shown]
	s_delay_alu instid0(VALU_DEP_1) | instskip(NEXT) | instid1(VALU_DEP_3)
	v_sub_f32_e32 v15, v15, v17
	v_sub_f32_e32 v17, v101, v100
	s_delay_alu instid0(VALU_DEP_2) | instskip(SKIP_1) | instid1(VALU_DEP_2)
	v_add_f32_e32 v13, v13, v15
	v_add_f32_e32 v15, v102, v99
	;; [unrolled: 1-line block ×3, first 2 shown]
	s_delay_alu instid0(VALU_DEP_2) | instskip(NEXT) | instid1(VALU_DEP_2)
	v_sub_f32_e32 v17, v15, v102
	v_add_f32_e32 v13, v103, v13
	s_delay_alu instid0(VALU_DEP_2) | instskip(NEXT) | instid1(VALU_DEP_2)
	v_sub_f32_e32 v17, v99, v17
	v_mul_f32_e32 v13, v14, v13
	s_delay_alu instid0(VALU_DEP_1) | instskip(NEXT) | instid1(VALU_DEP_1)
	v_add_f32_e32 v13, v17, v13
	v_add_f32_e32 v14, v15, v13
	s_delay_alu instid0(VALU_DEP_1) | instskip(NEXT) | instid1(VALU_DEP_1)
	v_mul_f32_e32 v17, v14, v14
	v_fmaak_f32 v99, s84, v17, 0x3ecc95a3
	s_delay_alu instid0(VALU_DEP_1) | instskip(SKIP_1) | instid1(VALU_DEP_2)
	v_dual_mul_f32 v100, v14, v17 :: v_dual_fmaak_f32 v17, v17, v99, 0x3f2aaada
	v_ldexp_f32 v99, v14, 1
	v_dual_sub_f32 v14, v14, v15 :: v_dual_mul_f32 v17, v100, v17
	s_delay_alu instid0(VALU_DEP_1) | instskip(NEXT) | instid1(VALU_DEP_2)
	v_dual_mul_f32 v100, 0x3f317218, v12 :: v_dual_sub_f32 v13, v13, v14
	v_add_f32_e32 v15, v99, v17
	s_delay_alu instid0(VALU_DEP_2) | instskip(NEXT) | instid1(VALU_DEP_2)
	v_ldexp_f32 v13, v13, 1
	v_sub_f32_e32 v14, v15, v99
	s_delay_alu instid0(VALU_DEP_4) | instskip(NEXT) | instid1(VALU_DEP_1)
	v_fma_f32 v99, 0x3f317218, v12, -v100
	v_dual_sub_f32 v14, v17, v14 :: v_dual_fmac_f32 v99, 0xb102e308, v12
	s_delay_alu instid0(VALU_DEP_1) | instskip(NEXT) | instid1(VALU_DEP_1)
	v_dual_add_f32 v12, v13, v14 :: v_dual_add_f32 v13, v100, v99
	v_add_f32_e32 v14, v15, v12
	s_delay_alu instid0(VALU_DEP_2) | instskip(NEXT) | instid1(VALU_DEP_2)
	v_sub_f32_e32 v100, v13, v100
	v_add_f32_e32 v17, v13, v14
	v_sub_f32_e32 v15, v14, v15
	s_delay_alu instid0(VALU_DEP_3) | instskip(NEXT) | instid1(VALU_DEP_2)
	v_sub_f32_e32 v99, v99, v100
	v_dual_sub_f32 v101, v17, v13 :: v_dual_sub_f32 v12, v12, v15
	s_delay_alu instid0(VALU_DEP_1) | instskip(NEXT) | instid1(VALU_DEP_2)
	v_sub_f32_e32 v102, v17, v101
	v_dual_sub_f32 v14, v14, v101 :: v_dual_add_f32 v15, v99, v12
	s_delay_alu instid0(VALU_DEP_2) | instskip(NEXT) | instid1(VALU_DEP_1)
	v_sub_f32_e32 v13, v13, v102
	v_dual_add_f32 v13, v14, v13 :: v_dual_sub_f32 v14, v15, v99
	s_delay_alu instid0(VALU_DEP_1) | instskip(NEXT) | instid1(VALU_DEP_2)
	v_add_f32_e32 v13, v15, v13
	v_sub_f32_e32 v15, v15, v14
	v_sub_f32_e32 v12, v12, v14
	s_delay_alu instid0(VALU_DEP_2) | instskip(NEXT) | instid1(VALU_DEP_1)
	v_dual_add_f32 v100, v17, v13 :: v_dual_sub_f32 v15, v99, v15
	v_sub_f32_e32 v14, v100, v17
	s_delay_alu instid0(VALU_DEP_1) | instskip(NEXT) | instid1(VALU_DEP_1)
	v_dual_add_f32 v12, v12, v15 :: v_dual_sub_f32 v13, v13, v14
	v_add_f32_e32 v12, v12, v13
	s_delay_alu instid0(VALU_DEP_1) | instskip(NEXT) | instid1(VALU_DEP_1)
	v_add_f32_e32 v12, v100, v12
	v_cndmask_b32_e32 v99, v12, v8, vcc_lo
.LBB127_94:                             ;   in Loop: Header=BB127_12 Depth=1
	s_or_b32 exec_lo, exec_lo, s30
	v_cvt_f32_f16_e32 v8, v9
	s_delay_alu instid0(VALU_DEP_1) | instskip(NEXT) | instid1(VALU_DEP_1)
	v_add_f32_e32 v100, s69, v8
	v_cmp_ge_f32_e32 vcc_lo, 0x41a00000, v100
	s_and_b32 s29, s80, vcc_lo
	s_delay_alu instid0(SALU_CYCLE_1)
	s_and_saveexec_b32 s30, s29
	s_cbranch_execz .LBB127_96
; %bb.95:                               ;   in Loop: Header=BB127_12 Depth=1
	v_mul_f32_e32 v8, 0x3fb8aa3b, v100
	v_cmp_ngt_f32_e32 vcc_lo, 0xc2ce8ed0, v100
	s_delay_alu instid0(VALU_DEP_2) | instskip(SKIP_1) | instid1(VALU_DEP_2)
	v_rndne_f32_e32 v12, v8
	v_fma_f32 v13, 0x3fb8aa3b, v100, -v8
	v_sub_f32_e32 v8, v8, v12
	s_delay_alu instid0(VALU_DEP_2) | instskip(SKIP_1) | instid1(VALU_DEP_2)
	v_fmac_f32_e32 v13, 0x32a5705f, v100
	v_cvt_i32_f32_e32 v12, v12
	v_add_f32_e32 v8, v8, v13
	s_delay_alu instid0(VALU_DEP_1) | instskip(SKIP_2) | instid1(VALU_DEP_1)
	v_exp_f32_e32 v8, v8
	s_waitcnt_depctr 0xfff
	v_ldexp_f32 v8, v8, v12
	v_cndmask_b32_e32 v8, 0, v8, vcc_lo
	v_cmp_nlt_f32_e32 vcc_lo, 0x42b17218, v100
	s_delay_alu instid0(VALU_DEP_2) | instskip(NEXT) | instid1(VALU_DEP_1)
	v_cndmask_b32_e32 v8, 0x7f800000, v8, vcc_lo
	v_add_f32_e32 v14, 1.0, v8
	s_delay_alu instid0(VALU_DEP_1) | instskip(NEXT) | instid1(VALU_DEP_1)
	v_cvt_f64_f32_e32 v[12:13], v14
	v_frexp_exp_i32_f64_e32 v12, v[12:13]
	v_frexp_mant_f32_e32 v13, v14
	s_delay_alu instid0(VALU_DEP_1) | instskip(SKIP_1) | instid1(VALU_DEP_1)
	v_cmp_gt_f32_e32 vcc_lo, 0x3f2aaaab, v13
	v_add_f32_e32 v13, -1.0, v14
	v_sub_f32_e32 v17, v13, v14
	v_sub_f32_e32 v13, v8, v13
	s_delay_alu instid0(VALU_DEP_2) | instskip(NEXT) | instid1(VALU_DEP_1)
	v_add_f32_e32 v17, 1.0, v17
	v_add_f32_e32 v13, v13, v17
	v_cmp_gt_f32_e64 s29, 0x33800000, v8
	v_subrev_co_ci_u32_e32 v12, vcc_lo, 0, v12, vcc_lo
	v_cmp_eq_f32_e32 vcc_lo, 0x7f800000, v8
	s_delay_alu instid0(VALU_DEP_2) | instskip(SKIP_2) | instid1(VALU_DEP_2)
	v_sub_nc_u32_e32 v15, 0, v12
	v_cvt_f32_i32_e32 v12, v12
	s_or_b32 vcc_lo, s29, vcc_lo
	v_ldexp_f32 v14, v14, v15
	v_ldexp_f32 v13, v13, v15
	s_delay_alu instid0(VALU_DEP_2) | instskip(SKIP_1) | instid1(VALU_DEP_2)
	v_add_f32_e32 v100, 1.0, v14
	v_add_f32_e32 v15, -1.0, v14
	v_add_f32_e32 v17, -1.0, v100
	s_delay_alu instid0(VALU_DEP_2) | instskip(NEXT) | instid1(VALU_DEP_2)
	v_add_f32_e32 v101, 1.0, v15
	v_sub_f32_e32 v17, v14, v17
	s_delay_alu instid0(VALU_DEP_2) | instskip(NEXT) | instid1(VALU_DEP_2)
	v_sub_f32_e32 v14, v14, v101
	v_add_f32_e32 v17, v13, v17
	s_delay_alu instid0(VALU_DEP_1) | instskip(NEXT) | instid1(VALU_DEP_1)
	v_add_f32_e32 v101, v100, v17
	v_dual_add_f32 v13, v13, v14 :: v_dual_sub_f32 v100, v100, v101
	v_rcp_f32_e32 v14, v101
	s_delay_alu instid0(VALU_DEP_1) | instskip(NEXT) | instid1(VALU_DEP_1)
	v_dual_add_f32 v102, v15, v13 :: v_dual_add_f32 v17, v17, v100
	v_sub_f32_e32 v15, v15, v102
	s_waitcnt_depctr 0xfff
	v_mul_f32_e32 v103, v102, v14
	v_add_f32_e32 v13, v13, v15
	s_delay_alu instid0(VALU_DEP_2) | instskip(NEXT) | instid1(VALU_DEP_1)
	v_mul_f32_e32 v104, v101, v103
	v_fma_f32 v100, v103, v101, -v104
	s_delay_alu instid0(VALU_DEP_1) | instskip(NEXT) | instid1(VALU_DEP_1)
	v_fmac_f32_e32 v100, v103, v17
	v_add_f32_e32 v105, v104, v100
	s_delay_alu instid0(VALU_DEP_1) | instskip(NEXT) | instid1(VALU_DEP_1)
	v_dual_sub_f32 v106, v102, v105 :: v_dual_sub_f32 v15, v105, v104
	v_dual_sub_f32 v102, v102, v106 :: v_dual_sub_f32 v15, v15, v100
	s_delay_alu instid0(VALU_DEP_1) | instskip(NEXT) | instid1(VALU_DEP_1)
	v_sub_f32_e32 v102, v102, v105
	v_add_f32_e32 v13, v13, v102
	s_delay_alu instid0(VALU_DEP_1) | instskip(NEXT) | instid1(VALU_DEP_1)
	v_add_f32_e32 v13, v15, v13
	v_add_f32_e32 v15, v106, v13
	s_delay_alu instid0(VALU_DEP_1) | instskip(NEXT) | instid1(VALU_DEP_1)
	v_mul_f32_e32 v100, v14, v15
	v_dual_sub_f32 v105, v106, v15 :: v_dual_mul_f32 v102, v101, v100
	s_delay_alu instid0(VALU_DEP_1) | instskip(NEXT) | instid1(VALU_DEP_2)
	v_add_f32_e32 v13, v13, v105
	v_fma_f32 v101, v100, v101, -v102
	s_delay_alu instid0(VALU_DEP_1) | instskip(NEXT) | instid1(VALU_DEP_1)
	v_fmac_f32_e32 v101, v100, v17
	v_add_f32_e32 v17, v102, v101
	s_delay_alu instid0(VALU_DEP_1) | instskip(NEXT) | instid1(VALU_DEP_1)
	v_sub_f32_e32 v104, v15, v17
	v_dual_sub_f32 v102, v17, v102 :: v_dual_sub_f32 v15, v15, v104
	s_delay_alu instid0(VALU_DEP_1) | instskip(NEXT) | instid1(VALU_DEP_2)
	v_sub_f32_e32 v15, v15, v17
	v_sub_f32_e32 v17, v102, v101
	s_delay_alu instid0(VALU_DEP_2) | instskip(SKIP_1) | instid1(VALU_DEP_2)
	v_add_f32_e32 v13, v13, v15
	v_add_f32_e32 v15, v103, v100
	;; [unrolled: 1-line block ×3, first 2 shown]
	s_delay_alu instid0(VALU_DEP_2) | instskip(NEXT) | instid1(VALU_DEP_2)
	v_sub_f32_e32 v17, v15, v103
	v_add_f32_e32 v13, v104, v13
	s_delay_alu instid0(VALU_DEP_2) | instskip(NEXT) | instid1(VALU_DEP_2)
	v_sub_f32_e32 v17, v100, v17
	v_mul_f32_e32 v13, v14, v13
	s_delay_alu instid0(VALU_DEP_1) | instskip(NEXT) | instid1(VALU_DEP_1)
	v_add_f32_e32 v13, v17, v13
	v_add_f32_e32 v14, v15, v13
	s_delay_alu instid0(VALU_DEP_1) | instskip(NEXT) | instid1(VALU_DEP_1)
	v_mul_f32_e32 v17, v14, v14
	v_fmaak_f32 v100, s84, v17, 0x3ecc95a3
	v_mul_f32_e32 v101, v14, v17
	s_delay_alu instid0(VALU_DEP_2) | instskip(SKIP_1) | instid1(VALU_DEP_2)
	v_fmaak_f32 v17, v17, v100, 0x3f2aaada
	v_ldexp_f32 v100, v14, 1
	v_dual_sub_f32 v14, v14, v15 :: v_dual_mul_f32 v17, v101, v17
	v_mul_f32_e32 v101, 0x3f317218, v12
	s_delay_alu instid0(VALU_DEP_2) | instskip(NEXT) | instid1(VALU_DEP_3)
	v_sub_f32_e32 v13, v13, v14
	v_add_f32_e32 v15, v100, v17
	s_delay_alu instid0(VALU_DEP_2) | instskip(NEXT) | instid1(VALU_DEP_2)
	v_ldexp_f32 v13, v13, 1
	v_sub_f32_e32 v14, v15, v100
	v_fma_f32 v100, 0x3f317218, v12, -v101
	s_delay_alu instid0(VALU_DEP_2) | instskip(NEXT) | instid1(VALU_DEP_2)
	v_sub_f32_e32 v14, v17, v14
	v_fmac_f32_e32 v100, 0xb102e308, v12
	s_delay_alu instid0(VALU_DEP_2) | instskip(NEXT) | instid1(VALU_DEP_2)
	v_add_f32_e32 v12, v13, v14
	v_add_f32_e32 v13, v101, v100
	s_delay_alu instid0(VALU_DEP_1) | instskip(NEXT) | instid1(VALU_DEP_1)
	v_dual_add_f32 v14, v15, v12 :: v_dual_sub_f32 v101, v13, v101
	v_add_f32_e32 v17, v13, v14
	s_delay_alu instid0(VALU_DEP_2) | instskip(NEXT) | instid1(VALU_DEP_2)
	v_dual_sub_f32 v15, v14, v15 :: v_dual_sub_f32 v100, v100, v101
	v_sub_f32_e32 v102, v17, v13
	s_delay_alu instid0(VALU_DEP_1) | instskip(NEXT) | instid1(VALU_DEP_1)
	v_dual_sub_f32 v12, v12, v15 :: v_dual_sub_f32 v103, v17, v102
	v_dual_sub_f32 v14, v14, v102 :: v_dual_add_f32 v15, v100, v12
	s_delay_alu instid0(VALU_DEP_2) | instskip(NEXT) | instid1(VALU_DEP_1)
	v_sub_f32_e32 v13, v13, v103
	v_dual_add_f32 v13, v14, v13 :: v_dual_sub_f32 v14, v15, v100
	s_delay_alu instid0(VALU_DEP_1) | instskip(NEXT) | instid1(VALU_DEP_2)
	v_add_f32_e32 v13, v15, v13
	v_sub_f32_e32 v15, v15, v14
	s_delay_alu instid0(VALU_DEP_2) | instskip(NEXT) | instid1(VALU_DEP_1)
	v_dual_sub_f32 v12, v12, v14 :: v_dual_add_f32 v101, v17, v13
	v_dual_sub_f32 v15, v100, v15 :: v_dual_sub_f32 v14, v101, v17
	s_delay_alu instid0(VALU_DEP_1) | instskip(NEXT) | instid1(VALU_DEP_1)
	v_dual_add_f32 v12, v12, v15 :: v_dual_sub_f32 v13, v13, v14
	v_add_f32_e32 v12, v12, v13
	s_delay_alu instid0(VALU_DEP_1) | instskip(NEXT) | instid1(VALU_DEP_1)
	v_add_f32_e32 v12, v101, v12
	v_cndmask_b32_e32 v100, v12, v8, vcc_lo
.LBB127_96:                             ;   in Loop: Header=BB127_12 Depth=1
	s_or_b32 exec_lo, exec_lo, s30
	v_lshrrev_b32_e32 v8, 16, v9
	s_delay_alu instid0(VALU_DEP_1) | instskip(NEXT) | instid1(VALU_DEP_1)
	v_cvt_f32_f16_e32 v8, v8
	v_add_f32_e32 v101, s69, v8
	s_delay_alu instid0(VALU_DEP_1) | instskip(SKIP_1) | instid1(SALU_CYCLE_1)
	v_cmp_ge_f32_e32 vcc_lo, 0x41a00000, v101
	s_and_b32 s29, s80, vcc_lo
	s_and_saveexec_b32 s30, s29
	s_cbranch_execz .LBB127_98
; %bb.97:                               ;   in Loop: Header=BB127_12 Depth=1
	v_mul_f32_e32 v8, 0x3fb8aa3b, v101
	v_cmp_ngt_f32_e32 vcc_lo, 0xc2ce8ed0, v101
	s_delay_alu instid0(VALU_DEP_2) | instskip(SKIP_1) | instid1(VALU_DEP_2)
	v_rndne_f32_e32 v9, v8
	v_fma_f32 v12, 0x3fb8aa3b, v101, -v8
	v_sub_f32_e32 v8, v8, v9
	s_delay_alu instid0(VALU_DEP_2) | instskip(SKIP_1) | instid1(VALU_DEP_2)
	v_fmac_f32_e32 v12, 0x32a5705f, v101
	v_cvt_i32_f32_e32 v9, v9
	v_add_f32_e32 v8, v8, v12
	s_delay_alu instid0(VALU_DEP_1) | instskip(SKIP_2) | instid1(VALU_DEP_1)
	v_exp_f32_e32 v8, v8
	s_waitcnt_depctr 0xfff
	v_ldexp_f32 v8, v8, v9
	v_cndmask_b32_e32 v8, 0, v8, vcc_lo
	v_cmp_nlt_f32_e32 vcc_lo, 0x42b17218, v101
	s_delay_alu instid0(VALU_DEP_2) | instskip(NEXT) | instid1(VALU_DEP_1)
	v_cndmask_b32_e32 v12, 0x7f800000, v8, vcc_lo
	v_add_f32_e32 v13, 1.0, v12
	s_delay_alu instid0(VALU_DEP_1) | instskip(NEXT) | instid1(VALU_DEP_1)
	v_cvt_f64_f32_e32 v[8:9], v13
	v_frexp_exp_i32_f64_e32 v8, v[8:9]
	v_frexp_mant_f32_e32 v9, v13
	s_delay_alu instid0(VALU_DEP_1) | instskip(SKIP_1) | instid1(VALU_DEP_1)
	v_cmp_gt_f32_e32 vcc_lo, 0x3f2aaaab, v9
	v_add_f32_e32 v9, -1.0, v13
	v_sub_f32_e32 v15, v9, v13
	s_delay_alu instid0(VALU_DEP_1) | instskip(SKIP_1) | instid1(VALU_DEP_1)
	v_add_f32_e32 v15, 1.0, v15
	v_subrev_co_ci_u32_e32 v8, vcc_lo, 0, v8, vcc_lo
	v_sub_nc_u32_e32 v14, 0, v8
	v_cvt_f32_i32_e32 v8, v8
	s_delay_alu instid0(VALU_DEP_2) | instskip(NEXT) | instid1(VALU_DEP_1)
	v_ldexp_f32 v13, v13, v14
	v_add_f32_e32 v17, 1.0, v13
	v_sub_f32_e32 v9, v12, v9
	v_cmp_eq_f32_e32 vcc_lo, 0x7f800000, v12
	v_cmp_gt_f32_e64 s29, 0x33800000, v12
	s_delay_alu instid0(VALU_DEP_3) | instskip(NEXT) | instid1(VALU_DEP_2)
	v_add_f32_e32 v9, v9, v15
	s_or_b32 vcc_lo, s29, vcc_lo
	s_delay_alu instid0(VALU_DEP_1) | instskip(SKIP_2) | instid1(VALU_DEP_1)
	v_ldexp_f32 v9, v9, v14
	v_add_f32_e32 v14, -1.0, v13
	v_add_f32_e32 v15, -1.0, v17
	v_sub_f32_e32 v15, v13, v15
	s_delay_alu instid0(VALU_DEP_3) | instskip(NEXT) | instid1(VALU_DEP_2)
	v_add_f32_e32 v101, 1.0, v14
	v_add_f32_e32 v15, v9, v15
	s_delay_alu instid0(VALU_DEP_2) | instskip(NEXT) | instid1(VALU_DEP_2)
	v_sub_f32_e32 v13, v13, v101
	v_add_f32_e32 v101, v17, v15
	s_delay_alu instid0(VALU_DEP_2) | instskip(NEXT) | instid1(VALU_DEP_2)
	v_add_f32_e32 v9, v9, v13
	v_rcp_f32_e32 v13, v101
	s_delay_alu instid0(VALU_DEP_1) | instskip(NEXT) | instid1(VALU_DEP_1)
	v_add_f32_e32 v102, v14, v9
	v_dual_sub_f32 v17, v17, v101 :: v_dual_sub_f32 v14, v14, v102
	s_delay_alu instid0(VALU_DEP_1) | instskip(SKIP_2) | instid1(VALU_DEP_1)
	v_add_f32_e32 v15, v15, v17
	s_waitcnt_depctr 0xfff
	v_mul_f32_e32 v103, v102, v13
	v_mul_f32_e32 v104, v101, v103
	s_delay_alu instid0(VALU_DEP_1) | instskip(NEXT) | instid1(VALU_DEP_1)
	v_fma_f32 v17, v103, v101, -v104
	v_fmac_f32_e32 v17, v103, v15
	v_add_f32_e32 v9, v9, v14
	s_delay_alu instid0(VALU_DEP_2) | instskip(NEXT) | instid1(VALU_DEP_1)
	v_add_f32_e32 v105, v104, v17
	v_sub_f32_e32 v106, v102, v105
	v_sub_f32_e32 v14, v105, v104
	s_delay_alu instid0(VALU_DEP_2) | instskip(NEXT) | instid1(VALU_DEP_2)
	v_sub_f32_e32 v102, v102, v106
	v_sub_f32_e32 v14, v14, v17
	s_delay_alu instid0(VALU_DEP_2) | instskip(NEXT) | instid1(VALU_DEP_1)
	v_sub_f32_e32 v102, v102, v105
	v_add_f32_e32 v9, v9, v102
	s_delay_alu instid0(VALU_DEP_1) | instskip(NEXT) | instid1(VALU_DEP_1)
	v_add_f32_e32 v9, v14, v9
	v_add_f32_e32 v14, v106, v9
	s_delay_alu instid0(VALU_DEP_1) | instskip(NEXT) | instid1(VALU_DEP_1)
	v_mul_f32_e32 v17, v13, v14
	v_dual_sub_f32 v105, v106, v14 :: v_dual_mul_f32 v102, v101, v17
	s_delay_alu instid0(VALU_DEP_1) | instskip(NEXT) | instid1(VALU_DEP_2)
	v_add_f32_e32 v9, v9, v105
	v_fma_f32 v101, v17, v101, -v102
	s_delay_alu instid0(VALU_DEP_1) | instskip(NEXT) | instid1(VALU_DEP_1)
	v_fmac_f32_e32 v101, v17, v15
	v_add_f32_e32 v15, v102, v101
	s_delay_alu instid0(VALU_DEP_1) | instskip(SKIP_1) | instid1(VALU_DEP_2)
	v_sub_f32_e32 v104, v14, v15
	v_sub_f32_e32 v102, v15, v102
	;; [unrolled: 1-line block ×3, first 2 shown]
	s_delay_alu instid0(VALU_DEP_1) | instskip(NEXT) | instid1(VALU_DEP_1)
	v_sub_f32_e32 v14, v14, v15
	v_dual_add_f32 v9, v9, v14 :: v_dual_add_f32 v14, v103, v17
	s_delay_alu instid0(VALU_DEP_4) | instskip(NEXT) | instid1(VALU_DEP_1)
	v_sub_f32_e32 v15, v102, v101
	v_add_f32_e32 v9, v15, v9
	s_delay_alu instid0(VALU_DEP_3) | instskip(NEXT) | instid1(VALU_DEP_2)
	v_sub_f32_e32 v15, v14, v103
	v_add_f32_e32 v9, v104, v9
	s_delay_alu instid0(VALU_DEP_2) | instskip(NEXT) | instid1(VALU_DEP_2)
	v_sub_f32_e32 v15, v17, v15
	v_mul_f32_e32 v9, v13, v9
	s_delay_alu instid0(VALU_DEP_1) | instskip(NEXT) | instid1(VALU_DEP_1)
	v_add_f32_e32 v9, v15, v9
	v_add_f32_e32 v13, v14, v9
	s_delay_alu instid0(VALU_DEP_1) | instskip(NEXT) | instid1(VALU_DEP_1)
	v_mul_f32_e32 v15, v13, v13
	v_fmaak_f32 v17, s84, v15, 0x3ecc95a3
	v_mul_f32_e32 v101, v13, v15
	s_delay_alu instid0(VALU_DEP_2) | instskip(SKIP_2) | instid1(VALU_DEP_3)
	v_fmaak_f32 v15, v15, v17, 0x3f2aaada
	v_ldexp_f32 v17, v13, 1
	v_sub_f32_e32 v13, v13, v14
	v_mul_f32_e32 v15, v101, v15
	v_mul_f32_e32 v101, 0x3f317218, v8
	s_delay_alu instid0(VALU_DEP_3) | instskip(NEXT) | instid1(VALU_DEP_3)
	v_sub_f32_e32 v9, v9, v13
	v_add_f32_e32 v14, v17, v15
	s_delay_alu instid0(VALU_DEP_2) | instskip(NEXT) | instid1(VALU_DEP_2)
	v_ldexp_f32 v9, v9, 1
	v_sub_f32_e32 v13, v14, v17
	v_fma_f32 v17, 0x3f317218, v8, -v101
	s_delay_alu instid0(VALU_DEP_2) | instskip(NEXT) | instid1(VALU_DEP_1)
	v_sub_f32_e32 v13, v15, v13
	v_dual_fmac_f32 v17, 0xb102e308, v8 :: v_dual_add_f32 v8, v9, v13
	s_delay_alu instid0(VALU_DEP_1) | instskip(NEXT) | instid1(VALU_DEP_2)
	v_add_f32_e32 v9, v101, v17
	v_add_f32_e32 v13, v14, v8
	s_delay_alu instid0(VALU_DEP_2) | instskip(NEXT) | instid1(VALU_DEP_2)
	v_sub_f32_e32 v101, v9, v101
	v_add_f32_e32 v15, v9, v13
	v_sub_f32_e32 v14, v13, v14
	s_delay_alu instid0(VALU_DEP_3) | instskip(NEXT) | instid1(VALU_DEP_3)
	v_sub_f32_e32 v17, v17, v101
	v_sub_f32_e32 v102, v15, v9
	s_delay_alu instid0(VALU_DEP_3) | instskip(NEXT) | instid1(VALU_DEP_2)
	v_sub_f32_e32 v8, v8, v14
	v_sub_f32_e32 v103, v15, v102
	;; [unrolled: 1-line block ×3, first 2 shown]
	s_delay_alu instid0(VALU_DEP_3) | instskip(NEXT) | instid1(VALU_DEP_3)
	v_add_f32_e32 v14, v17, v8
	v_sub_f32_e32 v9, v9, v103
	s_delay_alu instid0(VALU_DEP_1) | instskip(NEXT) | instid1(VALU_DEP_3)
	v_add_f32_e32 v9, v13, v9
	v_sub_f32_e32 v13, v14, v17
	s_delay_alu instid0(VALU_DEP_2) | instskip(NEXT) | instid1(VALU_DEP_2)
	v_add_f32_e32 v9, v14, v9
	v_sub_f32_e32 v14, v14, v13
	v_sub_f32_e32 v8, v8, v13
	s_delay_alu instid0(VALU_DEP_2) | instskip(NEXT) | instid1(VALU_DEP_1)
	v_dual_add_f32 v101, v15, v9 :: v_dual_sub_f32 v14, v17, v14
	v_dual_sub_f32 v13, v101, v15 :: v_dual_add_f32 v8, v8, v14
	s_delay_alu instid0(VALU_DEP_1) | instskip(NEXT) | instid1(VALU_DEP_1)
	v_sub_f32_e32 v9, v9, v13
	v_add_f32_e32 v8, v8, v9
	s_delay_alu instid0(VALU_DEP_1) | instskip(NEXT) | instid1(VALU_DEP_1)
	v_add_f32_e32 v8, v101, v8
	v_cndmask_b32_e32 v101, v8, v12, vcc_lo
.LBB127_98:                             ;   in Loop: Header=BB127_12 Depth=1
	s_or_b32 exec_lo, exec_lo, s30
	v_cvt_f32_f16_e32 v8, v10
	s_delay_alu instid0(VALU_DEP_1) | instskip(NEXT) | instid1(VALU_DEP_1)
	v_add_f32_e32 v102, s69, v8
	v_cmp_ge_f32_e32 vcc_lo, 0x41a00000, v102
	s_and_b32 s29, s80, vcc_lo
	s_delay_alu instid0(SALU_CYCLE_1)
	s_and_saveexec_b32 s30, s29
	s_cbranch_execz .LBB127_100
; %bb.99:                               ;   in Loop: Header=BB127_12 Depth=1
	v_mul_f32_e32 v8, 0x3fb8aa3b, v102
	v_cmp_ngt_f32_e32 vcc_lo, 0xc2ce8ed0, v102
	s_delay_alu instid0(VALU_DEP_2) | instskip(SKIP_1) | instid1(VALU_DEP_2)
	v_rndne_f32_e32 v9, v8
	v_fma_f32 v12, 0x3fb8aa3b, v102, -v8
	v_sub_f32_e32 v8, v8, v9
	s_delay_alu instid0(VALU_DEP_2) | instskip(SKIP_1) | instid1(VALU_DEP_2)
	v_fmac_f32_e32 v12, 0x32a5705f, v102
	v_cvt_i32_f32_e32 v9, v9
	v_add_f32_e32 v8, v8, v12
	s_delay_alu instid0(VALU_DEP_1) | instskip(SKIP_2) | instid1(VALU_DEP_1)
	v_exp_f32_e32 v8, v8
	s_waitcnt_depctr 0xfff
	v_ldexp_f32 v8, v8, v9
	v_cndmask_b32_e32 v8, 0, v8, vcc_lo
	v_cmp_nlt_f32_e32 vcc_lo, 0x42b17218, v102
	s_delay_alu instid0(VALU_DEP_2) | instskip(NEXT) | instid1(VALU_DEP_1)
	v_cndmask_b32_e32 v12, 0x7f800000, v8, vcc_lo
	v_add_f32_e32 v13, 1.0, v12
	s_delay_alu instid0(VALU_DEP_1) | instskip(NEXT) | instid1(VALU_DEP_1)
	v_cvt_f64_f32_e32 v[8:9], v13
	v_frexp_exp_i32_f64_e32 v8, v[8:9]
	v_frexp_mant_f32_e32 v9, v13
	s_delay_alu instid0(VALU_DEP_1) | instskip(SKIP_1) | instid1(VALU_DEP_1)
	v_cmp_gt_f32_e32 vcc_lo, 0x3f2aaaab, v9
	v_add_f32_e32 v9, -1.0, v13
	v_sub_f32_e32 v15, v9, v13
	s_delay_alu instid0(VALU_DEP_1) | instskip(SKIP_1) | instid1(VALU_DEP_1)
	v_add_f32_e32 v15, 1.0, v15
	v_subrev_co_ci_u32_e32 v8, vcc_lo, 0, v8, vcc_lo
	v_sub_nc_u32_e32 v14, 0, v8
	v_cvt_f32_i32_e32 v8, v8
	s_delay_alu instid0(VALU_DEP_2) | instskip(NEXT) | instid1(VALU_DEP_1)
	v_ldexp_f32 v13, v13, v14
	v_add_f32_e32 v17, 1.0, v13
	v_sub_f32_e32 v9, v12, v9
	v_cmp_eq_f32_e32 vcc_lo, 0x7f800000, v12
	v_cmp_gt_f32_e64 s29, 0x33800000, v12
	s_delay_alu instid0(VALU_DEP_3) | instskip(NEXT) | instid1(VALU_DEP_2)
	v_add_f32_e32 v9, v9, v15
	s_or_b32 vcc_lo, s29, vcc_lo
	s_delay_alu instid0(VALU_DEP_1) | instskip(SKIP_1) | instid1(VALU_DEP_1)
	v_ldexp_f32 v9, v9, v14
	v_add_f32_e32 v14, -1.0, v13
	v_dual_add_f32 v15, -1.0, v17 :: v_dual_add_f32 v102, 1.0, v14
	s_delay_alu instid0(VALU_DEP_1) | instskip(NEXT) | instid1(VALU_DEP_2)
	v_sub_f32_e32 v15, v13, v15
	v_sub_f32_e32 v13, v13, v102
	s_delay_alu instid0(VALU_DEP_2) | instskip(NEXT) | instid1(VALU_DEP_2)
	v_add_f32_e32 v15, v9, v15
	v_add_f32_e32 v9, v9, v13
	s_delay_alu instid0(VALU_DEP_1) | instskip(NEXT) | instid1(VALU_DEP_1)
	v_dual_add_f32 v102, v17, v15 :: v_dual_add_f32 v103, v14, v9
	v_rcp_f32_e32 v13, v102
	s_delay_alu instid0(VALU_DEP_1) | instskip(NEXT) | instid1(VALU_DEP_1)
	v_dual_sub_f32 v17, v17, v102 :: v_dual_sub_f32 v14, v14, v103
	v_add_f32_e32 v15, v15, v17
	s_waitcnt_depctr 0xfff
	v_dual_add_f32 v9, v9, v14 :: v_dual_mul_f32 v104, v103, v13
	s_delay_alu instid0(VALU_DEP_1) | instskip(NEXT) | instid1(VALU_DEP_1)
	v_mul_f32_e32 v105, v102, v104
	v_fma_f32 v17, v104, v102, -v105
	s_delay_alu instid0(VALU_DEP_1) | instskip(NEXT) | instid1(VALU_DEP_1)
	v_fmac_f32_e32 v17, v104, v15
	v_add_f32_e32 v106, v105, v17
	s_delay_alu instid0(VALU_DEP_1) | instskip(NEXT) | instid1(VALU_DEP_1)
	v_sub_f32_e32 v107, v103, v106
	v_dual_sub_f32 v103, v103, v107 :: v_dual_sub_f32 v14, v106, v105
	s_delay_alu instid0(VALU_DEP_1) | instskip(NEXT) | instid1(VALU_DEP_1)
	v_dual_sub_f32 v103, v103, v106 :: v_dual_sub_f32 v14, v14, v17
	v_add_f32_e32 v9, v9, v103
	s_delay_alu instid0(VALU_DEP_1) | instskip(NEXT) | instid1(VALU_DEP_1)
	v_add_f32_e32 v9, v14, v9
	v_add_f32_e32 v14, v107, v9
	s_delay_alu instid0(VALU_DEP_1) | instskip(NEXT) | instid1(VALU_DEP_1)
	v_mul_f32_e32 v17, v13, v14
	v_dual_sub_f32 v106, v107, v14 :: v_dual_mul_f32 v103, v102, v17
	s_delay_alu instid0(VALU_DEP_1) | instskip(NEXT) | instid1(VALU_DEP_2)
	v_add_f32_e32 v9, v9, v106
	v_fma_f32 v102, v17, v102, -v103
	s_delay_alu instid0(VALU_DEP_1) | instskip(NEXT) | instid1(VALU_DEP_1)
	v_fmac_f32_e32 v102, v17, v15
	v_add_f32_e32 v15, v103, v102
	s_delay_alu instid0(VALU_DEP_1) | instskip(NEXT) | instid1(VALU_DEP_1)
	v_sub_f32_e32 v105, v14, v15
	v_dual_sub_f32 v103, v15, v103 :: v_dual_sub_f32 v14, v14, v105
	s_delay_alu instid0(VALU_DEP_1) | instskip(NEXT) | instid1(VALU_DEP_1)
	v_dual_sub_f32 v14, v14, v15 :: v_dual_sub_f32 v15, v103, v102
	v_dual_add_f32 v9, v9, v14 :: v_dual_add_f32 v14, v104, v17
	s_delay_alu instid0(VALU_DEP_1) | instskip(NEXT) | instid1(VALU_DEP_2)
	v_add_f32_e32 v9, v15, v9
	v_sub_f32_e32 v15, v14, v104
	s_delay_alu instid0(VALU_DEP_2) | instskip(NEXT) | instid1(VALU_DEP_2)
	v_add_f32_e32 v9, v105, v9
	v_sub_f32_e32 v15, v17, v15
	s_delay_alu instid0(VALU_DEP_2) | instskip(NEXT) | instid1(VALU_DEP_1)
	v_mul_f32_e32 v9, v13, v9
	v_add_f32_e32 v9, v15, v9
	s_delay_alu instid0(VALU_DEP_1) | instskip(NEXT) | instid1(VALU_DEP_1)
	v_add_f32_e32 v13, v14, v9
	v_mul_f32_e32 v15, v13, v13
	s_delay_alu instid0(VALU_DEP_1) | instskip(NEXT) | instid1(VALU_DEP_1)
	v_fmaak_f32 v17, s84, v15, 0x3ecc95a3
	v_dual_mul_f32 v102, v13, v15 :: v_dual_fmaak_f32 v15, v15, v17, 0x3f2aaada
	v_ldexp_f32 v17, v13, 1
	v_sub_f32_e32 v13, v13, v14
	s_delay_alu instid0(VALU_DEP_3) | instskip(NEXT) | instid1(VALU_DEP_2)
	v_dual_mul_f32 v15, v102, v15 :: v_dual_mul_f32 v102, 0x3f317218, v8
	v_sub_f32_e32 v9, v9, v13
	s_delay_alu instid0(VALU_DEP_2) | instskip(NEXT) | instid1(VALU_DEP_2)
	v_add_f32_e32 v14, v17, v15
	v_ldexp_f32 v9, v9, 1
	s_delay_alu instid0(VALU_DEP_2) | instskip(SKIP_1) | instid1(VALU_DEP_2)
	v_sub_f32_e32 v13, v14, v17
	v_fma_f32 v17, 0x3f317218, v8, -v102
	v_sub_f32_e32 v13, v15, v13
	s_delay_alu instid0(VALU_DEP_1) | instskip(NEXT) | instid1(VALU_DEP_1)
	v_dual_fmac_f32 v17, 0xb102e308, v8 :: v_dual_add_f32 v8, v9, v13
	v_add_f32_e32 v9, v102, v17
	s_delay_alu instid0(VALU_DEP_1) | instskip(NEXT) | instid1(VALU_DEP_1)
	v_dual_add_f32 v13, v14, v8 :: v_dual_sub_f32 v102, v9, v102
	v_add_f32_e32 v15, v9, v13
	v_sub_f32_e32 v14, v13, v14
	s_delay_alu instid0(VALU_DEP_3) | instskip(NEXT) | instid1(VALU_DEP_2)
	v_sub_f32_e32 v17, v17, v102
	v_dual_sub_f32 v103, v15, v9 :: v_dual_sub_f32 v8, v8, v14
	s_delay_alu instid0(VALU_DEP_1) | instskip(SKIP_1) | instid1(VALU_DEP_3)
	v_sub_f32_e32 v104, v15, v103
	v_sub_f32_e32 v13, v13, v103
	v_add_f32_e32 v14, v17, v8
	s_delay_alu instid0(VALU_DEP_3) | instskip(NEXT) | instid1(VALU_DEP_1)
	v_sub_f32_e32 v9, v9, v104
	v_add_f32_e32 v9, v13, v9
	s_delay_alu instid0(VALU_DEP_3) | instskip(NEXT) | instid1(VALU_DEP_2)
	v_sub_f32_e32 v13, v14, v17
	v_add_f32_e32 v9, v14, v9
	s_delay_alu instid0(VALU_DEP_2) | instskip(SKIP_1) | instid1(VALU_DEP_3)
	v_sub_f32_e32 v14, v14, v13
	v_sub_f32_e32 v8, v8, v13
	v_add_f32_e32 v102, v15, v9
	s_delay_alu instid0(VALU_DEP_1) | instskip(NEXT) | instid1(VALU_DEP_1)
	v_dual_sub_f32 v14, v17, v14 :: v_dual_sub_f32 v13, v102, v15
	v_dual_add_f32 v8, v8, v14 :: v_dual_sub_f32 v9, v9, v13
	s_delay_alu instid0(VALU_DEP_1) | instskip(NEXT) | instid1(VALU_DEP_1)
	v_add_f32_e32 v8, v8, v9
	v_add_f32_e32 v8, v102, v8
	s_delay_alu instid0(VALU_DEP_1)
	v_cndmask_b32_e32 v102, v8, v12, vcc_lo
.LBB127_100:                            ;   in Loop: Header=BB127_12 Depth=1
	s_or_b32 exec_lo, exec_lo, s30
	v_lshrrev_b32_e32 v8, 16, v10
	s_delay_alu instid0(VALU_DEP_1) | instskip(NEXT) | instid1(VALU_DEP_1)
	v_cvt_f32_f16_e32 v8, v8
	v_add_f32_e32 v103, s69, v8
	s_delay_alu instid0(VALU_DEP_1) | instskip(SKIP_1) | instid1(SALU_CYCLE_1)
	v_cmp_ge_f32_e32 vcc_lo, 0x41a00000, v103
	s_and_b32 s29, s80, vcc_lo
	s_and_saveexec_b32 s30, s29
	s_cbranch_execz .LBB127_102
; %bb.101:                              ;   in Loop: Header=BB127_12 Depth=1
	v_mul_f32_e32 v8, 0x3fb8aa3b, v103
	v_cmp_ngt_f32_e32 vcc_lo, 0xc2ce8ed0, v103
	s_delay_alu instid0(VALU_DEP_2) | instskip(SKIP_1) | instid1(VALU_DEP_2)
	v_rndne_f32_e32 v9, v8
	v_fma_f32 v10, 0x3fb8aa3b, v103, -v8
	v_sub_f32_e32 v8, v8, v9
	s_delay_alu instid0(VALU_DEP_2) | instskip(SKIP_1) | instid1(VALU_DEP_2)
	v_fmac_f32_e32 v10, 0x32a5705f, v103
	v_cvt_i32_f32_e32 v9, v9
	v_add_f32_e32 v8, v8, v10
	s_delay_alu instid0(VALU_DEP_1) | instskip(SKIP_2) | instid1(VALU_DEP_1)
	v_exp_f32_e32 v8, v8
	s_waitcnt_depctr 0xfff
	v_ldexp_f32 v8, v8, v9
	v_cndmask_b32_e32 v8, 0, v8, vcc_lo
	v_cmp_nlt_f32_e32 vcc_lo, 0x42b17218, v103
	s_delay_alu instid0(VALU_DEP_2) | instskip(NEXT) | instid1(VALU_DEP_1)
	v_cndmask_b32_e32 v10, 0x7f800000, v8, vcc_lo
	v_add_f32_e32 v12, 1.0, v10
	s_delay_alu instid0(VALU_DEP_1) | instskip(NEXT) | instid1(VALU_DEP_1)
	v_cvt_f64_f32_e32 v[8:9], v12
	v_frexp_exp_i32_f64_e32 v8, v[8:9]
	v_frexp_mant_f32_e32 v9, v12
	s_delay_alu instid0(VALU_DEP_1) | instskip(SKIP_1) | instid1(VALU_DEP_1)
	v_cmp_gt_f32_e32 vcc_lo, 0x3f2aaaab, v9
	v_add_f32_e32 v9, -1.0, v12
	v_dual_sub_f32 v14, v9, v12 :: v_dual_sub_f32 v9, v10, v9
	v_subrev_co_ci_u32_e32 v8, vcc_lo, 0, v8, vcc_lo
	s_delay_alu instid0(VALU_DEP_1) | instskip(SKIP_1) | instid1(VALU_DEP_2)
	v_sub_nc_u32_e32 v13, 0, v8
	v_cvt_f32_i32_e32 v8, v8
	v_ldexp_f32 v12, v12, v13
	s_delay_alu instid0(VALU_DEP_1) | instskip(NEXT) | instid1(VALU_DEP_1)
	v_dual_add_f32 v14, 1.0, v14 :: v_dual_add_f32 v15, 1.0, v12
	v_add_f32_e32 v9, v9, v14
	s_delay_alu instid0(VALU_DEP_1) | instskip(NEXT) | instid1(VALU_DEP_3)
	v_ldexp_f32 v9, v9, v13
	v_dual_add_f32 v13, -1.0, v12 :: v_dual_add_f32 v14, -1.0, v15
	s_delay_alu instid0(VALU_DEP_1) | instskip(NEXT) | instid1(VALU_DEP_1)
	v_dual_add_f32 v17, 1.0, v13 :: v_dual_sub_f32 v14, v12, v14
	v_sub_f32_e32 v12, v12, v17
	s_delay_alu instid0(VALU_DEP_2) | instskip(NEXT) | instid1(VALU_DEP_2)
	v_add_f32_e32 v14, v9, v14
	v_add_f32_e32 v9, v9, v12
	s_delay_alu instid0(VALU_DEP_2) | instskip(SKIP_2) | instid1(VALU_DEP_4)
	v_add_f32_e32 v17, v15, v14
	v_cmp_eq_f32_e32 vcc_lo, 0x7f800000, v10
	v_cmp_gt_f32_e64 s29, 0x33800000, v10
	v_add_f32_e32 v103, v13, v9
	s_delay_alu instid0(VALU_DEP_4) | instskip(SKIP_1) | instid1(VALU_DEP_3)
	v_rcp_f32_e32 v12, v17
	v_sub_f32_e32 v15, v15, v17
	s_or_b32 vcc_lo, s29, vcc_lo
	s_delay_alu instid0(VALU_DEP_2) | instskip(NEXT) | instid1(VALU_DEP_1)
	v_sub_f32_e32 v13, v13, v103
	v_dual_add_f32 v14, v14, v15 :: v_dual_add_f32 v9, v9, v13
	s_waitcnt_depctr 0xfff
	v_mul_f32_e32 v104, v103, v12
	s_delay_alu instid0(VALU_DEP_1) | instskip(NEXT) | instid1(VALU_DEP_1)
	v_mul_f32_e32 v105, v17, v104
	v_fma_f32 v15, v104, v17, -v105
	s_delay_alu instid0(VALU_DEP_1) | instskip(NEXT) | instid1(VALU_DEP_1)
	v_fmac_f32_e32 v15, v104, v14
	v_add_f32_e32 v106, v105, v15
	s_delay_alu instid0(VALU_DEP_1) | instskip(SKIP_1) | instid1(VALU_DEP_2)
	v_sub_f32_e32 v107, v103, v106
	v_sub_f32_e32 v13, v106, v105
	;; [unrolled: 1-line block ×3, first 2 shown]
	s_delay_alu instid0(VALU_DEP_2) | instskip(NEXT) | instid1(VALU_DEP_2)
	v_sub_f32_e32 v13, v13, v15
	v_sub_f32_e32 v103, v103, v106
	s_delay_alu instid0(VALU_DEP_1) | instskip(NEXT) | instid1(VALU_DEP_1)
	v_add_f32_e32 v9, v9, v103
	v_add_f32_e32 v9, v13, v9
	s_delay_alu instid0(VALU_DEP_1) | instskip(NEXT) | instid1(VALU_DEP_1)
	v_add_f32_e32 v13, v107, v9
	v_mul_f32_e32 v15, v12, v13
	s_delay_alu instid0(VALU_DEP_1) | instskip(NEXT) | instid1(VALU_DEP_1)
	v_dual_sub_f32 v106, v107, v13 :: v_dual_mul_f32 v103, v17, v15
	v_add_f32_e32 v9, v9, v106
	s_delay_alu instid0(VALU_DEP_2) | instskip(NEXT) | instid1(VALU_DEP_1)
	v_fma_f32 v17, v15, v17, -v103
	v_fmac_f32_e32 v17, v15, v14
	s_delay_alu instid0(VALU_DEP_1) | instskip(NEXT) | instid1(VALU_DEP_1)
	v_add_f32_e32 v14, v103, v17
	v_sub_f32_e32 v105, v13, v14
	v_sub_f32_e32 v103, v14, v103
	s_delay_alu instid0(VALU_DEP_2) | instskip(NEXT) | instid1(VALU_DEP_1)
	v_sub_f32_e32 v13, v13, v105
	v_dual_sub_f32 v13, v13, v14 :: v_dual_sub_f32 v14, v103, v17
	s_delay_alu instid0(VALU_DEP_1) | instskip(SKIP_1) | instid1(VALU_DEP_1)
	v_add_f32_e32 v9, v9, v13
	v_add_f32_e32 v13, v104, v15
	v_dual_add_f32 v9, v14, v9 :: v_dual_sub_f32 v14, v13, v104
	s_delay_alu instid0(VALU_DEP_1) | instskip(NEXT) | instid1(VALU_DEP_1)
	v_dual_add_f32 v9, v105, v9 :: v_dual_sub_f32 v14, v15, v14
	v_mul_f32_e32 v9, v12, v9
	s_delay_alu instid0(VALU_DEP_1) | instskip(NEXT) | instid1(VALU_DEP_1)
	v_add_f32_e32 v9, v14, v9
	v_add_f32_e32 v12, v13, v9
	s_delay_alu instid0(VALU_DEP_1) | instskip(NEXT) | instid1(VALU_DEP_1)
	v_mul_f32_e32 v14, v12, v12
	v_fmaak_f32 v15, s84, v14, 0x3ecc95a3
	s_delay_alu instid0(VALU_DEP_1) | instskip(SKIP_2) | instid1(VALU_DEP_3)
	v_dual_mul_f32 v17, v12, v14 :: v_dual_fmaak_f32 v14, v14, v15, 0x3f2aaada
	v_ldexp_f32 v15, v12, 1
	v_sub_f32_e32 v12, v12, v13
	v_dual_mul_f32 v14, v17, v14 :: v_dual_mul_f32 v17, 0x3f317218, v8
	s_delay_alu instid0(VALU_DEP_2) | instskip(NEXT) | instid1(VALU_DEP_2)
	v_sub_f32_e32 v9, v9, v12
	v_add_f32_e32 v13, v15, v14
	s_delay_alu instid0(VALU_DEP_2) | instskip(NEXT) | instid1(VALU_DEP_2)
	v_ldexp_f32 v9, v9, 1
	v_sub_f32_e32 v12, v13, v15
	v_fma_f32 v15, 0x3f317218, v8, -v17
	s_delay_alu instid0(VALU_DEP_2) | instskip(NEXT) | instid1(VALU_DEP_2)
	v_sub_f32_e32 v12, v14, v12
	v_fmac_f32_e32 v15, 0xb102e308, v8
	s_delay_alu instid0(VALU_DEP_2) | instskip(NEXT) | instid1(VALU_DEP_2)
	v_add_f32_e32 v8, v9, v12
	v_add_f32_e32 v9, v17, v15
	s_delay_alu instid0(VALU_DEP_2) | instskip(NEXT) | instid1(VALU_DEP_2)
	v_add_f32_e32 v12, v13, v8
	v_sub_f32_e32 v17, v9, v17
	s_delay_alu instid0(VALU_DEP_2) | instskip(NEXT) | instid1(VALU_DEP_2)
	v_dual_add_f32 v14, v9, v12 :: v_dual_sub_f32 v13, v12, v13
	v_sub_f32_e32 v15, v15, v17
	s_delay_alu instid0(VALU_DEP_2) | instskip(NEXT) | instid1(VALU_DEP_3)
	v_sub_f32_e32 v103, v14, v9
	v_sub_f32_e32 v8, v8, v13
	s_delay_alu instid0(VALU_DEP_2) | instskip(NEXT) | instid1(VALU_DEP_2)
	v_sub_f32_e32 v104, v14, v103
	v_dual_sub_f32 v12, v12, v103 :: v_dual_add_f32 v13, v15, v8
	s_delay_alu instid0(VALU_DEP_2) | instskip(NEXT) | instid1(VALU_DEP_1)
	v_sub_f32_e32 v9, v9, v104
	v_dual_add_f32 v9, v12, v9 :: v_dual_sub_f32 v12, v13, v15
	s_delay_alu instid0(VALU_DEP_1) | instskip(NEXT) | instid1(VALU_DEP_2)
	v_add_f32_e32 v9, v13, v9
	v_sub_f32_e32 v13, v13, v12
	s_delay_alu instid0(VALU_DEP_2) | instskip(NEXT) | instid1(VALU_DEP_1)
	v_dual_sub_f32 v8, v8, v12 :: v_dual_add_f32 v17, v14, v9
	v_dual_sub_f32 v13, v15, v13 :: v_dual_sub_f32 v12, v17, v14
	s_delay_alu instid0(VALU_DEP_1) | instskip(NEXT) | instid1(VALU_DEP_1)
	v_dual_add_f32 v8, v8, v13 :: v_dual_sub_f32 v9, v9, v12
	v_add_f32_e32 v8, v8, v9
	s_delay_alu instid0(VALU_DEP_1) | instskip(NEXT) | instid1(VALU_DEP_1)
	v_add_f32_e32 v8, v17, v8
	v_cndmask_b32_e32 v103, v8, v10, vcc_lo
.LBB127_102:                            ;   in Loop: Header=BB127_12 Depth=1
	s_or_b32 exec_lo, exec_lo, s30
	v_cvt_f32_f16_e32 v8, v11
	s_delay_alu instid0(VALU_DEP_1) | instskip(NEXT) | instid1(VALU_DEP_1)
	v_add_f32_e32 v104, s69, v8
	v_cmp_ge_f32_e32 vcc_lo, 0x41a00000, v104
	s_and_b32 s29, s80, vcc_lo
	s_delay_alu instid0(SALU_CYCLE_1)
	s_and_saveexec_b32 s30, s29
	s_cbranch_execz .LBB127_104
; %bb.103:                              ;   in Loop: Header=BB127_12 Depth=1
	v_mul_f32_e32 v8, 0x3fb8aa3b, v104
	v_cmp_ngt_f32_e32 vcc_lo, 0xc2ce8ed0, v104
	s_delay_alu instid0(VALU_DEP_2) | instskip(SKIP_1) | instid1(VALU_DEP_2)
	v_rndne_f32_e32 v9, v8
	v_fma_f32 v10, 0x3fb8aa3b, v104, -v8
	v_sub_f32_e32 v8, v8, v9
	s_delay_alu instid0(VALU_DEP_2) | instskip(SKIP_1) | instid1(VALU_DEP_2)
	v_fmac_f32_e32 v10, 0x32a5705f, v104
	v_cvt_i32_f32_e32 v9, v9
	v_add_f32_e32 v8, v8, v10
	s_delay_alu instid0(VALU_DEP_1) | instskip(SKIP_2) | instid1(VALU_DEP_1)
	v_exp_f32_e32 v8, v8
	s_waitcnt_depctr 0xfff
	v_ldexp_f32 v8, v8, v9
	v_cndmask_b32_e32 v8, 0, v8, vcc_lo
	v_cmp_nlt_f32_e32 vcc_lo, 0x42b17218, v104
	s_delay_alu instid0(VALU_DEP_2) | instskip(NEXT) | instid1(VALU_DEP_1)
	v_cndmask_b32_e32 v10, 0x7f800000, v8, vcc_lo
	v_add_f32_e32 v12, 1.0, v10
	s_delay_alu instid0(VALU_DEP_1) | instskip(NEXT) | instid1(VALU_DEP_1)
	v_cvt_f64_f32_e32 v[8:9], v12
	v_frexp_exp_i32_f64_e32 v8, v[8:9]
	v_frexp_mant_f32_e32 v9, v12
	s_delay_alu instid0(VALU_DEP_1) | instskip(SKIP_1) | instid1(VALU_DEP_1)
	v_cmp_gt_f32_e32 vcc_lo, 0x3f2aaaab, v9
	v_add_f32_e32 v9, -1.0, v12
	v_dual_sub_f32 v14, v9, v12 :: v_dual_sub_f32 v9, v10, v9
	v_subrev_co_ci_u32_e32 v8, vcc_lo, 0, v8, vcc_lo
	s_delay_alu instid0(VALU_DEP_1) | instskip(SKIP_1) | instid1(VALU_DEP_2)
	v_sub_nc_u32_e32 v13, 0, v8
	v_cvt_f32_i32_e32 v8, v8
	v_ldexp_f32 v12, v12, v13
	s_delay_alu instid0(VALU_DEP_1) | instskip(NEXT) | instid1(VALU_DEP_1)
	v_dual_add_f32 v14, 1.0, v14 :: v_dual_add_f32 v15, 1.0, v12
	v_add_f32_e32 v9, v9, v14
	s_delay_alu instid0(VALU_DEP_1) | instskip(NEXT) | instid1(VALU_DEP_3)
	v_ldexp_f32 v9, v9, v13
	v_dual_add_f32 v13, -1.0, v12 :: v_dual_add_f32 v14, -1.0, v15
	s_delay_alu instid0(VALU_DEP_1) | instskip(NEXT) | instid1(VALU_DEP_1)
	v_dual_add_f32 v17, 1.0, v13 :: v_dual_sub_f32 v14, v12, v14
	v_sub_f32_e32 v12, v12, v17
	s_delay_alu instid0(VALU_DEP_2) | instskip(NEXT) | instid1(VALU_DEP_2)
	v_add_f32_e32 v14, v9, v14
	v_add_f32_e32 v9, v9, v12
	s_delay_alu instid0(VALU_DEP_2) | instskip(SKIP_2) | instid1(VALU_DEP_4)
	v_add_f32_e32 v17, v15, v14
	v_cmp_eq_f32_e32 vcc_lo, 0x7f800000, v10
	v_cmp_gt_f32_e64 s29, 0x33800000, v10
	v_add_f32_e32 v104, v13, v9
	s_delay_alu instid0(VALU_DEP_4) | instskip(SKIP_1) | instid1(VALU_DEP_3)
	v_rcp_f32_e32 v12, v17
	v_sub_f32_e32 v15, v15, v17
	s_or_b32 vcc_lo, s29, vcc_lo
	s_delay_alu instid0(VALU_DEP_2) | instskip(NEXT) | instid1(VALU_DEP_1)
	v_sub_f32_e32 v13, v13, v104
	v_add_f32_e32 v9, v9, v13
	s_waitcnt_depctr 0xfff
	v_dual_mul_f32 v105, v104, v12 :: v_dual_add_f32 v14, v14, v15
	s_delay_alu instid0(VALU_DEP_1) | instskip(NEXT) | instid1(VALU_DEP_1)
	v_mul_f32_e32 v106, v17, v105
	v_fma_f32 v15, v105, v17, -v106
	s_delay_alu instid0(VALU_DEP_1) | instskip(NEXT) | instid1(VALU_DEP_1)
	v_fmac_f32_e32 v15, v105, v14
	v_add_f32_e32 v107, v106, v15
	s_delay_alu instid0(VALU_DEP_1) | instskip(NEXT) | instid1(VALU_DEP_1)
	v_dual_sub_f32 v13, v107, v106 :: v_dual_sub_f32 v108, v104, v107
	v_dual_sub_f32 v13, v13, v15 :: v_dual_sub_f32 v104, v104, v108
	s_delay_alu instid0(VALU_DEP_1) | instskip(NEXT) | instid1(VALU_DEP_1)
	v_sub_f32_e32 v104, v104, v107
	v_add_f32_e32 v9, v9, v104
	s_delay_alu instid0(VALU_DEP_1) | instskip(NEXT) | instid1(VALU_DEP_1)
	v_add_f32_e32 v9, v13, v9
	v_add_f32_e32 v13, v108, v9
	s_delay_alu instid0(VALU_DEP_1) | instskip(NEXT) | instid1(VALU_DEP_1)
	v_mul_f32_e32 v15, v12, v13
	v_mul_f32_e32 v104, v17, v15
	s_delay_alu instid0(VALU_DEP_1) | instskip(NEXT) | instid1(VALU_DEP_1)
	v_fma_f32 v17, v15, v17, -v104
	v_fmac_f32_e32 v17, v15, v14
	s_delay_alu instid0(VALU_DEP_1) | instskip(NEXT) | instid1(VALU_DEP_1)
	v_add_f32_e32 v14, v104, v17
	v_dual_sub_f32 v107, v108, v13 :: v_dual_sub_f32 v106, v13, v14
	s_delay_alu instid0(VALU_DEP_1) | instskip(NEXT) | instid1(VALU_DEP_2)
	v_dual_sub_f32 v13, v13, v106 :: v_dual_sub_f32 v104, v14, v104
	v_add_f32_e32 v9, v9, v107
	s_delay_alu instid0(VALU_DEP_2) | instskip(NEXT) | instid1(VALU_DEP_1)
	v_dual_sub_f32 v13, v13, v14 :: v_dual_sub_f32 v14, v104, v17
	v_add_f32_e32 v9, v9, v13
	v_add_f32_e32 v13, v105, v15
	s_delay_alu instid0(VALU_DEP_2) | instskip(NEXT) | instid1(VALU_DEP_2)
	v_add_f32_e32 v9, v14, v9
	v_sub_f32_e32 v14, v13, v105
	s_delay_alu instid0(VALU_DEP_1) | instskip(NEXT) | instid1(VALU_DEP_1)
	v_dual_add_f32 v9, v106, v9 :: v_dual_sub_f32 v14, v15, v14
	v_mul_f32_e32 v9, v12, v9
	s_delay_alu instid0(VALU_DEP_1) | instskip(NEXT) | instid1(VALU_DEP_1)
	v_add_f32_e32 v9, v14, v9
	v_add_f32_e32 v12, v13, v9
	s_delay_alu instid0(VALU_DEP_1) | instskip(NEXT) | instid1(VALU_DEP_1)
	v_mul_f32_e32 v14, v12, v12
	v_fmaak_f32 v15, s84, v14, 0x3ecc95a3
	s_delay_alu instid0(VALU_DEP_1) | instskip(SKIP_1) | instid1(VALU_DEP_2)
	v_dual_mul_f32 v17, v12, v14 :: v_dual_fmaak_f32 v14, v14, v15, 0x3f2aaada
	v_ldexp_f32 v15, v12, 1
	v_mul_f32_e32 v14, v17, v14
	v_dual_sub_f32 v12, v12, v13 :: v_dual_mul_f32 v17, 0x3f317218, v8
	s_delay_alu instid0(VALU_DEP_2) | instskip(NEXT) | instid1(VALU_DEP_2)
	v_add_f32_e32 v13, v15, v14
	v_sub_f32_e32 v9, v9, v12
	s_delay_alu instid0(VALU_DEP_2) | instskip(NEXT) | instid1(VALU_DEP_4)
	v_sub_f32_e32 v12, v13, v15
	v_fma_f32 v15, 0x3f317218, v8, -v17
	s_delay_alu instid0(VALU_DEP_3) | instskip(NEXT) | instid1(VALU_DEP_3)
	v_ldexp_f32 v9, v9, 1
	v_sub_f32_e32 v12, v14, v12
	s_delay_alu instid0(VALU_DEP_3) | instskip(NEXT) | instid1(VALU_DEP_2)
	v_fmac_f32_e32 v15, 0xb102e308, v8
	v_add_f32_e32 v8, v9, v12
	s_delay_alu instid0(VALU_DEP_1) | instskip(NEXT) | instid1(VALU_DEP_3)
	v_add_f32_e32 v12, v13, v8
	v_add_f32_e32 v9, v17, v15
	s_delay_alu instid0(VALU_DEP_1) | instskip(NEXT) | instid1(VALU_DEP_1)
	v_dual_sub_f32 v13, v12, v13 :: v_dual_add_f32 v14, v9, v12
	v_sub_f32_e32 v8, v8, v13
	s_delay_alu instid0(VALU_DEP_2) | instskip(NEXT) | instid1(VALU_DEP_1)
	v_sub_f32_e32 v104, v14, v9
	v_dual_sub_f32 v12, v12, v104 :: v_dual_sub_f32 v17, v9, v17
	s_delay_alu instid0(VALU_DEP_1) | instskip(NEXT) | instid1(VALU_DEP_1)
	v_sub_f32_e32 v15, v15, v17
	v_add_f32_e32 v13, v15, v8
	v_sub_f32_e32 v105, v14, v104
	s_delay_alu instid0(VALU_DEP_1) | instskip(NEXT) | instid1(VALU_DEP_1)
	v_sub_f32_e32 v9, v9, v105
	v_dual_add_f32 v9, v12, v9 :: v_dual_sub_f32 v12, v13, v15
	s_delay_alu instid0(VALU_DEP_1) | instskip(NEXT) | instid1(VALU_DEP_2)
	v_add_f32_e32 v9, v13, v9
	v_sub_f32_e32 v13, v13, v12
	s_delay_alu instid0(VALU_DEP_2) | instskip(NEXT) | instid1(VALU_DEP_1)
	v_dual_sub_f32 v8, v8, v12 :: v_dual_add_f32 v17, v14, v9
	v_dual_sub_f32 v12, v17, v14 :: v_dual_sub_f32 v13, v15, v13
	s_delay_alu instid0(VALU_DEP_1) | instskip(NEXT) | instid1(VALU_DEP_1)
	v_dual_sub_f32 v9, v9, v12 :: v_dual_add_f32 v8, v8, v13
	v_add_f32_e32 v8, v8, v9
	s_delay_alu instid0(VALU_DEP_1) | instskip(NEXT) | instid1(VALU_DEP_1)
	v_add_f32_e32 v8, v17, v8
	v_cndmask_b32_e32 v104, v8, v10, vcc_lo
.LBB127_104:                            ;   in Loop: Header=BB127_12 Depth=1
	s_or_b32 exec_lo, exec_lo, s30
	v_lshrrev_b32_e32 v8, 16, v11
	s_delay_alu instid0(VALU_DEP_1) | instskip(NEXT) | instid1(VALU_DEP_1)
	v_cvt_f32_f16_e32 v8, v8
	v_add_f32_e32 v111, s69, v8
	s_delay_alu instid0(VALU_DEP_1) | instskip(SKIP_1) | instid1(SALU_CYCLE_1)
	v_cmp_ge_f32_e32 vcc_lo, 0x41a00000, v111
	s_and_b32 s29, s80, vcc_lo
	s_and_saveexec_b32 s30, s29
	s_cbranch_execz .LBB127_106
; %bb.105:                              ;   in Loop: Header=BB127_12 Depth=1
	v_mul_f32_e32 v8, 0x3fb8aa3b, v111
	v_cmp_ngt_f32_e32 vcc_lo, 0xc2ce8ed0, v111
	s_delay_alu instid0(VALU_DEP_2) | instskip(SKIP_1) | instid1(VALU_DEP_2)
	v_rndne_f32_e32 v9, v8
	v_fma_f32 v10, 0x3fb8aa3b, v111, -v8
	v_sub_f32_e32 v8, v8, v9
	s_delay_alu instid0(VALU_DEP_2) | instskip(SKIP_1) | instid1(VALU_DEP_2)
	v_fmac_f32_e32 v10, 0x32a5705f, v111
	v_cvt_i32_f32_e32 v9, v9
	v_add_f32_e32 v8, v8, v10
	s_delay_alu instid0(VALU_DEP_1) | instskip(SKIP_2) | instid1(VALU_DEP_1)
	v_exp_f32_e32 v8, v8
	s_waitcnt_depctr 0xfff
	v_ldexp_f32 v8, v8, v9
	v_cndmask_b32_e32 v8, 0, v8, vcc_lo
	v_cmp_nlt_f32_e32 vcc_lo, 0x42b17218, v111
	s_delay_alu instid0(VALU_DEP_2) | instskip(NEXT) | instid1(VALU_DEP_1)
	v_cndmask_b32_e32 v10, 0x7f800000, v8, vcc_lo
	v_add_f32_e32 v11, 1.0, v10
	s_delay_alu instid0(VALU_DEP_1) | instskip(NEXT) | instid1(VALU_DEP_1)
	v_cvt_f64_f32_e32 v[8:9], v11
	v_frexp_exp_i32_f64_e32 v8, v[8:9]
	v_frexp_mant_f32_e32 v9, v11
	s_delay_alu instid0(VALU_DEP_1) | instskip(SKIP_1) | instid1(VALU_DEP_1)
	v_cmp_gt_f32_e32 vcc_lo, 0x3f2aaaab, v9
	v_add_f32_e32 v9, -1.0, v11
	v_sub_f32_e32 v13, v9, v11
	v_sub_f32_e32 v9, v10, v9
	s_delay_alu instid0(VALU_DEP_2) | instskip(NEXT) | instid1(VALU_DEP_1)
	v_add_f32_e32 v13, 1.0, v13
	v_add_f32_e32 v9, v9, v13
	v_cmp_gt_f32_e64 s29, 0x33800000, v10
	v_subrev_co_ci_u32_e32 v8, vcc_lo, 0, v8, vcc_lo
	v_cmp_eq_f32_e32 vcc_lo, 0x7f800000, v10
	s_delay_alu instid0(VALU_DEP_2) | instskip(SKIP_2) | instid1(VALU_DEP_2)
	v_sub_nc_u32_e32 v12, 0, v8
	v_cvt_f32_i32_e32 v8, v8
	s_or_b32 vcc_lo, s29, vcc_lo
	v_ldexp_f32 v11, v11, v12
	v_ldexp_f32 v9, v9, v12
	s_delay_alu instid0(VALU_DEP_2) | instskip(NEXT) | instid1(VALU_DEP_1)
	v_add_f32_e32 v14, 1.0, v11
	v_dual_add_f32 v12, -1.0, v11 :: v_dual_add_f32 v13, -1.0, v14
	s_delay_alu instid0(VALU_DEP_1) | instskip(NEXT) | instid1(VALU_DEP_2)
	v_add_f32_e32 v15, 1.0, v12
	v_sub_f32_e32 v13, v11, v13
	s_delay_alu instid0(VALU_DEP_2) | instskip(NEXT) | instid1(VALU_DEP_2)
	v_sub_f32_e32 v11, v11, v15
	v_add_f32_e32 v13, v9, v13
	s_delay_alu instid0(VALU_DEP_2) | instskip(NEXT) | instid1(VALU_DEP_1)
	v_add_f32_e32 v9, v9, v11
	v_add_f32_e32 v17, v12, v9
	s_delay_alu instid0(VALU_DEP_3) | instskip(NEXT) | instid1(VALU_DEP_2)
	v_add_f32_e32 v15, v14, v13
	v_sub_f32_e32 v12, v12, v17
	s_delay_alu instid0(VALU_DEP_2) | instskip(SKIP_1) | instid1(VALU_DEP_1)
	v_rcp_f32_e32 v11, v15
	v_sub_f32_e32 v14, v14, v15
	v_add_f32_e32 v13, v13, v14
	s_waitcnt_depctr 0xfff
	v_mul_f32_e32 v105, v17, v11
	s_delay_alu instid0(VALU_DEP_1) | instskip(NEXT) | instid1(VALU_DEP_1)
	v_dual_mul_f32 v106, v15, v105 :: v_dual_add_f32 v9, v9, v12
	v_fma_f32 v14, v105, v15, -v106
	s_delay_alu instid0(VALU_DEP_1) | instskip(NEXT) | instid1(VALU_DEP_1)
	v_fmac_f32_e32 v14, v105, v13
	v_add_f32_e32 v107, v106, v14
	s_delay_alu instid0(VALU_DEP_1) | instskip(SKIP_1) | instid1(VALU_DEP_1)
	v_sub_f32_e32 v12, v107, v106
	v_sub_f32_e32 v108, v17, v107
	v_dual_sub_f32 v12, v12, v14 :: v_dual_sub_f32 v17, v17, v108
	s_delay_alu instid0(VALU_DEP_1) | instskip(NEXT) | instid1(VALU_DEP_1)
	v_sub_f32_e32 v17, v17, v107
	v_add_f32_e32 v9, v9, v17
	s_delay_alu instid0(VALU_DEP_1) | instskip(NEXT) | instid1(VALU_DEP_1)
	v_add_f32_e32 v9, v12, v9
	v_add_f32_e32 v12, v108, v9
	s_delay_alu instid0(VALU_DEP_1) | instskip(SKIP_1) | instid1(VALU_DEP_2)
	v_mul_f32_e32 v14, v11, v12
	v_sub_f32_e32 v107, v108, v12
	v_mul_f32_e32 v17, v15, v14
	s_delay_alu instid0(VALU_DEP_2) | instskip(NEXT) | instid1(VALU_DEP_2)
	v_add_f32_e32 v9, v9, v107
	v_fma_f32 v15, v14, v15, -v17
	s_delay_alu instid0(VALU_DEP_1) | instskip(NEXT) | instid1(VALU_DEP_1)
	v_fmac_f32_e32 v15, v14, v13
	v_add_f32_e32 v13, v17, v15
	s_delay_alu instid0(VALU_DEP_1) | instskip(NEXT) | instid1(VALU_DEP_1)
	v_sub_f32_e32 v106, v12, v13
	v_dual_sub_f32 v17, v13, v17 :: v_dual_sub_f32 v12, v12, v106
	s_delay_alu instid0(VALU_DEP_1) | instskip(NEXT) | instid1(VALU_DEP_1)
	v_dual_sub_f32 v12, v12, v13 :: v_dual_sub_f32 v13, v17, v15
	v_add_f32_e32 v9, v9, v12
	v_add_f32_e32 v12, v105, v14
	s_delay_alu instid0(VALU_DEP_2) | instskip(NEXT) | instid1(VALU_DEP_2)
	v_add_f32_e32 v9, v13, v9
	v_sub_f32_e32 v13, v12, v105
	s_delay_alu instid0(VALU_DEP_2) | instskip(NEXT) | instid1(VALU_DEP_2)
	v_add_f32_e32 v9, v106, v9
	v_sub_f32_e32 v13, v14, v13
	s_delay_alu instid0(VALU_DEP_2) | instskip(NEXT) | instid1(VALU_DEP_1)
	v_mul_f32_e32 v9, v11, v9
	v_add_f32_e32 v9, v13, v9
	s_delay_alu instid0(VALU_DEP_1) | instskip(NEXT) | instid1(VALU_DEP_1)
	v_add_f32_e32 v11, v12, v9
	v_mul_f32_e32 v13, v11, v11
	s_delay_alu instid0(VALU_DEP_1) | instskip(SKIP_1) | instid1(VALU_DEP_2)
	v_fmaak_f32 v14, s84, v13, 0x3ecc95a3
	v_mul_f32_e32 v15, v11, v13
	v_fmaak_f32 v13, v13, v14, 0x3f2aaada
	v_ldexp_f32 v14, v11, 1
	v_sub_f32_e32 v11, v11, v12
	s_delay_alu instid0(VALU_DEP_3) | instskip(SKIP_1) | instid1(VALU_DEP_2)
	v_mul_f32_e32 v13, v15, v13
	v_mul_f32_e32 v15, 0x3f317218, v8
	v_dual_sub_f32 v9, v9, v11 :: v_dual_add_f32 v12, v14, v13
	s_delay_alu instid0(VALU_DEP_1) | instskip(NEXT) | instid1(VALU_DEP_2)
	v_ldexp_f32 v9, v9, 1
	v_sub_f32_e32 v11, v12, v14
	s_delay_alu instid0(VALU_DEP_4) | instskip(NEXT) | instid1(VALU_DEP_1)
	v_fma_f32 v14, 0x3f317218, v8, -v15
	v_dual_sub_f32 v11, v13, v11 :: v_dual_fmac_f32 v14, 0xb102e308, v8
	s_delay_alu instid0(VALU_DEP_1) | instskip(NEXT) | instid1(VALU_DEP_1)
	v_dual_add_f32 v8, v9, v11 :: v_dual_add_f32 v9, v15, v14
	v_add_f32_e32 v11, v12, v8
	s_delay_alu instid0(VALU_DEP_2) | instskip(NEXT) | instid1(VALU_DEP_2)
	v_sub_f32_e32 v15, v9, v15
	v_dual_add_f32 v13, v9, v11 :: v_dual_sub_f32 v12, v11, v12
	s_delay_alu instid0(VALU_DEP_1) | instskip(NEXT) | instid1(VALU_DEP_1)
	v_dual_sub_f32 v14, v14, v15 :: v_dual_sub_f32 v17, v13, v9
	v_dual_sub_f32 v8, v8, v12 :: v_dual_sub_f32 v105, v13, v17
	s_delay_alu instid0(VALU_DEP_1) | instskip(NEXT) | instid1(VALU_DEP_2)
	v_dual_sub_f32 v11, v11, v17 :: v_dual_add_f32 v12, v14, v8
	v_sub_f32_e32 v9, v9, v105
	s_delay_alu instid0(VALU_DEP_1) | instskip(NEXT) | instid1(VALU_DEP_3)
	v_add_f32_e32 v9, v11, v9
	v_sub_f32_e32 v11, v12, v14
	s_delay_alu instid0(VALU_DEP_2) | instskip(NEXT) | instid1(VALU_DEP_2)
	v_add_f32_e32 v9, v12, v9
	v_sub_f32_e32 v12, v12, v11
	s_delay_alu instid0(VALU_DEP_2) | instskip(NEXT) | instid1(VALU_DEP_1)
	v_dual_sub_f32 v8, v8, v11 :: v_dual_add_f32 v15, v13, v9
	v_dual_sub_f32 v12, v14, v12 :: v_dual_sub_f32 v11, v15, v13
	s_delay_alu instid0(VALU_DEP_1) | instskip(NEXT) | instid1(VALU_DEP_1)
	v_dual_add_f32 v8, v8, v12 :: v_dual_sub_f32 v9, v9, v11
	v_add_f32_e32 v8, v8, v9
	s_delay_alu instid0(VALU_DEP_1) | instskip(NEXT) | instid1(VALU_DEP_1)
	v_add_f32_e32 v8, v15, v8
	v_cndmask_b32_e32 v111, v8, v10, vcc_lo
.LBB127_106:                            ;   in Loop: Header=BB127_12 Depth=1
	s_or_b32 exec_lo, exec_lo, s30
	v_lshrrev_b32_e32 v9, 16, v6
	v_lshrrev_b32_e32 v10, 16, v7
	;; [unrolled: 1-line block ×6, first 2 shown]
	v_cvt_f32_f16_e32 v8, v7
	v_cvt_f32_f16_e32 v7, v9
	v_cvt_f32_f16_e32 v9, v11
	v_cvt_f32_f16_e32 v11, v10
	v_cvt_f32_f16_e32 v10, v12
	v_cvt_f32_f16_e32 v12, v13
	v_cvt_f32_f16_e32 v13, v14
	v_lshrrev_b32_e32 v14, 16, v1
	v_lshrrev_b32_e32 v15, 16, v0
	v_cvt_f32_f16_e32 v6, v6
	v_cvt_f32_f16_e32 v5, v5
	v_cvt_f32_f16_e32 v4, v4
	v_cvt_f32_f16_e32 v3, v3
	v_cvt_f32_f16_e32 v2, v2
	v_cvt_f32_f16_e32 v14, v14
	v_cvt_f32_f16_e32 v1, v1
	v_cvt_f32_f16_e32 v15, v15
	v_cvt_f32_f16_e32 v0, v0
	v_dual_mul_f32 v105, s70, v8 :: v_dual_mul_f32 v106, s70, v7
	v_dual_mul_f32 v107, s70, v6 :: v_dual_mul_f32 v108, s70, v9
	;; [unrolled: 1-line block ×8, first 2 shown]
	s_and_b32 vcc_lo, exec_lo, s81
	s_barrier
	buffer_gl0_inv
	s_cbranch_vccz .LBB127_204
; %bb.107:                              ;   in Loop: Header=BB127_12 Depth=1
	v_dual_mul_f32 v122, v111, v11 :: v_dual_mul_f32 v127, v104, v8
	v_add_co_u32 v11, s29, s53, v16
	s_delay_alu instid0(VALU_DEP_1) | instskip(SKIP_1) | instid1(VALU_DEP_1)
	v_add_co_ci_u32_e64 v17, null, s75, 0, s29
	v_add_co_u32 v16, s29, s57, v16
	v_add_co_ci_u32_e64 v126, null, s76, 0, s29
	s_delay_alu instid0(VALU_DEP_4) | instskip(NEXT) | instid1(VALU_DEP_4)
	v_add_co_u32 v123, vcc_lo, v11, v89
	v_add_co_ci_u32_e32 v124, vcc_lo, 0, v17, vcc_lo
	s_delay_alu instid0(VALU_DEP_4) | instskip(NEXT) | instid1(VALU_DEP_4)
	v_add_co_u32 v125, vcc_lo, v16, v89
	v_add_co_ci_u32_e32 v126, vcc_lo, 0, v126, vcc_lo
	v_cmp_gt_u32_e32 vcc_lo, s41, v18
	s_cmp_lg_u32 s86, 0
	v_cmp_gt_u32_e64 s31, s41, v75
	s_cselect_b32 s51, -1, 0
	s_cmp_eq_u32 s86, s83
	v_cmp_gt_u32_e64 s33, s41, v76
	s_cselect_b32 s87, -1, 0
	s_or_b32 s29, s82, vcc_lo
	v_cmp_gt_u32_e32 vcc_lo, s41, v74
	v_cmp_gt_u32_e64 s34, s41, v77
	v_cmp_gt_u32_e64 s35, s41, v78
	;; [unrolled: 1-line block ×4, first 2 shown]
	s_or_b32 s30, s82, vcc_lo
	v_cmp_gt_u32_e32 vcc_lo, s41, v79
	v_cmp_gt_u32_e64 s39, s41, v82
	v_cmp_gt_u32_e64 s40, s41, v83
	;; [unrolled: 1-line block ×4, first 2 shown]
	s_or_b32 s36, s82, vcc_lo
	v_cmp_gt_u32_e32 vcc_lo, s41, v84
	v_cmp_gt_u32_e64 s44, s41, v87
	v_cmp_gt_u32_e64 s45, s41, v88
	v_dual_mul_f32 v128, v103, v7 :: v_dual_mul_f32 v129, v102, v6
	v_dual_mul_f32 v130, v101, v9 :: v_dual_mul_f32 v133, v98, v4
	;; [unrolled: 1-line block ×7, first 2 shown]
	s_mov_b32 s66, 0
	s_or_b32 s31, s82, s31
	s_or_b32 s33, s82, s33
	;; [unrolled: 1-line block ×8, first 2 shown]
	s_or_b32 s41, s82, vcc_lo
	s_or_b32 s42, s82, s42
	s_or_b32 s43, s82, s43
	;; [unrolled: 1-line block ×4, first 2 shown]
	s_mov_b32 s54, s66
	s_mov_b32 s58, s66
	;; [unrolled: 1-line block ×5, first 2 shown]
	s_branch .LBB127_109
.LBB127_108:                            ;   in Loop: Header=BB127_109 Depth=2
	s_or_b32 exec_lo, exec_lo, s46
	v_cndmask_b32_e64 v9, v171, v11, s12
	v_cndmask_b32_e64 v10, v170, v10, s12
	s_add_i32 s88, s88, -1
	s_add_i32 s89, s89, 8
	s_add_i32 s60, s60, s62
	v_fma_f32 v9, v9, v142, v15
	v_mul_f32_e32 v10, v10, v142
	s_add_i32 s58, s58, s56
	s_add_i32 s54, s54, s52
	;; [unrolled: 1-line block ×3, first 2 shown]
	v_cndmask_b32_e64 v9, v9, v15, s11
	v_cndmask_b32_e64 v10, v10, v142, s11
	s_cmp_eq_u32 s88, 0
	s_waitcnt lgkmcnt(0)
	s_delay_alu instid0(VALU_DEP_1) | instskip(NEXT) | instid1(VALU_DEP_1)
	v_fmac_f32_e32 v9, v8, v10
	v_fmac_f32_e32 v12, v9, v144
	s_delay_alu instid0(VALU_DEP_1) | instskip(NEXT) | instid1(VALU_DEP_1)
	v_fmac_f32_e32 v13, v12, v146
	v_fmac_f32_e32 v14, v13, v148
	v_fma_mix_f32 v121, v9, v4, v121 op_sel_hi:[0,1,0]
	s_delay_alu instid0(VALU_DEP_2) | instskip(SKIP_2) | instid1(VALU_DEP_3)
	v_fmac_f32_e32 v143, v14, v150
	v_fma_mix_f32 v120, v12, v4, v120 op_sel:[0,1,0] op_sel_hi:[0,1,0]
	v_fma_mix_f32 v118, v14, v5, v118 op_sel:[0,1,0] op_sel_hi:[0,1,0]
	v_fmac_f32_e32 v145, v143, v151
	v_fma_mix_f32 v117, v143, v6, v117 op_sel_hi:[0,1,0]
	s_delay_alu instid0(VALU_DEP_2) | instskip(SKIP_1) | instid1(VALU_DEP_2)
	v_fmac_f32_e32 v147, v145, v153
	v_fma_mix_f32 v115, v145, v6, v115 op_sel:[0,1,0] op_sel_hi:[0,1,0]
	v_fmac_f32_e32 v149, v147, v156
	s_delay_alu instid0(VALU_DEP_1) | instskip(SKIP_1) | instid1(VALU_DEP_2)
	v_fmac_f32_e32 v152, v149, v157
	v_fma_mix_f32 v119, v13, v5, v119 op_sel_hi:[0,1,0]
	v_fmac_f32_e32 v154, v152, v158
	v_fma_mix_f32 v114, v147, v7, v114 op_sel_hi:[0,1,0]
	v_fma_mix_f32 v112, v152, v0, v112 op_sel_hi:[0,1,0]
	s_delay_alu instid0(VALU_DEP_3) | instskip(SKIP_1) | instid1(VALU_DEP_2)
	v_fmac_f32_e32 v155, v154, v159
	v_fma_mix_f32 v110, v154, v0, v110 op_sel:[0,1,0] op_sel_hi:[0,1,0]
	v_fmac_f32_e32 v160, v155, v166
	v_fma_mix_f32 v109, v155, v1, v109 op_sel_hi:[0,1,0]
	s_delay_alu instid0(VALU_DEP_2) | instskip(NEXT) | instid1(VALU_DEP_1)
	v_fmac_f32_e32 v161, v160, v163
	v_fmac_f32_e32 v162, v161, v165
	v_fma_mix_f32 v113, v149, v7, v113 op_sel:[0,1,0] op_sel_hi:[0,1,0]
	s_delay_alu instid0(VALU_DEP_2) | instskip(SKIP_2) | instid1(VALU_DEP_3)
	v_fmac_f32_e32 v164, v162, v168
	v_fma_mix_f32 v107, v161, v2, v107 op_sel_hi:[0,1,0]
	v_fma_mix_f32 v106, v162, v2, v106 op_sel:[0,1,0] op_sel_hi:[0,1,0]
	v_fmac_f32_e32 v167, v164, v169
	v_fma_mix_f32 v108, v160, v1, v108 op_sel:[0,1,0] op_sel_hi:[0,1,0]
	v_fma_mix_f32 v105, v164, v3, v105 op_sel_hi:[0,1,0]
	s_delay_alu instid0(VALU_DEP_3)
	v_fma_mix_f32 v116, v167, v3, v116 op_sel:[0,1,0] op_sel_hi:[0,1,0]
	s_cbranch_scc1 .LBB127_204
.LBB127_109:                            ;   Parent Loop BB127_12 Depth=1
                                        ; =>  This Inner Loop Header: Depth=2
	s_lshl_b64 s[46:47], s[66:67], 2
	s_mov_b32 s55, s67
	s_add_u32 s46, s74, s46
	s_addc_u32 s47, s63, s47
	v_dual_mov_b32 v2, 0 :: v_dual_mov_b32 v3, 0
	global_load_b32 v142, v21, s[46:47]
	s_lshl_b64 s[46:47], s[54:55], 1
	s_delay_alu instid0(SALU_CYCLE_1)
	v_add_co_u32 v0, vcc_lo, v123, s46
	v_add_co_ci_u32_e32 v1, vcc_lo, s47, v124, vcc_lo
	s_and_saveexec_b32 s46, s13
	s_cbranch_execnz .LBB127_145
; %bb.110:                              ;   in Loop: Header=BB127_109 Depth=2
	s_or_b32 exec_lo, exec_lo, s46
	s_and_saveexec_b32 s46, s14
	s_cbranch_execnz .LBB127_146
.LBB127_111:                            ;   in Loop: Header=BB127_109 Depth=2
	s_or_b32 exec_lo, exec_lo, s46
	v_mov_b32_e32 v4, 0
	s_and_saveexec_b32 s46, s15
	s_cbranch_execnz .LBB127_147
.LBB127_112:                            ;   in Loop: Header=BB127_109 Depth=2
	s_or_b32 exec_lo, exec_lo, s46
	s_and_saveexec_b32 s46, s16
	s_cbranch_execnz .LBB127_148
.LBB127_113:                            ;   in Loop: Header=BB127_109 Depth=2
	s_or_b32 exec_lo, exec_lo, s46
	v_mov_b32_e32 v5, 0
	s_and_saveexec_b32 s46, s17
	s_cbranch_execnz .LBB127_149
.LBB127_114:                            ;   in Loop: Header=BB127_109 Depth=2
	s_or_b32 exec_lo, exec_lo, s46
	s_and_saveexec_b32 s46, s18
	s_cbranch_execnz .LBB127_150
.LBB127_115:                            ;   in Loop: Header=BB127_109 Depth=2
	s_or_b32 exec_lo, exec_lo, s46
	v_mov_b32_e32 v6, 0
	s_and_saveexec_b32 s46, s19
	s_cbranch_execnz .LBB127_151
.LBB127_116:                            ;   in Loop: Header=BB127_109 Depth=2
	s_or_b32 exec_lo, exec_lo, s46
	s_and_saveexec_b32 s46, s20
	s_cbranch_execnz .LBB127_152
.LBB127_117:                            ;   in Loop: Header=BB127_109 Depth=2
	s_or_b32 exec_lo, exec_lo, s46
	v_mov_b32_e32 v7, 0
	s_and_saveexec_b32 s46, s21
	s_cbranch_execnz .LBB127_153
.LBB127_118:                            ;   in Loop: Header=BB127_109 Depth=2
	s_or_b32 exec_lo, exec_lo, s46
	s_and_saveexec_b32 s46, s22
	s_cbranch_execnz .LBB127_154
.LBB127_119:                            ;   in Loop: Header=BB127_109 Depth=2
	s_or_b32 exec_lo, exec_lo, s46
	v_mov_b32_e32 v8, 0
	s_and_saveexec_b32 s46, s23
	s_cbranch_execnz .LBB127_155
.LBB127_120:                            ;   in Loop: Header=BB127_109 Depth=2
	s_or_b32 exec_lo, exec_lo, s46
	s_and_saveexec_b32 s46, s24
	s_cbranch_execnz .LBB127_156
.LBB127_121:                            ;   in Loop: Header=BB127_109 Depth=2
	s_or_b32 exec_lo, exec_lo, s46
	v_mov_b32_e32 v9, 0
	s_and_saveexec_b32 s46, s25
	s_cbranch_execnz .LBB127_157
.LBB127_122:                            ;   in Loop: Header=BB127_109 Depth=2
	s_or_b32 exec_lo, exec_lo, s46
	s_and_saveexec_b32 s46, s26
	s_cbranch_execnz .LBB127_158
.LBB127_123:                            ;   in Loop: Header=BB127_109 Depth=2
	s_or_b32 exec_lo, exec_lo, s46
	v_mov_b32_e32 v10, 0
	s_and_saveexec_b32 s46, s27
	s_cbranch_execnz .LBB127_159
.LBB127_124:                            ;   in Loop: Header=BB127_109 Depth=2
	s_or_b32 exec_lo, exec_lo, s46
	s_and_saveexec_b32 s46, s28
	s_cbranch_execz .LBB127_126
.LBB127_125:                            ;   in Loop: Header=BB127_109 Depth=2
	global_load_u16 v0, v[0:1], off offset:960
	s_waitcnt vmcnt(0)
	v_lshl_or_b32 v10, v0, 16, v10
.LBB127_126:                            ;   in Loop: Header=BB127_109 Depth=2
	s_or_b32 exec_lo, exec_lo, s46
	s_waitcnt vmcnt(0)
	ds_store_b16 v37, v3
	ds_store_b16 v37, v2 offset:64
	ds_store_b16 v38, v4 offset:128
	ds_store_b16_d16_hi v39, v4 offset:192
	ds_store_b16 v40, v5 offset:256
	ds_store_b16_d16_hi v41, v5 offset:320
	;; [unrolled: 2-line block ×7, first 2 shown]
	; wave barrier
	ds_load_b128 v[12:15], v52
	ds_load_b128 v[8:11], v52 offset:16
	s_mov_b32 s59, s67
	v_dual_mov_b32 v2, 0 :: v_dual_mov_b32 v3, 0
	s_lshl_b64 s[46:47], s[58:59], 1
	s_delay_alu instid0(SALU_CYCLE_1)
	v_add_co_u32 v0, vcc_lo, v125, s46
	v_add_co_ci_u32_e32 v1, vcc_lo, s47, v126, vcc_lo
	s_and_saveexec_b32 s46, s13
	s_cbranch_execnz .LBB127_160
; %bb.127:                              ;   in Loop: Header=BB127_109 Depth=2
	s_or_b32 exec_lo, exec_lo, s46
	s_and_saveexec_b32 s46, s14
	s_cbranch_execnz .LBB127_161
.LBB127_128:                            ;   in Loop: Header=BB127_109 Depth=2
	s_or_b32 exec_lo, exec_lo, s46
	v_mov_b32_e32 v4, 0
	s_and_saveexec_b32 s46, s15
	s_cbranch_execnz .LBB127_162
.LBB127_129:                            ;   in Loop: Header=BB127_109 Depth=2
	s_or_b32 exec_lo, exec_lo, s46
	s_and_saveexec_b32 s46, s16
	s_cbranch_execnz .LBB127_163
.LBB127_130:                            ;   in Loop: Header=BB127_109 Depth=2
	s_or_b32 exec_lo, exec_lo, s46
	v_mov_b32_e32 v5, 0
	s_and_saveexec_b32 s46, s17
	s_cbranch_execnz .LBB127_164
.LBB127_131:                            ;   in Loop: Header=BB127_109 Depth=2
	s_or_b32 exec_lo, exec_lo, s46
	s_and_saveexec_b32 s46, s18
	s_cbranch_execnz .LBB127_165
.LBB127_132:                            ;   in Loop: Header=BB127_109 Depth=2
	s_or_b32 exec_lo, exec_lo, s46
	v_mov_b32_e32 v6, 0
	s_and_saveexec_b32 s46, s19
	s_cbranch_execnz .LBB127_166
.LBB127_133:                            ;   in Loop: Header=BB127_109 Depth=2
	s_or_b32 exec_lo, exec_lo, s46
	s_and_saveexec_b32 s46, s20
	s_cbranch_execnz .LBB127_167
.LBB127_134:                            ;   in Loop: Header=BB127_109 Depth=2
	s_or_b32 exec_lo, exec_lo, s46
	v_mov_b32_e32 v7, 0
	s_and_saveexec_b32 s46, s21
	s_cbranch_execnz .LBB127_168
.LBB127_135:                            ;   in Loop: Header=BB127_109 Depth=2
	s_or_b32 exec_lo, exec_lo, s46
	s_and_saveexec_b32 s46, s22
	s_cbranch_execnz .LBB127_169
.LBB127_136:                            ;   in Loop: Header=BB127_109 Depth=2
	s_or_b32 exec_lo, exec_lo, s46
	v_mov_b32_e32 v16, 0
	s_and_saveexec_b32 s46, s23
	s_cbranch_execnz .LBB127_170
.LBB127_137:                            ;   in Loop: Header=BB127_109 Depth=2
	s_or_b32 exec_lo, exec_lo, s46
	s_and_saveexec_b32 s46, s24
	s_cbranch_execnz .LBB127_171
.LBB127_138:                            ;   in Loop: Header=BB127_109 Depth=2
	s_or_b32 exec_lo, exec_lo, s46
	v_mov_b32_e32 v17, 0
	s_and_saveexec_b32 s46, s25
	s_cbranch_execnz .LBB127_172
.LBB127_139:                            ;   in Loop: Header=BB127_109 Depth=2
	s_or_b32 exec_lo, exec_lo, s46
	s_and_saveexec_b32 s46, s26
	s_cbranch_execnz .LBB127_173
.LBB127_140:                            ;   in Loop: Header=BB127_109 Depth=2
	s_or_b32 exec_lo, exec_lo, s46
	v_mov_b32_e32 v143, 0
	s_and_saveexec_b32 s46, s27
	s_cbranch_execnz .LBB127_174
.LBB127_141:                            ;   in Loop: Header=BB127_109 Depth=2
	s_or_b32 exec_lo, exec_lo, s46
	s_and_saveexec_b32 s46, s28
	s_cbranch_execz .LBB127_143
.LBB127_142:                            ;   in Loop: Header=BB127_109 Depth=2
	global_load_u16 v0, v[0:1], off offset:960
	s_waitcnt vmcnt(0)
	v_lshl_or_b32 v143, v0, 16, v143
.LBB127_143:                            ;   in Loop: Header=BB127_109 Depth=2
	s_or_b32 exec_lo, exec_lo, s46
	s_waitcnt vmcnt(0)
	ds_store_b16 v37, v3 offset:4224
	ds_store_b16 v53, v2 offset:64
	;; [unrolled: 1-line block ×3, first 2 shown]
	ds_store_b16_d16_hi v55, v4 offset:192
	ds_store_b16 v56, v5 offset:256
	ds_store_b16_d16_hi v57, v5 offset:320
	ds_store_b16 v58, v6 offset:384
	;; [unrolled: 2-line block ×6, first 2 shown]
	ds_store_b16_d16_hi v67, v143 offset:960
	; wave barrier
	ds_load_b128 v[4:7], v52 offset:4224
	ds_load_b128 v[0:3], v68 offset:16
	s_and_not1_b32 vcc_lo, exec_lo, s51
	s_cbranch_vccnz .LBB127_175
; %bb.144:                              ;   in Loop: Header=BB127_109 Depth=2
	v_mov_b32_e32 v16, s89
	ds_load_b64 v[16:17], v16
	s_cbranch_execz .LBB127_176
	s_branch .LBB127_179
.LBB127_145:                            ;   in Loop: Header=BB127_109 Depth=2
	global_load_u16 v3, v[0:1], off
	s_or_b32 exec_lo, exec_lo, s46
	s_and_saveexec_b32 s46, s14
	s_cbranch_execz .LBB127_111
.LBB127_146:                            ;   in Loop: Header=BB127_109 Depth=2
	global_load_u16 v2, v[0:1], off offset:64
	s_or_b32 exec_lo, exec_lo, s46
	v_mov_b32_e32 v4, 0
	s_and_saveexec_b32 s46, s15
	s_cbranch_execz .LBB127_112
.LBB127_147:                            ;   in Loop: Header=BB127_109 Depth=2
	global_load_u16 v4, v[0:1], off offset:128
	s_or_b32 exec_lo, exec_lo, s46
	s_and_saveexec_b32 s46, s16
	s_cbranch_execz .LBB127_113
.LBB127_148:                            ;   in Loop: Header=BB127_109 Depth=2
	global_load_u16 v5, v[0:1], off offset:192
	s_waitcnt vmcnt(0)
	v_lshl_or_b32 v4, v5, 16, v4
	s_or_b32 exec_lo, exec_lo, s46
	v_mov_b32_e32 v5, 0
	s_and_saveexec_b32 s46, s17
	s_cbranch_execz .LBB127_114
.LBB127_149:                            ;   in Loop: Header=BB127_109 Depth=2
	global_load_u16 v5, v[0:1], off offset:256
	s_or_b32 exec_lo, exec_lo, s46
	s_and_saveexec_b32 s46, s18
	s_cbranch_execz .LBB127_115
.LBB127_150:                            ;   in Loop: Header=BB127_109 Depth=2
	global_load_u16 v6, v[0:1], off offset:320
	s_waitcnt vmcnt(0)
	v_lshl_or_b32 v5, v6, 16, v5
	s_or_b32 exec_lo, exec_lo, s46
	v_mov_b32_e32 v6, 0
	s_and_saveexec_b32 s46, s19
	s_cbranch_execz .LBB127_116
.LBB127_151:                            ;   in Loop: Header=BB127_109 Depth=2
	global_load_u16 v6, v[0:1], off offset:384
	s_or_b32 exec_lo, exec_lo, s46
	s_and_saveexec_b32 s46, s20
	s_cbranch_execz .LBB127_117
.LBB127_152:                            ;   in Loop: Header=BB127_109 Depth=2
	global_load_u16 v7, v[0:1], off offset:448
	s_waitcnt vmcnt(0)
	v_lshl_or_b32 v6, v7, 16, v6
	s_or_b32 exec_lo, exec_lo, s46
	v_mov_b32_e32 v7, 0
	s_and_saveexec_b32 s46, s21
	s_cbranch_execz .LBB127_118
.LBB127_153:                            ;   in Loop: Header=BB127_109 Depth=2
	global_load_u16 v7, v[0:1], off offset:512
	s_or_b32 exec_lo, exec_lo, s46
	s_and_saveexec_b32 s46, s22
	s_cbranch_execz .LBB127_119
.LBB127_154:                            ;   in Loop: Header=BB127_109 Depth=2
	global_load_u16 v8, v[0:1], off offset:576
	s_waitcnt vmcnt(0)
	v_lshl_or_b32 v7, v8, 16, v7
	s_or_b32 exec_lo, exec_lo, s46
	v_mov_b32_e32 v8, 0
	s_and_saveexec_b32 s46, s23
	s_cbranch_execz .LBB127_120
.LBB127_155:                            ;   in Loop: Header=BB127_109 Depth=2
	global_load_u16 v8, v[0:1], off offset:640
	s_or_b32 exec_lo, exec_lo, s46
	s_and_saveexec_b32 s46, s24
	s_cbranch_execz .LBB127_121
.LBB127_156:                            ;   in Loop: Header=BB127_109 Depth=2
	global_load_u16 v9, v[0:1], off offset:704
	s_waitcnt vmcnt(0)
	v_lshl_or_b32 v8, v9, 16, v8
	s_or_b32 exec_lo, exec_lo, s46
	v_mov_b32_e32 v9, 0
	s_and_saveexec_b32 s46, s25
	s_cbranch_execz .LBB127_122
.LBB127_157:                            ;   in Loop: Header=BB127_109 Depth=2
	global_load_u16 v9, v[0:1], off offset:768
	s_or_b32 exec_lo, exec_lo, s46
	s_and_saveexec_b32 s46, s26
	s_cbranch_execz .LBB127_123
.LBB127_158:                            ;   in Loop: Header=BB127_109 Depth=2
	global_load_u16 v10, v[0:1], off offset:832
	s_waitcnt vmcnt(0)
	v_lshl_or_b32 v9, v10, 16, v9
	s_or_b32 exec_lo, exec_lo, s46
	v_mov_b32_e32 v10, 0
	s_and_saveexec_b32 s46, s27
	s_cbranch_execz .LBB127_124
.LBB127_159:                            ;   in Loop: Header=BB127_109 Depth=2
	global_load_u16 v10, v[0:1], off offset:896
	s_or_b32 exec_lo, exec_lo, s46
	s_and_saveexec_b32 s46, s28
	s_cbranch_execnz .LBB127_125
	s_branch .LBB127_126
.LBB127_160:                            ;   in Loop: Header=BB127_109 Depth=2
	global_load_u16 v3, v[0:1], off
	s_or_b32 exec_lo, exec_lo, s46
	s_and_saveexec_b32 s46, s14
	s_cbranch_execz .LBB127_128
.LBB127_161:                            ;   in Loop: Header=BB127_109 Depth=2
	global_load_u16 v2, v[0:1], off offset:64
	s_or_b32 exec_lo, exec_lo, s46
	v_mov_b32_e32 v4, 0
	s_and_saveexec_b32 s46, s15
	s_cbranch_execz .LBB127_129
.LBB127_162:                            ;   in Loop: Header=BB127_109 Depth=2
	global_load_u16 v4, v[0:1], off offset:128
	s_or_b32 exec_lo, exec_lo, s46
	s_and_saveexec_b32 s46, s16
	s_cbranch_execz .LBB127_130
.LBB127_163:                            ;   in Loop: Header=BB127_109 Depth=2
	global_load_u16 v5, v[0:1], off offset:192
	s_waitcnt vmcnt(0)
	v_lshl_or_b32 v4, v5, 16, v4
	s_or_b32 exec_lo, exec_lo, s46
	v_mov_b32_e32 v5, 0
	s_and_saveexec_b32 s46, s17
	s_cbranch_execz .LBB127_131
.LBB127_164:                            ;   in Loop: Header=BB127_109 Depth=2
	global_load_u16 v5, v[0:1], off offset:256
	s_or_b32 exec_lo, exec_lo, s46
	s_and_saveexec_b32 s46, s18
	s_cbranch_execz .LBB127_132
.LBB127_165:                            ;   in Loop: Header=BB127_109 Depth=2
	global_load_u16 v6, v[0:1], off offset:320
	s_waitcnt vmcnt(0)
	v_lshl_or_b32 v5, v6, 16, v5
	s_or_b32 exec_lo, exec_lo, s46
	v_mov_b32_e32 v6, 0
	s_and_saveexec_b32 s46, s19
	s_cbranch_execz .LBB127_133
.LBB127_166:                            ;   in Loop: Header=BB127_109 Depth=2
	global_load_u16 v6, v[0:1], off offset:384
	s_or_b32 exec_lo, exec_lo, s46
	s_and_saveexec_b32 s46, s20
	s_cbranch_execz .LBB127_134
.LBB127_167:                            ;   in Loop: Header=BB127_109 Depth=2
	global_load_u16 v7, v[0:1], off offset:448
	s_waitcnt vmcnt(0)
	v_lshl_or_b32 v6, v7, 16, v6
	s_or_b32 exec_lo, exec_lo, s46
	v_mov_b32_e32 v7, 0
	s_and_saveexec_b32 s46, s21
	s_cbranch_execz .LBB127_135
.LBB127_168:                            ;   in Loop: Header=BB127_109 Depth=2
	global_load_u16 v7, v[0:1], off offset:512
	s_or_b32 exec_lo, exec_lo, s46
	s_and_saveexec_b32 s46, s22
	s_cbranch_execz .LBB127_136
.LBB127_169:                            ;   in Loop: Header=BB127_109 Depth=2
	global_load_u16 v16, v[0:1], off offset:576
	s_waitcnt vmcnt(0)
	v_lshl_or_b32 v7, v16, 16, v7
	s_or_b32 exec_lo, exec_lo, s46
	v_mov_b32_e32 v16, 0
	s_and_saveexec_b32 s46, s23
	s_cbranch_execz .LBB127_137
.LBB127_170:                            ;   in Loop: Header=BB127_109 Depth=2
	global_load_u16 v16, v[0:1], off offset:640
	s_or_b32 exec_lo, exec_lo, s46
	s_and_saveexec_b32 s46, s24
	s_cbranch_execz .LBB127_138
.LBB127_171:                            ;   in Loop: Header=BB127_109 Depth=2
	global_load_u16 v17, v[0:1], off offset:704
	s_waitcnt vmcnt(0)
	v_lshl_or_b32 v16, v17, 16, v16
	s_or_b32 exec_lo, exec_lo, s46
	v_mov_b32_e32 v17, 0
	s_and_saveexec_b32 s46, s25
	s_cbranch_execz .LBB127_139
.LBB127_172:                            ;   in Loop: Header=BB127_109 Depth=2
	global_load_u16 v17, v[0:1], off offset:768
	s_or_b32 exec_lo, exec_lo, s46
	s_and_saveexec_b32 s46, s26
	s_cbranch_execz .LBB127_140
.LBB127_173:                            ;   in Loop: Header=BB127_109 Depth=2
	global_load_u16 v143, v[0:1], off offset:832
	s_waitcnt vmcnt(0)
	v_lshl_or_b32 v17, v143, 16, v17
	s_or_b32 exec_lo, exec_lo, s46
	v_mov_b32_e32 v143, 0
	s_and_saveexec_b32 s46, s27
	s_cbranch_execz .LBB127_141
.LBB127_174:                            ;   in Loop: Header=BB127_109 Depth=2
	global_load_u16 v143, v[0:1], off offset:896
	s_or_b32 exec_lo, exec_lo, s46
	s_and_saveexec_b32 s46, s28
	s_cbranch_execnz .LBB127_142
	s_branch .LBB127_143
.LBB127_175:                            ;   in Loop: Header=BB127_109 Depth=2
                                        ; implicit-def: $vgpr16
.LBB127_176:                            ;   in Loop: Header=BB127_109 Depth=2
	s_waitcnt lgkmcnt(0)
	v_mov_b32_e32 v17, 0
	s_and_not1_b32 vcc_lo, exec_lo, s68
	s_cbranch_vccnz .LBB127_178
; %bb.177:                              ;   in Loop: Header=BB127_109 Depth=2
	s_mov_b32 s61, s67
	s_delay_alu instid0(SALU_CYCLE_1) | instskip(NEXT) | instid1(SALU_CYCLE_1)
	s_lshl_b64 s[46:47], s[60:61], 2
	s_add_u32 s46, s77, s46
	s_addc_u32 s47, s78, s47
	global_load_b32 v17, v21, s[46:47]
.LBB127_178:                            ;   in Loop: Header=BB127_109 Depth=2
	v_mov_b32_e32 v16, 1.0
.LBB127_179:                            ;   in Loop: Header=BB127_109 Depth=2
	v_mul_f32_e32 v164, 0x3fb8aa3b, v142
	s_waitcnt lgkmcnt(19)
	v_lshrrev_b32_e32 v144, 16, v13
	v_lshrrev_b32_e32 v145, 16, v14
	v_cvt_f32_f16_e32 v13, v13
	v_cvt_f32_f16_e64 v152, v14
	v_mul_f32_e32 v14, v164, v90
	v_lshrrev_b32_e32 v143, 16, v12
	v_lshrrev_b32_e32 v146, 16, v15
	v_mul_f32_e32 v13, v139, v13
	v_cvt_f32_f16_e32 v12, v12
	v_cmp_gt_f32_e32 vcc_lo, 0xc2fc0000, v14
	v_cvt_f32_f16_e64 v153, v15
	v_mul_f32_e32 v15, v164, v91
	v_cvt_f32_f16_e64 v151, v144
	v_mul_f32_e32 v12, v141, v12
	v_cndmask_b32_e64 v14, 0, 0x42800000, vcc_lo
	v_mul_f32_e32 v142, v164, v92
	v_cmp_gt_f32_e64 s46, 0xc2fc0000, v15
	v_cndmask_b32_e64 v144, 1.0, 0x1f800000, vcc_lo
	s_waitcnt lgkmcnt(18)
	v_lshrrev_b32_e32 v147, 16, v8
	v_fmac_f32_e32 v14, v164, v90
	v_cvt_f32_f16_e64 v143, v143
	v_cndmask_b32_e64 v15, 0, 0x42800000, s46
	v_cvt_f32_f16_e64 v154, v146
	v_cmp_gt_f32_e32 vcc_lo, 0xc2fc0000, v142
	v_exp_f32_e32 v14, v14
	v_mul_f32_e32 v142, v164, v93
	v_fmac_f32_e32 v15, v164, v91
	v_cvt_f32_f16_e64 v155, v147
	v_cndmask_b32_e64 v147, 0, 0x42800000, vcc_lo
	v_lshrrev_b32_e32 v148, 16, v9
	v_lshrrev_b32_e32 v149, 16, v10
	;; [unrolled: 1-line block ×3, first 2 shown]
	v_cvt_f32_f16_e32 v9, v9
	v_cvt_f32_f16_e32 v8, v8
	v_mul_f32_e32 v14, v14, v144
	v_exp_f32_e32 v146, v15
	v_cndmask_b32_e64 v15, 0, v12, s29
	v_cndmask_b32_e64 v12, 1.0, 0x1f800000, s46
	v_cmp_gt_f32_e64 s46, 0xc2fc0000, v142
	v_cndmask_b32_e64 v142, 1.0, v14, s29
	v_mul_f32_e32 v14, v140, v143
	v_cvt_f32_f16_e64 v160, v148
	v_cvt_f32_f16_e64 v162, v149
	v_cndmask_b32_e64 v144, 0, 0x42800000, s46
	v_cvt_f32_f16_e64 v167, v150
	v_mul_f32_e32 v143, v146, v12
	v_cndmask_b32_e64 v12, 0, v14, s30
	v_cndmask_b32_e64 v14, 1.0, 0x1f800000, vcc_lo
	v_fmac_f32_e32 v147, v164, v92
	v_fmac_f32_e32 v144, v164, v93
	v_dual_mul_f32 v149, v164, v95 :: v_dual_mul_f32 v154, v134, v154
	v_dual_mul_f32 v150, v164, v96 :: v_dual_mul_f32 v9, v131, v9
	s_delay_alu instid0(VALU_DEP_4)
	v_exp_f32_e32 v146, v147
	v_mul_f32_e32 v147, v164, v94
	v_exp_f32_e32 v148, v144
	v_cndmask_b32_e64 v144, 1.0, v143, s30
	v_cndmask_b32_e64 v143, 1.0, 0x1f800000, s46
	v_cmp_gt_f32_e64 s46, 0xc2fc0000, v149
	v_cvt_f32_f16_e32 v10, v10
	v_cvt_f32_f16_e32 v11, v11
	v_mul_f32_e32 v165, v164, v102
	s_delay_alu instid0(TRANS32_DEP_2) | instskip(SKIP_1) | instid1(TRANS32_DEP_1)
	v_dual_mul_f32 v155, v132, v155 :: v_dual_mul_f32 v14, v146, v14
	v_cndmask_b32_e64 v149, 0, 0x42800000, s46
	v_dual_mul_f32 v143, v148, v143 :: v_dual_mul_f32 v10, v129, v10
	v_cndmask_b32_e64 v13, 0, v13, s31
	s_delay_alu instid0(VALU_DEP_4)
	v_cndmask_b32_e64 v146, 1.0, v14, s31
	v_mul_f32_e32 v14, v138, v151
	v_cmp_gt_f32_e32 vcc_lo, 0xc2fc0000, v147
	v_cndmask_b32_e64 v148, 1.0, v143, s33
	v_dual_fmac_f32 v149, v164, v95 :: v_dual_mul_f32 v8, v133, v8
	v_mul_f32_e32 v151, v164, v97
	v_cndmask_b32_e64 v147, 0, 0x42800000, vcc_lo
	v_cndmask_b32_e64 v143, 1.0, 0x1f800000, vcc_lo
	v_cmp_gt_f32_e32 vcc_lo, 0xc2fc0000, v150
	v_exp_f32_e32 v149, v149
	v_cmp_gt_f32_e64 s47, 0xc2fc0000, v151
	v_fmac_f32_e32 v147, v164, v94
	v_mul_f32_e32 v158, v164, v99
	v_cndmask_b32_e64 v150, 0, 0x42800000, vcc_lo
	v_cvt_f32_f16_e64 v145, v145
	v_cndmask_b32_e64 v151, 0, 0x42800000, s47
	v_exp_f32_e32 v147, v147
	v_cndmask_b32_e64 v14, 0, v14, s33
	v_dual_fmac_f32 v150, v164, v96 :: v_dual_mul_f32 v11, v127, v11
	s_delay_alu instid0(VALU_DEP_3) | instskip(SKIP_2) | instid1(VALU_DEP_4)
	v_fmac_f32_e32 v151, v164, v97
	v_mul_f32_e32 v166, v164, v103
	v_mul_f32_e32 v162, v128, v162
	v_exp_f32_e32 v156, v150
	s_delay_alu instid0(TRANS32_DEP_2)
	v_mul_f32_e32 v147, v147, v143
	v_mul_f32_e32 v143, v137, v152
	v_cndmask_b32_e64 v152, 1.0, 0x1f800000, s46
	v_cmp_gt_f32_e64 s46, 0xc2fc0000, v158
	v_mul_f32_e32 v158, v164, v101
	v_cndmask_b32_e64 v150, 1.0, v147, s34
	v_cndmask_b32_e64 v143, 0, v143, s34
	v_mul_f32_e32 v147, v149, v152
	v_cndmask_b32_e64 v149, 1.0, 0x1f800000, vcc_lo
	v_exp_f32_e32 v152, v151
	v_cndmask_b32_e64 v162, 0, v162, s43
	s_delay_alu instid0(VALU_DEP_3) | instskip(NEXT) | instid1(VALU_DEP_3)
	v_cndmask_b32_e64 v151, 1.0, v147, s35
	v_mul_f32_e32 v149, v156, v149
	v_mul_f32_e32 v147, v135, v153
	v_cndmask_b32_e64 v156, 1.0, 0x1f800000, s47
	s_delay_alu instid0(VALU_DEP_3)
	v_cndmask_b32_e64 v153, 1.0, v149, s36
	v_mul_f32_e32 v157, v164, v98
	v_cndmask_b32_e64 v149, 0, v154, s37
	v_mul_f32_e32 v154, v164, v100
	v_mul_f32_e32 v152, v152, v156
	v_cndmask_b32_e64 v147, 0, v147, s36
	v_cmp_gt_f32_e32 vcc_lo, 0xc2fc0000, v157
	s_delay_alu instid0(VALU_DEP_4) | instskip(NEXT) | instid1(VALU_DEP_4)
	v_cmp_gt_f32_e64 s47, 0xc2fc0000, v154
	v_cndmask_b32_e64 v156, 1.0, v152, s37
	v_cndmask_b32_e64 v157, 0, 0x42800000, vcc_lo
	v_cndmask_b32_e64 v159, 1.0, 0x1f800000, vcc_lo
	s_delay_alu instid0(VALU_DEP_4) | instskip(SKIP_1) | instid1(VALU_DEP_4)
	v_cndmask_b32_e64 v154, 0, 0x42800000, s47
	v_cmp_gt_f32_e32 vcc_lo, 0xc2fc0000, v158
	v_fmac_f32_e32 v157, v164, v98
	s_delay_alu instid0(VALU_DEP_3) | instskip(SKIP_1) | instid1(VALU_DEP_3)
	v_fmac_f32_e32 v154, v164, v100
	v_cndmask_b32_e64 v158, 0, 0x42800000, vcc_lo
	v_exp_f32_e32 v152, v157
	v_cndmask_b32_e64 v157, 0, 0x42800000, s46
	s_delay_alu instid0(VALU_DEP_2) | instskip(NEXT) | instid1(VALU_DEP_2)
	v_fmac_f32_e32 v158, v164, v101
	v_fmac_f32_e32 v157, v164, v99
	s_delay_alu instid0(VALU_DEP_2) | instskip(NEXT) | instid1(VALU_DEP_1)
	v_exp_f32_e32 v163, v158
	v_exp_f32_e32 v161, v157
	s_delay_alu instid0(TRANS32_DEP_3)
	v_mul_f32_e32 v157, v152, v159
	v_cndmask_b32_e64 v152, 0, v8, s38
	v_exp_f32_e32 v8, v154
	v_cndmask_b32_e64 v154, 1.0, 0x1f800000, s46
	v_cndmask_b32_e64 v159, 1.0, 0x1f800000, s47
	v_cmp_gt_f32_e64 s46, 0xc2fc0000, v166
	v_cndmask_b32_e64 v157, 1.0, v157, s38
	s_delay_alu instid0(TRANS32_DEP_2) | instid1(VALU_DEP_4)
	v_mul_f32_e32 v158, v161, v154
	v_cndmask_b32_e64 v161, 1.0, 0x1f800000, vcc_lo
	v_cmp_gt_f32_e32 vcc_lo, 0xc2fc0000, v165
	s_delay_alu instid0(TRANS32_DEP_1)
	v_mul_f32_e32 v8, v8, v159
	v_cndmask_b32_e64 v154, 0, v155, s39
	v_cndmask_b32_e64 v155, 0, v9, s40
	v_mul_f32_e32 v9, v130, v160
	v_fma_f32 v165, v144, v15, v12
	v_cndmask_b32_e64 v159, 1.0, v8, s40
	v_mul_f32_e32 v8, v163, v161
	v_cndmask_b32_e64 v161, 0, 0x42800000, vcc_lo
	v_mul_f32_e32 v163, v144, v142
	v_cndmask_b32_e64 v160, 0, v9, s41
	v_cndmask_b32_e64 v158, 1.0, v158, s39
	v_cndmask_b32_e64 v166, 1.0, v8, s41
	v_fmac_f32_e32 v161, v164, v102
	v_mul_f32_e32 v9, v163, v146
	v_fma_f32 v163, v165, v146, v13
	v_cndmask_b32_e64 v8, 1.0, 0x1f800000, vcc_lo
	v_cndmask_b32_e64 v165, 0, 0x42800000, s46
	v_exp_f32_e32 v161, v161
	v_mul_f32_e32 v145, v136, v145
	v_mul_f32_e32 v9, v9, v148
	v_fma_f32 v163, v163, v148, v14
	v_fmac_f32_e32 v165, v164, v103
	s_delay_alu instid0(VALU_DEP_3) | instskip(NEXT) | instid1(VALU_DEP_3)
	v_mul_f32_e32 v9, v9, v150
	v_fma_f32 v163, v163, v150, v143
	s_delay_alu instid0(VALU_DEP_3) | instskip(NEXT) | instid1(TRANS32_DEP_2)
	v_exp_f32_e32 v165, v165
	v_mul_f32_e32 v8, v161, v8
	v_cndmask_b32_e64 v145, 0, v145, s35
	v_mul_f32_e32 v9, v9, v151
	v_cndmask_b32_e64 v161, 0, v10, s42
	v_cndmask_b32_e64 v10, 1.0, 0x1f800000, s46
	s_delay_alu instid0(VALU_DEP_4)
	v_fma_f32 v168, v163, v151, v145
	v_cndmask_b32_e64 v163, 1.0, v8, s42
	v_mul_f32_e32 v8, v9, v153
	s_delay_alu instid0(TRANS32_DEP_1) | instid1(VALU_DEP_4)
	v_mul_f32_e32 v10, v165, v10
	s_delay_alu instid0(VALU_DEP_4) | instskip(SKIP_1) | instid1(VALU_DEP_4)
	v_fma_f32 v9, v168, v153, v147
	v_mul_f32_e32 v168, v164, v104
	v_mul_f32_e32 v8, v8, v156
	s_delay_alu instid0(VALU_DEP_3) | instskip(NEXT) | instid1(VALU_DEP_3)
	v_fma_f32 v9, v9, v156, v149
	v_cmp_gt_f32_e32 vcc_lo, 0xc2fc0000, v168
	v_mul_f32_e32 v168, v164, v111
	s_delay_alu instid0(VALU_DEP_4) | instskip(NEXT) | instid1(VALU_DEP_4)
	v_mul_f32_e32 v8, v8, v157
	v_fma_f32 v9, v9, v157, v152
	v_cndmask_b32_e64 v165, 0, 0x42800000, vcc_lo
	s_delay_alu instid0(VALU_DEP_4) | instskip(NEXT) | instid1(VALU_DEP_4)
	v_cmp_gt_f32_e64 s46, 0xc2fc0000, v168
	v_mul_f32_e32 v8, v8, v158
	s_delay_alu instid0(VALU_DEP_4) | instskip(NEXT) | instid1(VALU_DEP_4)
	v_fma_f32 v9, v9, v158, v154
	v_fmac_f32_e32 v165, v164, v104
	s_delay_alu instid0(VALU_DEP_4) | instskip(NEXT) | instid1(VALU_DEP_4)
	v_cndmask_b32_e64 v168, 0, 0x42800000, s46
	v_mul_f32_e32 v8, v8, v159
	s_delay_alu instid0(VALU_DEP_4) | instskip(NEXT) | instid1(VALU_DEP_4)
	v_fma_f32 v9, v9, v159, v155
	v_exp_f32_e32 v169, v165
	s_delay_alu instid0(VALU_DEP_3)
	v_fmac_f32_e32 v168, v164, v111
	v_cndmask_b32_e64 v165, 1.0, v10, s43
	v_cndmask_b32_e64 v10, 1.0, 0x1f800000, vcc_lo
	v_mul_f32_e32 v8, v8, v166
	v_fma_f32 v9, v9, v166, v160
	v_exp_f32_e32 v170, v168
	v_cndmask_b32_e64 v164, 0, v11, s44
	v_cndmask_b32_e64 v11, 1.0, 0x1f800000, s46
	v_mul_f32_e32 v8, v8, v163
	v_mul_f32_e32 v10, v169, v10
	v_fma_f32 v9, v9, v163, v161
	s_delay_alu instid0(VALU_DEP_3) | instskip(NEXT) | instid1(VALU_DEP_3)
	v_mul_f32_e32 v8, v8, v165
	v_cndmask_b32_e64 v168, 1.0, v10, s44
	v_mul_f32_e32 v10, v122, v167
	s_delay_alu instid0(TRANS32_DEP_1) | instskip(SKIP_1) | instid1(VALU_DEP_4)
	v_mul_f32_e32 v11, v170, v11
	v_fma_f32 v9, v9, v165, v162
	v_mul_f32_e32 v8, v8, v168
	s_delay_alu instid0(VALU_DEP_4) | instskip(NEXT) | instid1(VALU_DEP_4)
	v_cndmask_b32_e64 v167, 0, v10, s45
	v_cndmask_b32_e64 v169, 1.0, v11, s45
	s_delay_alu instid0(VALU_DEP_4) | instskip(NEXT) | instid1(VALU_DEP_2)
	v_fma_f32 v9, v9, v168, v164
	v_mul_f32_e32 v8, v8, v169
	s_delay_alu instid0(VALU_DEP_2) | instskip(NEXT) | instid1(VALU_DEP_2)
	v_fma_f32 v9, v9, v169, v167
	v_mov_b32_dpp v11, v8 row_shr:1 row_mask:0xf bank_mask:0xf
	s_delay_alu instid0(VALU_DEP_2)
	v_mov_b32_dpp v10, v9 row_shr:1 row_mask:0xf bank_mask:0xf
	s_and_saveexec_b32 s46, s0
; %bb.180:                              ;   in Loop: Header=BB127_109 Depth=2
	s_delay_alu instid0(VALU_DEP_2) | instskip(NEXT) | instid1(VALU_DEP_1)
	v_mul_f32_e32 v11, v8, v11
	v_dual_fmac_f32 v9, v8, v10 :: v_dual_mov_b32 v8, v11
; %bb.181:                              ;   in Loop: Header=BB127_109 Depth=2
	s_or_b32 exec_lo, exec_lo, s46
	s_delay_alu instid0(VALU_DEP_1) | instskip(NEXT) | instid1(VALU_DEP_2)
	v_mov_b32_dpp v10, v8 row_shr:2 row_mask:0xf bank_mask:0xf
	v_mov_b32_dpp v11, v9 row_shr:2 row_mask:0xf bank_mask:0xf
	s_and_saveexec_b32 s46, s1
; %bb.182:                              ;   in Loop: Header=BB127_109 Depth=2
	s_delay_alu instid0(VALU_DEP_1) | instskip(NEXT) | instid1(VALU_DEP_3)
	v_fmac_f32_e32 v9, v8, v11
	v_mul_f32_e32 v8, v8, v10
; %bb.183:                              ;   in Loop: Header=BB127_109 Depth=2
	s_or_b32 exec_lo, exec_lo, s46
	s_delay_alu instid0(VALU_DEP_1) | instskip(NEXT) | instid1(VALU_DEP_3)
	v_mov_b32_dpp v10, v8 row_shr:4 row_mask:0xf bank_mask:0xf
	v_mov_b32_dpp v11, v9 row_shr:4 row_mask:0xf bank_mask:0xf
	s_and_saveexec_b32 s46, s2
; %bb.184:                              ;   in Loop: Header=BB127_109 Depth=2
	s_delay_alu instid0(VALU_DEP_1) | instskip(NEXT) | instid1(VALU_DEP_3)
	v_fmac_f32_e32 v9, v8, v11
	v_mul_f32_e32 v8, v8, v10
; %bb.185:                              ;   in Loop: Header=BB127_109 Depth=2
	s_or_b32 exec_lo, exec_lo, s46
	s_delay_alu instid0(VALU_DEP_1) | instskip(NEXT) | instid1(VALU_DEP_3)
	v_mov_b32_dpp v10, v8 row_shr:8 row_mask:0xf bank_mask:0xf
	v_mov_b32_dpp v11, v9 row_shr:8 row_mask:0xf bank_mask:0xf
	s_and_saveexec_b32 s46, s3
; %bb.186:                              ;   in Loop: Header=BB127_109 Depth=2
	s_delay_alu instid0(VALU_DEP_1) | instskip(NEXT) | instid1(VALU_DEP_3)
	v_fmac_f32_e32 v9, v8, v11
	v_mul_f32_e32 v8, v8, v10
; %bb.187:                              ;   in Loop: Header=BB127_109 Depth=2
	s_or_b32 exec_lo, exec_lo, s46
	ds_swizzle_b32 v11, v8 offset:swizzle(BROADCAST,32,15)
	ds_swizzle_b32 v10, v9 offset:swizzle(BROADCAST,32,15)
	s_and_saveexec_b32 s46, s4
	s_cbranch_execz .LBB127_189
; %bb.188:                              ;   in Loop: Header=BB127_109 Depth=2
	s_waitcnt lgkmcnt(1)
	v_mul_f32_e32 v11, v8, v11
	s_waitcnt lgkmcnt(0)
	s_delay_alu instid0(VALU_DEP_1)
	v_dual_fmac_f32 v9, v8, v10 :: v_dual_mov_b32 v8, v11
.LBB127_189:                            ;   in Loop: Header=BB127_109 Depth=2
	s_or_b32 exec_lo, exec_lo, s46
	s_and_saveexec_b32 s46, s5
	s_cbranch_execz .LBB127_191
; %bb.190:                              ;   in Loop: Header=BB127_109 Depth=2
	ds_store_b64 v69, v[8:9] offset:8448
.LBB127_191:                            ;   in Loop: Header=BB127_109 Depth=2
	s_or_b32 exec_lo, exec_lo, s46
	s_waitcnt vmcnt(0) lgkmcnt(0)
	s_waitcnt_vscnt null, 0x0
	s_barrier
	buffer_gl0_inv
	s_and_saveexec_b32 s46, s6
	s_cbranch_execz .LBB127_195
; %bb.192:                              ;   in Loop: Header=BB127_109 Depth=2
	ds_load_b64 v[10:11], v70 offset:8448
	s_waitcnt lgkmcnt(0)
	v_mov_b32_dpp v172, v10 row_shr:1 row_mask:0xf bank_mask:0xf
	v_mov_b32_dpp v171, v11 row_shr:1 row_mask:0xf bank_mask:0xf
	v_mov_b32_e32 v170, v10
	s_and_saveexec_b32 s47, s7
; %bb.193:                              ;   in Loop: Header=BB127_109 Depth=2
	s_delay_alu instid0(VALU_DEP_3) | instskip(NEXT) | instid1(VALU_DEP_3)
	v_mul_f32_e32 v170, v10, v172
	v_fmac_f32_e32 v11, v10, v171
	s_delay_alu instid0(VALU_DEP_2)
	v_mov_b32_e32 v10, v170
; %bb.194:                              ;   in Loop: Header=BB127_109 Depth=2
	s_or_b32 exec_lo, exec_lo, s47
	v_mov_b32_dpp v170, v170 row_shr:2 row_mask:0xf bank_mask:0xf
	s_delay_alu instid0(VALU_DEP_3) | instskip(NEXT) | instid1(VALU_DEP_2)
	v_mov_b32_dpp v171, v11 row_shr:2 row_mask:0xf bank_mask:0xf
	v_mul_f32_e32 v170, v10, v170
	s_delay_alu instid0(VALU_DEP_2) | instskip(NEXT) | instid1(VALU_DEP_2)
	v_fma_f32 v171, v10, v171, v11
	v_cndmask_b32_e64 v10, v10, v170, s8
	s_delay_alu instid0(VALU_DEP_2)
	v_cndmask_b32_e64 v11, v11, v171, s8
	ds_store_b64 v70, v[10:11] offset:8448
.LBB127_195:                            ;   in Loop: Header=BB127_109 Depth=2
	s_or_b32 exec_lo, exec_lo, s46
	s_waitcnt lgkmcnt(0)
	s_barrier
	buffer_gl0_inv
                                        ; implicit-def: $vgpr11
	s_and_saveexec_b32 s46, s10
	s_cbranch_execz .LBB127_197
; %bb.196:                              ;   in Loop: Header=BB127_109 Depth=2
	ds_load_b64 v[10:11], v69 offset:8440
	s_waitcnt lgkmcnt(0)
	v_mul_f32_e32 v170, v8, v10
	s_delay_alu instid0(VALU_DEP_1)
	v_dual_fmac_f32 v9, v8, v11 :: v_dual_mov_b32 v8, v170
.LBB127_197:                            ;   in Loop: Header=BB127_109 Depth=2
	s_or_b32 exec_lo, exec_lo, s46
	ds_bpermute_b32 v170, v71, v8
	ds_bpermute_b32 v171, v71, v9
	s_and_saveexec_b32 s46, s9
	s_cbranch_execz .LBB127_201
; %bb.198:                              ;   in Loop: Header=BB127_109 Depth=2
	ds_load_b64 v[8:9], v21 offset:8472
	s_and_saveexec_b32 s47, s11
	s_cbranch_execz .LBB127_200
; %bb.199:                              ;   in Loop: Header=BB127_109 Depth=2
	ds_store_b64 v21, v[16:17] offset:8472
.LBB127_200:                            ;   in Loop: Header=BB127_109 Depth=2
	s_or_b32 exec_lo, exec_lo, s47
	s_waitcnt lgkmcnt(0)
	v_fmac_f32_e32 v9, v17, v8
	s_delay_alu instid0(VALU_DEP_1)
	v_dual_mul_f32 v16, v16, v8 :: v_dual_mov_b32 v17, v9
.LBB127_201:                            ;   in Loop: Header=BB127_109 Depth=2
	s_or_b32 exec_lo, exec_lo, s46
	s_waitcnt lgkmcnt(0)
	s_barrier
	buffer_gl0_inv
	ds_load_b32 v8, v21 offset:8476
	s_and_saveexec_b32 s46, s11
	s_cbranch_execz .LBB127_108
; %bb.202:                              ;   in Loop: Header=BB127_109 Depth=2
	v_mov_b32_e32 v9, s89
	s_and_not1_b32 vcc_lo, exec_lo, s87
	ds_store_b64 v9, v[16:17]
	s_cbranch_vccnz .LBB127_108
; %bb.203:                              ;   in Loop: Header=BB127_109 Depth=2
	s_mov_b32 s61, s67
	s_delay_alu instid0(SALU_CYCLE_1) | instskip(NEXT) | instid1(SALU_CYCLE_1)
	s_lshl_b64 s[90:91], s[60:61], 2
	s_add_u32 s90, s77, s90
	s_addc_u32 s91, s78, s91
	global_store_b32 v21, v17, s[90:91]
	s_branch .LBB127_108
.LBB127_204:                            ;   in Loop: Header=BB127_12 Depth=1
	v_cvt_f16_f32_e32 v0, v121
	v_cvt_f16_f32_e32 v4, v120
	v_cvt_f16_f32_e32 v1, v119
	v_cvt_f16_f32_e32 v5, v118
	v_cvt_f16_f32_e32 v2, v117
	v_cvt_f16_f32_e32 v6, v115
	v_cvt_f16_f32_e32 v3, v114
	v_cvt_f16_f32_e32 v7, v113
	v_cvt_f16_f32_e32 v8, v112
	v_cvt_f16_f32_e32 v9, v110
	v_cvt_f16_f32_e32 v10, v109
	v_cvt_f16_f32_e32 v11, v108
	v_cvt_f16_f32_e32 v12, v107
	v_cvt_f16_f32_e32 v13, v106
	v_cvt_f16_f32_e32 v14, v105
	v_cvt_f16_f32_e32 v15, v116
	v_pack_b32_f16 v3, v3, v7
	v_pack_b32_f16 v2, v2, v6
	;; [unrolled: 1-line block ×8, first 2 shown]
	s_waitcnt_vscnt null, 0x0
	s_barrier
	buffer_gl0_inv
	ds_store_b128 v52, v[0:3]
	ds_store_b128 v52, v[4:7] offset:16
	; wave barrier
	ds_load_u16 v16, v37 offset:64
	ds_load_u16 v15, v38 offset:128
	;; [unrolled: 1-line block ×15, first 2 shown]
	s_mov_b32 s51, s67
	s_delay_alu instid0(SALU_CYCLE_1) | instskip(NEXT) | instid1(SALU_CYCLE_1)
	s_lshl_b64 s[30:31], s[50:51], 1
	v_add_co_u32 v0, vcc_lo, v72, s30
	v_add_co_ci_u32_e32 v1, vcc_lo, s31, v73, vcc_lo
	s_and_saveexec_b32 s29, s13
	s_cbranch_execnz .LBB127_222
; %bb.205:                              ;   in Loop: Header=BB127_12 Depth=1
	s_or_b32 exec_lo, exec_lo, s29
	s_and_saveexec_b32 s13, s14
	s_cbranch_execnz .LBB127_223
.LBB127_206:                            ;   in Loop: Header=BB127_12 Depth=1
	s_or_b32 exec_lo, exec_lo, s13
	s_and_saveexec_b32 s13, s15
	s_cbranch_execnz .LBB127_224
.LBB127_207:                            ;   in Loop: Header=BB127_12 Depth=1
	s_or_b32 exec_lo, exec_lo, s13
	s_and_saveexec_b32 s13, s16
	s_cbranch_execnz .LBB127_225
.LBB127_208:                            ;   in Loop: Header=BB127_12 Depth=1
	s_or_b32 exec_lo, exec_lo, s13
	s_and_saveexec_b32 s13, s17
	s_cbranch_execnz .LBB127_226
.LBB127_209:                            ;   in Loop: Header=BB127_12 Depth=1
	s_or_b32 exec_lo, exec_lo, s13
	s_and_saveexec_b32 s13, s18
	s_cbranch_execnz .LBB127_227
.LBB127_210:                            ;   in Loop: Header=BB127_12 Depth=1
	s_or_b32 exec_lo, exec_lo, s13
	s_and_saveexec_b32 s13, s19
	s_cbranch_execnz .LBB127_228
.LBB127_211:                            ;   in Loop: Header=BB127_12 Depth=1
	s_or_b32 exec_lo, exec_lo, s13
	s_and_saveexec_b32 s13, s20
	s_cbranch_execnz .LBB127_229
.LBB127_212:                            ;   in Loop: Header=BB127_12 Depth=1
	s_or_b32 exec_lo, exec_lo, s13
	s_and_saveexec_b32 s13, s21
	s_cbranch_execnz .LBB127_230
.LBB127_213:                            ;   in Loop: Header=BB127_12 Depth=1
	s_or_b32 exec_lo, exec_lo, s13
	s_and_saveexec_b32 s13, s22
	s_cbranch_execnz .LBB127_231
.LBB127_214:                            ;   in Loop: Header=BB127_12 Depth=1
	s_or_b32 exec_lo, exec_lo, s13
	s_and_saveexec_b32 s13, s23
	s_cbranch_execnz .LBB127_232
.LBB127_215:                            ;   in Loop: Header=BB127_12 Depth=1
	s_or_b32 exec_lo, exec_lo, s13
	s_and_saveexec_b32 s13, s24
	s_cbranch_execnz .LBB127_233
.LBB127_216:                            ;   in Loop: Header=BB127_12 Depth=1
	s_or_b32 exec_lo, exec_lo, s13
	s_and_saveexec_b32 s13, s25
	s_cbranch_execnz .LBB127_234
.LBB127_217:                            ;   in Loop: Header=BB127_12 Depth=1
	s_or_b32 exec_lo, exec_lo, s13
	s_and_saveexec_b32 s13, s26
	s_cbranch_execnz .LBB127_235
.LBB127_218:                            ;   in Loop: Header=BB127_12 Depth=1
	s_or_b32 exec_lo, exec_lo, s13
	s_and_saveexec_b32 s13, s27
	s_cbranch_execnz .LBB127_236
.LBB127_219:                            ;   in Loop: Header=BB127_12 Depth=1
	s_or_b32 exec_lo, exec_lo, s13
	s_and_saveexec_b32 s13, s28
	s_cbranch_execz .LBB127_11
	s_branch .LBB127_237
.LBB127_220:                            ;   in Loop: Header=BB127_12 Depth=1
	global_load_u16 v97, v[8:9], off offset:832
	s_or_b32 exec_lo, exec_lo, s29
	s_and_saveexec_b32 s29, s27
	s_cbranch_execz .LBB127_72
.LBB127_221:                            ;   in Loop: Header=BB127_12 Depth=1
	global_load_u16 v96, v[8:9], off offset:896
	s_or_b32 exec_lo, exec_lo, s29
	v_mov_b32_e32 v98, 0
	s_and_saveexec_b32 s29, s28
	s_cbranch_execnz .LBB127_73
	s_branch .LBB127_74
.LBB127_222:                            ;   in Loop: Header=BB127_12 Depth=1
	ds_load_u16 v17, v37
	s_waitcnt lgkmcnt(0)
	global_store_b16 v[0:1], v17, off
	s_or_b32 exec_lo, exec_lo, s29
	s_and_saveexec_b32 s13, s14
	s_cbranch_execz .LBB127_206
.LBB127_223:                            ;   in Loop: Header=BB127_12 Depth=1
	s_waitcnt lgkmcnt(14)
	global_store_b16 v[0:1], v16, off offset:64
	s_or_b32 exec_lo, exec_lo, s13
	s_and_saveexec_b32 s13, s15
	s_cbranch_execz .LBB127_207
.LBB127_224:                            ;   in Loop: Header=BB127_12 Depth=1
	s_waitcnt lgkmcnt(13)
	global_store_b16 v[0:1], v15, off offset:128
	s_or_b32 exec_lo, exec_lo, s13
	s_and_saveexec_b32 s13, s16
	s_cbranch_execz .LBB127_208
.LBB127_225:                            ;   in Loop: Header=BB127_12 Depth=1
	s_waitcnt lgkmcnt(12)
	global_store_b16 v[0:1], v14, off offset:192
	s_or_b32 exec_lo, exec_lo, s13
	s_and_saveexec_b32 s13, s17
	s_cbranch_execz .LBB127_209
.LBB127_226:                            ;   in Loop: Header=BB127_12 Depth=1
	s_waitcnt lgkmcnt(11)
	global_store_b16 v[0:1], v13, off offset:256
	s_or_b32 exec_lo, exec_lo, s13
	s_and_saveexec_b32 s13, s18
	s_cbranch_execz .LBB127_210
.LBB127_227:                            ;   in Loop: Header=BB127_12 Depth=1
	s_waitcnt lgkmcnt(10)
	global_store_b16 v[0:1], v12, off offset:320
	s_or_b32 exec_lo, exec_lo, s13
	s_and_saveexec_b32 s13, s19
	s_cbranch_execz .LBB127_211
.LBB127_228:                            ;   in Loop: Header=BB127_12 Depth=1
	s_waitcnt lgkmcnt(9)
	global_store_b16 v[0:1], v11, off offset:384
	s_or_b32 exec_lo, exec_lo, s13
	s_and_saveexec_b32 s13, s20
	s_cbranch_execz .LBB127_212
.LBB127_229:                            ;   in Loop: Header=BB127_12 Depth=1
	s_waitcnt lgkmcnt(8)
	global_store_b16 v[0:1], v10, off offset:448
	s_or_b32 exec_lo, exec_lo, s13
	s_and_saveexec_b32 s13, s21
	s_cbranch_execz .LBB127_213
.LBB127_230:                            ;   in Loop: Header=BB127_12 Depth=1
	s_waitcnt lgkmcnt(7)
	global_store_b16 v[0:1], v9, off offset:512
	s_or_b32 exec_lo, exec_lo, s13
	s_and_saveexec_b32 s13, s22
	s_cbranch_execz .LBB127_214
.LBB127_231:                            ;   in Loop: Header=BB127_12 Depth=1
	s_waitcnt lgkmcnt(6)
	global_store_b16 v[0:1], v8, off offset:576
	s_or_b32 exec_lo, exec_lo, s13
	s_and_saveexec_b32 s13, s23
	s_cbranch_execz .LBB127_215
.LBB127_232:                            ;   in Loop: Header=BB127_12 Depth=1
	s_waitcnt lgkmcnt(5)
	global_store_b16 v[0:1], v7, off offset:640
	s_or_b32 exec_lo, exec_lo, s13
	s_and_saveexec_b32 s13, s24
	s_cbranch_execz .LBB127_216
.LBB127_233:                            ;   in Loop: Header=BB127_12 Depth=1
	s_waitcnt lgkmcnt(4)
	global_store_b16 v[0:1], v6, off offset:704
	s_or_b32 exec_lo, exec_lo, s13
	s_and_saveexec_b32 s13, s25
	s_cbranch_execz .LBB127_217
.LBB127_234:                            ;   in Loop: Header=BB127_12 Depth=1
	s_waitcnt lgkmcnt(3)
	global_store_b16 v[0:1], v5, off offset:768
	s_or_b32 exec_lo, exec_lo, s13
	s_and_saveexec_b32 s13, s26
	s_cbranch_execz .LBB127_218
.LBB127_235:                            ;   in Loop: Header=BB127_12 Depth=1
	s_waitcnt lgkmcnt(2)
	global_store_b16 v[0:1], v4, off offset:832
	s_or_b32 exec_lo, exec_lo, s13
	s_and_saveexec_b32 s13, s27
	s_cbranch_execz .LBB127_219
.LBB127_236:                            ;   in Loop: Header=BB127_12 Depth=1
	s_waitcnt lgkmcnt(1)
	global_store_b16 v[0:1], v3, off offset:896
	s_or_b32 exec_lo, exec_lo, s13
	s_and_saveexec_b32 s13, s28
	s_cbranch_execz .LBB127_11
.LBB127_237:                            ;   in Loop: Header=BB127_12 Depth=1
	s_waitcnt lgkmcnt(0)
	global_store_b16 v[0:1], v2, off offset:960
	s_branch .LBB127_11
.LBB127_238:
	s_nop 0
	s_sendmsg sendmsg(MSG_DEALLOC_VGPRS)
	s_endpgm
	.section	.rodata,"a",@progbits
	.p2align	6, 0x0
	.amdhsa_kernel _Z25selective_scan_fwd_kernelI32Selective_Scan_fwd_kernel_traitsILi128ELi16ELi1ELb0ELb1ELb1ELb0ELb0EN3c104HalfEffEEv13SSMParamsBase
		.amdhsa_group_segment_fixed_size 0
		.amdhsa_private_segment_fixed_size 0
		.amdhsa_kernarg_size 248
		.amdhsa_user_sgpr_count 14
		.amdhsa_user_sgpr_dispatch_ptr 0
		.amdhsa_user_sgpr_queue_ptr 0
		.amdhsa_user_sgpr_kernarg_segment_ptr 1
		.amdhsa_user_sgpr_dispatch_id 0
		.amdhsa_user_sgpr_private_segment_size 0
		.amdhsa_wavefront_size32 1
		.amdhsa_uses_dynamic_stack 0
		.amdhsa_enable_private_segment 0
		.amdhsa_system_sgpr_workgroup_id_x 1
		.amdhsa_system_sgpr_workgroup_id_y 1
		.amdhsa_system_sgpr_workgroup_id_z 0
		.amdhsa_system_sgpr_workgroup_info 0
		.amdhsa_system_vgpr_workitem_id 0
		.amdhsa_next_free_vgpr 173
		.amdhsa_next_free_sgpr 92
		.amdhsa_reserve_vcc 1
		.amdhsa_float_round_mode_32 0
		.amdhsa_float_round_mode_16_64 0
		.amdhsa_float_denorm_mode_32 3
		.amdhsa_float_denorm_mode_16_64 3
		.amdhsa_dx10_clamp 1
		.amdhsa_ieee_mode 1
		.amdhsa_fp16_overflow 0
		.amdhsa_workgroup_processor_mode 1
		.amdhsa_memory_ordered 1
		.amdhsa_forward_progress 0
		.amdhsa_shared_vgpr_count 0
		.amdhsa_exception_fp_ieee_invalid_op 0
		.amdhsa_exception_fp_denorm_src 0
		.amdhsa_exception_fp_ieee_div_zero 0
		.amdhsa_exception_fp_ieee_overflow 0
		.amdhsa_exception_fp_ieee_underflow 0
		.amdhsa_exception_fp_ieee_inexact 0
		.amdhsa_exception_int_div_zero 0
	.end_amdhsa_kernel
	.section	.text._Z25selective_scan_fwd_kernelI32Selective_Scan_fwd_kernel_traitsILi128ELi16ELi1ELb0ELb1ELb1ELb0ELb0EN3c104HalfEffEEv13SSMParamsBase,"axG",@progbits,_Z25selective_scan_fwd_kernelI32Selective_Scan_fwd_kernel_traitsILi128ELi16ELi1ELb0ELb1ELb1ELb0ELb0EN3c104HalfEffEEv13SSMParamsBase,comdat
.Lfunc_end127:
	.size	_Z25selective_scan_fwd_kernelI32Selective_Scan_fwd_kernel_traitsILi128ELi16ELi1ELb0ELb1ELb1ELb0ELb0EN3c104HalfEffEEv13SSMParamsBase, .Lfunc_end127-_Z25selective_scan_fwd_kernelI32Selective_Scan_fwd_kernel_traitsILi128ELi16ELi1ELb0ELb1ELb1ELb0ELb0EN3c104HalfEffEEv13SSMParamsBase
                                        ; -- End function
	.section	.AMDGPU.csdata,"",@progbits
; Kernel info:
; codeLenInByte = 21484
; NumSgprs: 94
; NumVgprs: 173
; ScratchSize: 0
; MemoryBound: 0
; FloatMode: 240
; IeeeMode: 1
; LDSByteSize: 0 bytes/workgroup (compile time only)
; SGPRBlocks: 11
; VGPRBlocks: 21
; NumSGPRsForWavesPerEU: 94
; NumVGPRsForWavesPerEU: 173
; Occupancy: 8
; WaveLimiterHint : 0
; COMPUTE_PGM_RSRC2:SCRATCH_EN: 0
; COMPUTE_PGM_RSRC2:USER_SGPR: 14
; COMPUTE_PGM_RSRC2:TRAP_HANDLER: 0
; COMPUTE_PGM_RSRC2:TGID_X_EN: 1
; COMPUTE_PGM_RSRC2:TGID_Y_EN: 1
; COMPUTE_PGM_RSRC2:TGID_Z_EN: 0
; COMPUTE_PGM_RSRC2:TIDIG_COMP_CNT: 0
	.section	.text._Z25selective_scan_fwd_kernelI32Selective_Scan_fwd_kernel_traitsILi64ELi4ELi1ELb1ELb1ELb1ELb1ELb1EfffEEv13SSMParamsBase,"axG",@progbits,_Z25selective_scan_fwd_kernelI32Selective_Scan_fwd_kernel_traitsILi64ELi4ELi1ELb1ELb1ELb1ELb1ELb1EfffEEv13SSMParamsBase,comdat
	.protected	_Z25selective_scan_fwd_kernelI32Selective_Scan_fwd_kernel_traitsILi64ELi4ELi1ELb1ELb1ELb1ELb1ELb1EfffEEv13SSMParamsBase ; -- Begin function _Z25selective_scan_fwd_kernelI32Selective_Scan_fwd_kernel_traitsILi64ELi4ELi1ELb1ELb1ELb1ELb1ELb1EfffEEv13SSMParamsBase
	.globl	_Z25selective_scan_fwd_kernelI32Selective_Scan_fwd_kernel_traitsILi64ELi4ELi1ELb1ELb1ELb1ELb1ELb1EfffEEv13SSMParamsBase
	.p2align	8
	.type	_Z25selective_scan_fwd_kernelI32Selective_Scan_fwd_kernel_traitsILi64ELi4ELi1ELb1ELb1ELb1ELb1ELb1EfffEEv13SSMParamsBase,@function
_Z25selective_scan_fwd_kernelI32Selective_Scan_fwd_kernel_traitsILi64ELi4ELi1ELb1ELb1ELb1ELb1ELb1EfffEEv13SSMParamsBase: ; @_Z25selective_scan_fwd_kernelI32Selective_Scan_fwd_kernel_traitsILi64ELi4ELi1ELb1ELb1ELb1ELb1ELb1EfffEEv13SSMParamsBase
; %bb.0:
	s_clause 0x2
	s_load_b32 s11, s[0:1], 0x18
	s_load_b256 s[52:59], s[0:1], 0xc8
	s_load_b128 s[4:7], s[0:1], 0xe8
	s_mov_b32 s12, s15
	s_ashr_i32 s15, s14, 31
	s_mov_b32 s33, 0
	s_lshl_b64 s[8:9], s[14:15], 2
	s_waitcnt lgkmcnt(0)
	s_abs_i32 s10, s11
	s_add_u32 s2, s58, s8
	v_cvt_f32_u32_e32 v1, s10
	s_addc_u32 s3, s59, s9
	s_cmp_eq_u64 s[6:7], 0
	s_delay_alu instid0(VALU_DEP_1) | instskip(SKIP_2) | instid1(VALU_DEP_1)
	v_rcp_iflag_f32_e32 v1, v1
	s_waitcnt_depctr 0xfff
	v_mul_f32_e32 v1, 0x4f7ffffe, v1
	v_cvt_u32_f32_e32 v1, v1
	s_delay_alu instid0(VALU_DEP_1)
	v_readfirstlane_b32 s60, v1
	s_cbranch_scc1 .LBB128_2
; %bb.1:
	v_mov_b32_e32 v1, 0
	s_add_u32 s6, s6, s14
	s_addc_u32 s7, s7, s15
	global_load_u8 v1, v1, s[6:7]
	s_waitcnt vmcnt(0)
	v_and_b32_e32 v1, 1, v1
	s_delay_alu instid0(VALU_DEP_1)
	v_cmp_eq_u32_e64 s33, 1, v1
.LBB128_2:
	s_load_b64 s[6:7], s[0:1], 0x20
	s_cmp_eq_u64 s[4:5], 0
	s_cbranch_scc1 .LBB128_4
; %bb.3:
	s_add_u32 s4, s4, s8
	s_addc_u32 s5, s5, s9
	s_load_b32 s14, s[4:5], 0x0
	s_waitcnt lgkmcnt(0)
	s_ashr_i32 s15, s14, 31
.LBB128_4:
	s_waitcnt lgkmcnt(0)
	s_cmp_eq_u64 s[6:7], s[14:15]
	s_cbranch_scc1 .LBB128_108
; %bb.5:
	s_load_b512 s[16:31], s[0:1], 0x88
	s_load_b64 s[34:35], s[2:3], 0x0
	s_mov_b32 s58, 0
	s_mov_b32 s59, 0
	s_waitcnt lgkmcnt(0)
	s_cmp_eq_u64 s[22:23], 0
	s_cbranch_scc1 .LBB128_7
; %bb.6:
	s_ashr_i32 s13, s12, 31
	s_delay_alu instid0(SALU_CYCLE_1) | instskip(NEXT) | instid1(SALU_CYCLE_1)
	s_lshl_b64 s[2:3], s[12:13], 2
	s_add_u32 s2, s22, s2
	s_addc_u32 s3, s23, s3
	s_load_b32 s59, s[2:3], 0x0
.LBB128_7:
	s_cmp_eq_u64 s[28:29], 0
	s_cbranch_scc1 .LBB128_9
; %bb.8:
	s_ashr_i32 s13, s12, 31
	s_delay_alu instid0(SALU_CYCLE_1) | instskip(NEXT) | instid1(SALU_CYCLE_1)
	s_lshl_b64 s[2:3], s[12:13], 2
	s_add_u32 s2, s28, s2
	s_addc_u32 s3, s29, s3
	s_load_b32 s58, s[2:3], 0x0
.LBB128_9:
	s_sub_i32 s23, s35, s34
	s_delay_alu instid0(SALU_CYCLE_1)
	s_cmp_lt_i32 s23, 1
	s_cbranch_scc1 .LBB128_108
; %bb.10:
	s_sub_i32 s2, 0, s10
	s_load_b256 s[36:43], s[0:1], 0x4c
	s_mul_i32 s2, s2, s60
	s_abs_i32 s3, s12
	s_mul_hi_u32 s2, s60, s2
	s_ashr_i32 s5, s11, 31
	s_add_i32 s60, s60, s2
	s_ashr_i32 s2, s12, 31
	s_mul_hi_u32 s4, s3, s60
	s_xor_b32 s5, s2, s5
	s_mul_i32 s6, s4, s10
	s_load_b256 s[44:51], s[0:1], 0x2c
	s_sub_i32 s2, s3, s6
	s_add_i32 s3, s4, 1
	s_sub_i32 s6, s2, s10
	s_cmp_ge_u32 s2, s10
	s_mov_b32 s29, 0
	s_cselect_b32 s3, s3, s4
	s_cselect_b32 s2, s6, s2
	s_add_i32 s4, s3, 1
	s_cmp_ge_u32 s2, s10
	s_waitcnt lgkmcnt(0)
	s_mul_i32 s28, s34, s38
	s_cselect_b32 s4, s4, s3
	s_lshl_b64 s[2:3], s[28:29], 2
	s_xor_b32 s4, s4, s5
	s_mul_i32 s28, s39, s12
	s_sub_i32 s6, s4, s5
	s_add_u32 s4, s24, s2
	s_addc_u32 s5, s25, s3
	s_lshl_b64 s[2:3], s[28:29], 2
	s_mul_i32 s28, s34, s40
	s_add_u32 s47, s4, s2
	s_addc_u32 s51, s5, s3
	s_lshl_b64 s[2:3], s[28:29], 2
	s_mul_i32 s28, s41, s12
	;; [unrolled: 4-line block ×3, first 2 shown]
	s_add_u32 s60, s4, s2
	s_addc_u32 s44, s5, s3
	s_load_b64 s[4:5], s[0:1], 0x7c
	s_lshl_b64 s[2:3], s[28:29], 2
	s_mul_i32 s28, s34, s46
	s_add_u32 s61, s16, s2
	s_addc_u32 s46, s17, s3
	s_lshl_b64 s[2:3], s[28:29], 2
	s_mul_i32 s28, s6, s49
	s_add_u32 s7, s18, s2
	s_addc_u32 s8, s19, s3
	s_load_b128 s[16:19], s[0:1], 0x6c
	s_lshl_b64 s[2:3], s[28:29], 2
	s_mul_i32 s28, s34, s50
	s_add_u32 s49, s7, s2
	s_addc_u32 s50, s8, s3
	s_lshl_b64 s[2:3], s[28:29], 2
	s_mul_i32 s28, s6, s37
	s_add_u32 s7, s20, s2
	s_addc_u32 s6, s21, s3
	s_lshl_b64 s[2:3], s[28:29], 2
	v_dual_mov_b32 v1, 0 :: v_dual_lshlrev_b32 v12, 2, v0
	s_waitcnt lgkmcnt(0)
	s_mul_i32 s28, s14, s4
	s_add_u32 s37, s7, s2
	s_addc_u32 s62, s6, s3
	s_lshl_b64 s[2:3], s[28:29], 2
	v_mbcnt_lo_u32_b32 v2, -1, 0
	s_add_u32 s4, s52, s2
	s_clause 0x2
	s_load_b32 s52, s[0:1], 0x84
	s_load_b32 s64, s[0:1], 0xc
	;; [unrolled: 1-line block ×3, first 2 shown]
	v_and_b32_e32 v3, 0x80, v12
	v_and_b32_e32 v5, 32, v0
	s_mul_i32 s28, s5, s12
	s_addc_u32 s5, s53, s3
	s_lshl_b64 s[2:3], s[28:29], 2
	v_or_b32_e32 v13, v2, v3
	v_lshrrev_b32_e32 v4, 5, v3
	s_add_u32 s53, s4, s2
	v_or_b32_e32 v8, v2, v5
	s_addc_u32 s63, s5, s3
	v_or_b32_e32 v14, 32, v13
	v_or_b32_e32 v15, 64, v13
	v_add_nc_u32_e32 v4, v4, v13
	v_or_b32_e32 v16, 0x60, v13
	s_add_i32 s2, s23, 0x7ff
	v_lshrrev_b32_e32 v6, 5, v14
	v_lshrrev_b32_e32 v7, 5, v15
	s_lshr_b32 s65, s2, 11
	v_lshl_add_u32 v17, v4, 2, 0
	s_waitcnt lgkmcnt(0)
	s_bitcmp1_b32 s0, 0
	v_add_lshl_u32 v4, v6, v13, 2
	v_add_lshl_u32 v6, v7, v13, 2
	v_lshrrev_b32_e32 v7, 5, v16
	v_lshlrev_b32_e32 v9, 2, v8
	v_bfe_u32 v8, v8, 3, 27
	s_cselect_b32 s66, -1, 0
	s_cmp_gt_i32 s64, 0
	v_add_nc_u32_e32 v18, 0, v4
	s_cselect_b32 s67, -1, 0
	s_add_i32 s0, 0, 0x420
	v_add_lshl_u32 v7, v7, v13, 2
	v_add_lshl_u32 v8, v8, v9, 2
	v_add_nc_u32_e32 v22, s0, v4
	v_and_b32_e32 v4, 15, v2
	s_and_b32 s1, s23, 0xff
	v_add_nc_u32_e32 v23, s0, v6
	v_add_nc_u32_e32 v24, s0, v7
	s_cmp_eq_u32 s1, 0
	v_add_nc_u32_e32 v25, s0, v8
	v_cmp_ne_u32_e64 s0, 0, v4
	v_cmp_lt_u32_e64 s1, 1, v4
	v_cmp_lt_u32_e64 s2, 3, v4
	v_cmp_lt_u32_e64 s3, 7, v4
	v_add_nc_u32_e32 v4, -1, v2
	s_mul_i32 s28, s34, s16
	v_add_nc_u32_e32 v19, 0, v6
	s_cselect_b32 s68, -1, 0
	v_lshrrev_b32_e32 v6, 2, v0
	v_cmp_gt_i32_e32 vcc_lo, 0, v4
	s_lshl_b64 s[14:15], s[28:29], 2
	v_or_b32_e32 v5, 31, v5
	s_add_i32 s69, s65, -1
	s_mul_i32 s28, s17, s12
	v_cndmask_b32_e32 v4, v4, v2, vcc_lo
	s_add_u32 s13, s30, s14
	s_addc_u32 s16, s31, s15
	s_lshl_b64 s[14:15], s[28:29], 2
	s_mul_i32 s28, s34, s42
	v_lshlrev_b32_e32 v28, 2, v4
	v_lshlrev_b32_e32 v4, 2, v2
	v_and_b32_e32 v6, 8, v6
	s_add_u32 s13, s13, s14
	v_cmp_eq_u32_e64 s5, v5, v0
	v_and_b32_e32 v5, 1, v2
	s_addc_u32 s16, s16, s15
	s_lshl_b64 s[14:15], s[28:29], 2
	s_mul_i32 s28, s43, s12
	s_add_u32 s17, s54, s14
	v_cmp_gt_u32_e64 s6, 2, v0
	v_lshl_add_u32 v27, v0, 3, 0
	v_cmp_gt_u32_e64 s8, 32, v0
	v_cmp_lt_u32_e64 s9, 31, v0
	v_cmp_eq_u32_e64 s10, 0, v0
	s_addc_u32 s20, s55, s15
	s_lshl_b64 s[14:15], s[28:29], 2
	v_add_co_u32 v0, s13, s13, v4
	v_add_nc_u32_e32 v26, 0, v6
	s_mul_i32 s28, s34, s18
	v_lshlrev_b32_e32 v6, 2, v3
	v_cmp_eq_u32_e64 s7, 0, v5
	v_add_co_ci_u32_e64 v5, null, s16, 0, s13
	s_add_u32 s16, s17, s14
	s_addc_u32 s17, s20, s15
	s_lshl_b64 s[14:15], s[28:29], 2
	s_mul_i32 s28, s19, s12
	v_add_nc_u32_e32 v20, 0, v7
	v_and_b32_e32 v7, 16, v2
	s_add_u32 s14, s56, s14
	s_addc_u32 s15, s57, s15
	s_lshl_b64 s[12:13], s[28:29], 2
	v_add_co_u32 v0, vcc_lo, v0, v6
	v_add_co_ci_u32_e32 v29, vcc_lo, 0, v5, vcc_lo
	s_add_u32 s12, s14, s12
	v_add_co_u32 v5, s14, s16, v4
	v_cmp_ne_u32_e64 s4, 0, v7
	v_add_co_ci_u32_e64 v7, null, s17, 0, s14
	s_addc_u32 s13, s15, s13
	v_add_co_u32 v4, s12, s12, v4
	v_add_nc_u32_e32 v21, 0, v8
	v_add_co_ci_u32_e64 v8, null, s13, 0, s12
	v_add_co_u32 v30, vcc_lo, v5, v6
	v_add_co_ci_u32_e32 v31, vcc_lo, 0, v7, vcc_lo
	v_add_co_u32 v32, vcc_lo, v4, v6
	v_cmp_eq_u32_e64 s11, 0, v2
	v_add_co_ci_u32_e32 v33, vcc_lo, 0, v8, vcc_lo
	v_or_b32_e32 v34, 1, v12
	v_or_b32_e32 v35, 2, v12
	;; [unrolled: 1-line block ×3, first 2 shown]
	v_lshlrev_b32_e32 v37, 2, v2
	v_lshlrev_b32_e32 v38, 2, v3
	s_mov_b32 s42, 0x3e9b6dac
	s_add_i32 s43, 0, 0x850
	s_mov_b32 s54, 0
	s_mov_b32 s24, 0
	s_branch .LBB128_12
.LBB128_11:                             ;   in Loop: Header=BB128_12 Depth=1
	s_or_b32 exec_lo, exec_lo, s12
	s_add_u32 s60, s60, 0x400
	s_addc_u32 s44, s44, 0
	s_add_u32 s47, s47, 0x400
	s_addc_u32 s51, s51, 0
	;; [unrolled: 2-line block ×4, first 2 shown]
	s_add_i32 s54, s54, 1
	s_delay_alu instid0(SALU_CYCLE_1)
	s_cmp_lg_u32 s54, s65
	s_cbranch_scc0 .LBB128_108
.LBB128_12:                             ; =>This Loop Header: Depth=1
                                        ;     Child Loop BB128_37 Depth 2
	v_add_co_u32 v2, s12, s47, v37
	s_delay_alu instid0(VALU_DEP_1) | instskip(SKIP_1) | instid1(VALU_DEP_2)
	v_add_co_ci_u32_e64 v3, null, s51, 0, s12
	s_lshl_b32 s30, s54, 8
	v_add_co_u32 v2, vcc_lo, v2, v38
	s_sub_i32 s19, s23, s30
	s_delay_alu instid0(VALU_DEP_2)
	v_add_co_ci_u32_e32 v3, vcc_lo, 0, v3, vcc_lo
	v_cmp_gt_u32_e64 s12, s19, v13
	s_waitcnt lgkmcnt(0)
	v_mov_b32_e32 v4, v1
	s_waitcnt_vscnt null, 0x0
	s_barrier
	buffer_gl0_inv
	s_and_saveexec_b32 s13, s12
	s_cbranch_execz .LBB128_14
; %bb.13:                               ;   in Loop: Header=BB128_12 Depth=1
	global_load_b32 v4, v[2:3], off
.LBB128_14:                             ;   in Loop: Header=BB128_12 Depth=1
	s_or_b32 exec_lo, exec_lo, s13
	v_cmp_gt_u32_e64 s13, s19, v14
	v_dual_mov_b32 v5, 0 :: v_dual_mov_b32 v6, 0
	s_delay_alu instid0(VALU_DEP_2)
	s_and_saveexec_b32 s14, s13
	s_cbranch_execz .LBB128_16
; %bb.15:                               ;   in Loop: Header=BB128_12 Depth=1
	global_load_b32 v6, v[2:3], off offset:128
.LBB128_16:                             ;   in Loop: Header=BB128_12 Depth=1
	s_or_b32 exec_lo, exec_lo, s14
	v_cmp_gt_u32_e64 s14, s19, v15
	s_delay_alu instid0(VALU_DEP_1)
	s_and_saveexec_b32 s15, s14
	s_cbranch_execz .LBB128_18
; %bb.17:                               ;   in Loop: Header=BB128_12 Depth=1
	global_load_b32 v5, v[2:3], off offset:256
.LBB128_18:                             ;   in Loop: Header=BB128_12 Depth=1
	s_or_b32 exec_lo, exec_lo, s15
	v_cmp_gt_u32_e64 s15, s19, v16
	v_dual_mov_b32 v8, 0 :: v_dual_mov_b32 v7, 0
	s_delay_alu instid0(VALU_DEP_2)
	s_and_saveexec_b32 s16, s15
	s_cbranch_execz .LBB128_20
; %bb.19:                               ;   in Loop: Header=BB128_12 Depth=1
	global_load_b32 v7, v[2:3], off offset:384
.LBB128_20:                             ;   in Loop: Header=BB128_12 Depth=1
	s_or_b32 exec_lo, exec_lo, s16
	s_waitcnt vmcnt(0)
	ds_store_b32 v17, v4
	ds_store_b32 v18, v6 offset:128
	ds_store_b32 v19, v5 offset:256
	;; [unrolled: 1-line block ×3, first 2 shown]
	; wave barrier
	ds_load_2addr_b32 v[2:3], v21 offset1:1
	ds_load_2addr_b32 v[4:5], v21 offset0:2 offset1:3
	v_add_co_u32 v6, s16, s60, v37
	s_delay_alu instid0(VALU_DEP_1) | instskip(SKIP_1) | instid1(VALU_DEP_2)
	v_add_co_ci_u32_e64 v7, null, s44, 0, s16
	s_waitcnt lgkmcnt(0)
	v_add_co_u32 v6, vcc_lo, v6, v38
	s_delay_alu instid0(VALU_DEP_2)
	v_add_co_ci_u32_e32 v7, vcc_lo, 0, v7, vcc_lo
	s_barrier
	buffer_gl0_inv
	s_and_saveexec_b32 s16, s12
	s_cbranch_execz .LBB128_22
; %bb.21:                               ;   in Loop: Header=BB128_12 Depth=1
	global_load_b32 v8, v[6:7], off
.LBB128_22:                             ;   in Loop: Header=BB128_12 Depth=1
	s_or_b32 exec_lo, exec_lo, s16
	v_dual_mov_b32 v9, 0 :: v_dual_mov_b32 v10, 0
	s_and_saveexec_b32 s16, s13
	s_cbranch_execnz .LBB128_96
; %bb.23:                               ;   in Loop: Header=BB128_12 Depth=1
	s_or_b32 exec_lo, exec_lo, s16
	s_and_saveexec_b32 s16, s14
	s_cbranch_execnz .LBB128_97
.LBB128_24:                             ;   in Loop: Header=BB128_12 Depth=1
	s_or_b32 exec_lo, exec_lo, s16
	v_mov_b32_e32 v11, 0
	s_and_saveexec_b32 s16, s15
	s_cbranch_execz .LBB128_26
.LBB128_25:                             ;   in Loop: Header=BB128_12 Depth=1
	global_load_b32 v11, v[6:7], off offset:384
.LBB128_26:                             ;   in Loop: Header=BB128_12 Depth=1
	s_or_b32 exec_lo, exec_lo, s16
	s_waitcnt vmcnt(0)
	ds_store_b32 v17, v8
	ds_store_b32 v18, v10 offset:128
	ds_store_b32 v19, v9 offset:256
	;; [unrolled: 1-line block ×3, first 2 shown]
	; wave barrier
	ds_load_2addr_b32 v[8:9], v21 offset1:1
	ds_load_2addr_b32 v[6:7], v21 offset0:2 offset1:3
	s_waitcnt lgkmcnt(1)
	v_add_f32_e32 v39, s58, v8
	s_delay_alu instid0(VALU_DEP_1) | instskip(SKIP_1) | instid1(SALU_CYCLE_1)
	v_cmp_ge_f32_e32 vcc_lo, 0x41a00000, v39
	s_and_b32 s16, s66, vcc_lo
	s_and_saveexec_b32 s17, s16
	s_cbranch_execz .LBB128_28
; %bb.27:                               ;   in Loop: Header=BB128_12 Depth=1
	v_mul_f32_e32 v8, 0x3fb8aa3b, v39
	v_cmp_ngt_f32_e32 vcc_lo, 0xc2ce8ed0, v39
	s_delay_alu instid0(VALU_DEP_2) | instskip(SKIP_1) | instid1(VALU_DEP_1)
	v_rndne_f32_e32 v10, v8
	v_fma_f32 v11, 0x3fb8aa3b, v39, -v8
	v_dual_sub_f32 v8, v8, v10 :: v_dual_fmac_f32 v11, 0x32a5705f, v39
	v_cvt_i32_f32_e32 v10, v10
	s_delay_alu instid0(VALU_DEP_2) | instskip(NEXT) | instid1(VALU_DEP_1)
	v_add_f32_e32 v8, v8, v11
	v_exp_f32_e32 v8, v8
	s_waitcnt_depctr 0xfff
	v_ldexp_f32 v8, v8, v10
	s_delay_alu instid0(VALU_DEP_1) | instskip(SKIP_1) | instid1(VALU_DEP_2)
	v_cndmask_b32_e32 v8, 0, v8, vcc_lo
	v_cmp_nlt_f32_e32 vcc_lo, 0x42b17218, v39
	v_cndmask_b32_e32 v8, 0x7f800000, v8, vcc_lo
	s_delay_alu instid0(VALU_DEP_1) | instskip(NEXT) | instid1(VALU_DEP_1)
	v_add_f32_e32 v39, 1.0, v8
	v_cvt_f64_f32_e32 v[10:11], v39
	s_delay_alu instid0(VALU_DEP_1) | instskip(SKIP_1) | instid1(VALU_DEP_1)
	v_frexp_exp_i32_f64_e32 v10, v[10:11]
	v_frexp_mant_f32_e32 v11, v39
	v_cmp_gt_f32_e32 vcc_lo, 0x3f2aaaab, v11
	v_add_f32_e32 v11, -1.0, v39
	s_delay_alu instid0(VALU_DEP_1) | instskip(SKIP_2) | instid1(VALU_DEP_3)
	v_sub_f32_e32 v41, v11, v39
	v_sub_f32_e32 v11, v8, v11
	v_cmp_gt_f32_e64 s16, 0x33800000, v8
	v_add_f32_e32 v41, 1.0, v41
	s_delay_alu instid0(VALU_DEP_1) | instskip(SKIP_2) | instid1(VALU_DEP_2)
	v_add_f32_e32 v11, v11, v41
	v_subrev_co_ci_u32_e32 v10, vcc_lo, 0, v10, vcc_lo
	v_cmp_eq_f32_e32 vcc_lo, 0x7f800000, v8
	v_sub_nc_u32_e32 v40, 0, v10
	v_cvt_f32_i32_e32 v10, v10
	s_or_b32 vcc_lo, s16, vcc_lo
	s_delay_alu instid0(VALU_DEP_2) | instskip(SKIP_1) | instid1(VALU_DEP_2)
	v_ldexp_f32 v39, v39, v40
	v_ldexp_f32 v11, v11, v40
	v_add_f32_e32 v42, 1.0, v39
	s_delay_alu instid0(VALU_DEP_1) | instskip(NEXT) | instid1(VALU_DEP_1)
	v_dual_add_f32 v40, -1.0, v39 :: v_dual_add_f32 v41, -1.0, v42
	v_add_f32_e32 v43, 1.0, v40
	s_delay_alu instid0(VALU_DEP_2) | instskip(NEXT) | instid1(VALU_DEP_2)
	v_sub_f32_e32 v41, v39, v41
	v_sub_f32_e32 v39, v39, v43
	s_delay_alu instid0(VALU_DEP_2) | instskip(NEXT) | instid1(VALU_DEP_2)
	v_add_f32_e32 v41, v11, v41
	v_add_f32_e32 v11, v11, v39
	s_delay_alu instid0(VALU_DEP_1) | instskip(NEXT) | instid1(VALU_DEP_1)
	v_dual_add_f32 v44, v40, v11 :: v_dual_add_f32 v43, v42, v41
	v_sub_f32_e32 v40, v40, v44
	s_delay_alu instid0(VALU_DEP_2) | instskip(SKIP_1) | instid1(VALU_DEP_1)
	v_rcp_f32_e32 v39, v43
	v_sub_f32_e32 v42, v42, v43
	v_add_f32_e32 v41, v41, v42
	s_waitcnt_depctr 0xfff
	v_mul_f32_e32 v45, v44, v39
	s_delay_alu instid0(VALU_DEP_1) | instskip(NEXT) | instid1(VALU_DEP_1)
	v_mul_f32_e32 v46, v43, v45
	v_fma_f32 v42, v45, v43, -v46
	s_delay_alu instid0(VALU_DEP_1) | instskip(NEXT) | instid1(VALU_DEP_1)
	v_fmac_f32_e32 v42, v45, v41
	v_add_f32_e32 v47, v46, v42
	s_delay_alu instid0(VALU_DEP_1) | instskip(NEXT) | instid1(VALU_DEP_1)
	v_sub_f32_e32 v48, v44, v47
	v_sub_f32_e32 v44, v44, v48
	v_add_f32_e32 v11, v11, v40
	v_sub_f32_e32 v40, v47, v46
	s_delay_alu instid0(VALU_DEP_3) | instskip(NEXT) | instid1(VALU_DEP_1)
	v_sub_f32_e32 v44, v44, v47
	v_dual_sub_f32 v40, v40, v42 :: v_dual_add_f32 v11, v11, v44
	s_delay_alu instid0(VALU_DEP_1) | instskip(NEXT) | instid1(VALU_DEP_1)
	v_add_f32_e32 v11, v40, v11
	v_add_f32_e32 v40, v48, v11
	s_delay_alu instid0(VALU_DEP_1) | instskip(NEXT) | instid1(VALU_DEP_1)
	v_mul_f32_e32 v42, v39, v40
	v_dual_sub_f32 v47, v48, v40 :: v_dual_mul_f32 v44, v43, v42
	s_delay_alu instid0(VALU_DEP_1) | instskip(NEXT) | instid1(VALU_DEP_2)
	v_add_f32_e32 v11, v11, v47
	v_fma_f32 v43, v42, v43, -v44
	s_delay_alu instid0(VALU_DEP_1) | instskip(NEXT) | instid1(VALU_DEP_1)
	v_fmac_f32_e32 v43, v42, v41
	v_add_f32_e32 v41, v44, v43
	s_delay_alu instid0(VALU_DEP_1) | instskip(NEXT) | instid1(VALU_DEP_1)
	v_sub_f32_e32 v46, v40, v41
	v_sub_f32_e32 v40, v40, v46
	s_delay_alu instid0(VALU_DEP_1) | instskip(NEXT) | instid1(VALU_DEP_1)
	v_sub_f32_e32 v40, v40, v41
	v_dual_add_f32 v11, v11, v40 :: v_dual_add_f32 v40, v45, v42
	v_sub_f32_e32 v44, v41, v44
	s_delay_alu instid0(VALU_DEP_1) | instskip(NEXT) | instid1(VALU_DEP_1)
	v_sub_f32_e32 v41, v44, v43
	v_add_f32_e32 v11, v41, v11
	s_delay_alu instid0(VALU_DEP_4) | instskip(NEXT) | instid1(VALU_DEP_2)
	v_sub_f32_e32 v41, v40, v45
	v_add_f32_e32 v11, v46, v11
	s_delay_alu instid0(VALU_DEP_2) | instskip(NEXT) | instid1(VALU_DEP_2)
	v_sub_f32_e32 v41, v42, v41
	v_mul_f32_e32 v11, v39, v11
	s_delay_alu instid0(VALU_DEP_1) | instskip(NEXT) | instid1(VALU_DEP_1)
	v_add_f32_e32 v11, v41, v11
	v_add_f32_e32 v39, v40, v11
	s_delay_alu instid0(VALU_DEP_1) | instskip(NEXT) | instid1(VALU_DEP_1)
	v_mul_f32_e32 v41, v39, v39
	v_fmaak_f32 v42, s42, v41, 0x3ecc95a3
	v_mul_f32_e32 v43, v39, v41
	s_delay_alu instid0(VALU_DEP_2) | instskip(SKIP_2) | instid1(VALU_DEP_3)
	v_fmaak_f32 v41, v41, v42, 0x3f2aaada
	v_ldexp_f32 v42, v39, 1
	v_sub_f32_e32 v39, v39, v40
	v_mul_f32_e32 v41, v43, v41
	v_mul_f32_e32 v43, 0x3f317218, v10
	s_delay_alu instid0(VALU_DEP_2) | instskip(NEXT) | instid1(VALU_DEP_1)
	v_dual_sub_f32 v11, v11, v39 :: v_dual_add_f32 v40, v42, v41
	v_ldexp_f32 v11, v11, 1
	s_delay_alu instid0(VALU_DEP_2) | instskip(NEXT) | instid1(VALU_DEP_4)
	v_sub_f32_e32 v39, v40, v42
	v_fma_f32 v42, 0x3f317218, v10, -v43
	s_delay_alu instid0(VALU_DEP_1) | instskip(NEXT) | instid1(VALU_DEP_1)
	v_dual_sub_f32 v39, v41, v39 :: v_dual_fmac_f32 v42, 0xb102e308, v10
	v_add_f32_e32 v10, v11, v39
	s_delay_alu instid0(VALU_DEP_2) | instskip(NEXT) | instid1(VALU_DEP_2)
	v_add_f32_e32 v11, v43, v42
	v_add_f32_e32 v39, v40, v10
	s_delay_alu instid0(VALU_DEP_2) | instskip(NEXT) | instid1(VALU_DEP_2)
	v_sub_f32_e32 v43, v11, v43
	v_add_f32_e32 v41, v11, v39
	v_sub_f32_e32 v40, v39, v40
	s_delay_alu instid0(VALU_DEP_3) | instskip(NEXT) | instid1(VALU_DEP_3)
	v_sub_f32_e32 v42, v42, v43
	v_sub_f32_e32 v44, v41, v11
	s_delay_alu instid0(VALU_DEP_3) | instskip(NEXT) | instid1(VALU_DEP_2)
	v_sub_f32_e32 v10, v10, v40
	v_sub_f32_e32 v45, v41, v44
	s_delay_alu instid0(VALU_DEP_2) | instskip(NEXT) | instid1(VALU_DEP_2)
	v_dual_sub_f32 v39, v39, v44 :: v_dual_add_f32 v40, v42, v10
	v_sub_f32_e32 v11, v11, v45
	s_delay_alu instid0(VALU_DEP_1) | instskip(NEXT) | instid1(VALU_DEP_3)
	v_add_f32_e32 v11, v39, v11
	v_sub_f32_e32 v39, v40, v42
	s_delay_alu instid0(VALU_DEP_2) | instskip(NEXT) | instid1(VALU_DEP_2)
	v_add_f32_e32 v11, v40, v11
	v_sub_f32_e32 v40, v40, v39
	v_sub_f32_e32 v10, v10, v39
	s_delay_alu instid0(VALU_DEP_2) | instskip(NEXT) | instid1(VALU_DEP_1)
	v_dual_add_f32 v43, v41, v11 :: v_dual_sub_f32 v40, v42, v40
	v_dual_sub_f32 v39, v43, v41 :: v_dual_add_f32 v10, v10, v40
	s_delay_alu instid0(VALU_DEP_1) | instskip(NEXT) | instid1(VALU_DEP_1)
	v_sub_f32_e32 v11, v11, v39
	v_add_f32_e32 v10, v10, v11
	s_delay_alu instid0(VALU_DEP_1) | instskip(NEXT) | instid1(VALU_DEP_1)
	v_add_f32_e32 v10, v43, v10
	v_cndmask_b32_e32 v39, v10, v8, vcc_lo
.LBB128_28:                             ;   in Loop: Header=BB128_12 Depth=1
	s_or_b32 exec_lo, exec_lo, s17
	v_add_f32_e32 v40, s58, v9
	s_delay_alu instid0(VALU_DEP_1) | instskip(SKIP_1) | instid1(SALU_CYCLE_1)
	v_cmp_ge_f32_e32 vcc_lo, 0x41a00000, v40
	s_and_b32 s16, s66, vcc_lo
	s_and_saveexec_b32 s17, s16
	s_cbranch_execz .LBB128_30
; %bb.29:                               ;   in Loop: Header=BB128_12 Depth=1
	v_mul_f32_e32 v8, 0x3fb8aa3b, v40
	v_cmp_ngt_f32_e32 vcc_lo, 0xc2ce8ed0, v40
	s_delay_alu instid0(VALU_DEP_2) | instskip(SKIP_1) | instid1(VALU_DEP_2)
	v_rndne_f32_e32 v9, v8
	v_fma_f32 v10, 0x3fb8aa3b, v40, -v8
	v_sub_f32_e32 v8, v8, v9
	s_delay_alu instid0(VALU_DEP_2) | instskip(SKIP_1) | instid1(VALU_DEP_2)
	v_fmac_f32_e32 v10, 0x32a5705f, v40
	v_cvt_i32_f32_e32 v9, v9
	v_add_f32_e32 v8, v8, v10
	s_delay_alu instid0(VALU_DEP_1) | instskip(SKIP_2) | instid1(VALU_DEP_1)
	v_exp_f32_e32 v8, v8
	s_waitcnt_depctr 0xfff
	v_ldexp_f32 v8, v8, v9
	v_cndmask_b32_e32 v8, 0, v8, vcc_lo
	v_cmp_nlt_f32_e32 vcc_lo, 0x42b17218, v40
	s_delay_alu instid0(VALU_DEP_2) | instskip(NEXT) | instid1(VALU_DEP_1)
	v_cndmask_b32_e32 v10, 0x7f800000, v8, vcc_lo
	v_add_f32_e32 v11, 1.0, v10
	s_delay_alu instid0(VALU_DEP_1) | instskip(NEXT) | instid1(VALU_DEP_1)
	v_cvt_f64_f32_e32 v[8:9], v11
	v_frexp_exp_i32_f64_e32 v8, v[8:9]
	v_frexp_mant_f32_e32 v9, v11
	s_delay_alu instid0(VALU_DEP_1) | instskip(SKIP_1) | instid1(VALU_DEP_1)
	v_cmp_gt_f32_e32 vcc_lo, 0x3f2aaaab, v9
	v_add_f32_e32 v9, -1.0, v11
	v_sub_f32_e32 v41, v9, v11
	v_sub_f32_e32 v9, v10, v9
	s_delay_alu instid0(VALU_DEP_2) | instskip(NEXT) | instid1(VALU_DEP_1)
	v_add_f32_e32 v41, 1.0, v41
	v_add_f32_e32 v9, v9, v41
	v_cmp_gt_f32_e64 s16, 0x33800000, v10
	v_subrev_co_ci_u32_e32 v8, vcc_lo, 0, v8, vcc_lo
	v_cmp_eq_f32_e32 vcc_lo, 0x7f800000, v10
	s_delay_alu instid0(VALU_DEP_2) | instskip(SKIP_2) | instid1(VALU_DEP_2)
	v_sub_nc_u32_e32 v40, 0, v8
	v_cvt_f32_i32_e32 v8, v8
	s_or_b32 vcc_lo, s16, vcc_lo
	v_ldexp_f32 v11, v11, v40
	v_ldexp_f32 v9, v9, v40
	s_delay_alu instid0(VALU_DEP_2) | instskip(NEXT) | instid1(VALU_DEP_1)
	v_add_f32_e32 v42, 1.0, v11
	v_dual_add_f32 v40, -1.0, v11 :: v_dual_add_f32 v41, -1.0, v42
	s_delay_alu instid0(VALU_DEP_1) | instskip(NEXT) | instid1(VALU_DEP_2)
	v_add_f32_e32 v43, 1.0, v40
	v_sub_f32_e32 v41, v11, v41
	s_delay_alu instid0(VALU_DEP_2) | instskip(NEXT) | instid1(VALU_DEP_2)
	v_sub_f32_e32 v11, v11, v43
	v_add_f32_e32 v41, v9, v41
	s_delay_alu instid0(VALU_DEP_2) | instskip(NEXT) | instid1(VALU_DEP_1)
	v_add_f32_e32 v9, v9, v11
	v_add_f32_e32 v44, v40, v9
	s_delay_alu instid0(VALU_DEP_1) | instskip(NEXT) | instid1(VALU_DEP_1)
	v_dual_add_f32 v43, v42, v41 :: v_dual_sub_f32 v40, v40, v44
	v_rcp_f32_e32 v11, v43
	v_sub_f32_e32 v42, v42, v43
	s_delay_alu instid0(VALU_DEP_1) | instskip(SKIP_2) | instid1(VALU_DEP_1)
	v_add_f32_e32 v41, v41, v42
	s_waitcnt_depctr 0xfff
	v_mul_f32_e32 v45, v44, v11
	v_mul_f32_e32 v46, v43, v45
	s_delay_alu instid0(VALU_DEP_1) | instskip(NEXT) | instid1(VALU_DEP_1)
	v_fma_f32 v42, v45, v43, -v46
	v_fmac_f32_e32 v42, v45, v41
	s_delay_alu instid0(VALU_DEP_1) | instskip(NEXT) | instid1(VALU_DEP_1)
	v_add_f32_e32 v47, v46, v42
	v_sub_f32_e32 v48, v44, v47
	s_delay_alu instid0(VALU_DEP_1) | instskip(SKIP_1) | instid1(VALU_DEP_2)
	v_sub_f32_e32 v44, v44, v48
	v_dual_add_f32 v9, v9, v40 :: v_dual_sub_f32 v40, v47, v46
	v_sub_f32_e32 v44, v44, v47
	s_delay_alu instid0(VALU_DEP_1) | instskip(NEXT) | instid1(VALU_DEP_1)
	v_dual_sub_f32 v40, v40, v42 :: v_dual_add_f32 v9, v9, v44
	v_add_f32_e32 v9, v40, v9
	s_delay_alu instid0(VALU_DEP_1) | instskip(NEXT) | instid1(VALU_DEP_1)
	v_add_f32_e32 v40, v48, v9
	v_mul_f32_e32 v42, v11, v40
	s_delay_alu instid0(VALU_DEP_1) | instskip(NEXT) | instid1(VALU_DEP_1)
	v_dual_sub_f32 v47, v48, v40 :: v_dual_mul_f32 v44, v43, v42
	v_add_f32_e32 v9, v9, v47
	s_delay_alu instid0(VALU_DEP_2) | instskip(NEXT) | instid1(VALU_DEP_1)
	v_fma_f32 v43, v42, v43, -v44
	v_fmac_f32_e32 v43, v42, v41
	s_delay_alu instid0(VALU_DEP_1) | instskip(NEXT) | instid1(VALU_DEP_1)
	v_add_f32_e32 v41, v44, v43
	v_sub_f32_e32 v46, v40, v41
	s_delay_alu instid0(VALU_DEP_1) | instskip(NEXT) | instid1(VALU_DEP_1)
	v_sub_f32_e32 v40, v40, v46
	v_sub_f32_e32 v40, v40, v41
	s_delay_alu instid0(VALU_DEP_1) | instskip(SKIP_2) | instid1(VALU_DEP_1)
	v_add_f32_e32 v9, v9, v40
	v_add_f32_e32 v40, v45, v42
	v_sub_f32_e32 v44, v41, v44
	v_sub_f32_e32 v41, v44, v43
	s_delay_alu instid0(VALU_DEP_1) | instskip(NEXT) | instid1(VALU_DEP_4)
	v_add_f32_e32 v9, v41, v9
	v_sub_f32_e32 v41, v40, v45
	s_delay_alu instid0(VALU_DEP_2) | instskip(NEXT) | instid1(VALU_DEP_2)
	v_add_f32_e32 v9, v46, v9
	v_sub_f32_e32 v41, v42, v41
	s_delay_alu instid0(VALU_DEP_2) | instskip(NEXT) | instid1(VALU_DEP_1)
	v_mul_f32_e32 v9, v11, v9
	v_add_f32_e32 v9, v41, v9
	s_delay_alu instid0(VALU_DEP_1) | instskip(NEXT) | instid1(VALU_DEP_1)
	v_add_f32_e32 v11, v40, v9
	v_mul_f32_e32 v41, v11, v11
	s_delay_alu instid0(VALU_DEP_1) | instskip(SKIP_1) | instid1(VALU_DEP_2)
	v_fmaak_f32 v42, s42, v41, 0x3ecc95a3
	v_mul_f32_e32 v43, v11, v41
	v_fmaak_f32 v41, v41, v42, 0x3f2aaada
	v_ldexp_f32 v42, v11, 1
	s_delay_alu instid0(VALU_DEP_2) | instskip(SKIP_1) | instid1(VALU_DEP_2)
	v_mul_f32_e32 v41, v43, v41
	v_sub_f32_e32 v11, v11, v40
	v_dual_mul_f32 v43, 0x3f317218, v8 :: v_dual_add_f32 v40, v42, v41
	s_delay_alu instid0(VALU_DEP_2) | instskip(NEXT) | instid1(VALU_DEP_2)
	v_sub_f32_e32 v9, v9, v11
	v_sub_f32_e32 v11, v40, v42
	s_delay_alu instid0(VALU_DEP_3) | instskip(NEXT) | instid1(VALU_DEP_3)
	v_fma_f32 v42, 0x3f317218, v8, -v43
	v_ldexp_f32 v9, v9, 1
	s_delay_alu instid0(VALU_DEP_2) | instskip(NEXT) | instid1(VALU_DEP_1)
	v_dual_sub_f32 v11, v41, v11 :: v_dual_fmac_f32 v42, 0xb102e308, v8
	v_dual_add_f32 v8, v9, v11 :: v_dual_add_f32 v9, v43, v42
	s_delay_alu instid0(VALU_DEP_1) | instskip(NEXT) | instid1(VALU_DEP_1)
	v_add_f32_e32 v11, v40, v8
	v_dual_add_f32 v41, v9, v11 :: v_dual_sub_f32 v40, v11, v40
	s_delay_alu instid0(VALU_DEP_1) | instskip(NEXT) | instid1(VALU_DEP_2)
	v_sub_f32_e32 v44, v41, v9
	v_dual_sub_f32 v43, v9, v43 :: v_dual_sub_f32 v8, v8, v40
	s_delay_alu instid0(VALU_DEP_1) | instskip(SKIP_1) | instid1(VALU_DEP_2)
	v_dual_sub_f32 v45, v41, v44 :: v_dual_sub_f32 v42, v42, v43
	v_sub_f32_e32 v11, v11, v44
	v_dual_sub_f32 v9, v9, v45 :: v_dual_add_f32 v40, v42, v8
	s_delay_alu instid0(VALU_DEP_1) | instskip(NEXT) | instid1(VALU_DEP_2)
	v_add_f32_e32 v9, v11, v9
	v_sub_f32_e32 v11, v40, v42
	s_delay_alu instid0(VALU_DEP_2) | instskip(NEXT) | instid1(VALU_DEP_2)
	v_add_f32_e32 v9, v40, v9
	v_sub_f32_e32 v40, v40, v11
	s_delay_alu instid0(VALU_DEP_2) | instskip(NEXT) | instid1(VALU_DEP_1)
	v_dual_sub_f32 v8, v8, v11 :: v_dual_add_f32 v43, v41, v9
	v_dual_sub_f32 v40, v42, v40 :: v_dual_sub_f32 v11, v43, v41
	s_delay_alu instid0(VALU_DEP_1) | instskip(NEXT) | instid1(VALU_DEP_1)
	v_dual_add_f32 v8, v8, v40 :: v_dual_sub_f32 v9, v9, v11
	v_add_f32_e32 v8, v8, v9
	s_delay_alu instid0(VALU_DEP_1) | instskip(NEXT) | instid1(VALU_DEP_1)
	v_add_f32_e32 v8, v43, v8
	v_cndmask_b32_e32 v40, v8, v10, vcc_lo
.LBB128_30:                             ;   in Loop: Header=BB128_12 Depth=1
	s_or_b32 exec_lo, exec_lo, s17
	s_waitcnt lgkmcnt(0)
	v_add_f32_e32 v45, s58, v6
	s_delay_alu instid0(VALU_DEP_1) | instskip(SKIP_1) | instid1(SALU_CYCLE_1)
	v_cmp_ge_f32_e32 vcc_lo, 0x41a00000, v45
	s_and_b32 s16, s66, vcc_lo
	s_and_saveexec_b32 s17, s16
	s_cbranch_execz .LBB128_32
; %bb.31:                               ;   in Loop: Header=BB128_12 Depth=1
	v_mul_f32_e32 v6, 0x3fb8aa3b, v45
	v_cmp_ngt_f32_e32 vcc_lo, 0xc2ce8ed0, v45
	s_delay_alu instid0(VALU_DEP_2) | instskip(SKIP_1) | instid1(VALU_DEP_1)
	v_rndne_f32_e32 v8, v6
	v_fma_f32 v9, 0x3fb8aa3b, v45, -v6
	v_dual_sub_f32 v6, v6, v8 :: v_dual_fmac_f32 v9, 0x32a5705f, v45
	v_cvt_i32_f32_e32 v8, v8
	s_delay_alu instid0(VALU_DEP_2) | instskip(NEXT) | instid1(VALU_DEP_1)
	v_add_f32_e32 v6, v6, v9
	v_exp_f32_e32 v6, v6
	s_waitcnt_depctr 0xfff
	v_ldexp_f32 v6, v6, v8
	s_delay_alu instid0(VALU_DEP_1) | instskip(SKIP_1) | instid1(VALU_DEP_2)
	v_cndmask_b32_e32 v6, 0, v6, vcc_lo
	v_cmp_nlt_f32_e32 vcc_lo, 0x42b17218, v45
	v_cndmask_b32_e32 v6, 0x7f800000, v6, vcc_lo
	s_delay_alu instid0(VALU_DEP_1) | instskip(NEXT) | instid1(VALU_DEP_1)
	v_add_f32_e32 v10, 1.0, v6
	v_cvt_f64_f32_e32 v[8:9], v10
	s_delay_alu instid0(VALU_DEP_1) | instskip(SKIP_1) | instid1(VALU_DEP_1)
	v_frexp_exp_i32_f64_e32 v8, v[8:9]
	v_frexp_mant_f32_e32 v9, v10
	v_cmp_gt_f32_e32 vcc_lo, 0x3f2aaaab, v9
	v_add_f32_e32 v9, -1.0, v10
	s_delay_alu instid0(VALU_DEP_1) | instskip(SKIP_1) | instid1(VALU_DEP_2)
	v_sub_f32_e32 v41, v9, v10
	v_sub_f32_e32 v9, v6, v9
	v_add_f32_e32 v41, 1.0, v41
	s_delay_alu instid0(VALU_DEP_1) | instskip(SKIP_3) | instid1(VALU_DEP_2)
	v_add_f32_e32 v9, v9, v41
	v_cmp_gt_f32_e64 s16, 0x33800000, v6
	v_subrev_co_ci_u32_e32 v8, vcc_lo, 0, v8, vcc_lo
	v_cmp_eq_f32_e32 vcc_lo, 0x7f800000, v6
	v_sub_nc_u32_e32 v11, 0, v8
	v_cvt_f32_i32_e32 v8, v8
	s_or_b32 vcc_lo, s16, vcc_lo
	s_delay_alu instid0(VALU_DEP_2) | instskip(SKIP_1) | instid1(VALU_DEP_2)
	v_ldexp_f32 v10, v10, v11
	v_ldexp_f32 v9, v9, v11
	v_add_f32_e32 v42, 1.0, v10
	v_add_f32_e32 v11, -1.0, v10
	s_delay_alu instid0(VALU_DEP_1) | instskip(NEXT) | instid1(VALU_DEP_3)
	v_add_f32_e32 v43, 1.0, v11
	v_add_f32_e32 v41, -1.0, v42
	s_delay_alu instid0(VALU_DEP_1) | instskip(NEXT) | instid1(VALU_DEP_1)
	v_sub_f32_e32 v41, v10, v41
	v_dual_sub_f32 v10, v10, v43 :: v_dual_add_f32 v41, v9, v41
	s_delay_alu instid0(VALU_DEP_1) | instskip(NEXT) | instid1(VALU_DEP_2)
	v_add_f32_e32 v43, v42, v41
	v_add_f32_e32 v9, v9, v10
	s_delay_alu instid0(VALU_DEP_2) | instskip(SKIP_1) | instid1(VALU_DEP_1)
	v_rcp_f32_e32 v10, v43
	v_sub_f32_e32 v42, v42, v43
	v_dual_add_f32 v44, v11, v9 :: v_dual_add_f32 v41, v41, v42
	s_delay_alu instid0(VALU_DEP_1) | instskip(SKIP_2) | instid1(VALU_DEP_1)
	v_sub_f32_e32 v11, v11, v44
	s_waitcnt_depctr 0xfff
	v_mul_f32_e32 v45, v44, v10
	v_mul_f32_e32 v46, v43, v45
	s_delay_alu instid0(VALU_DEP_1) | instskip(NEXT) | instid1(VALU_DEP_1)
	v_fma_f32 v42, v45, v43, -v46
	v_fmac_f32_e32 v42, v45, v41
	s_delay_alu instid0(VALU_DEP_1) | instskip(NEXT) | instid1(VALU_DEP_1)
	v_add_f32_e32 v47, v46, v42
	v_sub_f32_e32 v48, v44, v47
	s_delay_alu instid0(VALU_DEP_1) | instskip(NEXT) | instid1(VALU_DEP_1)
	v_dual_sub_f32 v44, v44, v48 :: v_dual_add_f32 v9, v9, v11
	v_dual_sub_f32 v11, v47, v46 :: v_dual_sub_f32 v44, v44, v47
	s_delay_alu instid0(VALU_DEP_1) | instskip(NEXT) | instid1(VALU_DEP_2)
	v_sub_f32_e32 v11, v11, v42
	v_add_f32_e32 v9, v9, v44
	s_delay_alu instid0(VALU_DEP_1) | instskip(NEXT) | instid1(VALU_DEP_1)
	v_add_f32_e32 v9, v11, v9
	v_add_f32_e32 v11, v48, v9
	s_delay_alu instid0(VALU_DEP_1) | instskip(NEXT) | instid1(VALU_DEP_1)
	v_mul_f32_e32 v42, v10, v11
	v_dual_sub_f32 v47, v48, v11 :: v_dual_mul_f32 v44, v43, v42
	s_delay_alu instid0(VALU_DEP_1) | instskip(NEXT) | instid1(VALU_DEP_2)
	v_add_f32_e32 v9, v9, v47
	v_fma_f32 v43, v42, v43, -v44
	s_delay_alu instid0(VALU_DEP_1) | instskip(NEXT) | instid1(VALU_DEP_1)
	v_fmac_f32_e32 v43, v42, v41
	v_add_f32_e32 v41, v44, v43
	s_delay_alu instid0(VALU_DEP_1) | instskip(NEXT) | instid1(VALU_DEP_1)
	v_sub_f32_e32 v46, v11, v41
	v_dual_sub_f32 v44, v41, v44 :: v_dual_sub_f32 v11, v11, v46
	s_delay_alu instid0(VALU_DEP_1) | instskip(NEXT) | instid1(VALU_DEP_2)
	v_sub_f32_e32 v11, v11, v41
	v_sub_f32_e32 v41, v44, v43
	s_delay_alu instid0(VALU_DEP_2) | instskip(SKIP_1) | instid1(VALU_DEP_2)
	v_add_f32_e32 v9, v9, v11
	v_add_f32_e32 v11, v45, v42
	;; [unrolled: 1-line block ×3, first 2 shown]
	s_delay_alu instid0(VALU_DEP_2) | instskip(NEXT) | instid1(VALU_DEP_2)
	v_sub_f32_e32 v41, v11, v45
	v_add_f32_e32 v9, v46, v9
	s_delay_alu instid0(VALU_DEP_2) | instskip(NEXT) | instid1(VALU_DEP_2)
	v_sub_f32_e32 v41, v42, v41
	v_mul_f32_e32 v9, v10, v9
	s_delay_alu instid0(VALU_DEP_1) | instskip(NEXT) | instid1(VALU_DEP_1)
	v_add_f32_e32 v9, v41, v9
	v_add_f32_e32 v10, v11, v9
	s_delay_alu instid0(VALU_DEP_1) | instskip(NEXT) | instid1(VALU_DEP_1)
	v_mul_f32_e32 v41, v10, v10
	v_fmaak_f32 v42, s42, v41, 0x3ecc95a3
	v_mul_f32_e32 v43, v10, v41
	s_delay_alu instid0(VALU_DEP_2) | instskip(SKIP_1) | instid1(VALU_DEP_2)
	v_fmaak_f32 v41, v41, v42, 0x3f2aaada
	v_ldexp_f32 v42, v10, 1
	v_dual_sub_f32 v10, v10, v11 :: v_dual_mul_f32 v41, v43, v41
	v_mul_f32_e32 v43, 0x3f317218, v8
	s_delay_alu instid0(VALU_DEP_2) | instskip(NEXT) | instid1(VALU_DEP_3)
	v_sub_f32_e32 v9, v9, v10
	v_add_f32_e32 v11, v42, v41
	s_delay_alu instid0(VALU_DEP_2) | instskip(NEXT) | instid1(VALU_DEP_2)
	v_ldexp_f32 v9, v9, 1
	v_sub_f32_e32 v10, v11, v42
	v_fma_f32 v42, 0x3f317218, v8, -v43
	s_delay_alu instid0(VALU_DEP_2) | instskip(NEXT) | instid1(VALU_DEP_2)
	v_sub_f32_e32 v10, v41, v10
	v_fmac_f32_e32 v42, 0xb102e308, v8
	s_delay_alu instid0(VALU_DEP_2) | instskip(NEXT) | instid1(VALU_DEP_2)
	v_add_f32_e32 v8, v9, v10
	v_add_f32_e32 v9, v43, v42
	s_delay_alu instid0(VALU_DEP_1) | instskip(NEXT) | instid1(VALU_DEP_1)
	v_dual_add_f32 v10, v11, v8 :: v_dual_sub_f32 v43, v9, v43
	v_add_f32_e32 v41, v9, v10
	v_sub_f32_e32 v11, v10, v11
	s_delay_alu instid0(VALU_DEP_3) | instskip(NEXT) | instid1(VALU_DEP_3)
	v_sub_f32_e32 v42, v42, v43
	v_sub_f32_e32 v44, v41, v9
	s_delay_alu instid0(VALU_DEP_1) | instskip(SKIP_1) | instid1(VALU_DEP_2)
	v_dual_sub_f32 v8, v8, v11 :: v_dual_sub_f32 v45, v41, v44
	v_sub_f32_e32 v10, v10, v44
	v_add_f32_e32 v11, v42, v8
	s_delay_alu instid0(VALU_DEP_3) | instskip(NEXT) | instid1(VALU_DEP_1)
	v_sub_f32_e32 v9, v9, v45
	v_dual_add_f32 v9, v10, v9 :: v_dual_sub_f32 v10, v11, v42
	s_delay_alu instid0(VALU_DEP_1) | instskip(NEXT) | instid1(VALU_DEP_2)
	v_add_f32_e32 v9, v11, v9
	v_sub_f32_e32 v11, v11, v10
	s_delay_alu instid0(VALU_DEP_2) | instskip(NEXT) | instid1(VALU_DEP_1)
	v_dual_sub_f32 v8, v8, v10 :: v_dual_add_f32 v43, v41, v9
	v_dual_sub_f32 v11, v42, v11 :: v_dual_sub_f32 v10, v43, v41
	s_delay_alu instid0(VALU_DEP_1) | instskip(NEXT) | instid1(VALU_DEP_1)
	v_dual_add_f32 v8, v8, v11 :: v_dual_sub_f32 v9, v9, v10
	v_add_f32_e32 v8, v8, v9
	s_delay_alu instid0(VALU_DEP_1) | instskip(NEXT) | instid1(VALU_DEP_1)
	v_add_f32_e32 v8, v43, v8
	v_cndmask_b32_e32 v45, v8, v6, vcc_lo
.LBB128_32:                             ;   in Loop: Header=BB128_12 Depth=1
	s_or_b32 exec_lo, exec_lo, s17
	v_add_f32_e32 v46, s58, v7
	s_delay_alu instid0(VALU_DEP_1) | instskip(SKIP_1) | instid1(SALU_CYCLE_1)
	v_cmp_ge_f32_e32 vcc_lo, 0x41a00000, v46
	s_and_b32 s16, s66, vcc_lo
	s_and_saveexec_b32 s17, s16
	s_cbranch_execz .LBB128_34
; %bb.33:                               ;   in Loop: Header=BB128_12 Depth=1
	v_mul_f32_e32 v6, 0x3fb8aa3b, v46
	v_cmp_ngt_f32_e32 vcc_lo, 0xc2ce8ed0, v46
	s_delay_alu instid0(VALU_DEP_2) | instskip(SKIP_1) | instid1(VALU_DEP_2)
	v_rndne_f32_e32 v7, v6
	v_fma_f32 v8, 0x3fb8aa3b, v46, -v6
	v_sub_f32_e32 v6, v6, v7
	s_delay_alu instid0(VALU_DEP_2) | instskip(SKIP_1) | instid1(VALU_DEP_2)
	v_fmac_f32_e32 v8, 0x32a5705f, v46
	v_cvt_i32_f32_e32 v7, v7
	v_add_f32_e32 v6, v6, v8
	s_delay_alu instid0(VALU_DEP_1) | instskip(SKIP_2) | instid1(VALU_DEP_1)
	v_exp_f32_e32 v6, v6
	s_waitcnt_depctr 0xfff
	v_ldexp_f32 v6, v6, v7
	v_cndmask_b32_e32 v6, 0, v6, vcc_lo
	v_cmp_nlt_f32_e32 vcc_lo, 0x42b17218, v46
	s_delay_alu instid0(VALU_DEP_2) | instskip(NEXT) | instid1(VALU_DEP_1)
	v_cndmask_b32_e32 v8, 0x7f800000, v6, vcc_lo
	v_add_f32_e32 v9, 1.0, v8
	s_delay_alu instid0(VALU_DEP_1) | instskip(NEXT) | instid1(VALU_DEP_1)
	v_cvt_f64_f32_e32 v[6:7], v9
	v_frexp_exp_i32_f64_e32 v6, v[6:7]
	v_frexp_mant_f32_e32 v7, v9
	s_delay_alu instid0(VALU_DEP_1) | instskip(SKIP_1) | instid1(VALU_DEP_1)
	v_cmp_gt_f32_e32 vcc_lo, 0x3f2aaaab, v7
	v_add_f32_e32 v7, -1.0, v9
	v_sub_f32_e32 v11, v7, v9
	s_delay_alu instid0(VALU_DEP_1) | instskip(SKIP_1) | instid1(VALU_DEP_1)
	v_add_f32_e32 v11, 1.0, v11
	v_subrev_co_ci_u32_e32 v6, vcc_lo, 0, v6, vcc_lo
	v_sub_nc_u32_e32 v10, 0, v6
	v_cvt_f32_i32_e32 v6, v6
	s_delay_alu instid0(VALU_DEP_2) | instskip(NEXT) | instid1(VALU_DEP_1)
	v_ldexp_f32 v9, v9, v10
	v_add_f32_e32 v41, 1.0, v9
	v_sub_f32_e32 v7, v8, v7
	v_cmp_eq_f32_e32 vcc_lo, 0x7f800000, v8
	v_cmp_gt_f32_e64 s16, 0x33800000, v8
	s_delay_alu instid0(VALU_DEP_3) | instskip(NEXT) | instid1(VALU_DEP_2)
	v_add_f32_e32 v7, v7, v11
	s_or_b32 vcc_lo, s16, vcc_lo
	s_delay_alu instid0(VALU_DEP_1) | instskip(SKIP_1) | instid1(VALU_DEP_1)
	v_ldexp_f32 v7, v7, v10
	v_add_f32_e32 v10, -1.0, v9
	v_dual_add_f32 v11, -1.0, v41 :: v_dual_add_f32 v42, 1.0, v10
	s_delay_alu instid0(VALU_DEP_1) | instskip(NEXT) | instid1(VALU_DEP_2)
	v_sub_f32_e32 v11, v9, v11
	v_sub_f32_e32 v9, v9, v42
	s_delay_alu instid0(VALU_DEP_2) | instskip(NEXT) | instid1(VALU_DEP_1)
	v_add_f32_e32 v11, v7, v11
	v_dual_add_f32 v7, v7, v9 :: v_dual_add_f32 v42, v41, v11
	s_delay_alu instid0(VALU_DEP_1) | instskip(NEXT) | instid1(VALU_DEP_2)
	v_add_f32_e32 v43, v10, v7
	v_rcp_f32_e32 v9, v42
	s_delay_alu instid0(VALU_DEP_1) | instskip(NEXT) | instid1(VALU_DEP_1)
	v_dual_sub_f32 v41, v41, v42 :: v_dual_sub_f32 v10, v10, v43
	v_add_f32_e32 v7, v7, v10
	s_waitcnt_depctr 0xfff
	v_mul_f32_e32 v44, v43, v9
	s_delay_alu instid0(VALU_DEP_1) | instskip(NEXT) | instid1(VALU_DEP_1)
	v_dual_mul_f32 v46, v42, v44 :: v_dual_add_f32 v11, v11, v41
	v_fma_f32 v41, v44, v42, -v46
	s_delay_alu instid0(VALU_DEP_1) | instskip(NEXT) | instid1(VALU_DEP_1)
	v_fmac_f32_e32 v41, v44, v11
	v_add_f32_e32 v47, v46, v41
	s_delay_alu instid0(VALU_DEP_1) | instskip(SKIP_1) | instid1(VALU_DEP_1)
	v_sub_f32_e32 v10, v47, v46
	v_sub_f32_e32 v48, v43, v47
	v_dual_sub_f32 v10, v10, v41 :: v_dual_sub_f32 v43, v43, v48
	s_delay_alu instid0(VALU_DEP_1) | instskip(NEXT) | instid1(VALU_DEP_1)
	v_sub_f32_e32 v43, v43, v47
	v_add_f32_e32 v7, v7, v43
	s_delay_alu instid0(VALU_DEP_1) | instskip(NEXT) | instid1(VALU_DEP_1)
	v_add_f32_e32 v7, v10, v7
	v_add_f32_e32 v10, v48, v7
	s_delay_alu instid0(VALU_DEP_1) | instskip(SKIP_1) | instid1(VALU_DEP_2)
	v_mul_f32_e32 v41, v9, v10
	v_sub_f32_e32 v47, v48, v10
	v_mul_f32_e32 v43, v42, v41
	s_delay_alu instid0(VALU_DEP_2) | instskip(NEXT) | instid1(VALU_DEP_2)
	v_add_f32_e32 v7, v7, v47
	v_fma_f32 v42, v41, v42, -v43
	s_delay_alu instid0(VALU_DEP_1) | instskip(NEXT) | instid1(VALU_DEP_1)
	v_fmac_f32_e32 v42, v41, v11
	v_add_f32_e32 v11, v43, v42
	s_delay_alu instid0(VALU_DEP_1) | instskip(NEXT) | instid1(VALU_DEP_1)
	v_sub_f32_e32 v46, v10, v11
	v_dual_sub_f32 v43, v11, v43 :: v_dual_sub_f32 v10, v10, v46
	s_delay_alu instid0(VALU_DEP_1) | instskip(NEXT) | instid1(VALU_DEP_1)
	v_dual_sub_f32 v10, v10, v11 :: v_dual_sub_f32 v11, v43, v42
	v_dual_add_f32 v7, v7, v10 :: v_dual_add_f32 v10, v44, v41
	s_delay_alu instid0(VALU_DEP_1) | instskip(NEXT) | instid1(VALU_DEP_2)
	v_add_f32_e32 v7, v11, v7
	v_sub_f32_e32 v11, v10, v44
	s_delay_alu instid0(VALU_DEP_2) | instskip(NEXT) | instid1(VALU_DEP_2)
	v_add_f32_e32 v7, v46, v7
	v_sub_f32_e32 v11, v41, v11
	s_delay_alu instid0(VALU_DEP_2) | instskip(NEXT) | instid1(VALU_DEP_1)
	v_mul_f32_e32 v7, v9, v7
	v_add_f32_e32 v7, v11, v7
	s_delay_alu instid0(VALU_DEP_1) | instskip(NEXT) | instid1(VALU_DEP_1)
	v_add_f32_e32 v9, v10, v7
	v_mul_f32_e32 v11, v9, v9
	s_delay_alu instid0(VALU_DEP_1) | instskip(NEXT) | instid1(VALU_DEP_1)
	v_fmaak_f32 v41, s42, v11, 0x3ecc95a3
	v_dual_mul_f32 v42, v9, v11 :: v_dual_fmaak_f32 v11, v11, v41, 0x3f2aaada
	v_ldexp_f32 v41, v9, 1
	v_sub_f32_e32 v9, v9, v10
	s_delay_alu instid0(VALU_DEP_3) | instskip(NEXT) | instid1(VALU_DEP_1)
	v_dual_mul_f32 v11, v42, v11 :: v_dual_mul_f32 v42, 0x3f317218, v6
	v_dual_sub_f32 v7, v7, v9 :: v_dual_add_f32 v10, v41, v11
	s_delay_alu instid0(VALU_DEP_1) | instskip(NEXT) | instid1(VALU_DEP_2)
	v_ldexp_f32 v7, v7, 1
	v_sub_f32_e32 v9, v10, v41
	s_delay_alu instid0(VALU_DEP_4) | instskip(NEXT) | instid1(VALU_DEP_2)
	v_fma_f32 v41, 0x3f317218, v6, -v42
	v_sub_f32_e32 v9, v11, v9
	s_delay_alu instid0(VALU_DEP_1) | instskip(NEXT) | instid1(VALU_DEP_1)
	v_dual_fmac_f32 v41, 0xb102e308, v6 :: v_dual_add_f32 v6, v7, v9
	v_add_f32_e32 v7, v42, v41
	s_delay_alu instid0(VALU_DEP_2) | instskip(NEXT) | instid1(VALU_DEP_2)
	v_add_f32_e32 v9, v10, v6
	v_sub_f32_e32 v42, v7, v42
	s_delay_alu instid0(VALU_DEP_2) | instskip(NEXT) | instid1(VALU_DEP_2)
	v_dual_add_f32 v11, v7, v9 :: v_dual_sub_f32 v10, v9, v10
	v_sub_f32_e32 v41, v41, v42
	s_delay_alu instid0(VALU_DEP_2) | instskip(NEXT) | instid1(VALU_DEP_1)
	v_dual_sub_f32 v43, v11, v7 :: v_dual_sub_f32 v6, v6, v10
	v_sub_f32_e32 v44, v11, v43
	v_sub_f32_e32 v9, v9, v43
	s_delay_alu instid0(VALU_DEP_2) | instskip(NEXT) | instid1(VALU_DEP_1)
	v_dual_add_f32 v10, v41, v6 :: v_dual_sub_f32 v7, v7, v44
	v_add_f32_e32 v7, v9, v7
	s_delay_alu instid0(VALU_DEP_2) | instskip(NEXT) | instid1(VALU_DEP_2)
	v_sub_f32_e32 v9, v10, v41
	v_add_f32_e32 v7, v10, v7
	s_delay_alu instid0(VALU_DEP_2) | instskip(SKIP_1) | instid1(VALU_DEP_3)
	v_sub_f32_e32 v10, v10, v9
	v_sub_f32_e32 v6, v6, v9
	v_add_f32_e32 v42, v11, v7
	s_delay_alu instid0(VALU_DEP_1) | instskip(NEXT) | instid1(VALU_DEP_1)
	v_dual_sub_f32 v10, v41, v10 :: v_dual_sub_f32 v9, v42, v11
	v_dual_add_f32 v6, v6, v10 :: v_dual_sub_f32 v7, v7, v9
	s_delay_alu instid0(VALU_DEP_1) | instskip(NEXT) | instid1(VALU_DEP_1)
	v_add_f32_e32 v6, v6, v7
	v_add_f32_e32 v6, v42, v6
	s_delay_alu instid0(VALU_DEP_1)
	v_cndmask_b32_e32 v46, v6, v8, vcc_lo
.LBB128_34:                             ;   in Loop: Header=BB128_12 Depth=1
	s_or_b32 exec_lo, exec_lo, s17
	v_dual_mul_f32 v41, s59, v4 :: v_dual_mul_f32 v42, s59, v3
	v_dual_mul_f32 v44, s59, v2 :: v_dual_mul_f32 v43, s59, v5
	s_and_b32 vcc_lo, exec_lo, s67
	s_barrier
	buffer_gl0_inv
	s_cbranch_vccz .LBB128_82
; %bb.35:                               ;   in Loop: Header=BB128_12 Depth=1
	v_dual_mul_f32 v47, v5, v46 :: v_dual_mul_f32 v52, v4, v45
	v_add_co_u32 v5, s16, s49, v37
	s_delay_alu instid0(VALU_DEP_1) | instskip(SKIP_1) | instid1(VALU_DEP_1)
	v_add_co_ci_u32_e64 v6, null, s50, 0, s16
	v_add_co_u32 v7, s16, s37, v37
	v_add_co_ci_u32_e64 v8, null, s62, 0, s16
	s_delay_alu instid0(VALU_DEP_4) | instskip(NEXT) | instid1(VALU_DEP_4)
	v_add_co_u32 v48, vcc_lo, v5, v38
	v_add_co_ci_u32_e32 v49, vcc_lo, 0, v6, vcc_lo
	s_delay_alu instid0(VALU_DEP_4) | instskip(NEXT) | instid1(VALU_DEP_4)
	v_add_co_u32 v50, vcc_lo, v7, v38
	v_add_co_ci_u32_e32 v51, vcc_lo, 0, v8, vcc_lo
	v_cmp_gt_u32_e32 vcc_lo, s19, v12
	v_cmp_gt_u32_e64 s17, s19, v34
	v_cmp_gt_u32_e64 s18, s19, v35
	;; [unrolled: 1-line block ×3, first 2 shown]
	s_cmp_lg_u32 s54, 0
	v_dual_mul_f32 v53, v3, v40 :: v_dual_mul_f32 v54, v2, v39
	s_cselect_b32 s31, -1, 0
	s_cmp_eq_u32 s54, s69
	s_mov_b32 s28, s24
	s_cselect_b32 s55, -1, 0
	s_or_b32 s16, s68, vcc_lo
	s_or_b32 s17, s68, s17
	s_or_b32 s18, s68, s18
	;; [unrolled: 1-line block ×3, first 2 shown]
	s_mov_b32 s34, 0
	s_mov_b32 s38, 0
	;; [unrolled: 1-line block ×5, first 2 shown]
	s_branch .LBB128_37
.LBB128_36:                             ;   in Loop: Header=BB128_37 Depth=2
	s_or_b32 exec_lo, exec_lo, s20
	v_cndmask_b32_e64 v6, v64, v11, s11
	v_cndmask_b32_e64 v7, v63, v10, s11
	s_add_i32 s56, s56, -1
	s_add_i32 s57, s57, 8
	s_add_i32 s40, s40, s52
	v_fma_f32 v6, v6, v62, v60
	v_mul_f32_e32 v7, v7, v62
	s_add_i32 s38, s38, s36
	s_add_i32 s34, s34, s48
	;; [unrolled: 1-line block ×3, first 2 shown]
	v_cndmask_b32_e64 v6, v6, v60, s10
	v_cndmask_b32_e64 v7, v7, v62, s10
	s_cmp_eq_u32 s56, 0
	s_waitcnt lgkmcnt(0)
	s_delay_alu instid0(VALU_DEP_1) | instskip(NEXT) | instid1(VALU_DEP_1)
	v_fmac_f32_e32 v6, v8, v7
	v_fmac_f32_e32 v55, v6, v59
	s_delay_alu instid0(VALU_DEP_1) | instskip(NEXT) | instid1(VALU_DEP_1)
	v_fmac_f32_e32 v56, v55, v61
	v_fmac_f32_e32 v57, v56, v58
	v_dual_fmac_f32 v41, v2, v56 :: v_dual_fmac_f32 v44, v4, v6
	s_delay_alu instid0(VALU_DEP_2)
	v_dual_fmac_f32 v42, v5, v55 :: v_dual_fmac_f32 v43, v3, v57
	s_cbranch_scc1 .LBB128_82
.LBB128_37:                             ;   Parent Loop BB128_12 Depth=1
                                        ; =>  This Inner Loop Header: Depth=2
	s_lshl_b64 s[20:21], s[28:29], 2
	s_mov_b32 s35, s29
	s_add_u32 s20, s61, s20
	s_addc_u32 s21, s46, s21
	s_mov_b32 s25, s24
	global_load_b32 v55, v1, s[20:21]
	s_lshl_b64 s[20:21], s[34:35], 2
	s_mov_b32 s26, s24
	s_mov_b32 s27, s24
	v_add_co_u32 v6, vcc_lo, v48, s20
	v_dual_mov_b32 v2, s24 :: v_dual_mov_b32 v3, s25
	v_add_co_ci_u32_e32 v7, vcc_lo, s21, v49, vcc_lo
	v_dual_mov_b32 v4, s26 :: v_dual_mov_b32 v5, s27
	v_mov_b32_e32 v8, 0
	s_and_saveexec_b32 s20, s12
	s_cbranch_execnz .LBB128_49
; %bb.38:                               ;   in Loop: Header=BB128_37 Depth=2
	s_or_b32 exec_lo, exec_lo, s20
	s_and_saveexec_b32 s20, s13
	s_cbranch_execnz .LBB128_50
.LBB128_39:                             ;   in Loop: Header=BB128_37 Depth=2
	s_or_b32 exec_lo, exec_lo, s20
	s_and_saveexec_b32 s20, s14
	s_cbranch_execnz .LBB128_51
.LBB128_40:                             ;   in Loop: Header=BB128_37 Depth=2
	s_or_b32 exec_lo, exec_lo, s20
	s_and_saveexec_b32 s20, s15
	s_cbranch_execz .LBB128_42
.LBB128_41:                             ;   in Loop: Header=BB128_37 Depth=2
	global_load_b32 v5, v[6:7], off offset:384
.LBB128_42:                             ;   in Loop: Header=BB128_37 Depth=2
	s_or_b32 exec_lo, exec_lo, s20
	s_waitcnt vmcnt(0)
	ds_store_b32 v17, v8
	ds_store_b32 v18, v3 offset:128
	ds_store_b32 v19, v4 offset:256
	;; [unrolled: 1-line block ×3, first 2 shown]
	; wave barrier
	ds_load_2addr_b32 v[10:11], v21 offset1:1
	ds_load_2addr_b32 v[8:9], v21 offset0:2 offset1:3
	s_mov_b32 s39, s29
	s_mov_b32 s72, s29
	s_lshl_b64 s[20:21], s[38:39], 2
	s_mov_b32 s73, s29
	s_mov_b32 s74, s29
	;; [unrolled: 1-line block ×3, first 2 shown]
	v_add_co_u32 v6, vcc_lo, v50, s20
	v_dual_mov_b32 v2, s72 :: v_dual_mov_b32 v3, s73
	v_add_co_ci_u32_e32 v7, vcc_lo, s21, v51, vcc_lo
	v_dual_mov_b32 v4, s74 :: v_dual_mov_b32 v5, s75
	v_mov_b32_e32 v56, 0
	s_and_saveexec_b32 s20, s12
	s_cbranch_execnz .LBB128_52
; %bb.43:                               ;   in Loop: Header=BB128_37 Depth=2
	s_or_b32 exec_lo, exec_lo, s20
	s_and_saveexec_b32 s20, s13
	s_cbranch_execnz .LBB128_53
.LBB128_44:                             ;   in Loop: Header=BB128_37 Depth=2
	s_or_b32 exec_lo, exec_lo, s20
	s_and_saveexec_b32 s20, s14
	s_cbranch_execnz .LBB128_54
.LBB128_45:                             ;   in Loop: Header=BB128_37 Depth=2
	s_or_b32 exec_lo, exec_lo, s20
	s_and_saveexec_b32 s20, s15
	s_cbranch_execz .LBB128_47
.LBB128_46:                             ;   in Loop: Header=BB128_37 Depth=2
	global_load_b32 v5, v[6:7], off offset:384
.LBB128_47:                             ;   in Loop: Header=BB128_37 Depth=2
	s_or_b32 exec_lo, exec_lo, s20
	v_add_nc_u32_e32 v2, 0x420, v21
	s_waitcnt vmcnt(0)
	ds_store_b32 v17, v56 offset:1056
	ds_store_b32 v22, v3 offset:128
	;; [unrolled: 1-line block ×4, first 2 shown]
	; wave barrier
	ds_load_2addr_b32 v[4:5], v2 offset1:1
	ds_load_2addr_b32 v[2:3], v25 offset0:2 offset1:3
	s_and_not1_b32 vcc_lo, exec_lo, s31
	s_cbranch_vccnz .LBB128_55
; %bb.48:                               ;   in Loop: Header=BB128_37 Depth=2
	v_mov_b32_e32 v6, s57
	ds_load_b64 v[6:7], v6
	s_cbranch_execz .LBB128_56
	s_branch .LBB128_59
.LBB128_49:                             ;   in Loop: Header=BB128_37 Depth=2
	global_load_b32 v8, v[6:7], off
	v_mov_b32_e32 v3, v1
	v_mov_b32_e32 v2, v1
	s_delay_alu instid0(VALU_DEP_2) | instskip(NEXT) | instid1(VALU_DEP_2)
	v_mov_b32_e32 v5, v3
	v_dual_mov_b32 v4, v2 :: v_dual_mov_b32 v3, v1
	v_mov_b32_e32 v2, v0
	s_or_b32 exec_lo, exec_lo, s20
	s_and_saveexec_b32 s20, s13
	s_cbranch_execz .LBB128_39
.LBB128_50:                             ;   in Loop: Header=BB128_37 Depth=2
	global_load_b32 v3, v[6:7], off offset:128
	s_or_b32 exec_lo, exec_lo, s20
	s_and_saveexec_b32 s20, s14
	s_cbranch_execz .LBB128_40
.LBB128_51:                             ;   in Loop: Header=BB128_37 Depth=2
	global_load_b32 v4, v[6:7], off offset:256
	s_or_b32 exec_lo, exec_lo, s20
	s_and_saveexec_b32 s20, s15
	s_cbranch_execnz .LBB128_41
	s_branch .LBB128_42
.LBB128_52:                             ;   in Loop: Header=BB128_37 Depth=2
	global_load_b32 v56, v[6:7], off
	v_mov_b32_e32 v3, v1
	v_mov_b32_e32 v2, v1
	s_delay_alu instid0(VALU_DEP_2) | instskip(NEXT) | instid1(VALU_DEP_2)
	v_mov_b32_e32 v5, v3
	v_dual_mov_b32 v4, v2 :: v_dual_mov_b32 v3, v1
	v_mov_b32_e32 v2, v0
	s_or_b32 exec_lo, exec_lo, s20
	s_and_saveexec_b32 s20, s13
	s_cbranch_execz .LBB128_44
.LBB128_53:                             ;   in Loop: Header=BB128_37 Depth=2
	global_load_b32 v3, v[6:7], off offset:128
	s_or_b32 exec_lo, exec_lo, s20
	s_and_saveexec_b32 s20, s14
	s_cbranch_execz .LBB128_45
.LBB128_54:                             ;   in Loop: Header=BB128_37 Depth=2
	global_load_b32 v4, v[6:7], off offset:256
	s_or_b32 exec_lo, exec_lo, s20
	s_and_saveexec_b32 s20, s15
	s_cbranch_execnz .LBB128_46
	s_branch .LBB128_47
.LBB128_55:                             ;   in Loop: Header=BB128_37 Depth=2
                                        ; implicit-def: $vgpr6
.LBB128_56:                             ;   in Loop: Header=BB128_37 Depth=2
	s_waitcnt lgkmcnt(0)
	v_mov_b32_e32 v7, 0
	s_and_not1_b32 vcc_lo, exec_lo, s33
	s_cbranch_vccnz .LBB128_58
; %bb.57:                               ;   in Loop: Header=BB128_37 Depth=2
	s_mov_b32 s41, s29
	s_delay_alu instid0(SALU_CYCLE_1) | instskip(NEXT) | instid1(SALU_CYCLE_1)
	s_lshl_b64 s[20:21], s[40:41], 2
	s_add_u32 s20, s53, s20
	s_addc_u32 s21, s63, s21
	global_load_b32 v7, v1, s[20:21]
.LBB128_58:                             ;   in Loop: Header=BB128_37 Depth=2
	v_mov_b32_e32 v6, 1.0
.LBB128_59:                             ;   in Loop: Header=BB128_37 Depth=2
	s_waitcnt lgkmcnt(7)
	v_dual_mul_f32 v55, 0x3fb8aa3b, v55 :: v_dual_mul_f32 v10, v10, v54
	s_waitcnt lgkmcnt(6)
	v_dual_mul_f32 v11, v11, v53 :: v_dual_mul_f32 v8, v8, v52
	v_mul_f32_e32 v9, v9, v47
	s_delay_alu instid0(VALU_DEP_3) | instskip(SKIP_2) | instid1(VALU_DEP_3)
	v_mul_f32_e32 v57, v55, v40
	v_mul_f32_e32 v58, v55, v45
	;; [unrolled: 1-line block ×3, first 2 shown]
	v_cmp_gt_f32_e64 s20, 0xc2fc0000, v57
	s_delay_alu instid0(VALU_DEP_3) | instskip(NEXT) | instid1(VALU_DEP_3)
	v_cmp_gt_f32_e64 s21, 0xc2fc0000, v58
	v_cmp_gt_f32_e64 s22, 0xc2fc0000, v59
	s_delay_alu instid0(VALU_DEP_3) | instskip(SKIP_1) | instid1(VALU_DEP_4)
	v_cndmask_b32_e64 v57, 0, 0x42800000, s20
	v_cndmask_b32_e64 v60, 1.0, 0x1f800000, s20
	v_cndmask_b32_e64 v58, 0, 0x42800000, s21
	s_delay_alu instid0(VALU_DEP_4) | instskip(SKIP_2) | instid1(VALU_DEP_4)
	v_cndmask_b32_e64 v59, 0, 0x42800000, s22
	v_cndmask_b32_e64 v61, 1.0, 0x1f800000, s21
	v_fmac_f32_e32 v57, v55, v40
	v_fmac_f32_e32 v58, v55, v45
	s_delay_alu instid0(VALU_DEP_4) | instskip(NEXT) | instid1(VALU_DEP_3)
	v_fmac_f32_e32 v59, v55, v46
	v_exp_f32_e32 v57, v57
	v_mul_f32_e32 v56, v55, v39
	s_delay_alu instid0(VALU_DEP_2)
	v_exp_f32_e32 v63, v59
	s_waitcnt_depctr 0xfff
	v_mul_f32_e32 v57, v57, v60
	v_cmp_gt_f32_e32 vcc_lo, 0xc2fc0000, v56
	v_cndmask_b32_e64 v60, 0, v10, s16
	v_cndmask_b32_e64 v10, 1.0, 0x1f800000, s22
	s_delay_alu instid0(VALU_DEP_4) | instskip(SKIP_2) | instid1(VALU_DEP_2)
	v_cndmask_b32_e64 v59, 1.0, v57, s17
	v_cndmask_b32_e64 v56, 0, 0x42800000, vcc_lo
	v_cndmask_b32_e64 v57, 0, v9, s19
	v_fmac_f32_e32 v56, v55, v39
	v_exp_f32_e32 v55, v58
	v_cndmask_b32_e64 v58, 1.0, 0x1f800000, vcc_lo
	s_delay_alu instid0(VALU_DEP_2) | instskip(SKIP_4) | instid1(VALU_DEP_3)
	v_exp_f32_e32 v56, v56
	s_waitcnt_depctr 0xfff
	v_mul_f32_e32 v56, v56, v58
	v_mul_f32_e32 v58, v55, v61
	v_cndmask_b32_e64 v55, 0, v11, s17
	v_cndmask_b32_e64 v62, 1.0, v56, s16
	v_cndmask_b32_e64 v56, 0, v8, s18
	v_mul_f32_e32 v8, v63, v10
	v_cndmask_b32_e64 v61, 1.0, v58, s18
	v_fma_f32 v11, v59, v60, v55
	v_mul_f32_e32 v10, v59, v62
	s_delay_alu instid0(VALU_DEP_4) | instskip(NEXT) | instid1(VALU_DEP_3)
	v_cndmask_b32_e64 v58, 1.0, v8, s19
	v_fma_f32 v9, v11, v61, v56
	s_delay_alu instid0(VALU_DEP_3) | instskip(NEXT) | instid1(VALU_DEP_2)
	v_mul_f32_e32 v8, v10, v61
	v_fma_f32 v9, v9, v58, v57
	s_delay_alu instid0(VALU_DEP_2) | instskip(NEXT) | instid1(VALU_DEP_2)
	v_mul_f32_e32 v8, v8, v58
	v_mov_b32_dpp v10, v9 row_shr:1 row_mask:0xf bank_mask:0xf
	s_delay_alu instid0(VALU_DEP_2)
	v_mov_b32_dpp v11, v8 row_shr:1 row_mask:0xf bank_mask:0xf
	s_and_saveexec_b32 s20, s0
; %bb.60:                               ;   in Loop: Header=BB128_37 Depth=2
	s_delay_alu instid0(VALU_DEP_1) | instskip(NEXT) | instid1(VALU_DEP_1)
	v_mul_f32_e32 v11, v8, v11
	v_dual_fmac_f32 v9, v8, v10 :: v_dual_mov_b32 v8, v11
; %bb.61:                               ;   in Loop: Header=BB128_37 Depth=2
	s_or_b32 exec_lo, exec_lo, s20
	s_delay_alu instid0(VALU_DEP_1) | instskip(NEXT) | instid1(VALU_DEP_2)
	v_mov_b32_dpp v10, v8 row_shr:2 row_mask:0xf bank_mask:0xf
	v_mov_b32_dpp v11, v9 row_shr:2 row_mask:0xf bank_mask:0xf
	s_and_saveexec_b32 s20, s1
; %bb.62:                               ;   in Loop: Header=BB128_37 Depth=2
	s_delay_alu instid0(VALU_DEP_1) | instskip(NEXT) | instid1(VALU_DEP_3)
	v_fmac_f32_e32 v9, v8, v11
	v_mul_f32_e32 v8, v8, v10
; %bb.63:                               ;   in Loop: Header=BB128_37 Depth=2
	s_or_b32 exec_lo, exec_lo, s20
	s_delay_alu instid0(VALU_DEP_1) | instskip(NEXT) | instid1(VALU_DEP_3)
	v_mov_b32_dpp v10, v8 row_shr:4 row_mask:0xf bank_mask:0xf
	v_mov_b32_dpp v11, v9 row_shr:4 row_mask:0xf bank_mask:0xf
	s_and_saveexec_b32 s20, s2
; %bb.64:                               ;   in Loop: Header=BB128_37 Depth=2
	s_delay_alu instid0(VALU_DEP_1) | instskip(NEXT) | instid1(VALU_DEP_3)
	v_fmac_f32_e32 v9, v8, v11
	v_mul_f32_e32 v8, v8, v10
; %bb.65:                               ;   in Loop: Header=BB128_37 Depth=2
	s_or_b32 exec_lo, exec_lo, s20
	s_delay_alu instid0(VALU_DEP_1) | instskip(NEXT) | instid1(VALU_DEP_3)
	v_mov_b32_dpp v10, v8 row_shr:8 row_mask:0xf bank_mask:0xf
	v_mov_b32_dpp v11, v9 row_shr:8 row_mask:0xf bank_mask:0xf
	s_and_saveexec_b32 s20, s3
; %bb.66:                               ;   in Loop: Header=BB128_37 Depth=2
	s_delay_alu instid0(VALU_DEP_1) | instskip(NEXT) | instid1(VALU_DEP_3)
	v_fmac_f32_e32 v9, v8, v11
	v_mul_f32_e32 v8, v8, v10
; %bb.67:                               ;   in Loop: Header=BB128_37 Depth=2
	s_or_b32 exec_lo, exec_lo, s20
	ds_swizzle_b32 v11, v8 offset:swizzle(BROADCAST,32,15)
	ds_swizzle_b32 v10, v9 offset:swizzle(BROADCAST,32,15)
	s_and_saveexec_b32 s20, s4
	s_cbranch_execz .LBB128_69
; %bb.68:                               ;   in Loop: Header=BB128_37 Depth=2
	s_waitcnt lgkmcnt(1)
	v_mul_f32_e32 v11, v8, v11
	s_waitcnt lgkmcnt(0)
	s_delay_alu instid0(VALU_DEP_1)
	v_dual_fmac_f32 v9, v8, v10 :: v_dual_mov_b32 v8, v11
.LBB128_69:                             ;   in Loop: Header=BB128_37 Depth=2
	s_or_b32 exec_lo, exec_lo, s20
	s_and_saveexec_b32 s20, s5
	s_cbranch_execz .LBB128_71
; %bb.70:                               ;   in Loop: Header=BB128_37 Depth=2
	ds_store_b64 v26, v[8:9] offset:2112
.LBB128_71:                             ;   in Loop: Header=BB128_37 Depth=2
	s_or_b32 exec_lo, exec_lo, s20
	s_waitcnt vmcnt(0) lgkmcnt(0)
	s_waitcnt_vscnt null, 0x0
	s_barrier
	buffer_gl0_inv
	s_and_saveexec_b32 s20, s6
	s_cbranch_execz .LBB128_73
; %bb.72:                               ;   in Loop: Header=BB128_37 Depth=2
	ds_load_b64 v[10:11], v27 offset:2112
	s_waitcnt lgkmcnt(0)
	v_mov_b32_dpp v63, v10 row_shr:1 row_mask:0xf bank_mask:0xf
	v_mov_b32_dpp v64, v11 row_shr:1 row_mask:0xf bank_mask:0xf
	s_delay_alu instid0(VALU_DEP_2) | instskip(NEXT) | instid1(VALU_DEP_2)
	v_mul_f32_e32 v63, v10, v63
	v_fma_f32 v64, v10, v64, v11
	s_delay_alu instid0(VALU_DEP_2) | instskip(NEXT) | instid1(VALU_DEP_2)
	v_cndmask_b32_e64 v10, v63, v10, s7
	v_cndmask_b32_e64 v11, v64, v11, s7
	ds_store_b64 v27, v[10:11] offset:2112
.LBB128_73:                             ;   in Loop: Header=BB128_37 Depth=2
	s_or_b32 exec_lo, exec_lo, s20
	s_waitcnt lgkmcnt(0)
	s_barrier
	buffer_gl0_inv
                                        ; implicit-def: $vgpr11
	s_and_saveexec_b32 s20, s9
	s_cbranch_execz .LBB128_75
; %bb.74:                               ;   in Loop: Header=BB128_37 Depth=2
	ds_load_b64 v[10:11], v26 offset:2104
	s_waitcnt lgkmcnt(0)
	v_mul_f32_e32 v63, v8, v10
	s_delay_alu instid0(VALU_DEP_1)
	v_dual_fmac_f32 v9, v8, v11 :: v_dual_mov_b32 v8, v63
.LBB128_75:                             ;   in Loop: Header=BB128_37 Depth=2
	s_or_b32 exec_lo, exec_lo, s20
	ds_bpermute_b32 v63, v28, v8
	ds_bpermute_b32 v64, v28, v9
	s_and_saveexec_b32 s20, s8
	s_cbranch_execz .LBB128_79
; %bb.76:                               ;   in Loop: Header=BB128_37 Depth=2
	ds_load_b64 v[8:9], v1 offset:2120
	s_and_saveexec_b32 s21, s10
	s_cbranch_execz .LBB128_78
; %bb.77:                               ;   in Loop: Header=BB128_37 Depth=2
	ds_store_b64 v1, v[6:7] offset:2120
.LBB128_78:                             ;   in Loop: Header=BB128_37 Depth=2
	s_or_b32 exec_lo, exec_lo, s21
	s_waitcnt lgkmcnt(0)
	v_fmac_f32_e32 v9, v7, v8
	s_delay_alu instid0(VALU_DEP_1)
	v_dual_mul_f32 v6, v6, v8 :: v_dual_mov_b32 v7, v9
.LBB128_79:                             ;   in Loop: Header=BB128_37 Depth=2
	s_or_b32 exec_lo, exec_lo, s20
	s_waitcnt lgkmcnt(0)
	s_barrier
	buffer_gl0_inv
	ds_load_b32 v8, v1 offset:2124
	s_and_saveexec_b32 s20, s10
	s_cbranch_execz .LBB128_36
; %bb.80:                               ;   in Loop: Header=BB128_37 Depth=2
	v_mov_b32_e32 v9, s57
	s_and_not1_b32 vcc_lo, exec_lo, s55
	ds_store_b64 v9, v[6:7]
	s_cbranch_vccnz .LBB128_36
; %bb.81:                               ;   in Loop: Header=BB128_37 Depth=2
	s_mov_b32 s41, s29
	s_delay_alu instid0(SALU_CYCLE_1) | instskip(NEXT) | instid1(SALU_CYCLE_1)
	s_lshl_b64 s[26:27], s[40:41], 2
	s_add_u32 s26, s53, s26
	s_addc_u32 s27, s63, s27
	global_store_b32 v1, v7, s[26:27]
	s_branch .LBB128_36
.LBB128_82:                             ;   in Loop: Header=BB128_12 Depth=1
	s_waitcnt_vscnt null, 0x0
	s_barrier
	buffer_gl0_inv
	ds_store_2addr_b32 v21, v44, v42 offset1:1
	ds_store_2addr_b32 v21, v41, v43 offset0:2 offset1:3
	; wave barrier
	ds_load_b32 v6, v18 offset:128
	ds_load_b32 v5, v19 offset:256
	;; [unrolled: 1-line block ×3, first 2 shown]
	s_mov_b32 s31, s29
	s_delay_alu instid0(SALU_CYCLE_1) | instskip(NEXT) | instid1(SALU_CYCLE_1)
	s_lshl_b64 s[20:21], s[30:31], 2
	v_add_co_u32 v2, vcc_lo, v0, s20
	v_add_co_ci_u32_e32 v3, vcc_lo, s21, v29, vcc_lo
	s_and_saveexec_b32 s16, s12
	s_cbranch_execnz .LBB128_98
; %bb.83:                               ;   in Loop: Header=BB128_12 Depth=1
	s_or_b32 exec_lo, exec_lo, s16
	s_and_saveexec_b32 s16, s13
	s_cbranch_execnz .LBB128_99
.LBB128_84:                             ;   in Loop: Header=BB128_12 Depth=1
	s_or_b32 exec_lo, exec_lo, s16
	s_and_saveexec_b32 s16, s14
	s_cbranch_execnz .LBB128_100
.LBB128_85:                             ;   in Loop: Header=BB128_12 Depth=1
	s_or_b32 exec_lo, exec_lo, s16
	s_and_saveexec_b32 s16, s15
	s_cbranch_execz .LBB128_87
.LBB128_86:                             ;   in Loop: Header=BB128_12 Depth=1
	s_waitcnt lgkmcnt(0)
	global_store_b32 v[2:3], v4, off offset:384
.LBB128_87:                             ;   in Loop: Header=BB128_12 Depth=1
	s_or_b32 exec_lo, exec_lo, s16
	s_mov_b32 s28, s29
	s_mov_b32 s30, s29
	;; [unrolled: 1-line block ×3, first 2 shown]
	s_waitcnt lgkmcnt(2)
	v_add_co_u32 v6, vcc_lo, v30, s20
	s_waitcnt lgkmcnt(0)
	v_dual_mov_b32 v2, s28 :: v_dual_mov_b32 v3, s29
	v_add_co_ci_u32_e32 v7, vcc_lo, s21, v31, vcc_lo
	v_dual_mov_b32 v4, s30 :: v_dual_mov_b32 v5, s31
	v_mov_b32_e32 v8, 0
	s_waitcnt_vscnt null, 0x0
	s_barrier
	buffer_gl0_inv
	s_and_saveexec_b32 s16, s12
	s_cbranch_execnz .LBB128_101
; %bb.88:                               ;   in Loop: Header=BB128_12 Depth=1
	s_or_b32 exec_lo, exec_lo, s16
	s_and_saveexec_b32 s16, s13
	s_cbranch_execnz .LBB128_102
.LBB128_89:                             ;   in Loop: Header=BB128_12 Depth=1
	s_or_b32 exec_lo, exec_lo, s16
	s_and_saveexec_b32 s16, s14
	s_cbranch_execnz .LBB128_103
.LBB128_90:                             ;   in Loop: Header=BB128_12 Depth=1
	s_or_b32 exec_lo, exec_lo, s16
	s_and_saveexec_b32 s16, s15
	s_cbranch_execz .LBB128_92
.LBB128_91:                             ;   in Loop: Header=BB128_12 Depth=1
	global_load_b32 v5, v[6:7], off offset:384
.LBB128_92:                             ;   in Loop: Header=BB128_12 Depth=1
	s_or_b32 exec_lo, exec_lo, s16
	s_waitcnt vmcnt(0)
	ds_store_b32 v17, v8
	ds_store_b32 v18, v3 offset:128
	ds_store_b32 v19, v4 offset:256
	;; [unrolled: 1-line block ×3, first 2 shown]
	; wave barrier
	ds_load_2addr_b32 v[2:3], v21 offset1:1
	ds_load_2addr_b32 v[4:5], v21 offset0:2 offset1:3
	s_waitcnt lgkmcnt(0)
	s_barrier
	buffer_gl0_inv
	v_dual_mul_f32 v6, 0xbfb8aa3b, v2 :: v_dual_mul_f32 v7, 0xbfb8aa3b, v3
	v_dual_mul_f32 v8, 0xbfb8aa3b, v4 :: v_dual_mul_f32 v9, 0xbfb8aa3b, v5
	v_cmp_nlt_f32_e32 vcc_lo, 0x42ce8ed0, v2
	s_delay_alu instid0(VALU_DEP_3)
	v_rndne_f32_e32 v10, v6
	v_fma_f32 v11, 0xbfb8aa3b, v2, -v6
	v_rndne_f32_e32 v39, v7
	v_fma_f32 v40, 0xbfb8aa3b, v3, -v7
	v_rndne_f32_e32 v45, v8
	v_rndne_f32_e32 v47, v9
	v_fma_f32 v48, 0xbfb8aa3b, v5, -v9
	v_dual_sub_f32 v6, v6, v10 :: v_dual_sub_f32 v7, v7, v39
	v_dual_fmac_f32 v11, 0xb2a5705f, v2 :: v_dual_fmac_f32 v40, 0xb2a5705f, v3
	v_fma_f32 v46, 0xbfb8aa3b, v4, -v8
	v_dual_sub_f32 v8, v8, v45 :: v_dual_sub_f32 v9, v9, v47
	s_delay_alu instid0(VALU_DEP_3) | instskip(NEXT) | instid1(VALU_DEP_4)
	v_dual_fmac_f32 v48, 0xb2a5705f, v5 :: v_dual_add_f32 v7, v7, v40
	v_add_f32_e32 v6, v6, v11
	v_cvt_i32_f32_e32 v10, v10
	v_cvt_i32_f32_e32 v11, v39
	s_delay_alu instid0(VALU_DEP_4)
	v_add_f32_e32 v9, v9, v48
	v_exp_f32_e32 v7, v7
	v_exp_f32_e32 v6, v6
	v_cvt_i32_f32_e32 v40, v47
	v_cvt_i32_f32_e32 v39, v45
	v_exp_f32_e32 v9, v9
	s_delay_alu instid0(TRANS32_DEP_3) | instskip(SKIP_3) | instid1(VALU_DEP_2)
	v_ldexp_f32 v7, v7, v11
	s_waitcnt_depctr 0xfff
	v_ldexp_f32 v6, v6, v10
	v_ldexp_f32 v9, v9, v40
	v_cndmask_b32_e32 v6, 0, v6, vcc_lo
	v_cmp_nlt_f32_e32 vcc_lo, 0x42ce8ed0, v3
	v_dual_fmac_f32 v46, 0xb2a5705f, v4 :: v_dual_cndmask_b32 v7, 0, v7
	s_delay_alu instid0(VALU_DEP_1) | instskip(SKIP_1) | instid1(VALU_DEP_2)
	v_add_f32_e32 v8, v8, v46
	v_cmp_nlt_f32_e32 vcc_lo, 0x42ce8ed0, v4
	v_exp_f32_e32 v8, v8
	s_waitcnt_depctr 0xfff
	v_ldexp_f32 v8, v8, v39
	s_delay_alu instid0(VALU_DEP_1)
	v_cndmask_b32_e32 v8, 0, v8, vcc_lo
	v_cmp_nlt_f32_e32 vcc_lo, 0x42ce8ed0, v5
	v_cndmask_b32_e32 v9, 0, v9, vcc_lo
	v_cmp_ngt_f32_e32 vcc_lo, 0xc2b17218, v2
	v_cndmask_b32_e32 v6, 0x7f800000, v6, vcc_lo
	v_cmp_ngt_f32_e32 vcc_lo, 0xc2b17218, v3
	s_delay_alu instid0(VALU_DEP_2) | instskip(SKIP_1) | instid1(VALU_DEP_2)
	v_dual_add_f32 v6, 1.0, v6 :: v_dual_cndmask_b32 v7, 0x7f800000, v7
	v_cmp_ngt_f32_e32 vcc_lo, 0xc2b17218, v4
	v_div_scale_f32 v10, null, v6, v6, v2
	v_cndmask_b32_e32 v8, 0x7f800000, v8, vcc_lo
	v_cmp_ngt_f32_e32 vcc_lo, 0xc2b17218, v5
	v_add_f32_e32 v7, 1.0, v7
	s_delay_alu instid0(VALU_DEP_4) | instskip(NEXT) | instid1(VALU_DEP_3)
	v_rcp_f32_e32 v45, v10
	v_dual_add_f32 v8, 1.0, v8 :: v_dual_cndmask_b32 v9, 0x7f800000, v9
	s_delay_alu instid0(VALU_DEP_2) | instskip(SKIP_1) | instid1(VALU_DEP_3)
	v_div_scale_f32 v11, null, v7, v7, v3
	v_div_scale_f32 v50, s16, v3, v7, v3
	v_add_f32_e32 v9, 1.0, v9
	s_delay_alu instid0(VALU_DEP_3) | instskip(SKIP_1) | instid1(TRANS32_DEP_2)
	v_rcp_f32_e32 v46, v11
	v_div_scale_f32 v39, null, v8, v8, v4
	v_fma_f32 v52, -v10, v45, 1.0
	s_delay_alu instid0(VALU_DEP_3) | instskip(NEXT) | instid1(VALU_DEP_3)
	v_div_scale_f32 v40, null, v9, v9, v5
	v_rcp_f32_e32 v47, v39
	v_div_scale_f32 v56, s18, v5, v9, v5
	s_delay_alu instid0(VALU_DEP_2) | instskip(NEXT) | instid1(TRANS32_DEP_3)
	v_rcp_f32_e32 v48, v40
	v_fma_f32 v53, -v11, v46, 1.0
	v_div_scale_f32 v49, vcc_lo, v2, v6, v2
	v_fmac_f32_e32 v45, v52, v45
	v_div_scale_f32 v51, s17, v4, v8, v4
	s_delay_alu instid0(TRANS32_DEP_2) | instskip(SKIP_2) | instid1(VALU_DEP_1)
	v_fma_f32 v54, -v39, v47, 1.0
	s_waitcnt_depctr 0xfff
	v_fma_f32 v55, -v40, v48, 1.0
	v_dual_fmac_f32 v47, v54, v47 :: v_dual_fmac_f32 v48, v55, v48
	s_delay_alu instid0(VALU_DEP_1) | instskip(NEXT) | instid1(VALU_DEP_1)
	v_dual_fmac_f32 v46, v53, v46 :: v_dual_mul_f32 v55, v56, v48
	v_mul_f32_e32 v53, v50, v46
	s_delay_alu instid0(VALU_DEP_2) | instskip(NEXT) | instid1(VALU_DEP_2)
	v_fma_f32 v60, -v40, v55, v56
	v_fma_f32 v58, -v11, v53, v50
	v_mul_f32_e32 v52, v49, v45
	s_delay_alu instid0(VALU_DEP_3) | instskip(NEXT) | instid1(VALU_DEP_3)
	v_dual_mul_f32 v54, v51, v47 :: v_dual_fmac_f32 v55, v60, v48
	v_fmac_f32_e32 v53, v58, v46
	s_delay_alu instid0(VALU_DEP_3) | instskip(NEXT) | instid1(VALU_DEP_3)
	v_fma_f32 v57, -v10, v52, v49
	v_fma_f32 v59, -v39, v54, v51
	s_delay_alu instid0(VALU_DEP_4) | instskip(NEXT) | instid1(VALU_DEP_4)
	v_fma_f32 v40, -v40, v55, v56
	v_fma_f32 v11, -v11, v53, v50
	s_delay_alu instid0(VALU_DEP_4) | instskip(NEXT) | instid1(VALU_DEP_4)
	v_fmac_f32_e32 v52, v57, v45
	v_fmac_f32_e32 v54, v59, v47
	s_delay_alu instid0(VALU_DEP_2) | instskip(NEXT) | instid1(VALU_DEP_2)
	v_fma_f32 v10, -v10, v52, v49
	v_fma_f32 v39, -v39, v54, v51
	s_delay_alu instid0(VALU_DEP_2) | instskip(SKIP_3) | instid1(VALU_DEP_2)
	v_div_fmas_f32 v10, v10, v45, v52
	s_mov_b32 vcc_lo, s16
	v_div_fmas_f32 v11, v11, v46, v53
	s_mov_b32 vcc_lo, s17
	v_div_fixup_f32 v2, v10, v6, v2
	v_div_fmas_f32 v39, v39, v47, v54
	s_mov_b32 vcc_lo, s18
	v_div_fixup_f32 v3, v11, v7, v3
	v_div_fmas_f32 v40, v40, v48, v55
	s_delay_alu instid0(VALU_DEP_3) | instskip(NEXT) | instid1(VALU_DEP_3)
	v_div_fixup_f32 v4, v39, v8, v4
	v_mul_f32_e32 v3, v3, v42
	s_delay_alu instid0(VALU_DEP_3) | instskip(SKIP_1) | instid1(VALU_DEP_2)
	v_div_fixup_f32 v5, v40, v9, v5
	v_mul_f32_e32 v2, v2, v44
	v_dual_mul_f32 v4, v4, v41 :: v_dual_mul_f32 v5, v5, v43
	ds_store_2addr_b32 v21, v2, v3 offset1:1
	ds_store_2addr_b32 v21, v4, v5 offset0:2 offset1:3
	; wave barrier
	ds_load_b32 v6, v18 offset:128
	ds_load_b32 v5, v19 offset:256
	;; [unrolled: 1-line block ×3, first 2 shown]
	v_add_co_u32 v2, vcc_lo, v32, s20
	v_add_co_ci_u32_e32 v3, vcc_lo, s21, v33, vcc_lo
	s_and_saveexec_b32 s16, s12
	s_cbranch_execnz .LBB128_104
; %bb.93:                               ;   in Loop: Header=BB128_12 Depth=1
	s_or_b32 exec_lo, exec_lo, s16
	s_and_saveexec_b32 s12, s13
	s_cbranch_execnz .LBB128_105
.LBB128_94:                             ;   in Loop: Header=BB128_12 Depth=1
	s_or_b32 exec_lo, exec_lo, s12
	s_and_saveexec_b32 s12, s14
	s_cbranch_execnz .LBB128_106
.LBB128_95:                             ;   in Loop: Header=BB128_12 Depth=1
	s_or_b32 exec_lo, exec_lo, s12
	s_and_saveexec_b32 s12, s15
	s_cbranch_execz .LBB128_11
	s_branch .LBB128_107
.LBB128_96:                             ;   in Loop: Header=BB128_12 Depth=1
	global_load_b32 v10, v[6:7], off offset:128
	s_or_b32 exec_lo, exec_lo, s16
	s_and_saveexec_b32 s16, s14
	s_cbranch_execz .LBB128_24
.LBB128_97:                             ;   in Loop: Header=BB128_12 Depth=1
	global_load_b32 v9, v[6:7], off offset:256
	s_or_b32 exec_lo, exec_lo, s16
	v_mov_b32_e32 v11, 0
	s_and_saveexec_b32 s16, s15
	s_cbranch_execnz .LBB128_25
	s_branch .LBB128_26
.LBB128_98:                             ;   in Loop: Header=BB128_12 Depth=1
	ds_load_b32 v7, v17
	s_waitcnt lgkmcnt(0)
	global_store_b32 v[2:3], v7, off
	s_or_b32 exec_lo, exec_lo, s16
	s_and_saveexec_b32 s16, s13
	s_cbranch_execz .LBB128_84
.LBB128_99:                             ;   in Loop: Header=BB128_12 Depth=1
	s_waitcnt lgkmcnt(2)
	global_store_b32 v[2:3], v6, off offset:128
	s_or_b32 exec_lo, exec_lo, s16
	s_and_saveexec_b32 s16, s14
	s_cbranch_execz .LBB128_85
.LBB128_100:                            ;   in Loop: Header=BB128_12 Depth=1
	s_waitcnt lgkmcnt(1)
	global_store_b32 v[2:3], v5, off offset:256
	s_or_b32 exec_lo, exec_lo, s16
	s_and_saveexec_b32 s16, s15
	s_cbranch_execnz .LBB128_86
	s_branch .LBB128_87
.LBB128_101:                            ;   in Loop: Header=BB128_12 Depth=1
	global_load_b32 v8, v[6:7], off
	v_mov_b32_e32 v3, v1
	v_mov_b32_e32 v2, v1
	s_delay_alu instid0(VALU_DEP_2) | instskip(NEXT) | instid1(VALU_DEP_2)
	v_mov_b32_e32 v5, v3
	v_dual_mov_b32 v4, v2 :: v_dual_mov_b32 v3, v1
	v_mov_b32_e32 v2, v0
	s_or_b32 exec_lo, exec_lo, s16
	s_and_saveexec_b32 s16, s13
	s_cbranch_execz .LBB128_89
.LBB128_102:                            ;   in Loop: Header=BB128_12 Depth=1
	global_load_b32 v3, v[6:7], off offset:128
	s_or_b32 exec_lo, exec_lo, s16
	s_and_saveexec_b32 s16, s14
	s_cbranch_execz .LBB128_90
.LBB128_103:                            ;   in Loop: Header=BB128_12 Depth=1
	global_load_b32 v4, v[6:7], off offset:256
	s_or_b32 exec_lo, exec_lo, s16
	s_and_saveexec_b32 s16, s15
	s_cbranch_execnz .LBB128_91
	s_branch .LBB128_92
.LBB128_104:                            ;   in Loop: Header=BB128_12 Depth=1
	ds_load_b32 v7, v17
	s_waitcnt lgkmcnt(0)
	global_store_b32 v[2:3], v7, off
	s_or_b32 exec_lo, exec_lo, s16
	s_and_saveexec_b32 s12, s13
	s_cbranch_execz .LBB128_94
.LBB128_105:                            ;   in Loop: Header=BB128_12 Depth=1
	s_waitcnt lgkmcnt(2)
	global_store_b32 v[2:3], v6, off offset:128
	s_or_b32 exec_lo, exec_lo, s12
	s_and_saveexec_b32 s12, s14
	s_cbranch_execz .LBB128_95
.LBB128_106:                            ;   in Loop: Header=BB128_12 Depth=1
	s_waitcnt lgkmcnt(1)
	global_store_b32 v[2:3], v5, off offset:256
	s_or_b32 exec_lo, exec_lo, s12
	s_and_saveexec_b32 s12, s15
	s_cbranch_execz .LBB128_11
.LBB128_107:                            ;   in Loop: Header=BB128_12 Depth=1
	s_waitcnt lgkmcnt(0)
	global_store_b32 v[2:3], v4, off offset:384
	s_branch .LBB128_11
.LBB128_108:
	s_nop 0
	s_sendmsg sendmsg(MSG_DEALLOC_VGPRS)
	s_endpgm
	.section	.rodata,"a",@progbits
	.p2align	6, 0x0
	.amdhsa_kernel _Z25selective_scan_fwd_kernelI32Selective_Scan_fwd_kernel_traitsILi64ELi4ELi1ELb1ELb1ELb1ELb1ELb1EfffEEv13SSMParamsBase
		.amdhsa_group_segment_fixed_size 0
		.amdhsa_private_segment_fixed_size 0
		.amdhsa_kernarg_size 248
		.amdhsa_user_sgpr_count 14
		.amdhsa_user_sgpr_dispatch_ptr 0
		.amdhsa_user_sgpr_queue_ptr 0
		.amdhsa_user_sgpr_kernarg_segment_ptr 1
		.amdhsa_user_sgpr_dispatch_id 0
		.amdhsa_user_sgpr_private_segment_size 0
		.amdhsa_wavefront_size32 1
		.amdhsa_uses_dynamic_stack 0
		.amdhsa_enable_private_segment 0
		.amdhsa_system_sgpr_workgroup_id_x 1
		.amdhsa_system_sgpr_workgroup_id_y 1
		.amdhsa_system_sgpr_workgroup_id_z 0
		.amdhsa_system_sgpr_workgroup_info 0
		.amdhsa_system_vgpr_workitem_id 0
		.amdhsa_next_free_vgpr 65
		.amdhsa_next_free_sgpr 76
		.amdhsa_reserve_vcc 1
		.amdhsa_float_round_mode_32 0
		.amdhsa_float_round_mode_16_64 0
		.amdhsa_float_denorm_mode_32 3
		.amdhsa_float_denorm_mode_16_64 3
		.amdhsa_dx10_clamp 1
		.amdhsa_ieee_mode 1
		.amdhsa_fp16_overflow 0
		.amdhsa_workgroup_processor_mode 1
		.amdhsa_memory_ordered 1
		.amdhsa_forward_progress 0
		.amdhsa_shared_vgpr_count 0
		.amdhsa_exception_fp_ieee_invalid_op 0
		.amdhsa_exception_fp_denorm_src 0
		.amdhsa_exception_fp_ieee_div_zero 0
		.amdhsa_exception_fp_ieee_overflow 0
		.amdhsa_exception_fp_ieee_underflow 0
		.amdhsa_exception_fp_ieee_inexact 0
		.amdhsa_exception_int_div_zero 0
	.end_amdhsa_kernel
	.section	.text._Z25selective_scan_fwd_kernelI32Selective_Scan_fwd_kernel_traitsILi64ELi4ELi1ELb1ELb1ELb1ELb1ELb1EfffEEv13SSMParamsBase,"axG",@progbits,_Z25selective_scan_fwd_kernelI32Selective_Scan_fwd_kernel_traitsILi64ELi4ELi1ELb1ELb1ELb1ELb1ELb1EfffEEv13SSMParamsBase,comdat
.Lfunc_end128:
	.size	_Z25selective_scan_fwd_kernelI32Selective_Scan_fwd_kernel_traitsILi64ELi4ELi1ELb1ELb1ELb1ELb1ELb1EfffEEv13SSMParamsBase, .Lfunc_end128-_Z25selective_scan_fwd_kernelI32Selective_Scan_fwd_kernel_traitsILi64ELi4ELi1ELb1ELb1ELb1ELb1ELb1EfffEEv13SSMParamsBase
                                        ; -- End function
	.section	.AMDGPU.csdata,"",@progbits
; Kernel info:
; codeLenInByte = 8320
; NumSgprs: 78
; NumVgprs: 65
; ScratchSize: 0
; MemoryBound: 0
; FloatMode: 240
; IeeeMode: 1
; LDSByteSize: 0 bytes/workgroup (compile time only)
; SGPRBlocks: 9
; VGPRBlocks: 8
; NumSGPRsForWavesPerEU: 78
; NumVGPRsForWavesPerEU: 65
; Occupancy: 16
; WaveLimiterHint : 1
; COMPUTE_PGM_RSRC2:SCRATCH_EN: 0
; COMPUTE_PGM_RSRC2:USER_SGPR: 14
; COMPUTE_PGM_RSRC2:TRAP_HANDLER: 0
; COMPUTE_PGM_RSRC2:TGID_X_EN: 1
; COMPUTE_PGM_RSRC2:TGID_Y_EN: 1
; COMPUTE_PGM_RSRC2:TGID_Z_EN: 0
; COMPUTE_PGM_RSRC2:TIDIG_COMP_CNT: 0
	.section	.text._Z25selective_scan_fwd_kernelI32Selective_Scan_fwd_kernel_traitsILi64ELi4ELi1ELb1ELb1ELb1ELb1ELb0EfffEEv13SSMParamsBase,"axG",@progbits,_Z25selective_scan_fwd_kernelI32Selective_Scan_fwd_kernel_traitsILi64ELi4ELi1ELb1ELb1ELb1ELb1ELb0EfffEEv13SSMParamsBase,comdat
	.protected	_Z25selective_scan_fwd_kernelI32Selective_Scan_fwd_kernel_traitsILi64ELi4ELi1ELb1ELb1ELb1ELb1ELb0EfffEEv13SSMParamsBase ; -- Begin function _Z25selective_scan_fwd_kernelI32Selective_Scan_fwd_kernel_traitsILi64ELi4ELi1ELb1ELb1ELb1ELb1ELb0EfffEEv13SSMParamsBase
	.globl	_Z25selective_scan_fwd_kernelI32Selective_Scan_fwd_kernel_traitsILi64ELi4ELi1ELb1ELb1ELb1ELb1ELb0EfffEEv13SSMParamsBase
	.p2align	8
	.type	_Z25selective_scan_fwd_kernelI32Selective_Scan_fwd_kernel_traitsILi64ELi4ELi1ELb1ELb1ELb1ELb1ELb0EfffEEv13SSMParamsBase,@function
_Z25selective_scan_fwd_kernelI32Selective_Scan_fwd_kernel_traitsILi64ELi4ELi1ELb1ELb1ELb1ELb1ELb0EfffEEv13SSMParamsBase: ; @_Z25selective_scan_fwd_kernelI32Selective_Scan_fwd_kernel_traitsILi64ELi4ELi1ELb1ELb1ELb1ELb1ELb0EfffEEv13SSMParamsBase
; %bb.0:
	s_clause 0x1
	s_load_b32 s9, s[0:1], 0x18
	s_load_b128 s[4:7], s[0:1], 0xe8
	s_mov_b32 s12, s15
	s_mov_b32 s33, 0
	s_waitcnt lgkmcnt(0)
	s_abs_i32 s8, s9
	s_cmp_eq_u64 s[6:7], 0
	v_cvt_f32_u32_e32 v1, s8
	s_delay_alu instid0(VALU_DEP_1) | instskip(SKIP_2) | instid1(VALU_DEP_1)
	v_rcp_iflag_f32_e32 v1, v1
	s_waitcnt_depctr 0xfff
	v_mul_f32_e32 v1, 0x4f7ffffe, v1
	v_cvt_u32_f32_e32 v1, v1
	s_delay_alu instid0(VALU_DEP_1)
	v_readfirstlane_b32 s10, v1
	s_cbranch_scc1 .LBB129_2
; %bb.1:
	v_mov_b32_e32 v1, 0
	s_ashr_i32 s3, s14, 31
	s_add_u32 s2, s6, s14
	s_addc_u32 s3, s7, s3
	global_load_u8 v1, v1, s[2:3]
	s_waitcnt vmcnt(0)
	v_and_b32_e32 v1, 1, v1
	s_delay_alu instid0(VALU_DEP_1)
	v_cmp_eq_u32_e64 s33, 1, v1
.LBB129_2:
	s_load_b64 s[6:7], s[0:1], 0x20
	s_cmp_eq_u64 s[4:5], 0
	s_cbranch_scc1 .LBB129_4
; %bb.3:
	s_ashr_i32 s15, s14, 31
	s_delay_alu instid0(SALU_CYCLE_1) | instskip(NEXT) | instid1(SALU_CYCLE_1)
	s_lshl_b64 s[2:3], s[14:15], 2
	s_add_u32 s2, s4, s2
	s_addc_u32 s3, s5, s3
	s_load_b32 s2, s[2:3], 0x0
	s_waitcnt lgkmcnt(0)
	s_ashr_i32 s3, s2, 31
	s_delay_alu instid0(SALU_CYCLE_1)
	s_cmp_eq_u64 s[6:7], s[2:3]
	s_cbranch_scc0 .LBB129_5
	s_branch .LBB129_56
.LBB129_4:
	s_mov_b32 s2, s14
	s_delay_alu instid0(SALU_CYCLE_1)
	s_ashr_i32 s3, s2, 31
	s_waitcnt lgkmcnt(0)
	s_cmp_eq_u64 s[6:7], s[2:3]
	s_cbranch_scc1 .LBB129_56
.LBB129_5:
	s_clause 0x1
	s_load_b512 s[16:31], s[0:1], 0x88
	s_load_b64 s[34:35], s[0:1], 0x8
	s_mov_b32 s52, 0
	s_mov_b32 s53, 0
	s_waitcnt lgkmcnt(0)
	s_cmp_eq_u64 s[22:23], 0
	s_cbranch_scc1 .LBB129_7
; %bb.6:
	s_ashr_i32 s13, s12, 31
	s_delay_alu instid0(SALU_CYCLE_1) | instskip(NEXT) | instid1(SALU_CYCLE_1)
	s_lshl_b64 s[4:5], s[12:13], 2
	s_add_u32 s4, s22, s4
	s_addc_u32 s5, s23, s5
	s_load_b32 s53, s[4:5], 0x0
.LBB129_7:
	s_cmp_eq_u64 s[28:29], 0
	s_cbranch_scc1 .LBB129_9
; %bb.8:
	s_ashr_i32 s13, s12, 31
	s_delay_alu instid0(SALU_CYCLE_1) | instskip(NEXT) | instid1(SALU_CYCLE_1)
	s_lshl_b64 s[4:5], s[12:13], 2
	s_add_u32 s4, s28, s4
	s_addc_u32 s5, s29, s5
	s_load_b32 s52, s[4:5], 0x0
.LBB129_9:
	s_cmp_lt_i32 s34, 1
	s_cbranch_scc1 .LBB129_56
; %bb.10:
	s_sub_i32 s3, 0, s8
	s_load_b256 s[36:43], s[0:1], 0x4c
	s_mul_i32 s3, s3, s10
	s_abs_i32 s4, s12
	s_mul_hi_u32 s3, s10, s3
	s_ashr_i32 s6, s9, 31
	s_add_i32 s10, s10, s3
	s_ashr_i32 s3, s12, 31
	s_mul_hi_u32 s5, s4, s10
	s_xor_b32 s3, s3, s6
	s_mul_i32 s7, s5, s8
	s_add_i32 s6, s5, 1
	s_sub_i32 s4, s4, s7
	s_load_b256 s[44:51], s[0:1], 0x2c
	s_sub_i32 s7, s4, s8
	s_cmp_ge_u32 s4, s8
	s_mov_b32 s23, 0
	s_cselect_b32 s5, s6, s5
	s_cselect_b32 s4, s7, s4
	s_add_i32 s6, s5, 1
	s_cmp_ge_u32 s4, s8
	s_waitcnt lgkmcnt(0)
	s_mul_i32 s22, s38, s14
	s_cselect_b32 s6, s6, s5
	s_lshl_b64 s[4:5], s[22:23], 2
	s_xor_b32 s6, s6, s3
	s_mul_i32 s22, s39, s12
	s_sub_i32 s3, s6, s3
	s_add_u32 s6, s24, s4
	s_addc_u32 s7, s25, s5
	s_lshl_b64 s[4:5], s[22:23], 2
	s_mul_i32 s22, s40, s14
	s_add_u32 s24, s6, s4
	s_addc_u32 s25, s7, s5
	s_lshl_b64 s[4:5], s[22:23], 2
	s_mul_i32 s22, s41, s12
	;; [unrolled: 4-line block ×3, first 2 shown]
	s_add_u32 s26, s6, s4
	s_load_b64 s[28:29], s[0:1], 0x7c
	s_addc_u32 s27, s7, s5
	s_lshl_b64 s[4:5], s[22:23], 2
	s_mul_i32 s22, s46, s14
	s_add_u32 s40, s16, s4
	s_addc_u32 s41, s17, s5
	s_load_b128 s[4:7], s[0:1], 0xc8
	s_lshl_b64 s[8:9], s[22:23], 2
	s_mul_i32 s22, s3, s49
	s_load_b32 s49, s[0:1], 0x84
	s_add_u32 s10, s18, s8
	s_addc_u32 s11, s19, s9
	s_lshl_b64 s[8:9], s[22:23], 2
	s_load_b32 s13, s[0:1], 0x28
	s_mul_i32 s22, s50, s14
	s_add_u32 s44, s10, s8
	s_addc_u32 s46, s11, s9
	s_lshl_b64 s[8:9], s[22:23], 2
	s_mul_i32 s22, s3, s37
	s_add_u32 s15, s20, s8
	s_addc_u32 s3, s21, s9
	s_load_b128 s[8:11], s[0:1], 0x6c
	s_lshl_b64 s[16:17], s[22:23], 2
	s_waitcnt lgkmcnt(0)
	s_mul_i32 s22, s2, s28
	s_add_u32 s37, s15, s16
	s_addc_u32 s47, s3, s17
	s_lshl_b64 s[2:3], s[22:23], 2
	s_mul_i32 s22, s29, s12
	s_add_u32 s4, s4, s2
	s_addc_u32 s5, s5, s3
	s_lshl_b64 s[2:3], s[22:23], 2
	s_load_b64 s[16:17], s[0:1], 0xd8
	s_add_u32 s50, s4, s2
	s_addc_u32 s51, s5, s3
	s_add_i32 s2, s34, 0x7ff
	v_lshrrev_b32_e32 v1, 2, v0
	s_lshr_b32 s54, s2, 11
	s_bitcmp1_b32 s13, 0
	v_mov_b32_e32 v26, 0
	s_cselect_b32 s55, -1, 0
	s_cmp_gt_i32 s35, 0
	s_mul_i32 s22, s8, s14
	s_cselect_b32 s56, -1, 0
	s_and_b32 s1, s34, 0xff
	v_and_b32_e32 v1, 8, v1
	s_cmp_eq_u32 s1, 0
	v_or_b32_e32 v2, 31, v0
	s_cselect_b32 s57, -1, 0
	s_lshl_b64 s[4:5], s[22:23], 2
	s_add_i32 s58, s54, -1
	s_mul_i32 s22, s9, s12
	s_add_u32 s8, s30, s4
	s_addc_u32 s9, s31, s5
	s_lshl_b64 s[4:5], s[22:23], 2
	s_mul_i32 s22, s10, s14
	s_add_u32 s13, s8, s4
	s_addc_u32 s10, s9, s5
	s_lshl_b64 s[8:9], s[22:23], 2
	s_mul_i32 s22, s11, s12
	s_waitcnt lgkmcnt(0)
	s_add_u32 s15, s16, s8
	s_addc_u32 s11, s17, s9
	s_lshl_b64 s[8:9], s[22:23], 2
	s_mul_i32 s22, s42, s14
	s_add_u32 s15, s15, s8
	s_addc_u32 s11, s11, s9
	s_lshl_b64 s[8:9], s[22:23], 2
	s_mul_i32 s22, s43, s12
	v_add_nc_u32_e32 v28, 0, v1
	v_lshlrev_b32_e32 v1, 4, v0
	s_add_u32 s8, s6, s8
	s_addc_u32 s9, s7, s9
	s_lshl_b64 s[6:7], s[22:23], 2
	v_lshlrev_b32_e32 v27, 2, v0
	s_add_u32 s6, s8, s6
	s_addc_u32 s7, s9, s7
	v_add_co_u32 v32, s6, s6, v1
	v_add_co_u32 v30, s12, s13, v1
	v_add_co_ci_u32_e64 v33, null, s7, 0, s6
	v_add_co_u32 v34, s6, s15, v1
	v_cmp_gt_u32_e64 s0, 64, v0
	v_cmp_eq_u32_e64 s1, v2, v0
	v_cmp_gt_u32_e64 s2, 2, v0
	v_lshl_add_u32 v29, v0, 3, 0
	v_cmp_gt_u32_e64 s3, 32, v0
	v_cmp_lt_u32_e64 s4, 31, v0
	v_cmp_eq_u32_e64 s5, 0, v0
	v_add_co_ci_u32_e64 v31, null, s10, 0, s12
	v_add_co_ci_u32_e64 v35, null, s11, 0, s6
	v_or_b32_e32 v36, 1, v27
	v_or_b32_e32 v37, 2, v27
	;; [unrolled: 1-line block ×3, first 2 shown]
	v_lshlrev_b32_e32 v39, 4, v0
	v_mbcnt_lo_u32_b32 v40, -1, 0
	s_mov_b32 s42, 0x3e9b6dac
	s_add_i32 s43, 0, 0x850
	s_mov_b32 s59, 0
                                        ; implicit-def: $vgpr7
                                        ; implicit-def: $vgpr0
                                        ; implicit-def: $vgpr11
	s_branch .LBB129_12
.LBB129_11:                             ;   in Loop: Header=BB129_12 Depth=1
	s_or_b32 exec_lo, exec_lo, s6
	s_waitcnt vmcnt(0)
	v_dual_mul_f32 v16, 0xbfb8aa3b, v8 :: v_dual_mul_f32 v17, 0xbfb8aa3b, v9
	v_dual_mul_f32 v18, 0xbfb8aa3b, v10 :: v_dual_mul_f32 v19, 0xbfb8aa3b, v11
	v_cmp_nlt_f32_e32 vcc_lo, 0x42ce8ed0, v8
	s_delay_alu instid0(VALU_DEP_3)
	v_rndne_f32_e32 v20, v16
	v_fma_f32 v21, 0xbfb8aa3b, v8, -v16
	v_rndne_f32_e32 v22, v17
	v_fma_f32 v42, 0xbfb8aa3b, v11, -v19
	v_fma_f32 v23, 0xbfb8aa3b, v9, -v17
	v_sub_f32_e32 v16, v16, v20
	v_fmac_f32_e32 v21, 0xb2a5705f, v8
	v_fma_f32 v25, 0xbfb8aa3b, v10, -v18
	v_dual_fmac_f32 v42, 0xb2a5705f, v11 :: v_dual_sub_f32 v17, v17, v22
	v_rndne_f32_e32 v24, v18
	s_delay_alu instid0(VALU_DEP_3) | instskip(SKIP_2) | instid1(VALU_DEP_4)
	v_dual_add_f32 v16, v16, v21 :: v_dual_fmac_f32 v25, 0xb2a5705f, v10
	v_fmac_f32_e32 v23, 0xb2a5705f, v9
	v_cvt_i32_f32_e32 v20, v20
	v_sub_f32_e32 v18, v18, v24
	s_delay_alu instid0(VALU_DEP_4)
	v_exp_f32_e32 v16, v16
	v_rndne_f32_e32 v41, v19
	v_add_f32_e32 v17, v17, v23
	v_cvt_i32_f32_e32 v21, v24
	v_add_f32_e32 v18, v18, v25
	s_add_u32 s26, s26, 0x400
	s_addc_u32 s27, s27, 0
	v_exp_f32_e32 v17, v17
	s_add_u32 s24, s24, 0x400
	v_exp_f32_e32 v18, v18
	v_ldexp_f32 v16, v16, v20
	v_sub_f32_e32 v19, v19, v41
	v_cvt_i32_f32_e32 v20, v22
	v_cvt_i32_f32_e32 v22, v41
	s_addc_u32 s25, s25, 0
	v_cndmask_b32_e32 v16, 0, v16, vcc_lo
	v_cmp_ngt_f32_e32 vcc_lo, 0xc2b17218, v8
	v_add_f32_e32 v19, v19, v42
	v_ldexp_f32 v17, v17, v20
	v_ldexp_f32 v18, v18, v21
	s_add_u32 s44, s44, 0x400
	v_cndmask_b32_e32 v16, 0x7f800000, v16, vcc_lo
	v_cmp_nlt_f32_e32 vcc_lo, 0x42ce8ed0, v9
	v_exp_f32_e32 v19, v19
	s_addc_u32 s46, s46, 0
	s_add_u32 s37, s37, 0x400
	s_addc_u32 s47, s47, 0
	v_cndmask_b32_e32 v17, 0, v17, vcc_lo
	v_cmp_nlt_f32_e32 vcc_lo, 0x42ce8ed0, v10
	s_add_i32 s59, s59, 1
	s_delay_alu instid0(SALU_CYCLE_1)
	s_cmp_eq_u32 s59, s54
	s_barrier
	v_cndmask_b32_e32 v18, 0, v18, vcc_lo
	v_cmp_ngt_f32_e32 vcc_lo, 0xc2b17218, v9
	v_add_f32_e32 v16, 1.0, v16
	s_waitcnt_depctr 0xfff
	v_ldexp_f32 v19, v19, v22
	buffer_gl0_inv
	v_cndmask_b32_e32 v17, 0x7f800000, v17, vcc_lo
	v_cmp_ngt_f32_e32 vcc_lo, 0xc2b17218, v10
	v_div_scale_f32 v20, null, v16, v16, v8
	s_delay_alu instid0(VALU_DEP_3) | instskip(SKIP_1) | instid1(VALU_DEP_3)
	v_dual_add_f32 v17, 1.0, v17 :: v_dual_cndmask_b32 v18, 0x7f800000, v18
	v_cmp_nlt_f32_e32 vcc_lo, 0x42ce8ed0, v11
	v_rcp_f32_e32 v21, v20
	s_delay_alu instid0(VALU_DEP_2) | instskip(NEXT) | instid1(VALU_DEP_3)
	v_div_scale_f32 v22, null, v17, v17, v9
	v_dual_cndmask_b32 v19, 0, v19 :: v_dual_add_f32 v18, 1.0, v18
	v_cmp_ngt_f32_e32 vcc_lo, 0xc2b17218, v11
	s_delay_alu instid0(VALU_DEP_3) | instskip(SKIP_1) | instid1(VALU_DEP_3)
	v_rcp_f32_e32 v24, v22
	v_div_scale_f32 v46, s6, v9, v17, v9
	v_div_scale_f32 v23, null, v18, v18, v10
	s_delay_alu instid0(TRANS32_DEP_2) | instskip(NEXT) | instid1(VALU_DEP_2)
	v_fma_f32 v41, -v20, v21, 1.0
	v_rcp_f32_e32 v25, v23
	s_waitcnt_depctr 0xfff
	v_fma_f32 v43, -v22, v24, 1.0
	s_delay_alu instid0(VALU_DEP_1) | instskip(SKIP_1) | instid1(VALU_DEP_1)
	v_dual_cndmask_b32 v19, 0x7f800000, v19 :: v_dual_fmac_f32 v24, v43, v24
	v_fma_f32 v45, -v23, v25, 1.0
	v_fmac_f32_e32 v25, v45, v25
	v_div_scale_f32 v45, s7, v10, v18, v10
	s_delay_alu instid0(VALU_DEP_1) | instskip(NEXT) | instid1(VALU_DEP_1)
	v_dual_add_f32 v19, 1.0, v19 :: v_dual_mul_f32 v50, v45, v25
	v_div_scale_f32 v42, null, v19, v19, v11
	s_delay_alu instid0(VALU_DEP_2) | instskip(NEXT) | instid1(VALU_DEP_2)
	v_fma_f32 v51, -v23, v50, v45
	v_rcp_f32_e32 v44, v42
	s_waitcnt_depctr 0xfff
	v_fma_f32 v47, -v42, v44, 1.0
	v_fmac_f32_e32 v21, v41, v21
	v_div_scale_f32 v41, vcc_lo, v8, v16, v8
	s_delay_alu instid0(VALU_DEP_3) | instskip(SKIP_1) | instid1(VALU_DEP_1)
	v_fmac_f32_e32 v44, v47, v44
	v_div_scale_f32 v47, s8, v11, v19, v11
	v_dual_mul_f32 v43, v41, v21 :: v_dual_mul_f32 v52, v47, v44
	s_delay_alu instid0(VALU_DEP_1) | instskip(NEXT) | instid1(VALU_DEP_1)
	v_fma_f32 v48, -v20, v43, v41
	v_fmac_f32_e32 v43, v48, v21
	s_delay_alu instid0(VALU_DEP_1) | instskip(NEXT) | instid1(VALU_DEP_4)
	v_fma_f32 v20, -v20, v43, v41
	v_fma_f32 v41, -v42, v52, v47
	s_delay_alu instid0(VALU_DEP_1) | instskip(NEXT) | instid1(VALU_DEP_3)
	v_fmac_f32_e32 v52, v41, v44
	v_div_fmas_f32 v20, v20, v21, v43
	s_mov_b32 vcc_lo, s6
	s_delay_alu instid0(VALU_DEP_1) | instskip(NEXT) | instid1(VALU_DEP_1)
	v_div_fixup_f32 v16, v20, v16, v8
	v_mul_f32_e32 v12, v12, v16
	v_dual_mul_f32 v49, v46, v24 :: v_dual_fmac_f32 v50, v51, v25
	s_delay_alu instid0(VALU_DEP_1) | instskip(NEXT) | instid1(VALU_DEP_1)
	v_fma_f32 v48, -v22, v49, v46
	v_fmac_f32_e32 v49, v48, v24
	s_delay_alu instid0(VALU_DEP_1) | instskip(NEXT) | instid1(VALU_DEP_4)
	v_fma_f32 v21, -v22, v49, v46
	v_fma_f32 v22, -v23, v50, v45
	;; [unrolled: 1-line block ×3, first 2 shown]
	s_delay_alu instid0(VALU_DEP_3) | instskip(SKIP_1) | instid1(VALU_DEP_3)
	v_div_fmas_f32 v21, v21, v24, v49
	s_mov_b32 vcc_lo, s7
	v_div_fmas_f32 v22, v22, v25, v50
	s_mov_b32 vcc_lo, s8
	s_delay_alu instid0(VALU_DEP_2) | instskip(SKIP_3) | instid1(VALU_DEP_4)
	v_div_fixup_f32 v17, v21, v17, v9
	v_div_fmas_f32 v23, v23, v44, v52
	v_add_co_u32 v16, vcc_lo, v34, s10
	v_div_fixup_f32 v18, v22, v18, v10
	v_mul_f32_e32 v13, v13, v17
	s_delay_alu instid0(VALU_DEP_4) | instskip(SKIP_1) | instid1(VALU_DEP_2)
	v_div_fixup_f32 v19, v23, v19, v11
	v_add_co_ci_u32_e32 v17, vcc_lo, s11, v35, vcc_lo
	v_dual_mul_f32 v14, v14, v18 :: v_dual_mul_f32 v15, v15, v19
	global_store_b128 v[16:17], v[12:15], off
	s_cbranch_scc1 .LBB129_56
.LBB129_12:                             ; =>This Loop Header: Depth=1
                                        ;     Child Loop BB129_25 Depth 2
	s_waitcnt_vscnt null, 0x0
	s_barrier
	buffer_gl0_inv
	s_and_saveexec_b32 s6, s0
; %bb.13:                               ;   in Loop: Header=BB129_12 Depth=1
	s_clause 0x1
	global_load_b128 v[0:3], v39, s[24:25]
	global_load_b128 v[4:7], v39, s[26:27]
; %bb.14:                               ;   in Loop: Header=BB129_12 Depth=1
	s_or_b32 exec_lo, exec_lo, s6
	s_waitcnt vmcnt(0)
	v_add_f32_e32 v41, s52, v4
	s_delay_alu instid0(VALU_DEP_1) | instskip(SKIP_1) | instid1(SALU_CYCLE_1)
	v_cmp_ge_f32_e32 vcc_lo, 0x41a00000, v41
	s_and_b32 s6, s55, vcc_lo
	s_and_saveexec_b32 s7, s6
	s_cbranch_execz .LBB129_16
; %bb.15:                               ;   in Loop: Header=BB129_12 Depth=1
	v_mul_f32_e32 v12, 0x3fb8aa3b, v41
	v_cmp_ngt_f32_e32 vcc_lo, 0xc2ce8ed0, v41
	s_delay_alu instid0(VALU_DEP_2) | instskip(SKIP_1) | instid1(VALU_DEP_2)
	v_rndne_f32_e32 v13, v12
	v_fma_f32 v14, 0x3fb8aa3b, v41, -v12
	v_sub_f32_e32 v12, v12, v13
	s_delay_alu instid0(VALU_DEP_2) | instskip(SKIP_1) | instid1(VALU_DEP_2)
	v_fmac_f32_e32 v14, 0x32a5705f, v41
	v_cvt_i32_f32_e32 v13, v13
	v_add_f32_e32 v12, v12, v14
	s_delay_alu instid0(VALU_DEP_1) | instskip(SKIP_2) | instid1(VALU_DEP_1)
	v_exp_f32_e32 v12, v12
	s_waitcnt_depctr 0xfff
	v_ldexp_f32 v12, v12, v13
	v_cndmask_b32_e32 v12, 0, v12, vcc_lo
	v_cmp_nlt_f32_e32 vcc_lo, 0x42b17218, v41
	s_delay_alu instid0(VALU_DEP_2) | instskip(NEXT) | instid1(VALU_DEP_1)
	v_cndmask_b32_e32 v14, 0x7f800000, v12, vcc_lo
	v_add_f32_e32 v15, 1.0, v14
	s_delay_alu instid0(VALU_DEP_1) | instskip(NEXT) | instid1(VALU_DEP_1)
	v_cvt_f64_f32_e32 v[12:13], v15
	v_frexp_exp_i32_f64_e32 v12, v[12:13]
	v_frexp_mant_f32_e32 v13, v15
	s_delay_alu instid0(VALU_DEP_1) | instskip(SKIP_1) | instid1(VALU_DEP_1)
	v_cmp_gt_f32_e32 vcc_lo, 0x3f2aaaab, v13
	v_add_f32_e32 v13, -1.0, v15
	v_sub_f32_e32 v17, v13, v15
	v_sub_f32_e32 v13, v14, v13
	s_delay_alu instid0(VALU_DEP_2) | instskip(NEXT) | instid1(VALU_DEP_1)
	v_add_f32_e32 v17, 1.0, v17
	v_add_f32_e32 v13, v13, v17
	v_cmp_gt_f32_e64 s6, 0x33800000, v14
	v_subrev_co_ci_u32_e32 v12, vcc_lo, 0, v12, vcc_lo
	v_cmp_eq_f32_e32 vcc_lo, 0x7f800000, v14
	s_delay_alu instid0(VALU_DEP_2) | instskip(SKIP_2) | instid1(VALU_DEP_2)
	v_sub_nc_u32_e32 v16, 0, v12
	v_cvt_f32_i32_e32 v12, v12
	s_or_b32 vcc_lo, s6, vcc_lo
	v_ldexp_f32 v15, v15, v16
	v_ldexp_f32 v13, v13, v16
	s_delay_alu instid0(VALU_DEP_2) | instskip(NEXT) | instid1(VALU_DEP_1)
	v_add_f32_e32 v18, 1.0, v15
	v_dual_add_f32 v16, -1.0, v15 :: v_dual_add_f32 v17, -1.0, v18
	s_delay_alu instid0(VALU_DEP_1) | instskip(NEXT) | instid1(VALU_DEP_2)
	v_add_f32_e32 v19, 1.0, v16
	v_sub_f32_e32 v17, v15, v17
	s_delay_alu instid0(VALU_DEP_2) | instskip(NEXT) | instid1(VALU_DEP_2)
	v_sub_f32_e32 v15, v15, v19
	v_add_f32_e32 v17, v13, v17
	s_delay_alu instid0(VALU_DEP_2) | instskip(NEXT) | instid1(VALU_DEP_1)
	v_add_f32_e32 v13, v13, v15
	v_add_f32_e32 v20, v16, v13
	s_delay_alu instid0(VALU_DEP_1) | instskip(NEXT) | instid1(VALU_DEP_1)
	v_dual_add_f32 v19, v18, v17 :: v_dual_sub_f32 v16, v16, v20
	v_rcp_f32_e32 v15, v19
	v_sub_f32_e32 v18, v18, v19
	s_delay_alu instid0(VALU_DEP_1) | instskip(SKIP_2) | instid1(VALU_DEP_1)
	v_add_f32_e32 v17, v17, v18
	s_waitcnt_depctr 0xfff
	v_mul_f32_e32 v21, v20, v15
	v_mul_f32_e32 v22, v19, v21
	s_delay_alu instid0(VALU_DEP_1) | instskip(NEXT) | instid1(VALU_DEP_1)
	v_fma_f32 v18, v21, v19, -v22
	v_fmac_f32_e32 v18, v21, v17
	s_delay_alu instid0(VALU_DEP_1) | instskip(NEXT) | instid1(VALU_DEP_1)
	v_add_f32_e32 v23, v22, v18
	v_sub_f32_e32 v24, v20, v23
	s_delay_alu instid0(VALU_DEP_1) | instskip(SKIP_1) | instid1(VALU_DEP_2)
	v_sub_f32_e32 v20, v20, v24
	v_dual_add_f32 v13, v13, v16 :: v_dual_sub_f32 v16, v23, v22
	v_sub_f32_e32 v20, v20, v23
	s_delay_alu instid0(VALU_DEP_1) | instskip(NEXT) | instid1(VALU_DEP_1)
	v_dual_sub_f32 v16, v16, v18 :: v_dual_add_f32 v13, v13, v20
	v_add_f32_e32 v13, v16, v13
	s_delay_alu instid0(VALU_DEP_1) | instskip(NEXT) | instid1(VALU_DEP_1)
	v_add_f32_e32 v16, v24, v13
	v_mul_f32_e32 v18, v15, v16
	s_delay_alu instid0(VALU_DEP_1) | instskip(NEXT) | instid1(VALU_DEP_1)
	v_dual_sub_f32 v23, v24, v16 :: v_dual_mul_f32 v20, v19, v18
	v_add_f32_e32 v13, v13, v23
	s_delay_alu instid0(VALU_DEP_2) | instskip(NEXT) | instid1(VALU_DEP_1)
	v_fma_f32 v19, v18, v19, -v20
	v_fmac_f32_e32 v19, v18, v17
	s_delay_alu instid0(VALU_DEP_1) | instskip(NEXT) | instid1(VALU_DEP_1)
	v_add_f32_e32 v17, v20, v19
	v_sub_f32_e32 v22, v16, v17
	s_delay_alu instid0(VALU_DEP_1) | instskip(NEXT) | instid1(VALU_DEP_1)
	v_sub_f32_e32 v16, v16, v22
	v_sub_f32_e32 v16, v16, v17
	s_delay_alu instid0(VALU_DEP_1) | instskip(SKIP_2) | instid1(VALU_DEP_1)
	v_add_f32_e32 v13, v13, v16
	v_add_f32_e32 v16, v21, v18
	v_sub_f32_e32 v20, v17, v20
	v_sub_f32_e32 v17, v20, v19
	s_delay_alu instid0(VALU_DEP_1) | instskip(NEXT) | instid1(VALU_DEP_4)
	v_add_f32_e32 v13, v17, v13
	v_sub_f32_e32 v17, v16, v21
	s_delay_alu instid0(VALU_DEP_2) | instskip(NEXT) | instid1(VALU_DEP_2)
	v_add_f32_e32 v13, v22, v13
	v_sub_f32_e32 v17, v18, v17
	s_delay_alu instid0(VALU_DEP_2) | instskip(NEXT) | instid1(VALU_DEP_1)
	v_mul_f32_e32 v13, v15, v13
	v_add_f32_e32 v13, v17, v13
	s_delay_alu instid0(VALU_DEP_1) | instskip(NEXT) | instid1(VALU_DEP_1)
	v_add_f32_e32 v15, v16, v13
	v_mul_f32_e32 v17, v15, v15
	s_delay_alu instid0(VALU_DEP_1) | instskip(SKIP_1) | instid1(VALU_DEP_2)
	v_fmaak_f32 v18, s42, v17, 0x3ecc95a3
	v_mul_f32_e32 v19, v15, v17
	v_fmaak_f32 v17, v17, v18, 0x3f2aaada
	v_ldexp_f32 v18, v15, 1
	s_delay_alu instid0(VALU_DEP_2) | instskip(SKIP_1) | instid1(VALU_DEP_2)
	v_mul_f32_e32 v17, v19, v17
	v_sub_f32_e32 v15, v15, v16
	v_dual_mul_f32 v19, 0x3f317218, v12 :: v_dual_add_f32 v16, v18, v17
	s_delay_alu instid0(VALU_DEP_2) | instskip(NEXT) | instid1(VALU_DEP_2)
	v_sub_f32_e32 v13, v13, v15
	v_sub_f32_e32 v15, v16, v18
	s_delay_alu instid0(VALU_DEP_3) | instskip(NEXT) | instid1(VALU_DEP_3)
	v_fma_f32 v18, 0x3f317218, v12, -v19
	v_ldexp_f32 v13, v13, 1
	s_delay_alu instid0(VALU_DEP_2) | instskip(NEXT) | instid1(VALU_DEP_1)
	v_dual_sub_f32 v15, v17, v15 :: v_dual_fmac_f32 v18, 0xb102e308, v12
	v_dual_add_f32 v12, v13, v15 :: v_dual_add_f32 v13, v19, v18
	s_delay_alu instid0(VALU_DEP_1) | instskip(NEXT) | instid1(VALU_DEP_1)
	v_add_f32_e32 v15, v16, v12
	v_dual_add_f32 v17, v13, v15 :: v_dual_sub_f32 v16, v15, v16
	s_delay_alu instid0(VALU_DEP_1) | instskip(NEXT) | instid1(VALU_DEP_2)
	v_sub_f32_e32 v20, v17, v13
	v_dual_sub_f32 v19, v13, v19 :: v_dual_sub_f32 v12, v12, v16
	s_delay_alu instid0(VALU_DEP_1) | instskip(SKIP_1) | instid1(VALU_DEP_2)
	v_dual_sub_f32 v21, v17, v20 :: v_dual_sub_f32 v18, v18, v19
	v_sub_f32_e32 v15, v15, v20
	v_dual_sub_f32 v13, v13, v21 :: v_dual_add_f32 v16, v18, v12
	s_delay_alu instid0(VALU_DEP_1) | instskip(NEXT) | instid1(VALU_DEP_2)
	v_add_f32_e32 v13, v15, v13
	v_sub_f32_e32 v15, v16, v18
	s_delay_alu instid0(VALU_DEP_2) | instskip(NEXT) | instid1(VALU_DEP_2)
	v_add_f32_e32 v13, v16, v13
	v_sub_f32_e32 v16, v16, v15
	s_delay_alu instid0(VALU_DEP_2) | instskip(NEXT) | instid1(VALU_DEP_1)
	v_dual_sub_f32 v12, v12, v15 :: v_dual_add_f32 v19, v17, v13
	v_dual_sub_f32 v16, v18, v16 :: v_dual_sub_f32 v15, v19, v17
	s_delay_alu instid0(VALU_DEP_1) | instskip(NEXT) | instid1(VALU_DEP_1)
	v_dual_add_f32 v12, v12, v16 :: v_dual_sub_f32 v13, v13, v15
	v_add_f32_e32 v12, v12, v13
	s_delay_alu instid0(VALU_DEP_1) | instskip(NEXT) | instid1(VALU_DEP_1)
	v_add_f32_e32 v12, v19, v12
	v_cndmask_b32_e32 v41, v12, v14, vcc_lo
.LBB129_16:                             ;   in Loop: Header=BB129_12 Depth=1
	s_or_b32 exec_lo, exec_lo, s7
	v_add_f32_e32 v42, s52, v5
	s_delay_alu instid0(VALU_DEP_1) | instskip(SKIP_1) | instid1(SALU_CYCLE_1)
	v_cmp_ge_f32_e32 vcc_lo, 0x41a00000, v42
	s_and_b32 s6, s55, vcc_lo
	s_and_saveexec_b32 s7, s6
	s_cbranch_execz .LBB129_18
; %bb.17:                               ;   in Loop: Header=BB129_12 Depth=1
	v_mul_f32_e32 v12, 0x3fb8aa3b, v42
	v_cmp_ngt_f32_e32 vcc_lo, 0xc2ce8ed0, v42
	s_delay_alu instid0(VALU_DEP_2) | instskip(SKIP_1) | instid1(VALU_DEP_2)
	v_rndne_f32_e32 v13, v12
	v_fma_f32 v14, 0x3fb8aa3b, v42, -v12
	v_sub_f32_e32 v12, v12, v13
	s_delay_alu instid0(VALU_DEP_2) | instskip(SKIP_1) | instid1(VALU_DEP_2)
	v_fmac_f32_e32 v14, 0x32a5705f, v42
	v_cvt_i32_f32_e32 v13, v13
	v_add_f32_e32 v12, v12, v14
	s_delay_alu instid0(VALU_DEP_1) | instskip(SKIP_2) | instid1(VALU_DEP_1)
	v_exp_f32_e32 v12, v12
	s_waitcnt_depctr 0xfff
	v_ldexp_f32 v12, v12, v13
	v_cndmask_b32_e32 v12, 0, v12, vcc_lo
	v_cmp_nlt_f32_e32 vcc_lo, 0x42b17218, v42
	s_delay_alu instid0(VALU_DEP_2) | instskip(NEXT) | instid1(VALU_DEP_1)
	v_cndmask_b32_e32 v14, 0x7f800000, v12, vcc_lo
	v_add_f32_e32 v15, 1.0, v14
	s_delay_alu instid0(VALU_DEP_1) | instskip(NEXT) | instid1(VALU_DEP_1)
	v_cvt_f64_f32_e32 v[12:13], v15
	v_frexp_exp_i32_f64_e32 v12, v[12:13]
	v_frexp_mant_f32_e32 v13, v15
	s_delay_alu instid0(VALU_DEP_1) | instskip(SKIP_1) | instid1(VALU_DEP_1)
	v_cmp_gt_f32_e32 vcc_lo, 0x3f2aaaab, v13
	v_add_f32_e32 v13, -1.0, v15
	v_sub_f32_e32 v17, v13, v15
	v_sub_f32_e32 v13, v14, v13
	s_delay_alu instid0(VALU_DEP_2) | instskip(NEXT) | instid1(VALU_DEP_1)
	v_add_f32_e32 v17, 1.0, v17
	v_add_f32_e32 v13, v13, v17
	v_cmp_gt_f32_e64 s6, 0x33800000, v14
	v_subrev_co_ci_u32_e32 v12, vcc_lo, 0, v12, vcc_lo
	v_cmp_eq_f32_e32 vcc_lo, 0x7f800000, v14
	s_delay_alu instid0(VALU_DEP_2) | instskip(SKIP_2) | instid1(VALU_DEP_2)
	v_sub_nc_u32_e32 v16, 0, v12
	v_cvt_f32_i32_e32 v12, v12
	s_or_b32 vcc_lo, s6, vcc_lo
	v_ldexp_f32 v15, v15, v16
	v_ldexp_f32 v13, v13, v16
	s_delay_alu instid0(VALU_DEP_2) | instskip(NEXT) | instid1(VALU_DEP_1)
	v_add_f32_e32 v18, 1.0, v15
	v_dual_add_f32 v16, -1.0, v15 :: v_dual_add_f32 v17, -1.0, v18
	s_delay_alu instid0(VALU_DEP_1) | instskip(NEXT) | instid1(VALU_DEP_2)
	v_add_f32_e32 v19, 1.0, v16
	v_sub_f32_e32 v17, v15, v17
	s_delay_alu instid0(VALU_DEP_2) | instskip(NEXT) | instid1(VALU_DEP_2)
	v_sub_f32_e32 v15, v15, v19
	v_add_f32_e32 v17, v13, v17
	s_delay_alu instid0(VALU_DEP_2) | instskip(NEXT) | instid1(VALU_DEP_1)
	v_add_f32_e32 v13, v13, v15
	v_add_f32_e32 v20, v16, v13
	s_delay_alu instid0(VALU_DEP_1) | instskip(NEXT) | instid1(VALU_DEP_1)
	v_dual_add_f32 v19, v18, v17 :: v_dual_sub_f32 v16, v16, v20
	v_rcp_f32_e32 v15, v19
	v_sub_f32_e32 v18, v18, v19
	s_delay_alu instid0(VALU_DEP_1) | instskip(SKIP_2) | instid1(VALU_DEP_1)
	v_add_f32_e32 v17, v17, v18
	s_waitcnt_depctr 0xfff
	v_mul_f32_e32 v21, v20, v15
	v_mul_f32_e32 v22, v19, v21
	s_delay_alu instid0(VALU_DEP_1) | instskip(NEXT) | instid1(VALU_DEP_1)
	v_fma_f32 v18, v21, v19, -v22
	v_fmac_f32_e32 v18, v21, v17
	s_delay_alu instid0(VALU_DEP_1) | instskip(NEXT) | instid1(VALU_DEP_1)
	v_add_f32_e32 v23, v22, v18
	v_sub_f32_e32 v24, v20, v23
	s_delay_alu instid0(VALU_DEP_1) | instskip(SKIP_1) | instid1(VALU_DEP_2)
	v_sub_f32_e32 v20, v20, v24
	v_dual_add_f32 v13, v13, v16 :: v_dual_sub_f32 v16, v23, v22
	v_sub_f32_e32 v20, v20, v23
	s_delay_alu instid0(VALU_DEP_1) | instskip(NEXT) | instid1(VALU_DEP_1)
	v_dual_sub_f32 v16, v16, v18 :: v_dual_add_f32 v13, v13, v20
	v_add_f32_e32 v13, v16, v13
	s_delay_alu instid0(VALU_DEP_1) | instskip(NEXT) | instid1(VALU_DEP_1)
	v_add_f32_e32 v16, v24, v13
	v_mul_f32_e32 v18, v15, v16
	s_delay_alu instid0(VALU_DEP_1) | instskip(NEXT) | instid1(VALU_DEP_1)
	v_dual_sub_f32 v23, v24, v16 :: v_dual_mul_f32 v20, v19, v18
	v_add_f32_e32 v13, v13, v23
	s_delay_alu instid0(VALU_DEP_2) | instskip(NEXT) | instid1(VALU_DEP_1)
	v_fma_f32 v19, v18, v19, -v20
	v_fmac_f32_e32 v19, v18, v17
	s_delay_alu instid0(VALU_DEP_1) | instskip(NEXT) | instid1(VALU_DEP_1)
	v_add_f32_e32 v17, v20, v19
	v_sub_f32_e32 v22, v16, v17
	s_delay_alu instid0(VALU_DEP_1) | instskip(NEXT) | instid1(VALU_DEP_1)
	v_sub_f32_e32 v16, v16, v22
	v_sub_f32_e32 v16, v16, v17
	s_delay_alu instid0(VALU_DEP_1) | instskip(SKIP_2) | instid1(VALU_DEP_1)
	v_add_f32_e32 v13, v13, v16
	v_add_f32_e32 v16, v21, v18
	v_sub_f32_e32 v20, v17, v20
	v_sub_f32_e32 v17, v20, v19
	s_delay_alu instid0(VALU_DEP_1) | instskip(NEXT) | instid1(VALU_DEP_4)
	v_add_f32_e32 v13, v17, v13
	v_sub_f32_e32 v17, v16, v21
	s_delay_alu instid0(VALU_DEP_2) | instskip(NEXT) | instid1(VALU_DEP_2)
	v_add_f32_e32 v13, v22, v13
	v_sub_f32_e32 v17, v18, v17
	s_delay_alu instid0(VALU_DEP_2) | instskip(NEXT) | instid1(VALU_DEP_1)
	v_mul_f32_e32 v13, v15, v13
	v_add_f32_e32 v13, v17, v13
	s_delay_alu instid0(VALU_DEP_1) | instskip(NEXT) | instid1(VALU_DEP_1)
	v_add_f32_e32 v15, v16, v13
	v_mul_f32_e32 v17, v15, v15
	s_delay_alu instid0(VALU_DEP_1) | instskip(SKIP_1) | instid1(VALU_DEP_2)
	v_fmaak_f32 v18, s42, v17, 0x3ecc95a3
	v_mul_f32_e32 v19, v15, v17
	v_fmaak_f32 v17, v17, v18, 0x3f2aaada
	v_ldexp_f32 v18, v15, 1
	s_delay_alu instid0(VALU_DEP_2) | instskip(SKIP_1) | instid1(VALU_DEP_2)
	v_mul_f32_e32 v17, v19, v17
	v_sub_f32_e32 v15, v15, v16
	v_dual_mul_f32 v19, 0x3f317218, v12 :: v_dual_add_f32 v16, v18, v17
	s_delay_alu instid0(VALU_DEP_2) | instskip(NEXT) | instid1(VALU_DEP_2)
	v_sub_f32_e32 v13, v13, v15
	v_sub_f32_e32 v15, v16, v18
	s_delay_alu instid0(VALU_DEP_3) | instskip(NEXT) | instid1(VALU_DEP_3)
	v_fma_f32 v18, 0x3f317218, v12, -v19
	v_ldexp_f32 v13, v13, 1
	s_delay_alu instid0(VALU_DEP_2) | instskip(NEXT) | instid1(VALU_DEP_1)
	v_dual_sub_f32 v15, v17, v15 :: v_dual_fmac_f32 v18, 0xb102e308, v12
	v_dual_add_f32 v12, v13, v15 :: v_dual_add_f32 v13, v19, v18
	s_delay_alu instid0(VALU_DEP_1) | instskip(NEXT) | instid1(VALU_DEP_1)
	v_add_f32_e32 v15, v16, v12
	v_dual_add_f32 v17, v13, v15 :: v_dual_sub_f32 v16, v15, v16
	s_delay_alu instid0(VALU_DEP_1) | instskip(NEXT) | instid1(VALU_DEP_2)
	v_sub_f32_e32 v20, v17, v13
	v_dual_sub_f32 v19, v13, v19 :: v_dual_sub_f32 v12, v12, v16
	s_delay_alu instid0(VALU_DEP_1) | instskip(SKIP_1) | instid1(VALU_DEP_2)
	v_dual_sub_f32 v21, v17, v20 :: v_dual_sub_f32 v18, v18, v19
	v_sub_f32_e32 v15, v15, v20
	v_dual_sub_f32 v13, v13, v21 :: v_dual_add_f32 v16, v18, v12
	s_delay_alu instid0(VALU_DEP_1) | instskip(NEXT) | instid1(VALU_DEP_2)
	v_add_f32_e32 v13, v15, v13
	v_sub_f32_e32 v15, v16, v18
	s_delay_alu instid0(VALU_DEP_2) | instskip(NEXT) | instid1(VALU_DEP_2)
	v_add_f32_e32 v13, v16, v13
	v_sub_f32_e32 v16, v16, v15
	s_delay_alu instid0(VALU_DEP_2) | instskip(NEXT) | instid1(VALU_DEP_1)
	v_dual_sub_f32 v12, v12, v15 :: v_dual_add_f32 v19, v17, v13
	v_dual_sub_f32 v16, v18, v16 :: v_dual_sub_f32 v15, v19, v17
	s_delay_alu instid0(VALU_DEP_1) | instskip(NEXT) | instid1(VALU_DEP_1)
	v_dual_add_f32 v12, v12, v16 :: v_dual_sub_f32 v13, v13, v15
	v_add_f32_e32 v12, v12, v13
	s_delay_alu instid0(VALU_DEP_1) | instskip(NEXT) | instid1(VALU_DEP_1)
	v_add_f32_e32 v12, v19, v12
	v_cndmask_b32_e32 v42, v12, v14, vcc_lo
.LBB129_18:                             ;   in Loop: Header=BB129_12 Depth=1
	s_or_b32 exec_lo, exec_lo, s7
	v_add_f32_e32 v43, s52, v6
	s_delay_alu instid0(VALU_DEP_1) | instskip(SKIP_1) | instid1(SALU_CYCLE_1)
	v_cmp_ge_f32_e32 vcc_lo, 0x41a00000, v43
	s_and_b32 s6, s55, vcc_lo
	s_and_saveexec_b32 s7, s6
	s_cbranch_execz .LBB129_20
; %bb.19:                               ;   in Loop: Header=BB129_12 Depth=1
	v_mul_f32_e32 v12, 0x3fb8aa3b, v43
	v_cmp_ngt_f32_e32 vcc_lo, 0xc2ce8ed0, v43
	s_delay_alu instid0(VALU_DEP_2) | instskip(SKIP_1) | instid1(VALU_DEP_2)
	v_rndne_f32_e32 v13, v12
	v_fma_f32 v14, 0x3fb8aa3b, v43, -v12
	v_sub_f32_e32 v12, v12, v13
	s_delay_alu instid0(VALU_DEP_2) | instskip(SKIP_1) | instid1(VALU_DEP_2)
	v_fmac_f32_e32 v14, 0x32a5705f, v43
	v_cvt_i32_f32_e32 v13, v13
	v_add_f32_e32 v12, v12, v14
	s_delay_alu instid0(VALU_DEP_1) | instskip(SKIP_2) | instid1(VALU_DEP_1)
	v_exp_f32_e32 v12, v12
	s_waitcnt_depctr 0xfff
	v_ldexp_f32 v12, v12, v13
	v_cndmask_b32_e32 v12, 0, v12, vcc_lo
	v_cmp_nlt_f32_e32 vcc_lo, 0x42b17218, v43
	s_delay_alu instid0(VALU_DEP_2) | instskip(NEXT) | instid1(VALU_DEP_1)
	v_cndmask_b32_e32 v14, 0x7f800000, v12, vcc_lo
	v_add_f32_e32 v15, 1.0, v14
	s_delay_alu instid0(VALU_DEP_1) | instskip(NEXT) | instid1(VALU_DEP_1)
	v_cvt_f64_f32_e32 v[12:13], v15
	v_frexp_exp_i32_f64_e32 v12, v[12:13]
	v_frexp_mant_f32_e32 v13, v15
	s_delay_alu instid0(VALU_DEP_1) | instskip(SKIP_1) | instid1(VALU_DEP_1)
	v_cmp_gt_f32_e32 vcc_lo, 0x3f2aaaab, v13
	v_add_f32_e32 v13, -1.0, v15
	v_sub_f32_e32 v17, v13, v15
	v_sub_f32_e32 v13, v14, v13
	s_delay_alu instid0(VALU_DEP_2) | instskip(NEXT) | instid1(VALU_DEP_1)
	v_add_f32_e32 v17, 1.0, v17
	v_add_f32_e32 v13, v13, v17
	v_cmp_gt_f32_e64 s6, 0x33800000, v14
	v_subrev_co_ci_u32_e32 v12, vcc_lo, 0, v12, vcc_lo
	v_cmp_eq_f32_e32 vcc_lo, 0x7f800000, v14
	s_delay_alu instid0(VALU_DEP_2) | instskip(SKIP_2) | instid1(VALU_DEP_2)
	v_sub_nc_u32_e32 v16, 0, v12
	v_cvt_f32_i32_e32 v12, v12
	s_or_b32 vcc_lo, s6, vcc_lo
	v_ldexp_f32 v15, v15, v16
	v_ldexp_f32 v13, v13, v16
	s_delay_alu instid0(VALU_DEP_2) | instskip(NEXT) | instid1(VALU_DEP_1)
	v_add_f32_e32 v18, 1.0, v15
	v_dual_add_f32 v16, -1.0, v15 :: v_dual_add_f32 v17, -1.0, v18
	s_delay_alu instid0(VALU_DEP_1) | instskip(NEXT) | instid1(VALU_DEP_2)
	v_add_f32_e32 v19, 1.0, v16
	v_sub_f32_e32 v17, v15, v17
	s_delay_alu instid0(VALU_DEP_2) | instskip(NEXT) | instid1(VALU_DEP_2)
	v_sub_f32_e32 v15, v15, v19
	v_add_f32_e32 v17, v13, v17
	s_delay_alu instid0(VALU_DEP_2) | instskip(NEXT) | instid1(VALU_DEP_1)
	v_add_f32_e32 v13, v13, v15
	v_add_f32_e32 v20, v16, v13
	s_delay_alu instid0(VALU_DEP_1) | instskip(NEXT) | instid1(VALU_DEP_1)
	v_dual_add_f32 v19, v18, v17 :: v_dual_sub_f32 v16, v16, v20
	v_rcp_f32_e32 v15, v19
	v_sub_f32_e32 v18, v18, v19
	s_delay_alu instid0(VALU_DEP_1) | instskip(SKIP_2) | instid1(VALU_DEP_1)
	v_add_f32_e32 v17, v17, v18
	s_waitcnt_depctr 0xfff
	v_mul_f32_e32 v21, v20, v15
	v_mul_f32_e32 v22, v19, v21
	s_delay_alu instid0(VALU_DEP_1) | instskip(NEXT) | instid1(VALU_DEP_1)
	v_fma_f32 v18, v21, v19, -v22
	v_fmac_f32_e32 v18, v21, v17
	s_delay_alu instid0(VALU_DEP_1) | instskip(NEXT) | instid1(VALU_DEP_1)
	v_add_f32_e32 v23, v22, v18
	v_sub_f32_e32 v24, v20, v23
	s_delay_alu instid0(VALU_DEP_1) | instskip(SKIP_1) | instid1(VALU_DEP_2)
	v_sub_f32_e32 v20, v20, v24
	v_dual_add_f32 v13, v13, v16 :: v_dual_sub_f32 v16, v23, v22
	v_sub_f32_e32 v20, v20, v23
	s_delay_alu instid0(VALU_DEP_1) | instskip(NEXT) | instid1(VALU_DEP_1)
	v_dual_sub_f32 v16, v16, v18 :: v_dual_add_f32 v13, v13, v20
	v_add_f32_e32 v13, v16, v13
	s_delay_alu instid0(VALU_DEP_1) | instskip(NEXT) | instid1(VALU_DEP_1)
	v_add_f32_e32 v16, v24, v13
	v_mul_f32_e32 v18, v15, v16
	s_delay_alu instid0(VALU_DEP_1) | instskip(NEXT) | instid1(VALU_DEP_1)
	v_dual_sub_f32 v23, v24, v16 :: v_dual_mul_f32 v20, v19, v18
	v_add_f32_e32 v13, v13, v23
	s_delay_alu instid0(VALU_DEP_2) | instskip(NEXT) | instid1(VALU_DEP_1)
	v_fma_f32 v19, v18, v19, -v20
	v_fmac_f32_e32 v19, v18, v17
	s_delay_alu instid0(VALU_DEP_1) | instskip(NEXT) | instid1(VALU_DEP_1)
	v_add_f32_e32 v17, v20, v19
	v_sub_f32_e32 v22, v16, v17
	s_delay_alu instid0(VALU_DEP_1) | instskip(NEXT) | instid1(VALU_DEP_1)
	v_sub_f32_e32 v16, v16, v22
	v_sub_f32_e32 v16, v16, v17
	s_delay_alu instid0(VALU_DEP_1) | instskip(SKIP_2) | instid1(VALU_DEP_1)
	v_add_f32_e32 v13, v13, v16
	v_add_f32_e32 v16, v21, v18
	v_sub_f32_e32 v20, v17, v20
	v_sub_f32_e32 v17, v20, v19
	s_delay_alu instid0(VALU_DEP_1) | instskip(NEXT) | instid1(VALU_DEP_4)
	v_add_f32_e32 v13, v17, v13
	v_sub_f32_e32 v17, v16, v21
	s_delay_alu instid0(VALU_DEP_2) | instskip(NEXT) | instid1(VALU_DEP_2)
	v_add_f32_e32 v13, v22, v13
	v_sub_f32_e32 v17, v18, v17
	s_delay_alu instid0(VALU_DEP_2) | instskip(NEXT) | instid1(VALU_DEP_1)
	v_mul_f32_e32 v13, v15, v13
	v_add_f32_e32 v13, v17, v13
	s_delay_alu instid0(VALU_DEP_1) | instskip(NEXT) | instid1(VALU_DEP_1)
	v_add_f32_e32 v15, v16, v13
	v_mul_f32_e32 v17, v15, v15
	s_delay_alu instid0(VALU_DEP_1) | instskip(SKIP_1) | instid1(VALU_DEP_2)
	v_fmaak_f32 v18, s42, v17, 0x3ecc95a3
	v_mul_f32_e32 v19, v15, v17
	v_fmaak_f32 v17, v17, v18, 0x3f2aaada
	v_ldexp_f32 v18, v15, 1
	s_delay_alu instid0(VALU_DEP_2) | instskip(SKIP_1) | instid1(VALU_DEP_2)
	v_mul_f32_e32 v17, v19, v17
	v_sub_f32_e32 v15, v15, v16
	v_dual_mul_f32 v19, 0x3f317218, v12 :: v_dual_add_f32 v16, v18, v17
	s_delay_alu instid0(VALU_DEP_2) | instskip(NEXT) | instid1(VALU_DEP_2)
	v_sub_f32_e32 v13, v13, v15
	v_sub_f32_e32 v15, v16, v18
	s_delay_alu instid0(VALU_DEP_3) | instskip(NEXT) | instid1(VALU_DEP_3)
	v_fma_f32 v18, 0x3f317218, v12, -v19
	v_ldexp_f32 v13, v13, 1
	s_delay_alu instid0(VALU_DEP_2) | instskip(NEXT) | instid1(VALU_DEP_1)
	v_dual_sub_f32 v15, v17, v15 :: v_dual_fmac_f32 v18, 0xb102e308, v12
	v_dual_add_f32 v12, v13, v15 :: v_dual_add_f32 v13, v19, v18
	s_delay_alu instid0(VALU_DEP_1) | instskip(NEXT) | instid1(VALU_DEP_1)
	v_add_f32_e32 v15, v16, v12
	v_dual_add_f32 v17, v13, v15 :: v_dual_sub_f32 v16, v15, v16
	s_delay_alu instid0(VALU_DEP_1) | instskip(NEXT) | instid1(VALU_DEP_2)
	v_sub_f32_e32 v20, v17, v13
	v_dual_sub_f32 v19, v13, v19 :: v_dual_sub_f32 v12, v12, v16
	s_delay_alu instid0(VALU_DEP_1) | instskip(SKIP_1) | instid1(VALU_DEP_2)
	v_dual_sub_f32 v21, v17, v20 :: v_dual_sub_f32 v18, v18, v19
	v_sub_f32_e32 v15, v15, v20
	v_dual_sub_f32 v13, v13, v21 :: v_dual_add_f32 v16, v18, v12
	s_delay_alu instid0(VALU_DEP_1) | instskip(NEXT) | instid1(VALU_DEP_2)
	v_add_f32_e32 v13, v15, v13
	v_sub_f32_e32 v15, v16, v18
	s_delay_alu instid0(VALU_DEP_2) | instskip(NEXT) | instid1(VALU_DEP_2)
	v_add_f32_e32 v13, v16, v13
	v_sub_f32_e32 v16, v16, v15
	s_delay_alu instid0(VALU_DEP_2) | instskip(NEXT) | instid1(VALU_DEP_1)
	v_dual_sub_f32 v12, v12, v15 :: v_dual_add_f32 v19, v17, v13
	v_dual_sub_f32 v16, v18, v16 :: v_dual_sub_f32 v15, v19, v17
	s_delay_alu instid0(VALU_DEP_1) | instskip(NEXT) | instid1(VALU_DEP_1)
	v_dual_add_f32 v12, v12, v16 :: v_dual_sub_f32 v13, v13, v15
	v_add_f32_e32 v12, v12, v13
	s_delay_alu instid0(VALU_DEP_1) | instskip(NEXT) | instid1(VALU_DEP_1)
	v_add_f32_e32 v12, v19, v12
	v_cndmask_b32_e32 v43, v12, v14, vcc_lo
.LBB129_20:                             ;   in Loop: Header=BB129_12 Depth=1
	s_or_b32 exec_lo, exec_lo, s7
	v_add_f32_e32 v44, s52, v7
	s_delay_alu instid0(VALU_DEP_1) | instskip(SKIP_1) | instid1(SALU_CYCLE_1)
	v_cmp_ge_f32_e32 vcc_lo, 0x41a00000, v44
	s_and_b32 s6, s55, vcc_lo
	s_and_saveexec_b32 s7, s6
	s_cbranch_execz .LBB129_22
; %bb.21:                               ;   in Loop: Header=BB129_12 Depth=1
	v_mul_f32_e32 v12, 0x3fb8aa3b, v44
	v_cmp_ngt_f32_e32 vcc_lo, 0xc2ce8ed0, v44
	s_delay_alu instid0(VALU_DEP_2) | instskip(SKIP_1) | instid1(VALU_DEP_2)
	v_rndne_f32_e32 v13, v12
	v_fma_f32 v14, 0x3fb8aa3b, v44, -v12
	v_sub_f32_e32 v12, v12, v13
	s_delay_alu instid0(VALU_DEP_2) | instskip(SKIP_1) | instid1(VALU_DEP_2)
	v_fmac_f32_e32 v14, 0x32a5705f, v44
	v_cvt_i32_f32_e32 v13, v13
	v_add_f32_e32 v12, v12, v14
	s_delay_alu instid0(VALU_DEP_1) | instskip(SKIP_2) | instid1(VALU_DEP_1)
	v_exp_f32_e32 v12, v12
	s_waitcnt_depctr 0xfff
	v_ldexp_f32 v12, v12, v13
	v_cndmask_b32_e32 v12, 0, v12, vcc_lo
	v_cmp_nlt_f32_e32 vcc_lo, 0x42b17218, v44
	s_delay_alu instid0(VALU_DEP_2) | instskip(NEXT) | instid1(VALU_DEP_1)
	v_cndmask_b32_e32 v14, 0x7f800000, v12, vcc_lo
	v_add_f32_e32 v15, 1.0, v14
	s_delay_alu instid0(VALU_DEP_1) | instskip(NEXT) | instid1(VALU_DEP_1)
	v_cvt_f64_f32_e32 v[12:13], v15
	v_frexp_exp_i32_f64_e32 v12, v[12:13]
	v_frexp_mant_f32_e32 v13, v15
	s_delay_alu instid0(VALU_DEP_1) | instskip(SKIP_1) | instid1(VALU_DEP_1)
	v_cmp_gt_f32_e32 vcc_lo, 0x3f2aaaab, v13
	v_add_f32_e32 v13, -1.0, v15
	v_sub_f32_e32 v17, v13, v15
	v_sub_f32_e32 v13, v14, v13
	s_delay_alu instid0(VALU_DEP_2) | instskip(NEXT) | instid1(VALU_DEP_1)
	v_add_f32_e32 v17, 1.0, v17
	v_add_f32_e32 v13, v13, v17
	v_cmp_gt_f32_e64 s6, 0x33800000, v14
	v_subrev_co_ci_u32_e32 v12, vcc_lo, 0, v12, vcc_lo
	v_cmp_eq_f32_e32 vcc_lo, 0x7f800000, v14
	s_delay_alu instid0(VALU_DEP_2) | instskip(SKIP_2) | instid1(VALU_DEP_2)
	v_sub_nc_u32_e32 v16, 0, v12
	v_cvt_f32_i32_e32 v12, v12
	s_or_b32 vcc_lo, s6, vcc_lo
	v_ldexp_f32 v15, v15, v16
	v_ldexp_f32 v13, v13, v16
	s_delay_alu instid0(VALU_DEP_2) | instskip(NEXT) | instid1(VALU_DEP_1)
	v_add_f32_e32 v18, 1.0, v15
	v_dual_add_f32 v16, -1.0, v15 :: v_dual_add_f32 v17, -1.0, v18
	s_delay_alu instid0(VALU_DEP_1) | instskip(NEXT) | instid1(VALU_DEP_2)
	v_add_f32_e32 v19, 1.0, v16
	v_sub_f32_e32 v17, v15, v17
	s_delay_alu instid0(VALU_DEP_2) | instskip(NEXT) | instid1(VALU_DEP_2)
	v_sub_f32_e32 v15, v15, v19
	v_add_f32_e32 v17, v13, v17
	s_delay_alu instid0(VALU_DEP_2) | instskip(NEXT) | instid1(VALU_DEP_1)
	v_add_f32_e32 v13, v13, v15
	v_add_f32_e32 v20, v16, v13
	s_delay_alu instid0(VALU_DEP_1) | instskip(NEXT) | instid1(VALU_DEP_1)
	v_dual_add_f32 v19, v18, v17 :: v_dual_sub_f32 v16, v16, v20
	v_rcp_f32_e32 v15, v19
	v_sub_f32_e32 v18, v18, v19
	s_delay_alu instid0(VALU_DEP_1) | instskip(SKIP_2) | instid1(VALU_DEP_1)
	v_add_f32_e32 v17, v17, v18
	s_waitcnt_depctr 0xfff
	v_mul_f32_e32 v21, v20, v15
	v_mul_f32_e32 v22, v19, v21
	s_delay_alu instid0(VALU_DEP_1) | instskip(NEXT) | instid1(VALU_DEP_1)
	v_fma_f32 v18, v21, v19, -v22
	v_fmac_f32_e32 v18, v21, v17
	s_delay_alu instid0(VALU_DEP_1) | instskip(NEXT) | instid1(VALU_DEP_1)
	v_add_f32_e32 v23, v22, v18
	v_sub_f32_e32 v24, v20, v23
	s_delay_alu instid0(VALU_DEP_1) | instskip(SKIP_1) | instid1(VALU_DEP_2)
	v_sub_f32_e32 v20, v20, v24
	v_dual_add_f32 v13, v13, v16 :: v_dual_sub_f32 v16, v23, v22
	v_sub_f32_e32 v20, v20, v23
	s_delay_alu instid0(VALU_DEP_1) | instskip(NEXT) | instid1(VALU_DEP_1)
	v_dual_sub_f32 v16, v16, v18 :: v_dual_add_f32 v13, v13, v20
	v_add_f32_e32 v13, v16, v13
	s_delay_alu instid0(VALU_DEP_1) | instskip(NEXT) | instid1(VALU_DEP_1)
	v_add_f32_e32 v16, v24, v13
	v_mul_f32_e32 v18, v15, v16
	s_delay_alu instid0(VALU_DEP_1) | instskip(NEXT) | instid1(VALU_DEP_1)
	v_dual_sub_f32 v23, v24, v16 :: v_dual_mul_f32 v20, v19, v18
	v_add_f32_e32 v13, v13, v23
	s_delay_alu instid0(VALU_DEP_2) | instskip(NEXT) | instid1(VALU_DEP_1)
	v_fma_f32 v19, v18, v19, -v20
	v_fmac_f32_e32 v19, v18, v17
	s_delay_alu instid0(VALU_DEP_1) | instskip(NEXT) | instid1(VALU_DEP_1)
	v_add_f32_e32 v17, v20, v19
	v_sub_f32_e32 v22, v16, v17
	s_delay_alu instid0(VALU_DEP_1) | instskip(NEXT) | instid1(VALU_DEP_1)
	v_sub_f32_e32 v16, v16, v22
	v_sub_f32_e32 v16, v16, v17
	s_delay_alu instid0(VALU_DEP_1) | instskip(SKIP_2) | instid1(VALU_DEP_1)
	v_add_f32_e32 v13, v13, v16
	v_add_f32_e32 v16, v21, v18
	v_sub_f32_e32 v20, v17, v20
	v_sub_f32_e32 v17, v20, v19
	s_delay_alu instid0(VALU_DEP_1) | instskip(NEXT) | instid1(VALU_DEP_4)
	v_add_f32_e32 v13, v17, v13
	v_sub_f32_e32 v17, v16, v21
	s_delay_alu instid0(VALU_DEP_2) | instskip(NEXT) | instid1(VALU_DEP_2)
	v_add_f32_e32 v13, v22, v13
	v_sub_f32_e32 v17, v18, v17
	s_delay_alu instid0(VALU_DEP_2) | instskip(NEXT) | instid1(VALU_DEP_1)
	v_mul_f32_e32 v13, v15, v13
	v_add_f32_e32 v13, v17, v13
	s_delay_alu instid0(VALU_DEP_1) | instskip(NEXT) | instid1(VALU_DEP_1)
	v_add_f32_e32 v15, v16, v13
	v_mul_f32_e32 v17, v15, v15
	s_delay_alu instid0(VALU_DEP_1) | instskip(SKIP_1) | instid1(VALU_DEP_2)
	v_fmaak_f32 v18, s42, v17, 0x3ecc95a3
	v_mul_f32_e32 v19, v15, v17
	v_fmaak_f32 v17, v17, v18, 0x3f2aaada
	v_ldexp_f32 v18, v15, 1
	s_delay_alu instid0(VALU_DEP_2) | instskip(SKIP_1) | instid1(VALU_DEP_2)
	v_mul_f32_e32 v17, v19, v17
	v_sub_f32_e32 v15, v15, v16
	v_dual_mul_f32 v19, 0x3f317218, v12 :: v_dual_add_f32 v16, v18, v17
	s_delay_alu instid0(VALU_DEP_2) | instskip(NEXT) | instid1(VALU_DEP_2)
	v_sub_f32_e32 v13, v13, v15
	v_sub_f32_e32 v15, v16, v18
	s_delay_alu instid0(VALU_DEP_3) | instskip(NEXT) | instid1(VALU_DEP_3)
	v_fma_f32 v18, 0x3f317218, v12, -v19
	v_ldexp_f32 v13, v13, 1
	s_delay_alu instid0(VALU_DEP_2) | instskip(NEXT) | instid1(VALU_DEP_1)
	v_dual_sub_f32 v15, v17, v15 :: v_dual_fmac_f32 v18, 0xb102e308, v12
	v_dual_add_f32 v12, v13, v15 :: v_dual_add_f32 v13, v19, v18
	s_delay_alu instid0(VALU_DEP_1) | instskip(NEXT) | instid1(VALU_DEP_1)
	v_add_f32_e32 v15, v16, v12
	v_dual_add_f32 v17, v13, v15 :: v_dual_sub_f32 v16, v15, v16
	s_delay_alu instid0(VALU_DEP_1) | instskip(NEXT) | instid1(VALU_DEP_2)
	v_sub_f32_e32 v20, v17, v13
	v_dual_sub_f32 v19, v13, v19 :: v_dual_sub_f32 v12, v12, v16
	s_delay_alu instid0(VALU_DEP_1) | instskip(SKIP_1) | instid1(VALU_DEP_2)
	v_dual_sub_f32 v21, v17, v20 :: v_dual_sub_f32 v18, v18, v19
	v_sub_f32_e32 v15, v15, v20
	v_dual_sub_f32 v13, v13, v21 :: v_dual_add_f32 v16, v18, v12
	s_delay_alu instid0(VALU_DEP_1) | instskip(NEXT) | instid1(VALU_DEP_2)
	v_add_f32_e32 v13, v15, v13
	v_sub_f32_e32 v15, v16, v18
	s_delay_alu instid0(VALU_DEP_2) | instskip(NEXT) | instid1(VALU_DEP_2)
	v_add_f32_e32 v13, v16, v13
	v_sub_f32_e32 v16, v16, v15
	s_delay_alu instid0(VALU_DEP_2) | instskip(NEXT) | instid1(VALU_DEP_1)
	v_dual_sub_f32 v12, v12, v15 :: v_dual_add_f32 v19, v17, v13
	v_dual_sub_f32 v16, v18, v16 :: v_dual_sub_f32 v15, v19, v17
	s_delay_alu instid0(VALU_DEP_1) | instskip(NEXT) | instid1(VALU_DEP_1)
	v_dual_add_f32 v12, v12, v16 :: v_dual_sub_f32 v13, v13, v15
	v_add_f32_e32 v12, v12, v13
	s_delay_alu instid0(VALU_DEP_1) | instskip(NEXT) | instid1(VALU_DEP_1)
	v_add_f32_e32 v12, v19, v12
	v_cndmask_b32_e32 v44, v12, v14, vcc_lo
.LBB129_22:                             ;   in Loop: Header=BB129_12 Depth=1
	s_or_b32 exec_lo, exec_lo, s7
	v_dual_mul_f32 v14, s53, v2 :: v_dual_mul_f32 v13, s53, v1
	v_dual_mul_f32 v12, s53, v0 :: v_dual_mul_f32 v15, s53, v3
	s_lshl_b32 s20, s59, 8
	s_and_b32 vcc_lo, exec_lo, s56
	s_barrier
	buffer_gl0_inv
	s_cbranch_vccz .LBB129_54
; %bb.23:                               ;   in Loop: Header=BB129_12 Depth=1
	v_add_nc_u32_e32 v17, -1, v40
	v_and_b32_e32 v16, 15, v40
	v_and_b32_e32 v18, 16, v40
	v_and_b32_e32 v19, 1, v40
	s_sub_i32 s13, s34, s20
	v_cmp_gt_i32_e32 vcc_lo, 0, v17
	v_add_co_u32 v49, s6, s44, v39
	s_delay_alu instid0(VALU_DEP_1)
	v_add_co_ci_u32_e64 v50, null, s46, 0, s6
	v_cndmask_b32_e32 v17, v17, v40, vcc_lo
	v_add_co_u32 v51, s6, s37, v39
	v_cmp_gt_u32_e32 vcc_lo, s13, v27
	v_cmp_gt_u32_e64 s14, s13, v36
	v_cmp_gt_u32_e64 s15, s13, v37
	;; [unrolled: 1-line block ×3, first 2 shown]
	s_cmp_lg_u32 s59, 0
	v_dual_mul_f32 v45, v3, v44 :: v_dual_mul_f32 v46, v2, v43
	v_dual_mul_f32 v47, v1, v42 :: v_dual_mul_f32 v48, v0, v41
	v_add_co_ci_u32_e64 v52, null, s47, 0, s6
	v_cmp_ne_u32_e64 s6, 0, v16
	v_cmp_lt_u32_e64 s7, 1, v16
	v_cmp_lt_u32_e64 s8, 3, v16
	;; [unrolled: 1-line block ×3, first 2 shown]
	v_cmp_ne_u32_e64 s10, 0, v18
	v_cmp_eq_u32_e64 s11, 0, v19
	v_lshlrev_b32_e32 v53, 2, v17
	v_cmp_eq_u32_e64 s12, 0, v40
	s_mov_b32 s22, 0
	s_cselect_b32 s21, -1, 0
	s_cmp_eq_u32 s59, s58
	s_mov_b32 s28, s22
	s_cselect_b32 s60, -1, 0
	s_or_b32 s13, s57, vcc_lo
	s_or_b32 s14, s57, s14
	s_or_b32 s15, s57, s15
	;; [unrolled: 1-line block ×3, first 2 shown]
	s_mov_b32 s30, s22
	s_mov_b32 s38, s22
	s_mov_b32 s61, s35
	s_mov_b32 s62, s43
	s_branch .LBB129_25
.LBB129_24:                             ;   in Loop: Header=BB129_25 Depth=2
	s_or_b32 exec_lo, exec_lo, s17
	v_cndmask_b32_e64 v21, v63, v23, s12
	v_cndmask_b32_e64 v22, v62, v22, s12
	s_add_i32 s61, s61, -1
	s_add_i32 s62, s62, 8
	s_add_i32 s38, s38, s49
	v_fma_f32 v21, v21, v61, v59
	v_mul_f32_e32 v22, v22, v61
	s_add_i32 s30, s30, s36
	s_add_i32 s28, s28, s48
	;; [unrolled: 1-line block ×3, first 2 shown]
	v_cndmask_b32_e64 v21, v21, v59, s5
	v_cndmask_b32_e64 v22, v22, v61, s5
	s_cmp_eq_u32 s61, 0
	s_waitcnt lgkmcnt(0)
	s_delay_alu instid0(VALU_DEP_1) | instskip(NEXT) | instid1(VALU_DEP_1)
	v_fmac_f32_e32 v21, v20, v22
	v_fmac_f32_e32 v54, v21, v58
	s_delay_alu instid0(VALU_DEP_1) | instskip(NEXT) | instid1(VALU_DEP_1)
	v_fmac_f32_e32 v55, v54, v60
	v_fmac_f32_e32 v56, v55, v57
	;; [unrolled: 1-line block ×3, first 2 shown]
	s_delay_alu instid0(VALU_DEP_2)
	v_dual_fmac_f32 v14, v18, v55 :: v_dual_fmac_f32 v15, v19, v56
	v_fmac_f32_e32 v13, v17, v54
	s_cbranch_scc1 .LBB129_54
.LBB129_25:                             ;   Parent Loop BB129_12 Depth=1
                                        ; =>  This Inner Loop Header: Depth=2
	s_lshl_b64 s[18:19], s[22:23], 2
	s_mov_b32 s29, s23
	s_add_u32 s18, s40, s18
	s_addc_u32 s19, s41, s19
	s_lshl_b64 s[64:65], s[28:29], 2
	s_mov_b32 s31, s23
	v_add_co_u32 v16, vcc_lo, v49, s64
	v_add_co_ci_u32_e32 v17, vcc_lo, s65, v50, vcc_lo
	s_lshl_b64 s[64:65], s[30:31], 2
	s_delay_alu instid0(SALU_CYCLE_1)
	v_add_co_u32 v18, vcc_lo, v51, s64
	v_add_co_ci_u32_e32 v19, vcc_lo, s65, v52, vcc_lo
	global_load_b32 v54, v26, s[18:19]
	global_load_b128 v[20:23], v[16:17], off
	global_load_b128 v[16:19], v[18:19], off
	s_and_not1_b32 vcc_lo, exec_lo, s21
	s_cbranch_vccnz .LBB129_27
; %bb.26:                               ;   in Loop: Header=BB129_25 Depth=2
	v_mov_b32_e32 v24, s62
	ds_load_b64 v[24:25], v24
	s_cbranch_execz .LBB129_28
	s_branch .LBB129_31
.LBB129_27:                             ;   in Loop: Header=BB129_25 Depth=2
                                        ; implicit-def: $vgpr24
.LBB129_28:                             ;   in Loop: Header=BB129_25 Depth=2
	s_waitcnt lgkmcnt(0)
	v_mov_b32_e32 v25, 0
	s_and_not1_b32 vcc_lo, exec_lo, s33
	s_cbranch_vccnz .LBB129_30
; %bb.29:                               ;   in Loop: Header=BB129_25 Depth=2
	s_mov_b32 s39, s23
	s_delay_alu instid0(SALU_CYCLE_1) | instskip(NEXT) | instid1(SALU_CYCLE_1)
	s_lshl_b64 s[18:19], s[38:39], 2
	s_add_u32 s18, s50, s18
	s_addc_u32 s19, s51, s19
	global_load_b32 v25, v26, s[18:19]
.LBB129_30:                             ;   in Loop: Header=BB129_25 Depth=2
	v_mov_b32_e32 v24, 1.0
.LBB129_31:                             ;   in Loop: Header=BB129_25 Depth=2
	s_waitcnt vmcnt(1)
	v_dual_mul_f32 v54, 0x3fb8aa3b, v54 :: v_dual_mul_f32 v21, v21, v47
	v_dual_mul_f32 v22, v22, v46 :: v_dual_mul_f32 v23, v23, v45
	v_mul_f32_e32 v20, v20, v48
	s_delay_alu instid0(VALU_DEP_3) | instskip(SKIP_2) | instid1(VALU_DEP_3)
	v_mul_f32_e32 v56, v54, v42
	v_mul_f32_e32 v55, v54, v41
	;; [unrolled: 1-line block ×3, first 2 shown]
	v_cmp_gt_f32_e64 s17, 0xc2fc0000, v56
	s_delay_alu instid0(VALU_DEP_3) | instskip(NEXT) | instid1(VALU_DEP_3)
	v_cmp_gt_f32_e32 vcc_lo, 0xc2fc0000, v55
	v_cmp_gt_f32_e64 s18, 0xc2fc0000, v57
	s_delay_alu instid0(VALU_DEP_3) | instskip(SKIP_2) | instid1(VALU_DEP_4)
	v_cndmask_b32_e64 v56, 0, 0x42800000, s17
	v_cndmask_b32_e64 v55, 0, 0x42800000, vcc_lo
	v_cndmask_b32_e64 v59, 1.0, 0x1f800000, s17
	v_cndmask_b32_e64 v57, 0, 0x42800000, s18
	v_cndmask_b32_e64 v60, 1.0, 0x1f800000, s18
	v_fmac_f32_e32 v56, v54, v42
	s_delay_alu instid0(VALU_DEP_3) | instskip(NEXT) | instid1(VALU_DEP_2)
	v_fmac_f32_e32 v57, v54, v43
	v_exp_f32_e32 v56, v56
	s_waitcnt_depctr 0xfff
	v_dual_fmac_f32 v55, v54, v41 :: v_dual_mul_f32 v56, v56, v59
	s_delay_alu instid0(VALU_DEP_1) | instskip(SKIP_2) | instid1(VALU_DEP_2)
	v_exp_f32_e32 v55, v55
	v_mul_f32_e32 v58, v54, v44
	v_cndmask_b32_e64 v59, 0, v20, s13
	v_cmp_gt_f32_e64 s19, 0xc2fc0000, v58
	s_delay_alu instid0(VALU_DEP_1) | instskip(SKIP_1) | instid1(VALU_DEP_2)
	v_cndmask_b32_e64 v58, 0, 0x42800000, s19
	v_cndmask_b32_e64 v20, 1.0, 0x1f800000, s19
	v_fmac_f32_e32 v58, v54, v44
	v_exp_f32_e32 v54, v57
	v_cndmask_b32_e64 v57, 1.0, 0x1f800000, vcc_lo
	s_delay_alu instid0(VALU_DEP_2) | instskip(SKIP_1) | instid1(VALU_DEP_2)
	v_exp_f32_e32 v62, v58
	v_cndmask_b32_e64 v58, 1.0, v56, s14
	v_mul_f32_e32 v55, v55, v57
	v_cndmask_b32_e64 v56, 0, v23, s16
	s_waitcnt_depctr 0xfff
	v_mul_f32_e32 v57, v54, v60
	v_cndmask_b32_e64 v61, 1.0, v55, s13
	v_cndmask_b32_e64 v54, 0, v21, s14
	v_cndmask_b32_e64 v55, 0, v22, s15
	v_mul_f32_e32 v20, v62, v20
	v_cndmask_b32_e64 v60, 1.0, v57, s15
	v_mul_f32_e32 v21, v58, v61
	v_fma_f32 v22, v58, v59, v54
	s_delay_alu instid0(VALU_DEP_4) | instskip(NEXT) | instid1(VALU_DEP_3)
	v_cndmask_b32_e64 v57, 1.0, v20, s16
	v_mul_f32_e32 v20, v21, v60
	s_delay_alu instid0(VALU_DEP_3) | instskip(NEXT) | instid1(VALU_DEP_2)
	v_fma_f32 v21, v22, v60, v55
	v_mul_f32_e32 v20, v20, v57
	s_delay_alu instid0(VALU_DEP_2) | instskip(NEXT) | instid1(VALU_DEP_2)
	v_fma_f32 v21, v21, v57, v56
	v_mov_b32_dpp v23, v20 row_shr:1 row_mask:0xf bank_mask:0xf
	s_delay_alu instid0(VALU_DEP_2)
	v_mov_b32_dpp v22, v21 row_shr:1 row_mask:0xf bank_mask:0xf
	s_and_saveexec_b32 s17, s6
; %bb.32:                               ;   in Loop: Header=BB129_25 Depth=2
	s_delay_alu instid0(VALU_DEP_2) | instskip(NEXT) | instid1(VALU_DEP_1)
	v_mul_f32_e32 v23, v20, v23
	v_dual_fmac_f32 v21, v20, v22 :: v_dual_mov_b32 v20, v23
; %bb.33:                               ;   in Loop: Header=BB129_25 Depth=2
	s_or_b32 exec_lo, exec_lo, s17
	s_delay_alu instid0(VALU_DEP_1) | instskip(NEXT) | instid1(VALU_DEP_2)
	v_mov_b32_dpp v22, v20 row_shr:2 row_mask:0xf bank_mask:0xf
	v_mov_b32_dpp v23, v21 row_shr:2 row_mask:0xf bank_mask:0xf
	s_and_saveexec_b32 s17, s7
; %bb.34:                               ;   in Loop: Header=BB129_25 Depth=2
	s_delay_alu instid0(VALU_DEP_1) | instskip(NEXT) | instid1(VALU_DEP_3)
	v_fmac_f32_e32 v21, v20, v23
	v_mul_f32_e32 v20, v20, v22
; %bb.35:                               ;   in Loop: Header=BB129_25 Depth=2
	s_or_b32 exec_lo, exec_lo, s17
	s_delay_alu instid0(VALU_DEP_1) | instskip(NEXT) | instid1(VALU_DEP_3)
	v_mov_b32_dpp v22, v20 row_shr:4 row_mask:0xf bank_mask:0xf
	v_mov_b32_dpp v23, v21 row_shr:4 row_mask:0xf bank_mask:0xf
	s_and_saveexec_b32 s17, s8
; %bb.36:                               ;   in Loop: Header=BB129_25 Depth=2
	s_delay_alu instid0(VALU_DEP_1) | instskip(NEXT) | instid1(VALU_DEP_3)
	v_fmac_f32_e32 v21, v20, v23
	v_mul_f32_e32 v20, v20, v22
; %bb.37:                               ;   in Loop: Header=BB129_25 Depth=2
	s_or_b32 exec_lo, exec_lo, s17
	s_delay_alu instid0(VALU_DEP_1) | instskip(NEXT) | instid1(VALU_DEP_3)
	v_mov_b32_dpp v22, v20 row_shr:8 row_mask:0xf bank_mask:0xf
	v_mov_b32_dpp v23, v21 row_shr:8 row_mask:0xf bank_mask:0xf
	s_and_saveexec_b32 s17, s9
; %bb.38:                               ;   in Loop: Header=BB129_25 Depth=2
	s_delay_alu instid0(VALU_DEP_1) | instskip(NEXT) | instid1(VALU_DEP_3)
	v_fmac_f32_e32 v21, v20, v23
	v_mul_f32_e32 v20, v20, v22
; %bb.39:                               ;   in Loop: Header=BB129_25 Depth=2
	s_or_b32 exec_lo, exec_lo, s17
	ds_swizzle_b32 v23, v20 offset:swizzle(BROADCAST,32,15)
	ds_swizzle_b32 v22, v21 offset:swizzle(BROADCAST,32,15)
	s_and_saveexec_b32 s17, s10
	s_cbranch_execz .LBB129_41
; %bb.40:                               ;   in Loop: Header=BB129_25 Depth=2
	s_waitcnt lgkmcnt(1)
	v_mul_f32_e32 v23, v20, v23
	s_waitcnt lgkmcnt(0)
	s_delay_alu instid0(VALU_DEP_1)
	v_dual_fmac_f32 v21, v20, v22 :: v_dual_mov_b32 v20, v23
.LBB129_41:                             ;   in Loop: Header=BB129_25 Depth=2
	s_or_b32 exec_lo, exec_lo, s17
	s_and_saveexec_b32 s17, s1
	s_cbranch_execz .LBB129_43
; %bb.42:                               ;   in Loop: Header=BB129_25 Depth=2
	ds_store_b64 v28, v[20:21] offset:2112
.LBB129_43:                             ;   in Loop: Header=BB129_25 Depth=2
	s_or_b32 exec_lo, exec_lo, s17
	s_waitcnt vmcnt(0) lgkmcnt(0)
	s_waitcnt_vscnt null, 0x0
	s_barrier
	buffer_gl0_inv
	s_and_saveexec_b32 s17, s2
	s_cbranch_execz .LBB129_45
; %bb.44:                               ;   in Loop: Header=BB129_25 Depth=2
	ds_load_b64 v[22:23], v29 offset:2112
	s_waitcnt lgkmcnt(0)
	v_mov_b32_dpp v62, v22 row_shr:1 row_mask:0xf bank_mask:0xf
	v_mov_b32_dpp v63, v23 row_shr:1 row_mask:0xf bank_mask:0xf
	s_delay_alu instid0(VALU_DEP_2) | instskip(NEXT) | instid1(VALU_DEP_2)
	v_mul_f32_e32 v62, v22, v62
	v_fma_f32 v63, v22, v63, v23
	s_delay_alu instid0(VALU_DEP_2) | instskip(NEXT) | instid1(VALU_DEP_2)
	v_cndmask_b32_e64 v22, v62, v22, s11
	v_cndmask_b32_e64 v23, v63, v23, s11
	ds_store_b64 v29, v[22:23] offset:2112
.LBB129_45:                             ;   in Loop: Header=BB129_25 Depth=2
	s_or_b32 exec_lo, exec_lo, s17
	s_waitcnt lgkmcnt(0)
	s_barrier
	buffer_gl0_inv
                                        ; implicit-def: $vgpr23
	s_and_saveexec_b32 s17, s4
	s_cbranch_execz .LBB129_47
; %bb.46:                               ;   in Loop: Header=BB129_25 Depth=2
	ds_load_b64 v[22:23], v28 offset:2104
	s_waitcnt lgkmcnt(0)
	v_mul_f32_e32 v62, v20, v22
	s_delay_alu instid0(VALU_DEP_1)
	v_dual_fmac_f32 v21, v20, v23 :: v_dual_mov_b32 v20, v62
.LBB129_47:                             ;   in Loop: Header=BB129_25 Depth=2
	s_or_b32 exec_lo, exec_lo, s17
	ds_bpermute_b32 v62, v53, v20
	ds_bpermute_b32 v63, v53, v21
	s_and_saveexec_b32 s17, s3
	s_cbranch_execz .LBB129_51
; %bb.48:                               ;   in Loop: Header=BB129_25 Depth=2
	ds_load_b64 v[20:21], v26 offset:2120
	s_and_saveexec_b32 s18, s5
	s_cbranch_execz .LBB129_50
; %bb.49:                               ;   in Loop: Header=BB129_25 Depth=2
	ds_store_b64 v26, v[24:25] offset:2120
.LBB129_50:                             ;   in Loop: Header=BB129_25 Depth=2
	s_or_b32 exec_lo, exec_lo, s18
	s_waitcnt lgkmcnt(0)
	v_fmac_f32_e32 v21, v25, v20
	s_delay_alu instid0(VALU_DEP_1)
	v_dual_mul_f32 v24, v24, v20 :: v_dual_mov_b32 v25, v21
.LBB129_51:                             ;   in Loop: Header=BB129_25 Depth=2
	s_or_b32 exec_lo, exec_lo, s17
	s_waitcnt lgkmcnt(0)
	s_barrier
	buffer_gl0_inv
	ds_load_b32 v20, v26 offset:2124
	s_and_saveexec_b32 s17, s5
	s_cbranch_execz .LBB129_24
; %bb.52:                               ;   in Loop: Header=BB129_25 Depth=2
	v_mov_b32_e32 v21, s62
	s_and_not1_b32 vcc_lo, exec_lo, s60
	ds_store_b64 v21, v[24:25]
	s_cbranch_vccnz .LBB129_24
; %bb.53:                               ;   in Loop: Header=BB129_25 Depth=2
	s_mov_b32 s39, s23
	s_delay_alu instid0(SALU_CYCLE_1) | instskip(NEXT) | instid1(SALU_CYCLE_1)
	s_lshl_b64 s[18:19], s[38:39], 2
	s_add_u32 s18, s50, s18
	s_addc_u32 s19, s51, s19
	global_store_b32 v26, v25, s[18:19]
	s_branch .LBB129_24
.LBB129_54:                             ;   in Loop: Header=BB129_12 Depth=1
	s_mov_b32 s21, s23
	s_waitcnt_vscnt null, 0x0
	s_lshl_b64 s[10:11], s[20:21], 2
	s_barrier
	v_add_co_u32 v16, vcc_lo, v30, s10
	v_add_co_ci_u32_e32 v17, vcc_lo, s11, v31, vcc_lo
	buffer_gl0_inv
	global_store_b128 v[16:17], v[12:15], off
	s_waitcnt_vscnt null, 0x0
	s_barrier
	buffer_gl0_inv
	s_and_saveexec_b32 s6, s0
	s_cbranch_execz .LBB129_11
; %bb.55:                               ;   in Loop: Header=BB129_12 Depth=1
	v_add_co_u32 v8, vcc_lo, v32, s10
	v_add_co_ci_u32_e32 v9, vcc_lo, s11, v33, vcc_lo
	global_load_b128 v[8:11], v[8:9], off
	s_branch .LBB129_11
.LBB129_56:
	s_nop 0
	s_sendmsg sendmsg(MSG_DEALLOC_VGPRS)
	s_endpgm
	.section	.rodata,"a",@progbits
	.p2align	6, 0x0
	.amdhsa_kernel _Z25selective_scan_fwd_kernelI32Selective_Scan_fwd_kernel_traitsILi64ELi4ELi1ELb1ELb1ELb1ELb1ELb0EfffEEv13SSMParamsBase
		.amdhsa_group_segment_fixed_size 0
		.amdhsa_private_segment_fixed_size 0
		.amdhsa_kernarg_size 248
		.amdhsa_user_sgpr_count 14
		.amdhsa_user_sgpr_dispatch_ptr 0
		.amdhsa_user_sgpr_queue_ptr 0
		.amdhsa_user_sgpr_kernarg_segment_ptr 1
		.amdhsa_user_sgpr_dispatch_id 0
		.amdhsa_user_sgpr_private_segment_size 0
		.amdhsa_wavefront_size32 1
		.amdhsa_uses_dynamic_stack 0
		.amdhsa_enable_private_segment 0
		.amdhsa_system_sgpr_workgroup_id_x 1
		.amdhsa_system_sgpr_workgroup_id_y 1
		.amdhsa_system_sgpr_workgroup_id_z 0
		.amdhsa_system_sgpr_workgroup_info 0
		.amdhsa_system_vgpr_workitem_id 0
		.amdhsa_next_free_vgpr 64
		.amdhsa_next_free_sgpr 66
		.amdhsa_reserve_vcc 1
		.amdhsa_float_round_mode_32 0
		.amdhsa_float_round_mode_16_64 0
		.amdhsa_float_denorm_mode_32 3
		.amdhsa_float_denorm_mode_16_64 3
		.amdhsa_dx10_clamp 1
		.amdhsa_ieee_mode 1
		.amdhsa_fp16_overflow 0
		.amdhsa_workgroup_processor_mode 1
		.amdhsa_memory_ordered 1
		.amdhsa_forward_progress 0
		.amdhsa_shared_vgpr_count 0
		.amdhsa_exception_fp_ieee_invalid_op 0
		.amdhsa_exception_fp_denorm_src 0
		.amdhsa_exception_fp_ieee_div_zero 0
		.amdhsa_exception_fp_ieee_overflow 0
		.amdhsa_exception_fp_ieee_underflow 0
		.amdhsa_exception_fp_ieee_inexact 0
		.amdhsa_exception_int_div_zero 0
	.end_amdhsa_kernel
	.section	.text._Z25selective_scan_fwd_kernelI32Selective_Scan_fwd_kernel_traitsILi64ELi4ELi1ELb1ELb1ELb1ELb1ELb0EfffEEv13SSMParamsBase,"axG",@progbits,_Z25selective_scan_fwd_kernelI32Selective_Scan_fwd_kernel_traitsILi64ELi4ELi1ELb1ELb1ELb1ELb1ELb0EfffEEv13SSMParamsBase,comdat
.Lfunc_end129:
	.size	_Z25selective_scan_fwd_kernelI32Selective_Scan_fwd_kernel_traitsILi64ELi4ELi1ELb1ELb1ELb1ELb1ELb0EfffEEv13SSMParamsBase, .Lfunc_end129-_Z25selective_scan_fwd_kernelI32Selective_Scan_fwd_kernel_traitsILi64ELi4ELi1ELb1ELb1ELb1ELb1ELb0EfffEEv13SSMParamsBase
                                        ; -- End function
	.section	.AMDGPU.csdata,"",@progbits
; Kernel info:
; codeLenInByte = 6624
; NumSgprs: 68
; NumVgprs: 64
; ScratchSize: 0
; MemoryBound: 1
; FloatMode: 240
; IeeeMode: 1
; LDSByteSize: 0 bytes/workgroup (compile time only)
; SGPRBlocks: 8
; VGPRBlocks: 7
; NumSGPRsForWavesPerEU: 68
; NumVGPRsForWavesPerEU: 64
; Occupancy: 16
; WaveLimiterHint : 0
; COMPUTE_PGM_RSRC2:SCRATCH_EN: 0
; COMPUTE_PGM_RSRC2:USER_SGPR: 14
; COMPUTE_PGM_RSRC2:TRAP_HANDLER: 0
; COMPUTE_PGM_RSRC2:TGID_X_EN: 1
; COMPUTE_PGM_RSRC2:TGID_Y_EN: 1
; COMPUTE_PGM_RSRC2:TGID_Z_EN: 0
; COMPUTE_PGM_RSRC2:TIDIG_COMP_CNT: 0
	.section	.text._Z25selective_scan_fwd_kernelI32Selective_Scan_fwd_kernel_traitsILi64ELi4ELi1ELb1ELb1ELb1ELb0ELb1EfffEEv13SSMParamsBase,"axG",@progbits,_Z25selective_scan_fwd_kernelI32Selective_Scan_fwd_kernel_traitsILi64ELi4ELi1ELb1ELb1ELb1ELb0ELb1EfffEEv13SSMParamsBase,comdat
	.protected	_Z25selective_scan_fwd_kernelI32Selective_Scan_fwd_kernel_traitsILi64ELi4ELi1ELb1ELb1ELb1ELb0ELb1EfffEEv13SSMParamsBase ; -- Begin function _Z25selective_scan_fwd_kernelI32Selective_Scan_fwd_kernel_traitsILi64ELi4ELi1ELb1ELb1ELb1ELb0ELb1EfffEEv13SSMParamsBase
	.globl	_Z25selective_scan_fwd_kernelI32Selective_Scan_fwd_kernel_traitsILi64ELi4ELi1ELb1ELb1ELb1ELb0ELb1EfffEEv13SSMParamsBase
	.p2align	8
	.type	_Z25selective_scan_fwd_kernelI32Selective_Scan_fwd_kernel_traitsILi64ELi4ELi1ELb1ELb1ELb1ELb0ELb1EfffEEv13SSMParamsBase,@function
_Z25selective_scan_fwd_kernelI32Selective_Scan_fwd_kernel_traitsILi64ELi4ELi1ELb1ELb1ELb1ELb0ELb1EfffEEv13SSMParamsBase: ; @_Z25selective_scan_fwd_kernelI32Selective_Scan_fwd_kernel_traitsILi64ELi4ELi1ELb1ELb1ELb1ELb0ELb1EfffEEv13SSMParamsBase
; %bb.0:
	s_clause 0x2
	s_load_b32 s35, s[0:1], 0x18
	s_load_b128 s[4:7], s[0:1], 0xe0
	s_load_b64 s[10:11], s[0:1], 0xf0
	s_mov_b32 s12, s15
	s_ashr_i32 s15, s14, 31
	s_mov_b32 s33, 0
	s_lshl_b64 s[8:9], s[14:15], 2
	s_waitcnt lgkmcnt(0)
	s_abs_i32 s34, s35
	s_add_u32 s2, s4, s8
	v_cvt_f32_u32_e32 v1, s34
	s_addc_u32 s3, s5, s9
	s_cmp_eq_u64 s[10:11], 0
	s_delay_alu instid0(VALU_DEP_1) | instskip(SKIP_2) | instid1(VALU_DEP_1)
	v_rcp_iflag_f32_e32 v1, v1
	s_waitcnt_depctr 0xfff
	v_mul_f32_e32 v1, 0x4f7ffffe, v1
	v_cvt_u32_f32_e32 v1, v1
	s_delay_alu instid0(VALU_DEP_1)
	v_readfirstlane_b32 s36, v1
	s_cbranch_scc1 .LBB130_2
; %bb.1:
	v_mov_b32_e32 v1, 0
	s_add_u32 s4, s10, s14
	s_addc_u32 s5, s11, s15
	global_load_u8 v1, v1, s[4:5]
	s_waitcnt vmcnt(0)
	v_and_b32_e32 v1, 1, v1
	s_delay_alu instid0(VALU_DEP_1)
	v_cmp_eq_u32_e64 s33, 1, v1
.LBB130_2:
	s_load_b64 s[4:5], s[0:1], 0x20
	s_cmp_eq_u64 s[6:7], 0
	s_cbranch_scc1 .LBB130_4
; %bb.3:
	s_add_u32 s6, s6, s8
	s_addc_u32 s7, s7, s9
	s_load_b32 s14, s[6:7], 0x0
	s_waitcnt lgkmcnt(0)
	s_ashr_i32 s15, s14, 31
.LBB130_4:
	s_waitcnt lgkmcnt(0)
	s_cmp_eq_u64 s[4:5], s[14:15]
	s_cbranch_scc1 .LBB130_92
; %bb.5:
	s_load_b512 s[16:31], s[0:1], 0x88
	s_load_b64 s[10:11], s[2:3], 0x0
	s_mov_b32 s48, 0
	s_mov_b32 s49, 0
	s_waitcnt lgkmcnt(0)
	s_cmp_eq_u64 s[22:23], 0
	s_cbranch_scc1 .LBB130_7
; %bb.6:
	s_ashr_i32 s13, s12, 31
	s_delay_alu instid0(SALU_CYCLE_1) | instskip(NEXT) | instid1(SALU_CYCLE_1)
	s_lshl_b64 s[2:3], s[12:13], 2
	s_add_u32 s2, s22, s2
	s_addc_u32 s3, s23, s3
	s_load_b32 s49, s[2:3], 0x0
.LBB130_7:
	s_cmp_eq_u64 s[28:29], 0
	s_cbranch_scc1 .LBB130_9
; %bb.8:
	s_ashr_i32 s13, s12, 31
	s_delay_alu instid0(SALU_CYCLE_1) | instskip(NEXT) | instid1(SALU_CYCLE_1)
	s_lshl_b64 s[2:3], s[12:13], 2
	s_add_u32 s2, s28, s2
	s_addc_u32 s3, s29, s3
	s_load_b32 s48, s[2:3], 0x0
.LBB130_9:
	s_sub_i32 s23, s11, s10
	s_delay_alu instid0(SALU_CYCLE_1)
	s_cmp_lt_i32 s23, 1
	s_cbranch_scc1 .LBB130_92
; %bb.10:
	s_sub_i32 s2, 0, s34
	s_abs_i32 s5, s12
	s_mul_i32 s4, s2, s36
	s_clause 0x1
	s_load_b64 s[2:3], s[0:1], 0x5c
	s_load_b128 s[44:47], s[0:1], 0x4c
	s_mul_hi_u32 s4, s36, s4
	s_ashr_i32 s7, s35, 31
	s_add_i32 s36, s36, s4
	s_ashr_i32 s4, s12, 31
	s_mul_hi_u32 s6, s5, s36
	s_xor_b32 s7, s4, s7
	s_mul_i32 s8, s6, s34
	s_load_b256 s[36:43], s[0:1], 0x2c
	s_sub_i32 s4, s5, s8
	s_add_i32 s5, s6, 1
	s_sub_i32 s8, s4, s34
	s_cmp_ge_u32 s4, s34
	s_mov_b32 s35, 0
	s_cselect_b32 s5, s5, s6
	s_cselect_b32 s4, s8, s4
	s_add_i32 s6, s5, 1
	s_cmp_ge_u32 s4, s34
	v_dual_mov_b32 v1, 0 :: v_dual_lshlrev_b32 v12, 2, v0
	s_cselect_b32 s4, s6, s5
	s_waitcnt lgkmcnt(0)
	s_mul_i32 s34, s10, s46
	s_xor_b32 s6, s4, s7
	s_lshl_b64 s[4:5], s[34:35], 2
	s_sub_i32 s6, s6, s7
	s_mul_i32 s34, s47, s12
	s_add_u32 s7, s24, s4
	s_addc_u32 s8, s25, s5
	s_lshl_b64 s[4:5], s[34:35], 2
	s_mul_i32 s34, s10, s2
	s_add_u32 s50, s7, s4
	s_addc_u32 s51, s8, s5
	s_lshl_b64 s[4:5], s[34:35], 2
	s_mul_i32 s34, s3, s12
	s_add_u32 s4, s26, s4
	s_addc_u32 s5, s27, s5
	s_load_b128 s[24:27], s[0:1], 0x7c
	s_lshl_b64 s[2:3], s[34:35], 2
	s_mul_i32 s34, s36, s12
	s_add_u32 s52, s4, s2
	s_addc_u32 s36, s5, s3
	s_load_b64 s[4:5], s[0:1], 0xc8
	s_lshl_b64 s[2:3], s[34:35], 2
	s_mul_i32 s34, s10, s38
	s_add_u32 s53, s16, s2
	s_waitcnt lgkmcnt(0)
	s_addc_u32 s27, s17, s3
	s_load_b64 s[16:17], s[0:1], 0x6c
	s_lshl_b64 s[2:3], s[34:35], 2
	s_mul_i32 s34, s6, s41
	s_clause 0x1
	s_load_b32 s58, s[0:1], 0xc
	s_load_b32 s0, s[0:1], 0x28
	s_add_u32 s7, s18, s2
	v_mbcnt_lo_u32_b32 v2, -1, 0
	v_and_b32_e32 v3, 0x80, v12
	s_addc_u32 s8, s19, s3
	s_lshl_b64 s[2:3], s[34:35], 2
	s_mul_i32 s34, s10, s42
	s_add_u32 s41, s7, s2
	s_addc_u32 s54, s8, s3
	s_lshl_b64 s[2:3], s[34:35], 2
	s_mul_i32 s34, s6, s45
	v_or_b32_e32 v13, v2, v3
	s_add_u32 s7, s20, s2
	s_addc_u32 s6, s21, s3
	s_lshl_b64 s[2:3], s[34:35], 2
	s_mul_i32 s34, s14, s24
	s_add_u32 s45, s7, s2
	s_addc_u32 s55, s6, s3
	s_lshl_b64 s[2:3], s[34:35], 2
	v_lshrrev_b32_e32 v4, 5, v3
	v_or_b32_e32 v14, 32, v13
	v_or_b32_e32 v15, 64, v13
	v_and_b32_e32 v5, 32, v0
	s_mul_i32 s34, s25, s12
	s_add_u32 s4, s4, s2
	s_addc_u32 s5, s5, s3
	s_lshl_b64 s[2:3], s[34:35], 2
	v_add_nc_u32_e32 v4, v4, v13
	s_add_u32 s56, s4, s2
	v_lshrrev_b32_e32 v6, 5, v14
	v_lshrrev_b32_e32 v7, 5, v15
	v_or_b32_e32 v16, 0x60, v13
	v_or_b32_e32 v8, v2, v5
	s_addc_u32 s57, s5, s3
	s_add_i32 s2, s23, 0x7ff
	v_lshl_add_u32 v17, v4, 2, 0
	s_lshr_b32 s59, s2, 11
	s_waitcnt lgkmcnt(0)
	s_bitcmp1_b32 s0, 0
	v_add_lshl_u32 v4, v6, v13, 2
	v_add_lshl_u32 v6, v7, v13, 2
	v_lshrrev_b32_e32 v7, 5, v16
	v_lshlrev_b32_e32 v9, 2, v8
	v_bfe_u32 v8, v8, 3, 27
	s_cselect_b32 s60, -1, 0
	s_cmp_gt_i32 s58, 0
	v_add_nc_u32_e32 v18, 0, v4
	s_cselect_b32 s61, -1, 0
	s_add_i32 s0, 0, 0x420
	v_add_lshl_u32 v7, v7, v13, 2
	v_add_lshl_u32 v8, v8, v9, 2
	v_add_nc_u32_e32 v22, s0, v4
	v_and_b32_e32 v4, 15, v2
	s_and_b32 s1, s23, 0xff
	v_add_nc_u32_e32 v23, s0, v6
	v_add_nc_u32_e32 v24, s0, v7
	s_cmp_eq_u32 s1, 0
	v_add_nc_u32_e32 v25, s0, v8
	v_cmp_ne_u32_e64 s0, 0, v4
	v_cmp_lt_u32_e64 s1, 1, v4
	v_cmp_lt_u32_e64 s2, 3, v4
	;; [unrolled: 1-line block ×3, first 2 shown]
	v_add_nc_u32_e32 v4, -1, v2
	v_or_b32_e32 v5, 31, v5
	s_mul_i32 s34, s10, s16
	s_cselect_b32 s62, -1, 0
	s_lshl_b64 s[14:15], s[34:35], 2
	v_cmp_gt_i32_e32 vcc_lo, 0, v4
	s_add_i32 s63, s59, -1
	s_mul_i32 s34, s17, s12
	v_add_nc_u32_e32 v19, 0, v6
	v_lshrrev_b32_e32 v6, 2, v0
	v_cndmask_b32_e32 v4, v4, v2, vcc_lo
	v_cmp_eq_u32_e64 s5, v5, v0
	v_cmp_gt_u32_e64 s6, 2, v0
	v_lshl_add_u32 v27, v0, 3, 0
	v_cmp_gt_u32_e64 s8, 32, v0
	v_cmp_lt_u32_e64 s9, 31, v0
	v_cmp_eq_u32_e64 s10, 0, v0
	s_add_u32 s11, s30, s14
	v_lshlrev_b32_e32 v0, 2, v2
	s_addc_u32 s14, s31, s15
	s_lshl_b64 s[12:13], s[34:35], 2
	v_and_b32_e32 v5, 1, v2
	s_add_u32 s11, s11, s12
	v_lshlrev_b32_e32 v28, 2, v4
	s_addc_u32 s12, s14, s13
	v_lshlrev_b32_e32 v4, 2, v3
	v_add_co_u32 v0, s11, s11, v0
	v_add_nc_u32_e32 v20, 0, v7
	v_and_b32_e32 v7, 16, v2
	v_and_b32_e32 v6, 8, v6
	v_cmp_eq_u32_e64 s7, 0, v5
	v_add_co_ci_u32_e64 v5, null, s12, 0, s11
	v_add_co_u32 v0, vcc_lo, v0, v4
	v_add_nc_u32_e32 v21, 0, v8
	v_cmp_ne_u32_e64 s4, 0, v7
	v_add_nc_u32_e32 v26, 0, v6
	v_cmp_eq_u32_e64 s11, 0, v2
	v_add_co_ci_u32_e32 v29, vcc_lo, 0, v5, vcc_lo
	v_or_b32_e32 v30, 1, v12
	v_or_b32_e32 v31, 2, v12
	;; [unrolled: 1-line block ×3, first 2 shown]
	v_lshlrev_b32_e32 v33, 2, v2
	v_lshlrev_b32_e32 v34, 2, v3
	s_mov_b32 s64, 0x3e9b6dac
	s_add_i32 s65, 0, 0x850
	s_mov_b32 s66, 0
	s_mov_b32 s28, 0
	s_branch .LBB130_12
.LBB130_11:                             ;   in Loop: Header=BB130_12 Depth=1
	s_or_b32 exec_lo, exec_lo, s12
	s_add_u32 s52, s52, 0x400
	s_addc_u32 s36, s36, 0
	s_add_u32 s50, s50, 0x400
	s_addc_u32 s51, s51, 0
	;; [unrolled: 2-line block ×4, first 2 shown]
	s_add_i32 s66, s66, 1
	s_delay_alu instid0(SALU_CYCLE_1)
	s_cmp_eq_u32 s66, s59
	s_cbranch_scc1 .LBB130_92
.LBB130_12:                             ; =>This Loop Header: Depth=1
                                        ;     Child Loop BB130_37 Depth 2
	v_add_co_u32 v2, s12, s50, v33
	s_delay_alu instid0(VALU_DEP_1) | instskip(SKIP_1) | instid1(VALU_DEP_2)
	v_add_co_ci_u32_e64 v3, null, s51, 0, s12
	s_lshl_b32 s24, s66, 8
	v_add_co_u32 v2, vcc_lo, v2, v34
	s_sub_i32 s19, s23, s24
	s_delay_alu instid0(VALU_DEP_2)
	v_add_co_ci_u32_e32 v3, vcc_lo, 0, v3, vcc_lo
	v_cmp_gt_u32_e64 s12, s19, v13
	s_waitcnt lgkmcnt(0)
	v_mov_b32_e32 v4, v1
	s_waitcnt_vscnt null, 0x0
	s_barrier
	buffer_gl0_inv
	s_and_saveexec_b32 s13, s12
	s_cbranch_execz .LBB130_14
; %bb.13:                               ;   in Loop: Header=BB130_12 Depth=1
	global_load_b32 v4, v[2:3], off
.LBB130_14:                             ;   in Loop: Header=BB130_12 Depth=1
	s_or_b32 exec_lo, exec_lo, s13
	v_cmp_gt_u32_e64 s13, s19, v14
	v_dual_mov_b32 v5, 0 :: v_dual_mov_b32 v6, 0
	s_delay_alu instid0(VALU_DEP_2)
	s_and_saveexec_b32 s14, s13
	s_cbranch_execz .LBB130_16
; %bb.15:                               ;   in Loop: Header=BB130_12 Depth=1
	global_load_b32 v6, v[2:3], off offset:128
.LBB130_16:                             ;   in Loop: Header=BB130_12 Depth=1
	s_or_b32 exec_lo, exec_lo, s14
	v_cmp_gt_u32_e64 s14, s19, v15
	s_delay_alu instid0(VALU_DEP_1)
	s_and_saveexec_b32 s15, s14
	s_cbranch_execz .LBB130_18
; %bb.17:                               ;   in Loop: Header=BB130_12 Depth=1
	global_load_b32 v5, v[2:3], off offset:256
.LBB130_18:                             ;   in Loop: Header=BB130_12 Depth=1
	s_or_b32 exec_lo, exec_lo, s15
	v_cmp_gt_u32_e64 s15, s19, v16
	v_dual_mov_b32 v8, 0 :: v_dual_mov_b32 v7, 0
	s_delay_alu instid0(VALU_DEP_2)
	s_and_saveexec_b32 s16, s15
	s_cbranch_execz .LBB130_20
; %bb.19:                               ;   in Loop: Header=BB130_12 Depth=1
	global_load_b32 v7, v[2:3], off offset:384
.LBB130_20:                             ;   in Loop: Header=BB130_12 Depth=1
	s_or_b32 exec_lo, exec_lo, s16
	s_waitcnt vmcnt(0)
	ds_store_b32 v17, v4
	ds_store_b32 v18, v6 offset:128
	ds_store_b32 v19, v5 offset:256
	;; [unrolled: 1-line block ×3, first 2 shown]
	; wave barrier
	ds_load_2addr_b32 v[2:3], v21 offset1:1
	ds_load_2addr_b32 v[4:5], v21 offset0:2 offset1:3
	v_add_co_u32 v6, s16, s52, v33
	s_delay_alu instid0(VALU_DEP_1) | instskip(SKIP_1) | instid1(VALU_DEP_2)
	v_add_co_ci_u32_e64 v7, null, s36, 0, s16
	s_waitcnt lgkmcnt(0)
	v_add_co_u32 v6, vcc_lo, v6, v34
	s_delay_alu instid0(VALU_DEP_2)
	v_add_co_ci_u32_e32 v7, vcc_lo, 0, v7, vcc_lo
	s_barrier
	buffer_gl0_inv
	s_and_saveexec_b32 s16, s12
	s_cbranch_execz .LBB130_22
; %bb.21:                               ;   in Loop: Header=BB130_12 Depth=1
	global_load_b32 v8, v[6:7], off
.LBB130_22:                             ;   in Loop: Header=BB130_12 Depth=1
	s_or_b32 exec_lo, exec_lo, s16
	v_dual_mov_b32 v9, 0 :: v_dual_mov_b32 v10, 0
	s_and_saveexec_b32 s16, s13
	s_cbranch_execnz .LBB130_86
; %bb.23:                               ;   in Loop: Header=BB130_12 Depth=1
	s_or_b32 exec_lo, exec_lo, s16
	s_and_saveexec_b32 s16, s14
	s_cbranch_execnz .LBB130_87
.LBB130_24:                             ;   in Loop: Header=BB130_12 Depth=1
	s_or_b32 exec_lo, exec_lo, s16
	v_mov_b32_e32 v11, 0
	s_and_saveexec_b32 s16, s15
	s_cbranch_execz .LBB130_26
.LBB130_25:                             ;   in Loop: Header=BB130_12 Depth=1
	global_load_b32 v11, v[6:7], off offset:384
.LBB130_26:                             ;   in Loop: Header=BB130_12 Depth=1
	s_or_b32 exec_lo, exec_lo, s16
	s_waitcnt vmcnt(0)
	ds_store_b32 v17, v8
	ds_store_b32 v18, v10 offset:128
	ds_store_b32 v19, v9 offset:256
	;; [unrolled: 1-line block ×3, first 2 shown]
	; wave barrier
	ds_load_2addr_b32 v[8:9], v21 offset1:1
	ds_load_2addr_b32 v[6:7], v21 offset0:2 offset1:3
	s_waitcnt lgkmcnt(1)
	v_add_f32_e32 v35, s48, v8
	s_delay_alu instid0(VALU_DEP_1) | instskip(SKIP_1) | instid1(SALU_CYCLE_1)
	v_cmp_ge_f32_e32 vcc_lo, 0x41a00000, v35
	s_and_b32 s16, s60, vcc_lo
	s_and_saveexec_b32 s17, s16
	s_cbranch_execz .LBB130_28
; %bb.27:                               ;   in Loop: Header=BB130_12 Depth=1
	v_mul_f32_e32 v8, 0x3fb8aa3b, v35
	v_cmp_ngt_f32_e32 vcc_lo, 0xc2ce8ed0, v35
	s_delay_alu instid0(VALU_DEP_2) | instskip(SKIP_1) | instid1(VALU_DEP_1)
	v_rndne_f32_e32 v10, v8
	v_fma_f32 v11, 0x3fb8aa3b, v35, -v8
	v_dual_sub_f32 v8, v8, v10 :: v_dual_fmac_f32 v11, 0x32a5705f, v35
	v_cvt_i32_f32_e32 v10, v10
	s_delay_alu instid0(VALU_DEP_2) | instskip(NEXT) | instid1(VALU_DEP_1)
	v_add_f32_e32 v8, v8, v11
	v_exp_f32_e32 v8, v8
	s_waitcnt_depctr 0xfff
	v_ldexp_f32 v8, v8, v10
	s_delay_alu instid0(VALU_DEP_1) | instskip(SKIP_1) | instid1(VALU_DEP_2)
	v_cndmask_b32_e32 v8, 0, v8, vcc_lo
	v_cmp_nlt_f32_e32 vcc_lo, 0x42b17218, v35
	v_cndmask_b32_e32 v8, 0x7f800000, v8, vcc_lo
	s_delay_alu instid0(VALU_DEP_1) | instskip(NEXT) | instid1(VALU_DEP_1)
	v_add_f32_e32 v35, 1.0, v8
	v_cvt_f64_f32_e32 v[10:11], v35
	s_delay_alu instid0(VALU_DEP_1) | instskip(SKIP_1) | instid1(VALU_DEP_1)
	v_frexp_exp_i32_f64_e32 v10, v[10:11]
	v_frexp_mant_f32_e32 v11, v35
	v_cmp_gt_f32_e32 vcc_lo, 0x3f2aaaab, v11
	v_add_f32_e32 v11, -1.0, v35
	s_delay_alu instid0(VALU_DEP_1) | instskip(SKIP_2) | instid1(VALU_DEP_3)
	v_sub_f32_e32 v37, v11, v35
	v_sub_f32_e32 v11, v8, v11
	v_cmp_gt_f32_e64 s16, 0x33800000, v8
	v_add_f32_e32 v37, 1.0, v37
	s_delay_alu instid0(VALU_DEP_1) | instskip(SKIP_2) | instid1(VALU_DEP_2)
	v_add_f32_e32 v11, v11, v37
	v_subrev_co_ci_u32_e32 v10, vcc_lo, 0, v10, vcc_lo
	v_cmp_eq_f32_e32 vcc_lo, 0x7f800000, v8
	v_sub_nc_u32_e32 v36, 0, v10
	v_cvt_f32_i32_e32 v10, v10
	s_or_b32 vcc_lo, s16, vcc_lo
	s_delay_alu instid0(VALU_DEP_2) | instskip(SKIP_1) | instid1(VALU_DEP_2)
	v_ldexp_f32 v35, v35, v36
	v_ldexp_f32 v11, v11, v36
	v_add_f32_e32 v38, 1.0, v35
	s_delay_alu instid0(VALU_DEP_1) | instskip(NEXT) | instid1(VALU_DEP_1)
	v_dual_add_f32 v36, -1.0, v35 :: v_dual_add_f32 v37, -1.0, v38
	v_add_f32_e32 v39, 1.0, v36
	s_delay_alu instid0(VALU_DEP_2) | instskip(NEXT) | instid1(VALU_DEP_2)
	v_sub_f32_e32 v37, v35, v37
	v_sub_f32_e32 v35, v35, v39
	s_delay_alu instid0(VALU_DEP_2) | instskip(NEXT) | instid1(VALU_DEP_2)
	v_add_f32_e32 v37, v11, v37
	v_add_f32_e32 v11, v11, v35
	s_delay_alu instid0(VALU_DEP_1) | instskip(NEXT) | instid1(VALU_DEP_1)
	v_dual_add_f32 v40, v36, v11 :: v_dual_add_f32 v39, v38, v37
	v_sub_f32_e32 v36, v36, v40
	s_delay_alu instid0(VALU_DEP_2) | instskip(SKIP_1) | instid1(VALU_DEP_1)
	v_rcp_f32_e32 v35, v39
	v_sub_f32_e32 v38, v38, v39
	v_add_f32_e32 v37, v37, v38
	s_waitcnt_depctr 0xfff
	v_mul_f32_e32 v41, v40, v35
	s_delay_alu instid0(VALU_DEP_1) | instskip(NEXT) | instid1(VALU_DEP_1)
	v_mul_f32_e32 v42, v39, v41
	v_fma_f32 v38, v41, v39, -v42
	s_delay_alu instid0(VALU_DEP_1) | instskip(NEXT) | instid1(VALU_DEP_1)
	v_fmac_f32_e32 v38, v41, v37
	v_add_f32_e32 v43, v42, v38
	s_delay_alu instid0(VALU_DEP_1) | instskip(NEXT) | instid1(VALU_DEP_1)
	v_sub_f32_e32 v44, v40, v43
	v_sub_f32_e32 v40, v40, v44
	v_add_f32_e32 v11, v11, v36
	v_sub_f32_e32 v36, v43, v42
	s_delay_alu instid0(VALU_DEP_3) | instskip(NEXT) | instid1(VALU_DEP_1)
	v_sub_f32_e32 v40, v40, v43
	v_dual_sub_f32 v36, v36, v38 :: v_dual_add_f32 v11, v11, v40
	s_delay_alu instid0(VALU_DEP_1) | instskip(NEXT) | instid1(VALU_DEP_1)
	v_add_f32_e32 v11, v36, v11
	v_add_f32_e32 v36, v44, v11
	s_delay_alu instid0(VALU_DEP_1) | instskip(NEXT) | instid1(VALU_DEP_1)
	v_mul_f32_e32 v38, v35, v36
	v_dual_sub_f32 v43, v44, v36 :: v_dual_mul_f32 v40, v39, v38
	s_delay_alu instid0(VALU_DEP_1) | instskip(NEXT) | instid1(VALU_DEP_2)
	v_add_f32_e32 v11, v11, v43
	v_fma_f32 v39, v38, v39, -v40
	s_delay_alu instid0(VALU_DEP_1) | instskip(NEXT) | instid1(VALU_DEP_1)
	v_fmac_f32_e32 v39, v38, v37
	v_add_f32_e32 v37, v40, v39
	s_delay_alu instid0(VALU_DEP_1) | instskip(NEXT) | instid1(VALU_DEP_1)
	v_sub_f32_e32 v42, v36, v37
	v_sub_f32_e32 v36, v36, v42
	s_delay_alu instid0(VALU_DEP_1) | instskip(NEXT) | instid1(VALU_DEP_1)
	v_sub_f32_e32 v36, v36, v37
	v_dual_add_f32 v11, v11, v36 :: v_dual_add_f32 v36, v41, v38
	v_sub_f32_e32 v40, v37, v40
	s_delay_alu instid0(VALU_DEP_1) | instskip(NEXT) | instid1(VALU_DEP_1)
	v_sub_f32_e32 v37, v40, v39
	v_add_f32_e32 v11, v37, v11
	s_delay_alu instid0(VALU_DEP_4) | instskip(NEXT) | instid1(VALU_DEP_2)
	v_sub_f32_e32 v37, v36, v41
	v_add_f32_e32 v11, v42, v11
	s_delay_alu instid0(VALU_DEP_2) | instskip(NEXT) | instid1(VALU_DEP_2)
	v_sub_f32_e32 v37, v38, v37
	v_mul_f32_e32 v11, v35, v11
	s_delay_alu instid0(VALU_DEP_1) | instskip(NEXT) | instid1(VALU_DEP_1)
	v_add_f32_e32 v11, v37, v11
	v_add_f32_e32 v35, v36, v11
	s_delay_alu instid0(VALU_DEP_1) | instskip(NEXT) | instid1(VALU_DEP_1)
	v_mul_f32_e32 v37, v35, v35
	v_fmaak_f32 v38, s64, v37, 0x3ecc95a3
	v_mul_f32_e32 v39, v35, v37
	s_delay_alu instid0(VALU_DEP_2) | instskip(SKIP_2) | instid1(VALU_DEP_3)
	v_fmaak_f32 v37, v37, v38, 0x3f2aaada
	v_ldexp_f32 v38, v35, 1
	v_sub_f32_e32 v35, v35, v36
	v_mul_f32_e32 v37, v39, v37
	v_mul_f32_e32 v39, 0x3f317218, v10
	s_delay_alu instid0(VALU_DEP_2) | instskip(NEXT) | instid1(VALU_DEP_1)
	v_dual_sub_f32 v11, v11, v35 :: v_dual_add_f32 v36, v38, v37
	v_ldexp_f32 v11, v11, 1
	s_delay_alu instid0(VALU_DEP_2) | instskip(NEXT) | instid1(VALU_DEP_4)
	v_sub_f32_e32 v35, v36, v38
	v_fma_f32 v38, 0x3f317218, v10, -v39
	s_delay_alu instid0(VALU_DEP_1) | instskip(NEXT) | instid1(VALU_DEP_1)
	v_dual_sub_f32 v35, v37, v35 :: v_dual_fmac_f32 v38, 0xb102e308, v10
	v_add_f32_e32 v10, v11, v35
	s_delay_alu instid0(VALU_DEP_2) | instskip(NEXT) | instid1(VALU_DEP_2)
	v_add_f32_e32 v11, v39, v38
	v_add_f32_e32 v35, v36, v10
	s_delay_alu instid0(VALU_DEP_2) | instskip(NEXT) | instid1(VALU_DEP_2)
	v_sub_f32_e32 v39, v11, v39
	v_add_f32_e32 v37, v11, v35
	v_sub_f32_e32 v36, v35, v36
	s_delay_alu instid0(VALU_DEP_3) | instskip(NEXT) | instid1(VALU_DEP_3)
	v_sub_f32_e32 v38, v38, v39
	v_sub_f32_e32 v40, v37, v11
	s_delay_alu instid0(VALU_DEP_3) | instskip(NEXT) | instid1(VALU_DEP_2)
	v_sub_f32_e32 v10, v10, v36
	v_sub_f32_e32 v41, v37, v40
	s_delay_alu instid0(VALU_DEP_2) | instskip(NEXT) | instid1(VALU_DEP_2)
	v_dual_sub_f32 v35, v35, v40 :: v_dual_add_f32 v36, v38, v10
	v_sub_f32_e32 v11, v11, v41
	s_delay_alu instid0(VALU_DEP_1) | instskip(NEXT) | instid1(VALU_DEP_3)
	v_add_f32_e32 v11, v35, v11
	v_sub_f32_e32 v35, v36, v38
	s_delay_alu instid0(VALU_DEP_2) | instskip(NEXT) | instid1(VALU_DEP_2)
	v_add_f32_e32 v11, v36, v11
	v_sub_f32_e32 v36, v36, v35
	v_sub_f32_e32 v10, v10, v35
	s_delay_alu instid0(VALU_DEP_2) | instskip(NEXT) | instid1(VALU_DEP_1)
	v_dual_add_f32 v39, v37, v11 :: v_dual_sub_f32 v36, v38, v36
	v_dual_sub_f32 v35, v39, v37 :: v_dual_add_f32 v10, v10, v36
	s_delay_alu instid0(VALU_DEP_1) | instskip(NEXT) | instid1(VALU_DEP_1)
	v_sub_f32_e32 v11, v11, v35
	v_add_f32_e32 v10, v10, v11
	s_delay_alu instid0(VALU_DEP_1) | instskip(NEXT) | instid1(VALU_DEP_1)
	v_add_f32_e32 v10, v39, v10
	v_cndmask_b32_e32 v35, v10, v8, vcc_lo
.LBB130_28:                             ;   in Loop: Header=BB130_12 Depth=1
	s_or_b32 exec_lo, exec_lo, s17
	v_add_f32_e32 v36, s48, v9
	s_delay_alu instid0(VALU_DEP_1) | instskip(SKIP_1) | instid1(SALU_CYCLE_1)
	v_cmp_ge_f32_e32 vcc_lo, 0x41a00000, v36
	s_and_b32 s16, s60, vcc_lo
	s_and_saveexec_b32 s17, s16
	s_cbranch_execz .LBB130_30
; %bb.29:                               ;   in Loop: Header=BB130_12 Depth=1
	v_mul_f32_e32 v8, 0x3fb8aa3b, v36
	v_cmp_ngt_f32_e32 vcc_lo, 0xc2ce8ed0, v36
	s_delay_alu instid0(VALU_DEP_2) | instskip(SKIP_1) | instid1(VALU_DEP_2)
	v_rndne_f32_e32 v9, v8
	v_fma_f32 v10, 0x3fb8aa3b, v36, -v8
	v_sub_f32_e32 v8, v8, v9
	s_delay_alu instid0(VALU_DEP_2) | instskip(SKIP_1) | instid1(VALU_DEP_2)
	v_fmac_f32_e32 v10, 0x32a5705f, v36
	v_cvt_i32_f32_e32 v9, v9
	v_add_f32_e32 v8, v8, v10
	s_delay_alu instid0(VALU_DEP_1) | instskip(SKIP_2) | instid1(VALU_DEP_1)
	v_exp_f32_e32 v8, v8
	s_waitcnt_depctr 0xfff
	v_ldexp_f32 v8, v8, v9
	v_cndmask_b32_e32 v8, 0, v8, vcc_lo
	v_cmp_nlt_f32_e32 vcc_lo, 0x42b17218, v36
	s_delay_alu instid0(VALU_DEP_2) | instskip(NEXT) | instid1(VALU_DEP_1)
	v_cndmask_b32_e32 v10, 0x7f800000, v8, vcc_lo
	v_add_f32_e32 v11, 1.0, v10
	s_delay_alu instid0(VALU_DEP_1) | instskip(NEXT) | instid1(VALU_DEP_1)
	v_cvt_f64_f32_e32 v[8:9], v11
	v_frexp_exp_i32_f64_e32 v8, v[8:9]
	v_frexp_mant_f32_e32 v9, v11
	s_delay_alu instid0(VALU_DEP_1) | instskip(SKIP_1) | instid1(VALU_DEP_1)
	v_cmp_gt_f32_e32 vcc_lo, 0x3f2aaaab, v9
	v_add_f32_e32 v9, -1.0, v11
	v_sub_f32_e32 v37, v9, v11
	v_sub_f32_e32 v9, v10, v9
	s_delay_alu instid0(VALU_DEP_2) | instskip(NEXT) | instid1(VALU_DEP_1)
	v_add_f32_e32 v37, 1.0, v37
	v_add_f32_e32 v9, v9, v37
	v_cmp_gt_f32_e64 s16, 0x33800000, v10
	v_subrev_co_ci_u32_e32 v8, vcc_lo, 0, v8, vcc_lo
	v_cmp_eq_f32_e32 vcc_lo, 0x7f800000, v10
	s_delay_alu instid0(VALU_DEP_2) | instskip(SKIP_2) | instid1(VALU_DEP_2)
	v_sub_nc_u32_e32 v36, 0, v8
	v_cvt_f32_i32_e32 v8, v8
	s_or_b32 vcc_lo, s16, vcc_lo
	v_ldexp_f32 v11, v11, v36
	v_ldexp_f32 v9, v9, v36
	s_delay_alu instid0(VALU_DEP_2) | instskip(NEXT) | instid1(VALU_DEP_1)
	v_add_f32_e32 v38, 1.0, v11
	v_dual_add_f32 v36, -1.0, v11 :: v_dual_add_f32 v37, -1.0, v38
	s_delay_alu instid0(VALU_DEP_1) | instskip(NEXT) | instid1(VALU_DEP_2)
	v_add_f32_e32 v39, 1.0, v36
	v_sub_f32_e32 v37, v11, v37
	s_delay_alu instid0(VALU_DEP_2) | instskip(NEXT) | instid1(VALU_DEP_2)
	v_sub_f32_e32 v11, v11, v39
	v_add_f32_e32 v37, v9, v37
	s_delay_alu instid0(VALU_DEP_2) | instskip(NEXT) | instid1(VALU_DEP_1)
	v_add_f32_e32 v9, v9, v11
	v_add_f32_e32 v40, v36, v9
	s_delay_alu instid0(VALU_DEP_1) | instskip(NEXT) | instid1(VALU_DEP_1)
	v_dual_add_f32 v39, v38, v37 :: v_dual_sub_f32 v36, v36, v40
	v_rcp_f32_e32 v11, v39
	v_sub_f32_e32 v38, v38, v39
	s_delay_alu instid0(VALU_DEP_1) | instskip(SKIP_2) | instid1(VALU_DEP_1)
	v_add_f32_e32 v37, v37, v38
	s_waitcnt_depctr 0xfff
	v_mul_f32_e32 v41, v40, v11
	v_mul_f32_e32 v42, v39, v41
	s_delay_alu instid0(VALU_DEP_1) | instskip(NEXT) | instid1(VALU_DEP_1)
	v_fma_f32 v38, v41, v39, -v42
	v_fmac_f32_e32 v38, v41, v37
	s_delay_alu instid0(VALU_DEP_1) | instskip(NEXT) | instid1(VALU_DEP_1)
	v_add_f32_e32 v43, v42, v38
	v_sub_f32_e32 v44, v40, v43
	s_delay_alu instid0(VALU_DEP_1) | instskip(SKIP_1) | instid1(VALU_DEP_2)
	v_sub_f32_e32 v40, v40, v44
	v_dual_add_f32 v9, v9, v36 :: v_dual_sub_f32 v36, v43, v42
	v_sub_f32_e32 v40, v40, v43
	s_delay_alu instid0(VALU_DEP_1) | instskip(NEXT) | instid1(VALU_DEP_1)
	v_dual_sub_f32 v36, v36, v38 :: v_dual_add_f32 v9, v9, v40
	v_add_f32_e32 v9, v36, v9
	s_delay_alu instid0(VALU_DEP_1) | instskip(NEXT) | instid1(VALU_DEP_1)
	v_add_f32_e32 v36, v44, v9
	v_mul_f32_e32 v38, v11, v36
	s_delay_alu instid0(VALU_DEP_1) | instskip(NEXT) | instid1(VALU_DEP_1)
	v_dual_sub_f32 v43, v44, v36 :: v_dual_mul_f32 v40, v39, v38
	v_add_f32_e32 v9, v9, v43
	s_delay_alu instid0(VALU_DEP_2) | instskip(NEXT) | instid1(VALU_DEP_1)
	v_fma_f32 v39, v38, v39, -v40
	v_fmac_f32_e32 v39, v38, v37
	s_delay_alu instid0(VALU_DEP_1) | instskip(NEXT) | instid1(VALU_DEP_1)
	v_add_f32_e32 v37, v40, v39
	v_sub_f32_e32 v42, v36, v37
	s_delay_alu instid0(VALU_DEP_1) | instskip(NEXT) | instid1(VALU_DEP_1)
	v_sub_f32_e32 v36, v36, v42
	v_sub_f32_e32 v36, v36, v37
	s_delay_alu instid0(VALU_DEP_1) | instskip(SKIP_2) | instid1(VALU_DEP_1)
	v_add_f32_e32 v9, v9, v36
	v_add_f32_e32 v36, v41, v38
	v_sub_f32_e32 v40, v37, v40
	v_sub_f32_e32 v37, v40, v39
	s_delay_alu instid0(VALU_DEP_1) | instskip(NEXT) | instid1(VALU_DEP_4)
	v_add_f32_e32 v9, v37, v9
	v_sub_f32_e32 v37, v36, v41
	s_delay_alu instid0(VALU_DEP_2) | instskip(NEXT) | instid1(VALU_DEP_2)
	v_add_f32_e32 v9, v42, v9
	v_sub_f32_e32 v37, v38, v37
	s_delay_alu instid0(VALU_DEP_2) | instskip(NEXT) | instid1(VALU_DEP_1)
	v_mul_f32_e32 v9, v11, v9
	v_add_f32_e32 v9, v37, v9
	s_delay_alu instid0(VALU_DEP_1) | instskip(NEXT) | instid1(VALU_DEP_1)
	v_add_f32_e32 v11, v36, v9
	v_mul_f32_e32 v37, v11, v11
	s_delay_alu instid0(VALU_DEP_1) | instskip(SKIP_1) | instid1(VALU_DEP_2)
	v_fmaak_f32 v38, s64, v37, 0x3ecc95a3
	v_mul_f32_e32 v39, v11, v37
	v_fmaak_f32 v37, v37, v38, 0x3f2aaada
	v_ldexp_f32 v38, v11, 1
	s_delay_alu instid0(VALU_DEP_2) | instskip(SKIP_1) | instid1(VALU_DEP_2)
	v_mul_f32_e32 v37, v39, v37
	v_sub_f32_e32 v11, v11, v36
	v_dual_mul_f32 v39, 0x3f317218, v8 :: v_dual_add_f32 v36, v38, v37
	s_delay_alu instid0(VALU_DEP_2) | instskip(NEXT) | instid1(VALU_DEP_2)
	v_sub_f32_e32 v9, v9, v11
	v_sub_f32_e32 v11, v36, v38
	s_delay_alu instid0(VALU_DEP_3) | instskip(NEXT) | instid1(VALU_DEP_3)
	v_fma_f32 v38, 0x3f317218, v8, -v39
	v_ldexp_f32 v9, v9, 1
	s_delay_alu instid0(VALU_DEP_2) | instskip(NEXT) | instid1(VALU_DEP_1)
	v_dual_sub_f32 v11, v37, v11 :: v_dual_fmac_f32 v38, 0xb102e308, v8
	v_dual_add_f32 v8, v9, v11 :: v_dual_add_f32 v9, v39, v38
	s_delay_alu instid0(VALU_DEP_1) | instskip(NEXT) | instid1(VALU_DEP_1)
	v_add_f32_e32 v11, v36, v8
	v_dual_add_f32 v37, v9, v11 :: v_dual_sub_f32 v36, v11, v36
	s_delay_alu instid0(VALU_DEP_1) | instskip(NEXT) | instid1(VALU_DEP_2)
	v_sub_f32_e32 v40, v37, v9
	v_dual_sub_f32 v39, v9, v39 :: v_dual_sub_f32 v8, v8, v36
	s_delay_alu instid0(VALU_DEP_1) | instskip(SKIP_1) | instid1(VALU_DEP_2)
	v_dual_sub_f32 v41, v37, v40 :: v_dual_sub_f32 v38, v38, v39
	v_sub_f32_e32 v11, v11, v40
	v_dual_sub_f32 v9, v9, v41 :: v_dual_add_f32 v36, v38, v8
	s_delay_alu instid0(VALU_DEP_1) | instskip(NEXT) | instid1(VALU_DEP_2)
	v_add_f32_e32 v9, v11, v9
	v_sub_f32_e32 v11, v36, v38
	s_delay_alu instid0(VALU_DEP_2) | instskip(NEXT) | instid1(VALU_DEP_2)
	v_add_f32_e32 v9, v36, v9
	v_sub_f32_e32 v36, v36, v11
	s_delay_alu instid0(VALU_DEP_2) | instskip(NEXT) | instid1(VALU_DEP_1)
	v_dual_sub_f32 v8, v8, v11 :: v_dual_add_f32 v39, v37, v9
	v_dual_sub_f32 v36, v38, v36 :: v_dual_sub_f32 v11, v39, v37
	s_delay_alu instid0(VALU_DEP_1) | instskip(NEXT) | instid1(VALU_DEP_1)
	v_dual_add_f32 v8, v8, v36 :: v_dual_sub_f32 v9, v9, v11
	v_add_f32_e32 v8, v8, v9
	s_delay_alu instid0(VALU_DEP_1) | instskip(NEXT) | instid1(VALU_DEP_1)
	v_add_f32_e32 v8, v39, v8
	v_cndmask_b32_e32 v36, v8, v10, vcc_lo
.LBB130_30:                             ;   in Loop: Header=BB130_12 Depth=1
	s_or_b32 exec_lo, exec_lo, s17
	s_waitcnt lgkmcnt(0)
	v_add_f32_e32 v37, s48, v6
	s_delay_alu instid0(VALU_DEP_1) | instskip(SKIP_1) | instid1(SALU_CYCLE_1)
	v_cmp_ge_f32_e32 vcc_lo, 0x41a00000, v37
	s_and_b32 s16, s60, vcc_lo
	s_and_saveexec_b32 s17, s16
	s_cbranch_execz .LBB130_32
; %bb.31:                               ;   in Loop: Header=BB130_12 Depth=1
	v_mul_f32_e32 v6, 0x3fb8aa3b, v37
	v_cmp_ngt_f32_e32 vcc_lo, 0xc2ce8ed0, v37
	s_delay_alu instid0(VALU_DEP_2) | instskip(SKIP_1) | instid1(VALU_DEP_1)
	v_rndne_f32_e32 v8, v6
	v_fma_f32 v9, 0x3fb8aa3b, v37, -v6
	v_dual_sub_f32 v6, v6, v8 :: v_dual_fmac_f32 v9, 0x32a5705f, v37
	v_cvt_i32_f32_e32 v8, v8
	s_delay_alu instid0(VALU_DEP_2) | instskip(NEXT) | instid1(VALU_DEP_1)
	v_add_f32_e32 v6, v6, v9
	v_exp_f32_e32 v6, v6
	s_waitcnt_depctr 0xfff
	v_ldexp_f32 v6, v6, v8
	s_delay_alu instid0(VALU_DEP_1) | instskip(SKIP_1) | instid1(VALU_DEP_2)
	v_cndmask_b32_e32 v6, 0, v6, vcc_lo
	v_cmp_nlt_f32_e32 vcc_lo, 0x42b17218, v37
	v_cndmask_b32_e32 v6, 0x7f800000, v6, vcc_lo
	s_delay_alu instid0(VALU_DEP_1) | instskip(NEXT) | instid1(VALU_DEP_1)
	v_add_f32_e32 v10, 1.0, v6
	v_cvt_f64_f32_e32 v[8:9], v10
	s_delay_alu instid0(VALU_DEP_1) | instskip(SKIP_1) | instid1(VALU_DEP_1)
	v_frexp_exp_i32_f64_e32 v8, v[8:9]
	v_frexp_mant_f32_e32 v9, v10
	v_cmp_gt_f32_e32 vcc_lo, 0x3f2aaaab, v9
	v_add_f32_e32 v9, -1.0, v10
	s_delay_alu instid0(VALU_DEP_1) | instskip(SKIP_1) | instid1(VALU_DEP_2)
	v_sub_f32_e32 v37, v9, v10
	v_sub_f32_e32 v9, v6, v9
	v_add_f32_e32 v37, 1.0, v37
	s_delay_alu instid0(VALU_DEP_1) | instskip(SKIP_3) | instid1(VALU_DEP_2)
	v_add_f32_e32 v9, v9, v37
	v_cmp_gt_f32_e64 s16, 0x33800000, v6
	v_subrev_co_ci_u32_e32 v8, vcc_lo, 0, v8, vcc_lo
	v_cmp_eq_f32_e32 vcc_lo, 0x7f800000, v6
	v_sub_nc_u32_e32 v11, 0, v8
	v_cvt_f32_i32_e32 v8, v8
	s_or_b32 vcc_lo, s16, vcc_lo
	s_delay_alu instid0(VALU_DEP_2) | instskip(SKIP_1) | instid1(VALU_DEP_2)
	v_ldexp_f32 v10, v10, v11
	v_ldexp_f32 v9, v9, v11
	v_add_f32_e32 v38, 1.0, v10
	v_add_f32_e32 v11, -1.0, v10
	s_delay_alu instid0(VALU_DEP_1) | instskip(NEXT) | instid1(VALU_DEP_3)
	v_add_f32_e32 v39, 1.0, v11
	v_add_f32_e32 v37, -1.0, v38
	s_delay_alu instid0(VALU_DEP_1) | instskip(NEXT) | instid1(VALU_DEP_1)
	v_sub_f32_e32 v37, v10, v37
	v_dual_sub_f32 v10, v10, v39 :: v_dual_add_f32 v37, v9, v37
	s_delay_alu instid0(VALU_DEP_1) | instskip(NEXT) | instid1(VALU_DEP_2)
	v_add_f32_e32 v39, v38, v37
	v_add_f32_e32 v9, v9, v10
	s_delay_alu instid0(VALU_DEP_2) | instskip(SKIP_1) | instid1(VALU_DEP_1)
	v_rcp_f32_e32 v10, v39
	v_sub_f32_e32 v38, v38, v39
	v_dual_add_f32 v40, v11, v9 :: v_dual_add_f32 v37, v37, v38
	s_delay_alu instid0(VALU_DEP_1) | instskip(SKIP_2) | instid1(VALU_DEP_1)
	v_sub_f32_e32 v11, v11, v40
	s_waitcnt_depctr 0xfff
	v_mul_f32_e32 v41, v40, v10
	v_mul_f32_e32 v42, v39, v41
	s_delay_alu instid0(VALU_DEP_1) | instskip(NEXT) | instid1(VALU_DEP_1)
	v_fma_f32 v38, v41, v39, -v42
	v_fmac_f32_e32 v38, v41, v37
	s_delay_alu instid0(VALU_DEP_1) | instskip(NEXT) | instid1(VALU_DEP_1)
	v_add_f32_e32 v43, v42, v38
	v_sub_f32_e32 v44, v40, v43
	s_delay_alu instid0(VALU_DEP_1) | instskip(NEXT) | instid1(VALU_DEP_1)
	v_dual_sub_f32 v40, v40, v44 :: v_dual_add_f32 v9, v9, v11
	v_dual_sub_f32 v11, v43, v42 :: v_dual_sub_f32 v40, v40, v43
	s_delay_alu instid0(VALU_DEP_1) | instskip(NEXT) | instid1(VALU_DEP_2)
	v_sub_f32_e32 v11, v11, v38
	v_add_f32_e32 v9, v9, v40
	s_delay_alu instid0(VALU_DEP_1) | instskip(NEXT) | instid1(VALU_DEP_1)
	v_add_f32_e32 v9, v11, v9
	v_add_f32_e32 v11, v44, v9
	s_delay_alu instid0(VALU_DEP_1) | instskip(NEXT) | instid1(VALU_DEP_1)
	v_mul_f32_e32 v38, v10, v11
	v_dual_sub_f32 v43, v44, v11 :: v_dual_mul_f32 v40, v39, v38
	s_delay_alu instid0(VALU_DEP_1) | instskip(NEXT) | instid1(VALU_DEP_2)
	v_add_f32_e32 v9, v9, v43
	v_fma_f32 v39, v38, v39, -v40
	s_delay_alu instid0(VALU_DEP_1) | instskip(NEXT) | instid1(VALU_DEP_1)
	v_fmac_f32_e32 v39, v38, v37
	v_add_f32_e32 v37, v40, v39
	s_delay_alu instid0(VALU_DEP_1) | instskip(NEXT) | instid1(VALU_DEP_1)
	v_sub_f32_e32 v42, v11, v37
	v_dual_sub_f32 v40, v37, v40 :: v_dual_sub_f32 v11, v11, v42
	s_delay_alu instid0(VALU_DEP_1) | instskip(NEXT) | instid1(VALU_DEP_2)
	v_sub_f32_e32 v11, v11, v37
	v_sub_f32_e32 v37, v40, v39
	s_delay_alu instid0(VALU_DEP_2) | instskip(SKIP_1) | instid1(VALU_DEP_2)
	v_add_f32_e32 v9, v9, v11
	v_add_f32_e32 v11, v41, v38
	;; [unrolled: 1-line block ×3, first 2 shown]
	s_delay_alu instid0(VALU_DEP_2) | instskip(NEXT) | instid1(VALU_DEP_2)
	v_sub_f32_e32 v37, v11, v41
	v_add_f32_e32 v9, v42, v9
	s_delay_alu instid0(VALU_DEP_2) | instskip(NEXT) | instid1(VALU_DEP_2)
	v_sub_f32_e32 v37, v38, v37
	v_mul_f32_e32 v9, v10, v9
	s_delay_alu instid0(VALU_DEP_1) | instskip(NEXT) | instid1(VALU_DEP_1)
	v_add_f32_e32 v9, v37, v9
	v_add_f32_e32 v10, v11, v9
	s_delay_alu instid0(VALU_DEP_1) | instskip(NEXT) | instid1(VALU_DEP_1)
	v_mul_f32_e32 v37, v10, v10
	v_fmaak_f32 v38, s64, v37, 0x3ecc95a3
	v_mul_f32_e32 v39, v10, v37
	s_delay_alu instid0(VALU_DEP_2) | instskip(SKIP_1) | instid1(VALU_DEP_2)
	v_fmaak_f32 v37, v37, v38, 0x3f2aaada
	v_ldexp_f32 v38, v10, 1
	v_dual_sub_f32 v10, v10, v11 :: v_dual_mul_f32 v37, v39, v37
	v_mul_f32_e32 v39, 0x3f317218, v8
	s_delay_alu instid0(VALU_DEP_2) | instskip(NEXT) | instid1(VALU_DEP_3)
	v_sub_f32_e32 v9, v9, v10
	v_add_f32_e32 v11, v38, v37
	s_delay_alu instid0(VALU_DEP_2) | instskip(NEXT) | instid1(VALU_DEP_2)
	v_ldexp_f32 v9, v9, 1
	v_sub_f32_e32 v10, v11, v38
	v_fma_f32 v38, 0x3f317218, v8, -v39
	s_delay_alu instid0(VALU_DEP_2) | instskip(NEXT) | instid1(VALU_DEP_2)
	v_sub_f32_e32 v10, v37, v10
	v_fmac_f32_e32 v38, 0xb102e308, v8
	s_delay_alu instid0(VALU_DEP_2) | instskip(NEXT) | instid1(VALU_DEP_2)
	v_add_f32_e32 v8, v9, v10
	v_add_f32_e32 v9, v39, v38
	s_delay_alu instid0(VALU_DEP_1) | instskip(NEXT) | instid1(VALU_DEP_1)
	v_dual_add_f32 v10, v11, v8 :: v_dual_sub_f32 v39, v9, v39
	v_add_f32_e32 v37, v9, v10
	v_sub_f32_e32 v11, v10, v11
	s_delay_alu instid0(VALU_DEP_3) | instskip(NEXT) | instid1(VALU_DEP_3)
	v_sub_f32_e32 v38, v38, v39
	v_sub_f32_e32 v40, v37, v9
	s_delay_alu instid0(VALU_DEP_1) | instskip(SKIP_1) | instid1(VALU_DEP_2)
	v_dual_sub_f32 v8, v8, v11 :: v_dual_sub_f32 v41, v37, v40
	v_sub_f32_e32 v10, v10, v40
	v_add_f32_e32 v11, v38, v8
	s_delay_alu instid0(VALU_DEP_3) | instskip(NEXT) | instid1(VALU_DEP_1)
	v_sub_f32_e32 v9, v9, v41
	v_dual_add_f32 v9, v10, v9 :: v_dual_sub_f32 v10, v11, v38
	s_delay_alu instid0(VALU_DEP_1) | instskip(NEXT) | instid1(VALU_DEP_2)
	v_add_f32_e32 v9, v11, v9
	v_sub_f32_e32 v11, v11, v10
	s_delay_alu instid0(VALU_DEP_2) | instskip(NEXT) | instid1(VALU_DEP_1)
	v_dual_sub_f32 v8, v8, v10 :: v_dual_add_f32 v39, v37, v9
	v_dual_sub_f32 v11, v38, v11 :: v_dual_sub_f32 v10, v39, v37
	s_delay_alu instid0(VALU_DEP_1) | instskip(NEXT) | instid1(VALU_DEP_1)
	v_dual_add_f32 v8, v8, v11 :: v_dual_sub_f32 v9, v9, v10
	v_add_f32_e32 v8, v8, v9
	s_delay_alu instid0(VALU_DEP_1) | instskip(NEXT) | instid1(VALU_DEP_1)
	v_add_f32_e32 v8, v39, v8
	v_cndmask_b32_e32 v37, v8, v6, vcc_lo
.LBB130_32:                             ;   in Loop: Header=BB130_12 Depth=1
	s_or_b32 exec_lo, exec_lo, s17
	v_add_f32_e32 v38, s48, v7
	s_delay_alu instid0(VALU_DEP_1) | instskip(SKIP_1) | instid1(SALU_CYCLE_1)
	v_cmp_ge_f32_e32 vcc_lo, 0x41a00000, v38
	s_and_b32 s16, s60, vcc_lo
	s_and_saveexec_b32 s17, s16
	s_cbranch_execz .LBB130_34
; %bb.33:                               ;   in Loop: Header=BB130_12 Depth=1
	v_mul_f32_e32 v6, 0x3fb8aa3b, v38
	v_cmp_ngt_f32_e32 vcc_lo, 0xc2ce8ed0, v38
	s_delay_alu instid0(VALU_DEP_2) | instskip(SKIP_1) | instid1(VALU_DEP_2)
	v_rndne_f32_e32 v7, v6
	v_fma_f32 v8, 0x3fb8aa3b, v38, -v6
	v_sub_f32_e32 v6, v6, v7
	s_delay_alu instid0(VALU_DEP_2) | instskip(SKIP_1) | instid1(VALU_DEP_2)
	v_fmac_f32_e32 v8, 0x32a5705f, v38
	v_cvt_i32_f32_e32 v7, v7
	v_add_f32_e32 v6, v6, v8
	s_delay_alu instid0(VALU_DEP_1) | instskip(SKIP_2) | instid1(VALU_DEP_1)
	v_exp_f32_e32 v6, v6
	s_waitcnt_depctr 0xfff
	v_ldexp_f32 v6, v6, v7
	v_cndmask_b32_e32 v6, 0, v6, vcc_lo
	v_cmp_nlt_f32_e32 vcc_lo, 0x42b17218, v38
	s_delay_alu instid0(VALU_DEP_2) | instskip(NEXT) | instid1(VALU_DEP_1)
	v_cndmask_b32_e32 v8, 0x7f800000, v6, vcc_lo
	v_add_f32_e32 v9, 1.0, v8
	s_delay_alu instid0(VALU_DEP_1) | instskip(NEXT) | instid1(VALU_DEP_1)
	v_cvt_f64_f32_e32 v[6:7], v9
	v_frexp_exp_i32_f64_e32 v6, v[6:7]
	v_frexp_mant_f32_e32 v7, v9
	s_delay_alu instid0(VALU_DEP_1) | instskip(SKIP_1) | instid1(VALU_DEP_1)
	v_cmp_gt_f32_e32 vcc_lo, 0x3f2aaaab, v7
	v_add_f32_e32 v7, -1.0, v9
	v_sub_f32_e32 v11, v7, v9
	v_sub_f32_e32 v7, v8, v7
	s_delay_alu instid0(VALU_DEP_2) | instskip(NEXT) | instid1(VALU_DEP_1)
	v_add_f32_e32 v11, 1.0, v11
	v_add_f32_e32 v7, v7, v11
	v_cmp_gt_f32_e64 s16, 0x33800000, v8
	v_subrev_co_ci_u32_e32 v6, vcc_lo, 0, v6, vcc_lo
	v_cmp_eq_f32_e32 vcc_lo, 0x7f800000, v8
	s_delay_alu instid0(VALU_DEP_2) | instskip(SKIP_2) | instid1(VALU_DEP_2)
	v_sub_nc_u32_e32 v10, 0, v6
	v_cvt_f32_i32_e32 v6, v6
	s_or_b32 vcc_lo, s16, vcc_lo
	v_ldexp_f32 v9, v9, v10
	v_ldexp_f32 v7, v7, v10
	s_delay_alu instid0(VALU_DEP_2) | instskip(NEXT) | instid1(VALU_DEP_1)
	v_add_f32_e32 v38, 1.0, v9
	v_dual_add_f32 v10, -1.0, v9 :: v_dual_add_f32 v11, -1.0, v38
	s_delay_alu instid0(VALU_DEP_1) | instskip(NEXT) | instid1(VALU_DEP_2)
	v_add_f32_e32 v39, 1.0, v10
	v_sub_f32_e32 v11, v9, v11
	s_delay_alu instid0(VALU_DEP_2) | instskip(NEXT) | instid1(VALU_DEP_2)
	v_sub_f32_e32 v9, v9, v39
	v_add_f32_e32 v11, v7, v11
	s_delay_alu instid0(VALU_DEP_2) | instskip(NEXT) | instid1(VALU_DEP_1)
	v_add_f32_e32 v7, v7, v9
	v_add_f32_e32 v40, v10, v7
	s_delay_alu instid0(VALU_DEP_1) | instskip(NEXT) | instid1(VALU_DEP_4)
	v_sub_f32_e32 v10, v10, v40
	v_add_f32_e32 v39, v38, v11
	s_delay_alu instid0(VALU_DEP_1) | instskip(NEXT) | instid1(VALU_DEP_2)
	v_rcp_f32_e32 v9, v39
	v_dual_sub_f32 v38, v38, v39 :: v_dual_add_f32 v7, v7, v10
	s_delay_alu instid0(VALU_DEP_1) | instskip(SKIP_2) | instid1(VALU_DEP_1)
	v_add_f32_e32 v11, v11, v38
	s_waitcnt_depctr 0xfff
	v_mul_f32_e32 v41, v40, v9
	v_mul_f32_e32 v42, v39, v41
	s_delay_alu instid0(VALU_DEP_1) | instskip(NEXT) | instid1(VALU_DEP_1)
	v_fma_f32 v38, v41, v39, -v42
	v_fmac_f32_e32 v38, v41, v11
	s_delay_alu instid0(VALU_DEP_1) | instskip(NEXT) | instid1(VALU_DEP_1)
	v_add_f32_e32 v43, v42, v38
	v_sub_f32_e32 v44, v40, v43
	v_sub_f32_e32 v10, v43, v42
	s_delay_alu instid0(VALU_DEP_2) | instskip(NEXT) | instid1(VALU_DEP_1)
	v_sub_f32_e32 v40, v40, v44
	v_sub_f32_e32 v40, v40, v43
	s_delay_alu instid0(VALU_DEP_1) | instskip(NEXT) | instid1(VALU_DEP_1)
	v_dual_sub_f32 v10, v10, v38 :: v_dual_add_f32 v7, v7, v40
	v_add_f32_e32 v7, v10, v7
	s_delay_alu instid0(VALU_DEP_1) | instskip(NEXT) | instid1(VALU_DEP_1)
	v_add_f32_e32 v10, v44, v7
	v_mul_f32_e32 v38, v9, v10
	v_sub_f32_e32 v43, v44, v10
	s_delay_alu instid0(VALU_DEP_2) | instskip(NEXT) | instid1(VALU_DEP_2)
	v_mul_f32_e32 v40, v39, v38
	v_add_f32_e32 v7, v7, v43
	s_delay_alu instid0(VALU_DEP_2) | instskip(NEXT) | instid1(VALU_DEP_1)
	v_fma_f32 v39, v38, v39, -v40
	v_fmac_f32_e32 v39, v38, v11
	s_delay_alu instid0(VALU_DEP_1) | instskip(NEXT) | instid1(VALU_DEP_1)
	v_add_f32_e32 v11, v40, v39
	v_sub_f32_e32 v42, v10, v11
	s_delay_alu instid0(VALU_DEP_1) | instskip(NEXT) | instid1(VALU_DEP_1)
	v_sub_f32_e32 v10, v10, v42
	v_sub_f32_e32 v10, v10, v11
	s_delay_alu instid0(VALU_DEP_1) | instskip(SKIP_2) | instid1(VALU_DEP_1)
	v_add_f32_e32 v7, v7, v10
	v_add_f32_e32 v10, v41, v38
	v_sub_f32_e32 v40, v11, v40
	v_sub_f32_e32 v11, v40, v39
	s_delay_alu instid0(VALU_DEP_1) | instskip(NEXT) | instid1(VALU_DEP_4)
	v_add_f32_e32 v7, v11, v7
	v_sub_f32_e32 v11, v10, v41
	s_delay_alu instid0(VALU_DEP_2) | instskip(NEXT) | instid1(VALU_DEP_2)
	v_add_f32_e32 v7, v42, v7
	v_sub_f32_e32 v11, v38, v11
	s_delay_alu instid0(VALU_DEP_2) | instskip(NEXT) | instid1(VALU_DEP_1)
	v_mul_f32_e32 v7, v9, v7
	v_add_f32_e32 v7, v11, v7
	s_delay_alu instid0(VALU_DEP_1) | instskip(NEXT) | instid1(VALU_DEP_1)
	v_add_f32_e32 v9, v10, v7
	v_mul_f32_e32 v11, v9, v9
	s_delay_alu instid0(VALU_DEP_1) | instskip(SKIP_1) | instid1(VALU_DEP_2)
	v_fmaak_f32 v38, s64, v11, 0x3ecc95a3
	v_mul_f32_e32 v39, v9, v11
	v_fmaak_f32 v11, v11, v38, 0x3f2aaada
	v_ldexp_f32 v38, v9, 1
	v_sub_f32_e32 v9, v9, v10
	s_delay_alu instid0(VALU_DEP_3) | instskip(SKIP_1) | instid1(VALU_DEP_2)
	v_mul_f32_e32 v11, v39, v11
	v_mul_f32_e32 v39, 0x3f317218, v6
	v_dual_sub_f32 v7, v7, v9 :: v_dual_add_f32 v10, v38, v11
	s_delay_alu instid0(VALU_DEP_1) | instskip(NEXT) | instid1(VALU_DEP_2)
	v_ldexp_f32 v7, v7, 1
	v_sub_f32_e32 v9, v10, v38
	s_delay_alu instid0(VALU_DEP_4) | instskip(NEXT) | instid1(VALU_DEP_1)
	v_fma_f32 v38, 0x3f317218, v6, -v39
	v_dual_sub_f32 v9, v11, v9 :: v_dual_fmac_f32 v38, 0xb102e308, v6
	s_delay_alu instid0(VALU_DEP_1) | instskip(NEXT) | instid1(VALU_DEP_1)
	v_add_f32_e32 v6, v7, v9
	v_add_f32_e32 v9, v10, v6
	s_delay_alu instid0(VALU_DEP_1) | instskip(NEXT) | instid1(VALU_DEP_1)
	v_sub_f32_e32 v10, v9, v10
	v_sub_f32_e32 v6, v6, v10
	v_add_f32_e32 v7, v39, v38
	s_delay_alu instid0(VALU_DEP_1) | instskip(SKIP_1) | instid1(VALU_DEP_2)
	v_add_f32_e32 v11, v7, v9
	v_sub_f32_e32 v39, v7, v39
	v_sub_f32_e32 v40, v11, v7
	s_delay_alu instid0(VALU_DEP_1) | instskip(NEXT) | instid1(VALU_DEP_1)
	v_dual_sub_f32 v38, v38, v39 :: v_dual_sub_f32 v41, v11, v40
	v_dual_sub_f32 v9, v9, v40 :: v_dual_add_f32 v10, v38, v6
	s_delay_alu instid0(VALU_DEP_2) | instskip(NEXT) | instid1(VALU_DEP_1)
	v_sub_f32_e32 v7, v7, v41
	v_add_f32_e32 v7, v9, v7
	s_delay_alu instid0(VALU_DEP_3) | instskip(NEXT) | instid1(VALU_DEP_2)
	v_sub_f32_e32 v9, v10, v38
	v_add_f32_e32 v7, v10, v7
	s_delay_alu instid0(VALU_DEP_2) | instskip(NEXT) | instid1(VALU_DEP_2)
	v_sub_f32_e32 v10, v10, v9
	v_dual_sub_f32 v6, v6, v9 :: v_dual_add_f32 v39, v11, v7
	s_delay_alu instid0(VALU_DEP_1) | instskip(NEXT) | instid1(VALU_DEP_1)
	v_dual_sub_f32 v10, v38, v10 :: v_dual_sub_f32 v9, v39, v11
	v_dual_add_f32 v6, v6, v10 :: v_dual_sub_f32 v7, v7, v9
	s_delay_alu instid0(VALU_DEP_1) | instskip(NEXT) | instid1(VALU_DEP_1)
	v_add_f32_e32 v6, v6, v7
	v_add_f32_e32 v6, v39, v6
	s_delay_alu instid0(VALU_DEP_1)
	v_cndmask_b32_e32 v38, v6, v8, vcc_lo
.LBB130_34:                             ;   in Loop: Header=BB130_12 Depth=1
	s_or_b32 exec_lo, exec_lo, s17
	v_dual_mul_f32 v39, s49, v4 :: v_dual_mul_f32 v40, s49, v3
	v_dual_mul_f32 v41, s49, v2 :: v_dual_mul_f32 v42, s49, v5
	s_and_b32 vcc_lo, exec_lo, s61
	s_barrier
	buffer_gl0_inv
	s_cbranch_vccz .LBB130_82
; %bb.35:                               ;   in Loop: Header=BB130_12 Depth=1
	v_dual_mul_f32 v43, v5, v38 :: v_dual_mul_f32 v48, v4, v37
	v_add_co_u32 v5, s16, s41, v33
	s_delay_alu instid0(VALU_DEP_1) | instskip(SKIP_1) | instid1(VALU_DEP_1)
	v_add_co_ci_u32_e64 v6, null, s54, 0, s16
	v_add_co_u32 v7, s16, s45, v33
	v_add_co_ci_u32_e64 v8, null, s55, 0, s16
	s_delay_alu instid0(VALU_DEP_4) | instskip(NEXT) | instid1(VALU_DEP_4)
	v_add_co_u32 v44, vcc_lo, v5, v34
	v_add_co_ci_u32_e32 v45, vcc_lo, 0, v6, vcc_lo
	s_delay_alu instid0(VALU_DEP_4) | instskip(NEXT) | instid1(VALU_DEP_4)
	v_add_co_u32 v46, vcc_lo, v7, v34
	v_add_co_ci_u32_e32 v47, vcc_lo, 0, v8, vcc_lo
	v_cmp_gt_u32_e32 vcc_lo, s19, v12
	v_cmp_gt_u32_e64 s17, s19, v30
	v_cmp_gt_u32_e64 s18, s19, v31
	;; [unrolled: 1-line block ×3, first 2 shown]
	s_cmp_lg_u32 s66, 0
	v_dual_mul_f32 v49, v3, v36 :: v_dual_mul_f32 v50, v2, v35
	s_cselect_b32 s25, -1, 0
	s_cmp_eq_u32 s66, s63
	s_mov_b32 s34, s28
	s_cselect_b32 s67, -1, 0
	s_or_b32 s16, s62, vcc_lo
	s_or_b32 s17, s62, s17
	s_or_b32 s18, s62, s18
	;; [unrolled: 1-line block ×3, first 2 shown]
	s_mov_b32 s38, 0
	s_mov_b32 s42, 0
	;; [unrolled: 1-line block ×5, first 2 shown]
	s_branch .LBB130_37
.LBB130_36:                             ;   in Loop: Header=BB130_37 Depth=2
	s_or_b32 exec_lo, exec_lo, s20
	v_cndmask_b32_e64 v6, v60, v11, s11
	v_cndmask_b32_e64 v7, v59, v10, s11
	s_add_i32 s68, s68, -1
	s_add_i32 s69, s69, 8
	s_add_i32 s46, s46, s26
	v_fma_f32 v6, v6, v58, v56
	v_mul_f32_e32 v7, v7, v58
	s_add_i32 s42, s42, s44
	s_add_i32 s38, s38, s40
	;; [unrolled: 1-line block ×3, first 2 shown]
	v_cndmask_b32_e64 v6, v6, v56, s10
	v_cndmask_b32_e64 v7, v7, v58, s10
	s_cmp_eq_u32 s68, 0
	s_waitcnt lgkmcnt(0)
	s_delay_alu instid0(VALU_DEP_1) | instskip(NEXT) | instid1(VALU_DEP_1)
	v_fmac_f32_e32 v6, v8, v7
	v_fmac_f32_e32 v51, v6, v55
	s_delay_alu instid0(VALU_DEP_1) | instskip(NEXT) | instid1(VALU_DEP_1)
	v_fmac_f32_e32 v52, v51, v57
	v_fmac_f32_e32 v39, v2, v52
	v_fmac_f32_e32 v41, v4, v6
	v_fmac_f32_e32 v53, v52, v54
	s_delay_alu instid0(VALU_DEP_1)
	v_fmac_f32_e32 v42, v3, v53
	v_fmac_f32_e32 v40, v5, v51
	s_cbranch_scc1 .LBB130_82
.LBB130_37:                             ;   Parent Loop BB130_12 Depth=1
                                        ; =>  This Inner Loop Header: Depth=2
	s_lshl_b64 s[20:21], s[34:35], 2
	s_mov_b32 s39, s35
	s_add_u32 s20, s53, s20
	s_addc_u32 s21, s27, s21
	s_mov_b32 s29, s28
	global_load_b32 v51, v1, s[20:21]
	s_lshl_b64 s[20:21], s[38:39], 2
	s_mov_b32 s30, s28
	s_mov_b32 s31, s28
	v_add_co_u32 v6, vcc_lo, v44, s20
	v_dual_mov_b32 v2, s28 :: v_dual_mov_b32 v3, s29
	v_add_co_ci_u32_e32 v7, vcc_lo, s21, v45, vcc_lo
	v_dual_mov_b32 v4, s30 :: v_dual_mov_b32 v5, s31
	v_mov_b32_e32 v8, 0
	s_and_saveexec_b32 s20, s12
	s_cbranch_execnz .LBB130_49
; %bb.38:                               ;   in Loop: Header=BB130_37 Depth=2
	s_or_b32 exec_lo, exec_lo, s20
	s_and_saveexec_b32 s20, s13
	s_cbranch_execnz .LBB130_50
.LBB130_39:                             ;   in Loop: Header=BB130_37 Depth=2
	s_or_b32 exec_lo, exec_lo, s20
	s_and_saveexec_b32 s20, s14
	s_cbranch_execnz .LBB130_51
.LBB130_40:                             ;   in Loop: Header=BB130_37 Depth=2
	s_or_b32 exec_lo, exec_lo, s20
	s_and_saveexec_b32 s20, s15
	s_cbranch_execz .LBB130_42
.LBB130_41:                             ;   in Loop: Header=BB130_37 Depth=2
	global_load_b32 v5, v[6:7], off offset:384
.LBB130_42:                             ;   in Loop: Header=BB130_37 Depth=2
	s_or_b32 exec_lo, exec_lo, s20
	s_waitcnt vmcnt(0)
	ds_store_b32 v17, v8
	ds_store_b32 v18, v3 offset:128
	ds_store_b32 v19, v4 offset:256
	;; [unrolled: 1-line block ×3, first 2 shown]
	; wave barrier
	ds_load_2addr_b32 v[10:11], v21 offset1:1
	ds_load_2addr_b32 v[8:9], v21 offset0:2 offset1:3
	s_mov_b32 s43, s35
	s_mov_b32 s72, s35
	s_lshl_b64 s[20:21], s[42:43], 2
	s_mov_b32 s73, s35
	s_mov_b32 s74, s35
	;; [unrolled: 1-line block ×3, first 2 shown]
	v_add_co_u32 v6, vcc_lo, v46, s20
	v_dual_mov_b32 v2, s72 :: v_dual_mov_b32 v3, s73
	v_add_co_ci_u32_e32 v7, vcc_lo, s21, v47, vcc_lo
	v_dual_mov_b32 v4, s74 :: v_dual_mov_b32 v5, s75
	v_mov_b32_e32 v52, 0
	s_and_saveexec_b32 s20, s12
	s_cbranch_execnz .LBB130_52
; %bb.43:                               ;   in Loop: Header=BB130_37 Depth=2
	s_or_b32 exec_lo, exec_lo, s20
	s_and_saveexec_b32 s20, s13
	s_cbranch_execnz .LBB130_53
.LBB130_44:                             ;   in Loop: Header=BB130_37 Depth=2
	s_or_b32 exec_lo, exec_lo, s20
	s_and_saveexec_b32 s20, s14
	s_cbranch_execnz .LBB130_54
.LBB130_45:                             ;   in Loop: Header=BB130_37 Depth=2
	s_or_b32 exec_lo, exec_lo, s20
	s_and_saveexec_b32 s20, s15
	s_cbranch_execz .LBB130_47
.LBB130_46:                             ;   in Loop: Header=BB130_37 Depth=2
	global_load_b32 v5, v[6:7], off offset:384
.LBB130_47:                             ;   in Loop: Header=BB130_37 Depth=2
	s_or_b32 exec_lo, exec_lo, s20
	v_add_nc_u32_e32 v2, 0x420, v21
	s_waitcnt vmcnt(0)
	ds_store_b32 v17, v52 offset:1056
	ds_store_b32 v22, v3 offset:128
	;; [unrolled: 1-line block ×4, first 2 shown]
	; wave barrier
	ds_load_2addr_b32 v[4:5], v2 offset1:1
	ds_load_2addr_b32 v[2:3], v25 offset0:2 offset1:3
	s_and_not1_b32 vcc_lo, exec_lo, s25
	s_cbranch_vccnz .LBB130_55
; %bb.48:                               ;   in Loop: Header=BB130_37 Depth=2
	v_mov_b32_e32 v6, s69
	ds_load_b64 v[6:7], v6
	s_cbranch_execz .LBB130_56
	s_branch .LBB130_59
.LBB130_49:                             ;   in Loop: Header=BB130_37 Depth=2
	global_load_b32 v8, v[6:7], off
	v_mov_b32_e32 v3, v1
	v_mov_b32_e32 v2, v1
	s_delay_alu instid0(VALU_DEP_2) | instskip(NEXT) | instid1(VALU_DEP_2)
	v_mov_b32_e32 v5, v3
	v_dual_mov_b32 v4, v2 :: v_dual_mov_b32 v3, v1
	v_mov_b32_e32 v2, v0
	s_or_b32 exec_lo, exec_lo, s20
	s_and_saveexec_b32 s20, s13
	s_cbranch_execz .LBB130_39
.LBB130_50:                             ;   in Loop: Header=BB130_37 Depth=2
	global_load_b32 v3, v[6:7], off offset:128
	s_or_b32 exec_lo, exec_lo, s20
	s_and_saveexec_b32 s20, s14
	s_cbranch_execz .LBB130_40
.LBB130_51:                             ;   in Loop: Header=BB130_37 Depth=2
	global_load_b32 v4, v[6:7], off offset:256
	s_or_b32 exec_lo, exec_lo, s20
	s_and_saveexec_b32 s20, s15
	s_cbranch_execnz .LBB130_41
	s_branch .LBB130_42
.LBB130_52:                             ;   in Loop: Header=BB130_37 Depth=2
	global_load_b32 v52, v[6:7], off
	v_mov_b32_e32 v3, v1
	v_mov_b32_e32 v2, v1
	s_delay_alu instid0(VALU_DEP_2) | instskip(NEXT) | instid1(VALU_DEP_2)
	v_mov_b32_e32 v5, v3
	v_dual_mov_b32 v4, v2 :: v_dual_mov_b32 v3, v1
	v_mov_b32_e32 v2, v0
	s_or_b32 exec_lo, exec_lo, s20
	s_and_saveexec_b32 s20, s13
	s_cbranch_execz .LBB130_44
.LBB130_53:                             ;   in Loop: Header=BB130_37 Depth=2
	global_load_b32 v3, v[6:7], off offset:128
	s_or_b32 exec_lo, exec_lo, s20
	s_and_saveexec_b32 s20, s14
	s_cbranch_execz .LBB130_45
.LBB130_54:                             ;   in Loop: Header=BB130_37 Depth=2
	global_load_b32 v4, v[6:7], off offset:256
	s_or_b32 exec_lo, exec_lo, s20
	s_and_saveexec_b32 s20, s15
	s_cbranch_execnz .LBB130_46
	s_branch .LBB130_47
.LBB130_55:                             ;   in Loop: Header=BB130_37 Depth=2
                                        ; implicit-def: $vgpr6
.LBB130_56:                             ;   in Loop: Header=BB130_37 Depth=2
	s_waitcnt lgkmcnt(0)
	v_mov_b32_e32 v7, 0
	s_and_not1_b32 vcc_lo, exec_lo, s33
	s_cbranch_vccnz .LBB130_58
; %bb.57:                               ;   in Loop: Header=BB130_37 Depth=2
	s_mov_b32 s47, s35
	s_delay_alu instid0(SALU_CYCLE_1) | instskip(NEXT) | instid1(SALU_CYCLE_1)
	s_lshl_b64 s[20:21], s[46:47], 2
	s_add_u32 s20, s56, s20
	s_addc_u32 s21, s57, s21
	global_load_b32 v7, v1, s[20:21]
.LBB130_58:                             ;   in Loop: Header=BB130_37 Depth=2
	v_mov_b32_e32 v6, 1.0
.LBB130_59:                             ;   in Loop: Header=BB130_37 Depth=2
	s_waitcnt lgkmcnt(7)
	v_dual_mul_f32 v51, 0x3fb8aa3b, v51 :: v_dual_mul_f32 v10, v10, v50
	s_waitcnt lgkmcnt(6)
	v_dual_mul_f32 v11, v11, v49 :: v_dual_mul_f32 v8, v8, v48
	v_mul_f32_e32 v9, v9, v43
	s_delay_alu instid0(VALU_DEP_3) | instskip(SKIP_2) | instid1(VALU_DEP_3)
	v_mul_f32_e32 v53, v51, v36
	v_mul_f32_e32 v54, v51, v37
	v_mul_f32_e32 v55, v51, v38
	v_cmp_gt_f32_e64 s20, 0xc2fc0000, v53
	s_delay_alu instid0(VALU_DEP_3) | instskip(NEXT) | instid1(VALU_DEP_3)
	v_cmp_gt_f32_e64 s21, 0xc2fc0000, v54
	v_cmp_gt_f32_e64 s22, 0xc2fc0000, v55
	s_delay_alu instid0(VALU_DEP_3) | instskip(SKIP_1) | instid1(VALU_DEP_4)
	v_cndmask_b32_e64 v53, 0, 0x42800000, s20
	v_cndmask_b32_e64 v56, 1.0, 0x1f800000, s20
	v_cndmask_b32_e64 v54, 0, 0x42800000, s21
	s_delay_alu instid0(VALU_DEP_4) | instskip(SKIP_2) | instid1(VALU_DEP_4)
	v_cndmask_b32_e64 v55, 0, 0x42800000, s22
	v_cndmask_b32_e64 v57, 1.0, 0x1f800000, s21
	v_fmac_f32_e32 v53, v51, v36
	v_fmac_f32_e32 v54, v51, v37
	s_delay_alu instid0(VALU_DEP_4) | instskip(NEXT) | instid1(VALU_DEP_3)
	v_fmac_f32_e32 v55, v51, v38
	v_exp_f32_e32 v53, v53
	v_mul_f32_e32 v52, v51, v35
	s_delay_alu instid0(VALU_DEP_2)
	v_exp_f32_e32 v59, v55
	s_waitcnt_depctr 0xfff
	v_mul_f32_e32 v53, v53, v56
	v_cmp_gt_f32_e32 vcc_lo, 0xc2fc0000, v52
	v_cndmask_b32_e64 v56, 0, v10, s16
	v_cndmask_b32_e64 v10, 1.0, 0x1f800000, s22
	s_delay_alu instid0(VALU_DEP_4) | instskip(SKIP_2) | instid1(VALU_DEP_2)
	v_cndmask_b32_e64 v55, 1.0, v53, s17
	v_cndmask_b32_e64 v52, 0, 0x42800000, vcc_lo
	v_cndmask_b32_e64 v53, 0, v9, s19
	v_fmac_f32_e32 v52, v51, v35
	v_exp_f32_e32 v51, v54
	v_cndmask_b32_e64 v54, 1.0, 0x1f800000, vcc_lo
	s_delay_alu instid0(VALU_DEP_2) | instskip(SKIP_4) | instid1(VALU_DEP_3)
	v_exp_f32_e32 v52, v52
	s_waitcnt_depctr 0xfff
	v_mul_f32_e32 v52, v52, v54
	v_mul_f32_e32 v54, v51, v57
	v_cndmask_b32_e64 v51, 0, v11, s17
	v_cndmask_b32_e64 v58, 1.0, v52, s16
	v_cndmask_b32_e64 v52, 0, v8, s18
	v_mul_f32_e32 v8, v59, v10
	v_cndmask_b32_e64 v57, 1.0, v54, s18
	v_fma_f32 v11, v55, v56, v51
	v_mul_f32_e32 v10, v55, v58
	s_delay_alu instid0(VALU_DEP_4) | instskip(NEXT) | instid1(VALU_DEP_3)
	v_cndmask_b32_e64 v54, 1.0, v8, s19
	v_fma_f32 v9, v11, v57, v52
	s_delay_alu instid0(VALU_DEP_3) | instskip(NEXT) | instid1(VALU_DEP_2)
	v_mul_f32_e32 v8, v10, v57
	v_fma_f32 v9, v9, v54, v53
	s_delay_alu instid0(VALU_DEP_2) | instskip(NEXT) | instid1(VALU_DEP_2)
	v_mul_f32_e32 v8, v8, v54
	v_mov_b32_dpp v10, v9 row_shr:1 row_mask:0xf bank_mask:0xf
	s_delay_alu instid0(VALU_DEP_2)
	v_mov_b32_dpp v11, v8 row_shr:1 row_mask:0xf bank_mask:0xf
	s_and_saveexec_b32 s20, s0
; %bb.60:                               ;   in Loop: Header=BB130_37 Depth=2
	s_delay_alu instid0(VALU_DEP_1) | instskip(NEXT) | instid1(VALU_DEP_1)
	v_mul_f32_e32 v11, v8, v11
	v_dual_fmac_f32 v9, v8, v10 :: v_dual_mov_b32 v8, v11
; %bb.61:                               ;   in Loop: Header=BB130_37 Depth=2
	s_or_b32 exec_lo, exec_lo, s20
	s_delay_alu instid0(VALU_DEP_1) | instskip(NEXT) | instid1(VALU_DEP_2)
	v_mov_b32_dpp v10, v8 row_shr:2 row_mask:0xf bank_mask:0xf
	v_mov_b32_dpp v11, v9 row_shr:2 row_mask:0xf bank_mask:0xf
	s_and_saveexec_b32 s20, s1
; %bb.62:                               ;   in Loop: Header=BB130_37 Depth=2
	s_delay_alu instid0(VALU_DEP_1) | instskip(NEXT) | instid1(VALU_DEP_3)
	v_fmac_f32_e32 v9, v8, v11
	v_mul_f32_e32 v8, v8, v10
; %bb.63:                               ;   in Loop: Header=BB130_37 Depth=2
	s_or_b32 exec_lo, exec_lo, s20
	s_delay_alu instid0(VALU_DEP_1) | instskip(NEXT) | instid1(VALU_DEP_3)
	v_mov_b32_dpp v10, v8 row_shr:4 row_mask:0xf bank_mask:0xf
	v_mov_b32_dpp v11, v9 row_shr:4 row_mask:0xf bank_mask:0xf
	s_and_saveexec_b32 s20, s2
; %bb.64:                               ;   in Loop: Header=BB130_37 Depth=2
	s_delay_alu instid0(VALU_DEP_1) | instskip(NEXT) | instid1(VALU_DEP_3)
	v_fmac_f32_e32 v9, v8, v11
	v_mul_f32_e32 v8, v8, v10
; %bb.65:                               ;   in Loop: Header=BB130_37 Depth=2
	s_or_b32 exec_lo, exec_lo, s20
	s_delay_alu instid0(VALU_DEP_1) | instskip(NEXT) | instid1(VALU_DEP_3)
	v_mov_b32_dpp v10, v8 row_shr:8 row_mask:0xf bank_mask:0xf
	v_mov_b32_dpp v11, v9 row_shr:8 row_mask:0xf bank_mask:0xf
	s_and_saveexec_b32 s20, s3
; %bb.66:                               ;   in Loop: Header=BB130_37 Depth=2
	s_delay_alu instid0(VALU_DEP_1) | instskip(NEXT) | instid1(VALU_DEP_3)
	v_fmac_f32_e32 v9, v8, v11
	v_mul_f32_e32 v8, v8, v10
; %bb.67:                               ;   in Loop: Header=BB130_37 Depth=2
	s_or_b32 exec_lo, exec_lo, s20
	ds_swizzle_b32 v11, v8 offset:swizzle(BROADCAST,32,15)
	ds_swizzle_b32 v10, v9 offset:swizzle(BROADCAST,32,15)
	s_and_saveexec_b32 s20, s4
	s_cbranch_execz .LBB130_69
; %bb.68:                               ;   in Loop: Header=BB130_37 Depth=2
	s_waitcnt lgkmcnt(1)
	v_mul_f32_e32 v11, v8, v11
	s_waitcnt lgkmcnt(0)
	s_delay_alu instid0(VALU_DEP_1)
	v_dual_fmac_f32 v9, v8, v10 :: v_dual_mov_b32 v8, v11
.LBB130_69:                             ;   in Loop: Header=BB130_37 Depth=2
	s_or_b32 exec_lo, exec_lo, s20
	s_and_saveexec_b32 s20, s5
	s_cbranch_execz .LBB130_71
; %bb.70:                               ;   in Loop: Header=BB130_37 Depth=2
	ds_store_b64 v26, v[8:9] offset:2112
.LBB130_71:                             ;   in Loop: Header=BB130_37 Depth=2
	s_or_b32 exec_lo, exec_lo, s20
	s_waitcnt vmcnt(0) lgkmcnt(0)
	s_waitcnt_vscnt null, 0x0
	s_barrier
	buffer_gl0_inv
	s_and_saveexec_b32 s20, s6
	s_cbranch_execz .LBB130_73
; %bb.72:                               ;   in Loop: Header=BB130_37 Depth=2
	ds_load_b64 v[10:11], v27 offset:2112
	s_waitcnt lgkmcnt(0)
	v_mov_b32_dpp v59, v10 row_shr:1 row_mask:0xf bank_mask:0xf
	v_mov_b32_dpp v60, v11 row_shr:1 row_mask:0xf bank_mask:0xf
	s_delay_alu instid0(VALU_DEP_2) | instskip(NEXT) | instid1(VALU_DEP_2)
	v_mul_f32_e32 v59, v10, v59
	v_fma_f32 v60, v10, v60, v11
	s_delay_alu instid0(VALU_DEP_2) | instskip(NEXT) | instid1(VALU_DEP_2)
	v_cndmask_b32_e64 v10, v59, v10, s7
	v_cndmask_b32_e64 v11, v60, v11, s7
	ds_store_b64 v27, v[10:11] offset:2112
.LBB130_73:                             ;   in Loop: Header=BB130_37 Depth=2
	s_or_b32 exec_lo, exec_lo, s20
	s_waitcnt lgkmcnt(0)
	s_barrier
	buffer_gl0_inv
                                        ; implicit-def: $vgpr11
	s_and_saveexec_b32 s20, s9
	s_cbranch_execz .LBB130_75
; %bb.74:                               ;   in Loop: Header=BB130_37 Depth=2
	ds_load_b64 v[10:11], v26 offset:2104
	s_waitcnt lgkmcnt(0)
	v_mul_f32_e32 v59, v8, v10
	s_delay_alu instid0(VALU_DEP_1)
	v_dual_fmac_f32 v9, v8, v11 :: v_dual_mov_b32 v8, v59
.LBB130_75:                             ;   in Loop: Header=BB130_37 Depth=2
	s_or_b32 exec_lo, exec_lo, s20
	ds_bpermute_b32 v59, v28, v8
	ds_bpermute_b32 v60, v28, v9
	s_and_saveexec_b32 s20, s8
	s_cbranch_execz .LBB130_79
; %bb.76:                               ;   in Loop: Header=BB130_37 Depth=2
	ds_load_b64 v[8:9], v1 offset:2120
	s_and_saveexec_b32 s21, s10
	s_cbranch_execz .LBB130_78
; %bb.77:                               ;   in Loop: Header=BB130_37 Depth=2
	ds_store_b64 v1, v[6:7] offset:2120
.LBB130_78:                             ;   in Loop: Header=BB130_37 Depth=2
	s_or_b32 exec_lo, exec_lo, s21
	s_waitcnt lgkmcnt(0)
	v_fmac_f32_e32 v9, v7, v8
	s_delay_alu instid0(VALU_DEP_1)
	v_dual_mul_f32 v6, v6, v8 :: v_dual_mov_b32 v7, v9
.LBB130_79:                             ;   in Loop: Header=BB130_37 Depth=2
	s_or_b32 exec_lo, exec_lo, s20
	s_waitcnt lgkmcnt(0)
	s_barrier
	buffer_gl0_inv
	ds_load_b32 v8, v1 offset:2124
	s_and_saveexec_b32 s20, s10
	s_cbranch_execz .LBB130_36
; %bb.80:                               ;   in Loop: Header=BB130_37 Depth=2
	v_mov_b32_e32 v9, s69
	s_and_not1_b32 vcc_lo, exec_lo, s67
	ds_store_b64 v9, v[6:7]
	s_cbranch_vccnz .LBB130_36
; %bb.81:                               ;   in Loop: Header=BB130_37 Depth=2
	s_mov_b32 s47, s35
	s_delay_alu instid0(SALU_CYCLE_1) | instskip(NEXT) | instid1(SALU_CYCLE_1)
	s_lshl_b64 s[30:31], s[46:47], 2
	s_add_u32 s30, s56, s30
	s_addc_u32 s31, s57, s31
	global_store_b32 v1, v7, s[30:31]
	s_branch .LBB130_36
.LBB130_82:                             ;   in Loop: Header=BB130_12 Depth=1
	s_waitcnt_vscnt null, 0x0
	s_barrier
	buffer_gl0_inv
	ds_store_2addr_b32 v21, v41, v40 offset1:1
	ds_store_2addr_b32 v21, v39, v42 offset0:2 offset1:3
	; wave barrier
	ds_load_b32 v6, v18 offset:128
	ds_load_b32 v5, v19 offset:256
	;; [unrolled: 1-line block ×3, first 2 shown]
	s_mov_b32 s25, s35
	s_delay_alu instid0(SALU_CYCLE_1) | instskip(NEXT) | instid1(SALU_CYCLE_1)
	s_lshl_b64 s[16:17], s[24:25], 2
	v_add_co_u32 v2, vcc_lo, v0, s16
	v_add_co_ci_u32_e32 v3, vcc_lo, s17, v29, vcc_lo
	s_and_saveexec_b32 s16, s12
	s_cbranch_execnz .LBB130_88
; %bb.83:                               ;   in Loop: Header=BB130_12 Depth=1
	s_or_b32 exec_lo, exec_lo, s16
	s_and_saveexec_b32 s12, s13
	s_cbranch_execnz .LBB130_89
.LBB130_84:                             ;   in Loop: Header=BB130_12 Depth=1
	s_or_b32 exec_lo, exec_lo, s12
	s_and_saveexec_b32 s12, s14
	s_cbranch_execnz .LBB130_90
.LBB130_85:                             ;   in Loop: Header=BB130_12 Depth=1
	s_or_b32 exec_lo, exec_lo, s12
	s_and_saveexec_b32 s12, s15
	s_cbranch_execz .LBB130_11
	s_branch .LBB130_91
.LBB130_86:                             ;   in Loop: Header=BB130_12 Depth=1
	global_load_b32 v10, v[6:7], off offset:128
	s_or_b32 exec_lo, exec_lo, s16
	s_and_saveexec_b32 s16, s14
	s_cbranch_execz .LBB130_24
.LBB130_87:                             ;   in Loop: Header=BB130_12 Depth=1
	global_load_b32 v9, v[6:7], off offset:256
	s_or_b32 exec_lo, exec_lo, s16
	v_mov_b32_e32 v11, 0
	s_and_saveexec_b32 s16, s15
	s_cbranch_execnz .LBB130_25
	s_branch .LBB130_26
.LBB130_88:                             ;   in Loop: Header=BB130_12 Depth=1
	ds_load_b32 v7, v17
	s_waitcnt lgkmcnt(0)
	global_store_b32 v[2:3], v7, off
	s_or_b32 exec_lo, exec_lo, s16
	s_and_saveexec_b32 s12, s13
	s_cbranch_execz .LBB130_84
.LBB130_89:                             ;   in Loop: Header=BB130_12 Depth=1
	s_waitcnt lgkmcnt(2)
	global_store_b32 v[2:3], v6, off offset:128
	s_or_b32 exec_lo, exec_lo, s12
	s_and_saveexec_b32 s12, s14
	s_cbranch_execz .LBB130_85
.LBB130_90:                             ;   in Loop: Header=BB130_12 Depth=1
	s_waitcnt lgkmcnt(1)
	global_store_b32 v[2:3], v5, off offset:256
	s_or_b32 exec_lo, exec_lo, s12
	s_and_saveexec_b32 s12, s15
	s_cbranch_execz .LBB130_11
.LBB130_91:                             ;   in Loop: Header=BB130_12 Depth=1
	s_waitcnt lgkmcnt(0)
	global_store_b32 v[2:3], v4, off offset:384
	s_branch .LBB130_11
.LBB130_92:
	s_nop 0
	s_sendmsg sendmsg(MSG_DEALLOC_VGPRS)
	s_endpgm
	.section	.rodata,"a",@progbits
	.p2align	6, 0x0
	.amdhsa_kernel _Z25selective_scan_fwd_kernelI32Selective_Scan_fwd_kernel_traitsILi64ELi4ELi1ELb1ELb1ELb1ELb0ELb1EfffEEv13SSMParamsBase
		.amdhsa_group_segment_fixed_size 0
		.amdhsa_private_segment_fixed_size 0
		.amdhsa_kernarg_size 248
		.amdhsa_user_sgpr_count 14
		.amdhsa_user_sgpr_dispatch_ptr 0
		.amdhsa_user_sgpr_queue_ptr 0
		.amdhsa_user_sgpr_kernarg_segment_ptr 1
		.amdhsa_user_sgpr_dispatch_id 0
		.amdhsa_user_sgpr_private_segment_size 0
		.amdhsa_wavefront_size32 1
		.amdhsa_uses_dynamic_stack 0
		.amdhsa_enable_private_segment 0
		.amdhsa_system_sgpr_workgroup_id_x 1
		.amdhsa_system_sgpr_workgroup_id_y 1
		.amdhsa_system_sgpr_workgroup_id_z 0
		.amdhsa_system_sgpr_workgroup_info 0
		.amdhsa_system_vgpr_workitem_id 0
		.amdhsa_next_free_vgpr 61
		.amdhsa_next_free_sgpr 76
		.amdhsa_reserve_vcc 1
		.amdhsa_float_round_mode_32 0
		.amdhsa_float_round_mode_16_64 0
		.amdhsa_float_denorm_mode_32 3
		.amdhsa_float_denorm_mode_16_64 3
		.amdhsa_dx10_clamp 1
		.amdhsa_ieee_mode 1
		.amdhsa_fp16_overflow 0
		.amdhsa_workgroup_processor_mode 1
		.amdhsa_memory_ordered 1
		.amdhsa_forward_progress 0
		.amdhsa_shared_vgpr_count 0
		.amdhsa_exception_fp_ieee_invalid_op 0
		.amdhsa_exception_fp_denorm_src 0
		.amdhsa_exception_fp_ieee_div_zero 0
		.amdhsa_exception_fp_ieee_overflow 0
		.amdhsa_exception_fp_ieee_underflow 0
		.amdhsa_exception_fp_ieee_inexact 0
		.amdhsa_exception_int_div_zero 0
	.end_amdhsa_kernel
	.section	.text._Z25selective_scan_fwd_kernelI32Selective_Scan_fwd_kernel_traitsILi64ELi4ELi1ELb1ELb1ELb1ELb0ELb1EfffEEv13SSMParamsBase,"axG",@progbits,_Z25selective_scan_fwd_kernelI32Selective_Scan_fwd_kernel_traitsILi64ELi4ELi1ELb1ELb1ELb1ELb0ELb1EfffEEv13SSMParamsBase,comdat
.Lfunc_end130:
	.size	_Z25selective_scan_fwd_kernelI32Selective_Scan_fwd_kernel_traitsILi64ELi4ELi1ELb1ELb1ELb1ELb0ELb1EfffEEv13SSMParamsBase, .Lfunc_end130-_Z25selective_scan_fwd_kernelI32Selective_Scan_fwd_kernel_traitsILi64ELi4ELi1ELb1ELb1ELb1ELb0ELb1EfffEEv13SSMParamsBase
                                        ; -- End function
	.section	.AMDGPU.csdata,"",@progbits
; Kernel info:
; codeLenInByte = 6976
; NumSgprs: 78
; NumVgprs: 61
; ScratchSize: 0
; MemoryBound: 0
; FloatMode: 240
; IeeeMode: 1
; LDSByteSize: 0 bytes/workgroup (compile time only)
; SGPRBlocks: 9
; VGPRBlocks: 7
; NumSGPRsForWavesPerEU: 78
; NumVGPRsForWavesPerEU: 61
; Occupancy: 16
; WaveLimiterHint : 1
; COMPUTE_PGM_RSRC2:SCRATCH_EN: 0
; COMPUTE_PGM_RSRC2:USER_SGPR: 14
; COMPUTE_PGM_RSRC2:TRAP_HANDLER: 0
; COMPUTE_PGM_RSRC2:TGID_X_EN: 1
; COMPUTE_PGM_RSRC2:TGID_Y_EN: 1
; COMPUTE_PGM_RSRC2:TGID_Z_EN: 0
; COMPUTE_PGM_RSRC2:TIDIG_COMP_CNT: 0
	.section	.text._Z25selective_scan_fwd_kernelI32Selective_Scan_fwd_kernel_traitsILi64ELi4ELi1ELb1ELb1ELb1ELb0ELb0EfffEEv13SSMParamsBase,"axG",@progbits,_Z25selective_scan_fwd_kernelI32Selective_Scan_fwd_kernel_traitsILi64ELi4ELi1ELb1ELb1ELb1ELb0ELb0EfffEEv13SSMParamsBase,comdat
	.protected	_Z25selective_scan_fwd_kernelI32Selective_Scan_fwd_kernel_traitsILi64ELi4ELi1ELb1ELb1ELb1ELb0ELb0EfffEEv13SSMParamsBase ; -- Begin function _Z25selective_scan_fwd_kernelI32Selective_Scan_fwd_kernel_traitsILi64ELi4ELi1ELb1ELb1ELb1ELb0ELb0EfffEEv13SSMParamsBase
	.globl	_Z25selective_scan_fwd_kernelI32Selective_Scan_fwd_kernel_traitsILi64ELi4ELi1ELb1ELb1ELb1ELb0ELb0EfffEEv13SSMParamsBase
	.p2align	8
	.type	_Z25selective_scan_fwd_kernelI32Selective_Scan_fwd_kernel_traitsILi64ELi4ELi1ELb1ELb1ELb1ELb0ELb0EfffEEv13SSMParamsBase,@function
_Z25selective_scan_fwd_kernelI32Selective_Scan_fwd_kernel_traitsILi64ELi4ELi1ELb1ELb1ELb1ELb0ELb0EfffEEv13SSMParamsBase: ; @_Z25selective_scan_fwd_kernelI32Selective_Scan_fwd_kernel_traitsILi64ELi4ELi1ELb1ELb1ELb1ELb0ELb0EfffEEv13SSMParamsBase
; %bb.0:
	s_clause 0x1
	s_load_b32 s11, s[0:1], 0x18
	s_load_b128 s[4:7], s[0:1], 0xe8
	s_mov_b32 s8, s15
	s_mov_b32 s33, 0
	s_waitcnt lgkmcnt(0)
	s_abs_i32 s10, s11
	s_cmp_eq_u64 s[6:7], 0
	v_cvt_f32_u32_e32 v1, s10
	s_delay_alu instid0(VALU_DEP_1) | instskip(SKIP_2) | instid1(VALU_DEP_1)
	v_rcp_iflag_f32_e32 v1, v1
	s_waitcnt_depctr 0xfff
	v_mul_f32_e32 v1, 0x4f7ffffe, v1
	v_cvt_u32_f32_e32 v1, v1
	s_delay_alu instid0(VALU_DEP_1)
	v_readfirstlane_b32 s12, v1
	s_cbranch_scc1 .LBB131_2
; %bb.1:
	v_mov_b32_e32 v1, 0
	s_ashr_i32 s3, s14, 31
	s_add_u32 s2, s6, s14
	s_addc_u32 s3, s7, s3
	global_load_u8 v1, v1, s[2:3]
	s_waitcnt vmcnt(0)
	v_and_b32_e32 v1, 1, v1
	s_delay_alu instid0(VALU_DEP_1)
	v_cmp_eq_u32_e64 s33, 1, v1
.LBB131_2:
	s_load_b64 s[6:7], s[0:1], 0x20
	s_cmp_eq_u64 s[4:5], 0
	s_cbranch_scc1 .LBB131_4
; %bb.3:
	s_ashr_i32 s15, s14, 31
	s_delay_alu instid0(SALU_CYCLE_1) | instskip(NEXT) | instid1(SALU_CYCLE_1)
	s_lshl_b64 s[2:3], s[14:15], 2
	s_add_u32 s2, s4, s2
	s_addc_u32 s3, s5, s3
	s_load_b32 s2, s[2:3], 0x0
	s_waitcnt lgkmcnt(0)
	s_ashr_i32 s3, s2, 31
	s_delay_alu instid0(SALU_CYCLE_1)
	s_cmp_eq_u64 s[6:7], s[2:3]
	s_cbranch_scc0 .LBB131_5
	s_branch .LBB131_54
.LBB131_4:
	s_mov_b32 s2, s14
	s_delay_alu instid0(SALU_CYCLE_1)
	s_ashr_i32 s3, s2, 31
	s_waitcnt lgkmcnt(0)
	s_cmp_eq_u64 s[6:7], s[2:3]
	s_cbranch_scc1 .LBB131_54
.LBB131_5:
	s_clause 0x1
	s_load_b512 s[16:31], s[0:1], 0x88
	s_load_b64 s[34:35], s[0:1], 0x8
	s_mov_b32 s48, 0
	s_mov_b32 s49, 0
	s_waitcnt lgkmcnt(0)
	s_cmp_eq_u64 s[22:23], 0
	s_cbranch_scc1 .LBB131_7
; %bb.6:
	s_ashr_i32 s9, s8, 31
	s_delay_alu instid0(SALU_CYCLE_1) | instskip(NEXT) | instid1(SALU_CYCLE_1)
	s_lshl_b64 s[4:5], s[8:9], 2
	s_add_u32 s4, s22, s4
	s_addc_u32 s5, s23, s5
	s_load_b32 s49, s[4:5], 0x0
.LBB131_7:
	s_cmp_eq_u64 s[28:29], 0
	s_cbranch_scc1 .LBB131_9
; %bb.8:
	s_ashr_i32 s9, s8, 31
	s_delay_alu instid0(SALU_CYCLE_1) | instskip(NEXT) | instid1(SALU_CYCLE_1)
	s_lshl_b64 s[4:5], s[8:9], 2
	s_add_u32 s4, s28, s4
	s_addc_u32 s5, s29, s5
	s_load_b32 s48, s[4:5], 0x0
.LBB131_9:
	s_cmp_lt_i32 s34, 1
	s_cbranch_scc1 .LBB131_54
; %bb.10:
	s_sub_i32 s3, 0, s10
	s_clause 0x1
	s_load_b64 s[4:5], s[0:1], 0x5c
	s_load_b128 s[44:47], s[0:1], 0x4c
	s_mul_i32 s3, s3, s12
	s_abs_i32 s6, s8
	s_mul_hi_u32 s3, s12, s3
	s_ashr_i32 s9, s11, 31
	s_add_i32 s12, s12, s3
	s_ashr_i32 s3, s8, 31
	s_mul_hi_u32 s7, s6, s12
	s_xor_b32 s3, s3, s9
	s_mul_i32 s11, s7, s10
	s_add_i32 s9, s7, 1
	s_sub_i32 s6, s6, s11
	s_load_b256 s[36:43], s[0:1], 0x2c
	s_sub_i32 s11, s6, s10
	s_cmp_ge_u32 s6, s10
	s_mov_b32 s23, 0
	s_cselect_b32 s7, s9, s7
	s_cselect_b32 s6, s11, s6
	s_add_i32 s9, s7, 1
	s_cmp_ge_u32 s6, s10
	s_waitcnt lgkmcnt(0)
	s_mul_i32 s22, s46, s14
	s_cselect_b32 s6, s9, s7
	v_lshrrev_b32_e32 v1, 2, v0
	s_xor_b32 s9, s6, s3
	s_lshl_b64 s[6:7], s[22:23], 2
	s_sub_i32 s3, s9, s3
	s_mul_i32 s22, s47, s8
	s_add_u32 s9, s24, s6
	s_addc_u32 s10, s25, s7
	s_lshl_b64 s[6:7], s[22:23], 2
	s_mul_i32 s22, s4, s14
	s_add_u32 s28, s9, s6
	s_addc_u32 s29, s10, s7
	s_lshl_b64 s[6:7], s[22:23], 2
	;; [unrolled: 4-line block ×3, first 2 shown]
	s_load_b128 s[24:27], s[0:1], 0x7c
	s_mul_i32 s22, s36, s8
	s_add_u32 s46, s6, s4
	s_addc_u32 s47, s7, s5
	s_lshl_b64 s[4:5], s[22:23], 2
	s_mul_i32 s22, s38, s14
	s_load_b64 s[6:7], s[0:1], 0xc8
	s_add_u32 s36, s16, s4
	s_waitcnt lgkmcnt(0)
	s_addc_u32 s27, s17, s5
	s_lshl_b64 s[4:5], s[22:23], 2
	s_mul_i32 s22, s3, s41
	s_add_u32 s9, s18, s4
	s_addc_u32 s10, s19, s5
	s_lshl_b64 s[4:5], s[22:23], 2
	s_mul_i32 s22, s42, s14
	s_add_u32 s41, s9, s4
	s_load_b32 s9, s[0:1], 0x28
	s_addc_u32 s42, s10, s5
	s_load_b64 s[10:11], s[0:1], 0x6c
	s_lshl_b64 s[4:5], s[22:23], 2
	s_mul_i32 s22, s3, s45
	s_add_u32 s12, s20, s4
	s_addc_u32 s3, s21, s5
	s_lshl_b64 s[4:5], s[22:23], 2
	s_mul_i32 s22, s2, s24
	s_add_u32 s43, s12, s4
	s_addc_u32 s45, s3, s5
	;; [unrolled: 4-line block ×3, first 2 shown]
	s_lshl_b64 s[0:1], s[22:23], 2
	v_dual_mov_b32 v22, 0 :: v_dual_and_b32 v1, 8, v1
	s_add_u32 s50, s2, s0
	s_addc_u32 s51, s3, s1
	s_add_i32 s0, s34, 0x7ff
	s_delay_alu instid0(VALU_DEP_1)
	v_add_nc_u32_e32 v24, 0, v1
	s_lshr_b32 s52, s0, 11
	s_waitcnt lgkmcnt(0)
	s_bitcmp1_b32 s9, 0
	s_mul_i32 s22, s10, s14
	s_cselect_b32 s53, -1, 0
	s_cmp_gt_i32 s35, 0
	v_lshlrev_b32_e32 v1, 4, v0
	s_cselect_b32 s54, -1, 0
	s_and_b32 s1, s34, 0xff
	v_or_b32_e32 v2, 31, v0
	s_cmp_eq_u32 s1, 0
	v_lshlrev_b32_e32 v23, 2, v0
	s_cselect_b32 s55, -1, 0
	s_lshl_b64 s[6:7], s[22:23], 2
	s_add_i32 s56, s52, -1
	s_mul_i32 s22, s11, s8
	s_add_u32 s9, s30, s6
	s_addc_u32 s8, s31, s7
	s_lshl_b64 s[6:7], s[22:23], 2
	v_cmp_gt_u32_e64 s0, 64, v0
	s_add_u32 s6, s9, s6
	s_addc_u32 s7, s8, s7
	v_add_co_u32 v26, s6, s6, v1
	v_cmp_eq_u32_e64 s1, v2, v0
	v_cmp_gt_u32_e64 s2, 2, v0
	v_lshl_add_u32 v25, v0, 3, 0
	v_cmp_gt_u32_e64 s3, 32, v0
	v_cmp_lt_u32_e64 s4, 31, v0
	v_cmp_eq_u32_e64 s5, 0, v0
	v_add_co_ci_u32_e64 v27, null, s7, 0, s6
	v_or_b32_e32 v28, 1, v23
	v_or_b32_e32 v29, 2, v23
	;; [unrolled: 1-line block ×3, first 2 shown]
	v_lshlrev_b32_e32 v31, 4, v0
	v_mbcnt_lo_u32_b32 v32, -1, 0
	s_mov_b32 s57, 0x3e9b6dac
	s_add_i32 s58, 0, 0x850
	s_mov_b32 s59, 0
                                        ; implicit-def: $vgpr7
                                        ; implicit-def: $vgpr0
	s_branch .LBB131_12
.LBB131_11:                             ;   in Loop: Header=BB131_12 Depth=1
	s_add_u32 s46, s46, 0x400
	s_addc_u32 s47, s47, 0
	s_mov_b32 s21, s23
	s_add_u32 s28, s28, 0x400
	s_addc_u32 s29, s29, 0
	s_lshl_b64 s[6:7], s[20:21], 2
	s_add_u32 s41, s41, 0x400
	v_add_co_u32 v12, vcc_lo, v26, s6
	s_addc_u32 s42, s42, 0
	v_add_co_ci_u32_e32 v13, vcc_lo, s7, v27, vcc_lo
	s_add_u32 s43, s43, 0x400
	s_addc_u32 s45, s45, 0
	s_add_i32 s59, s59, 1
	s_waitcnt_vscnt null, 0x0
	s_cmp_eq_u32 s59, s52
	s_barrier
	buffer_gl0_inv
	global_store_b128 v[12:13], v[8:11], off
	s_cbranch_scc1 .LBB131_54
.LBB131_12:                             ; =>This Loop Header: Depth=1
                                        ;     Child Loop BB131_25 Depth 2
	s_waitcnt_vscnt null, 0x0
	s_barrier
	buffer_gl0_inv
	s_and_saveexec_b32 s6, s0
; %bb.13:                               ;   in Loop: Header=BB131_12 Depth=1
	s_clause 0x1
	global_load_b128 v[0:3], v31, s[28:29]
	global_load_b128 v[4:7], v31, s[46:47]
; %bb.14:                               ;   in Loop: Header=BB131_12 Depth=1
	s_or_b32 exec_lo, exec_lo, s6
	s_waitcnt vmcnt(0)
	v_add_f32_e32 v33, s48, v4
	s_delay_alu instid0(VALU_DEP_1) | instskip(SKIP_1) | instid1(SALU_CYCLE_1)
	v_cmp_ge_f32_e32 vcc_lo, 0x41a00000, v33
	s_and_b32 s6, s53, vcc_lo
	s_and_saveexec_b32 s7, s6
	s_cbranch_execz .LBB131_16
; %bb.15:                               ;   in Loop: Header=BB131_12 Depth=1
	v_mul_f32_e32 v8, 0x3fb8aa3b, v33
	v_cmp_ngt_f32_e32 vcc_lo, 0xc2ce8ed0, v33
	s_delay_alu instid0(VALU_DEP_2) | instskip(SKIP_1) | instid1(VALU_DEP_2)
	v_rndne_f32_e32 v9, v8
	v_fma_f32 v10, 0x3fb8aa3b, v33, -v8
	v_sub_f32_e32 v8, v8, v9
	s_delay_alu instid0(VALU_DEP_2) | instskip(SKIP_1) | instid1(VALU_DEP_2)
	v_fmac_f32_e32 v10, 0x32a5705f, v33
	v_cvt_i32_f32_e32 v9, v9
	v_add_f32_e32 v8, v8, v10
	s_delay_alu instid0(VALU_DEP_1) | instskip(SKIP_2) | instid1(VALU_DEP_1)
	v_exp_f32_e32 v8, v8
	s_waitcnt_depctr 0xfff
	v_ldexp_f32 v8, v8, v9
	v_cndmask_b32_e32 v8, 0, v8, vcc_lo
	v_cmp_nlt_f32_e32 vcc_lo, 0x42b17218, v33
	s_delay_alu instid0(VALU_DEP_2) | instskip(NEXT) | instid1(VALU_DEP_1)
	v_cndmask_b32_e32 v10, 0x7f800000, v8, vcc_lo
	v_add_f32_e32 v11, 1.0, v10
	s_delay_alu instid0(VALU_DEP_1) | instskip(NEXT) | instid1(VALU_DEP_1)
	v_cvt_f64_f32_e32 v[8:9], v11
	v_frexp_exp_i32_f64_e32 v8, v[8:9]
	v_frexp_mant_f32_e32 v9, v11
	s_delay_alu instid0(VALU_DEP_1) | instskip(SKIP_1) | instid1(VALU_DEP_1)
	v_cmp_gt_f32_e32 vcc_lo, 0x3f2aaaab, v9
	v_add_f32_e32 v9, -1.0, v11
	v_sub_f32_e32 v13, v9, v11
	v_sub_f32_e32 v9, v10, v9
	s_delay_alu instid0(VALU_DEP_2) | instskip(NEXT) | instid1(VALU_DEP_1)
	v_add_f32_e32 v13, 1.0, v13
	v_add_f32_e32 v9, v9, v13
	v_cmp_gt_f32_e64 s6, 0x33800000, v10
	v_subrev_co_ci_u32_e32 v8, vcc_lo, 0, v8, vcc_lo
	v_cmp_eq_f32_e32 vcc_lo, 0x7f800000, v10
	s_delay_alu instid0(VALU_DEP_2) | instskip(SKIP_2) | instid1(VALU_DEP_2)
	v_sub_nc_u32_e32 v12, 0, v8
	v_cvt_f32_i32_e32 v8, v8
	s_or_b32 vcc_lo, s6, vcc_lo
	v_ldexp_f32 v11, v11, v12
	v_ldexp_f32 v9, v9, v12
	s_delay_alu instid0(VALU_DEP_2) | instskip(NEXT) | instid1(VALU_DEP_1)
	v_add_f32_e32 v14, 1.0, v11
	v_dual_add_f32 v12, -1.0, v11 :: v_dual_add_f32 v13, -1.0, v14
	s_delay_alu instid0(VALU_DEP_1) | instskip(NEXT) | instid1(VALU_DEP_2)
	v_add_f32_e32 v15, 1.0, v12
	v_sub_f32_e32 v13, v11, v13
	s_delay_alu instid0(VALU_DEP_2) | instskip(NEXT) | instid1(VALU_DEP_2)
	v_sub_f32_e32 v11, v11, v15
	v_add_f32_e32 v13, v9, v13
	s_delay_alu instid0(VALU_DEP_2) | instskip(NEXT) | instid1(VALU_DEP_1)
	v_add_f32_e32 v9, v9, v11
	v_add_f32_e32 v16, v12, v9
	s_delay_alu instid0(VALU_DEP_1) | instskip(NEXT) | instid1(VALU_DEP_1)
	v_dual_add_f32 v15, v14, v13 :: v_dual_sub_f32 v12, v12, v16
	v_rcp_f32_e32 v11, v15
	v_sub_f32_e32 v14, v14, v15
	s_delay_alu instid0(VALU_DEP_1) | instskip(SKIP_2) | instid1(VALU_DEP_1)
	v_add_f32_e32 v13, v13, v14
	s_waitcnt_depctr 0xfff
	v_mul_f32_e32 v17, v16, v11
	v_mul_f32_e32 v18, v15, v17
	s_delay_alu instid0(VALU_DEP_1) | instskip(NEXT) | instid1(VALU_DEP_1)
	v_fma_f32 v14, v17, v15, -v18
	v_fmac_f32_e32 v14, v17, v13
	s_delay_alu instid0(VALU_DEP_1) | instskip(NEXT) | instid1(VALU_DEP_1)
	v_add_f32_e32 v19, v18, v14
	v_sub_f32_e32 v20, v16, v19
	s_delay_alu instid0(VALU_DEP_1) | instskip(SKIP_1) | instid1(VALU_DEP_2)
	v_sub_f32_e32 v16, v16, v20
	v_dual_add_f32 v9, v9, v12 :: v_dual_sub_f32 v12, v19, v18
	v_sub_f32_e32 v16, v16, v19
	s_delay_alu instid0(VALU_DEP_1) | instskip(NEXT) | instid1(VALU_DEP_1)
	v_dual_sub_f32 v12, v12, v14 :: v_dual_add_f32 v9, v9, v16
	v_add_f32_e32 v9, v12, v9
	s_delay_alu instid0(VALU_DEP_1) | instskip(NEXT) | instid1(VALU_DEP_1)
	v_add_f32_e32 v12, v20, v9
	v_mul_f32_e32 v14, v11, v12
	s_delay_alu instid0(VALU_DEP_1) | instskip(NEXT) | instid1(VALU_DEP_1)
	v_dual_sub_f32 v19, v20, v12 :: v_dual_mul_f32 v16, v15, v14
	v_add_f32_e32 v9, v9, v19
	s_delay_alu instid0(VALU_DEP_2) | instskip(NEXT) | instid1(VALU_DEP_1)
	v_fma_f32 v15, v14, v15, -v16
	v_fmac_f32_e32 v15, v14, v13
	s_delay_alu instid0(VALU_DEP_1) | instskip(NEXT) | instid1(VALU_DEP_1)
	v_add_f32_e32 v13, v16, v15
	v_sub_f32_e32 v18, v12, v13
	s_delay_alu instid0(VALU_DEP_1) | instskip(NEXT) | instid1(VALU_DEP_1)
	v_sub_f32_e32 v12, v12, v18
	v_sub_f32_e32 v12, v12, v13
	s_delay_alu instid0(VALU_DEP_1) | instskip(SKIP_2) | instid1(VALU_DEP_1)
	v_add_f32_e32 v9, v9, v12
	v_add_f32_e32 v12, v17, v14
	v_sub_f32_e32 v16, v13, v16
	v_sub_f32_e32 v13, v16, v15
	s_delay_alu instid0(VALU_DEP_1) | instskip(NEXT) | instid1(VALU_DEP_4)
	v_add_f32_e32 v9, v13, v9
	v_sub_f32_e32 v13, v12, v17
	s_delay_alu instid0(VALU_DEP_2) | instskip(NEXT) | instid1(VALU_DEP_2)
	v_add_f32_e32 v9, v18, v9
	v_sub_f32_e32 v13, v14, v13
	s_delay_alu instid0(VALU_DEP_2) | instskip(NEXT) | instid1(VALU_DEP_1)
	v_mul_f32_e32 v9, v11, v9
	v_add_f32_e32 v9, v13, v9
	s_delay_alu instid0(VALU_DEP_1) | instskip(NEXT) | instid1(VALU_DEP_1)
	v_add_f32_e32 v11, v12, v9
	v_mul_f32_e32 v13, v11, v11
	s_delay_alu instid0(VALU_DEP_1) | instskip(SKIP_1) | instid1(VALU_DEP_2)
	v_fmaak_f32 v14, s57, v13, 0x3ecc95a3
	v_mul_f32_e32 v15, v11, v13
	v_fmaak_f32 v13, v13, v14, 0x3f2aaada
	v_ldexp_f32 v14, v11, 1
	s_delay_alu instid0(VALU_DEP_2) | instskip(SKIP_1) | instid1(VALU_DEP_2)
	v_mul_f32_e32 v13, v15, v13
	v_sub_f32_e32 v11, v11, v12
	v_dual_mul_f32 v15, 0x3f317218, v8 :: v_dual_add_f32 v12, v14, v13
	s_delay_alu instid0(VALU_DEP_2) | instskip(NEXT) | instid1(VALU_DEP_2)
	v_sub_f32_e32 v9, v9, v11
	v_sub_f32_e32 v11, v12, v14
	s_delay_alu instid0(VALU_DEP_3) | instskip(NEXT) | instid1(VALU_DEP_3)
	v_fma_f32 v14, 0x3f317218, v8, -v15
	v_ldexp_f32 v9, v9, 1
	s_delay_alu instid0(VALU_DEP_2) | instskip(NEXT) | instid1(VALU_DEP_1)
	v_dual_sub_f32 v11, v13, v11 :: v_dual_fmac_f32 v14, 0xb102e308, v8
	v_dual_add_f32 v8, v9, v11 :: v_dual_add_f32 v9, v15, v14
	s_delay_alu instid0(VALU_DEP_1) | instskip(NEXT) | instid1(VALU_DEP_1)
	v_add_f32_e32 v11, v12, v8
	v_dual_add_f32 v13, v9, v11 :: v_dual_sub_f32 v12, v11, v12
	s_delay_alu instid0(VALU_DEP_1) | instskip(NEXT) | instid1(VALU_DEP_2)
	v_sub_f32_e32 v16, v13, v9
	v_dual_sub_f32 v15, v9, v15 :: v_dual_sub_f32 v8, v8, v12
	s_delay_alu instid0(VALU_DEP_1) | instskip(SKIP_1) | instid1(VALU_DEP_2)
	v_dual_sub_f32 v17, v13, v16 :: v_dual_sub_f32 v14, v14, v15
	v_sub_f32_e32 v11, v11, v16
	v_dual_sub_f32 v9, v9, v17 :: v_dual_add_f32 v12, v14, v8
	s_delay_alu instid0(VALU_DEP_1) | instskip(NEXT) | instid1(VALU_DEP_2)
	v_add_f32_e32 v9, v11, v9
	v_sub_f32_e32 v11, v12, v14
	s_delay_alu instid0(VALU_DEP_2) | instskip(NEXT) | instid1(VALU_DEP_2)
	v_add_f32_e32 v9, v12, v9
	v_sub_f32_e32 v12, v12, v11
	s_delay_alu instid0(VALU_DEP_2) | instskip(NEXT) | instid1(VALU_DEP_1)
	v_dual_sub_f32 v8, v8, v11 :: v_dual_add_f32 v15, v13, v9
	v_dual_sub_f32 v12, v14, v12 :: v_dual_sub_f32 v11, v15, v13
	s_delay_alu instid0(VALU_DEP_1) | instskip(NEXT) | instid1(VALU_DEP_1)
	v_dual_add_f32 v8, v8, v12 :: v_dual_sub_f32 v9, v9, v11
	v_add_f32_e32 v8, v8, v9
	s_delay_alu instid0(VALU_DEP_1) | instskip(NEXT) | instid1(VALU_DEP_1)
	v_add_f32_e32 v8, v15, v8
	v_cndmask_b32_e32 v33, v8, v10, vcc_lo
.LBB131_16:                             ;   in Loop: Header=BB131_12 Depth=1
	s_or_b32 exec_lo, exec_lo, s7
	v_add_f32_e32 v34, s48, v5
	s_delay_alu instid0(VALU_DEP_1) | instskip(SKIP_1) | instid1(SALU_CYCLE_1)
	v_cmp_ge_f32_e32 vcc_lo, 0x41a00000, v34
	s_and_b32 s6, s53, vcc_lo
	s_and_saveexec_b32 s7, s6
	s_cbranch_execz .LBB131_18
; %bb.17:                               ;   in Loop: Header=BB131_12 Depth=1
	v_mul_f32_e32 v8, 0x3fb8aa3b, v34
	v_cmp_ngt_f32_e32 vcc_lo, 0xc2ce8ed0, v34
	s_delay_alu instid0(VALU_DEP_2) | instskip(SKIP_1) | instid1(VALU_DEP_2)
	v_rndne_f32_e32 v9, v8
	v_fma_f32 v10, 0x3fb8aa3b, v34, -v8
	v_sub_f32_e32 v8, v8, v9
	s_delay_alu instid0(VALU_DEP_2) | instskip(SKIP_1) | instid1(VALU_DEP_2)
	v_fmac_f32_e32 v10, 0x32a5705f, v34
	v_cvt_i32_f32_e32 v9, v9
	v_add_f32_e32 v8, v8, v10
	s_delay_alu instid0(VALU_DEP_1) | instskip(SKIP_2) | instid1(VALU_DEP_1)
	v_exp_f32_e32 v8, v8
	s_waitcnt_depctr 0xfff
	v_ldexp_f32 v8, v8, v9
	v_cndmask_b32_e32 v8, 0, v8, vcc_lo
	v_cmp_nlt_f32_e32 vcc_lo, 0x42b17218, v34
	s_delay_alu instid0(VALU_DEP_2) | instskip(NEXT) | instid1(VALU_DEP_1)
	v_cndmask_b32_e32 v10, 0x7f800000, v8, vcc_lo
	v_add_f32_e32 v11, 1.0, v10
	s_delay_alu instid0(VALU_DEP_1) | instskip(NEXT) | instid1(VALU_DEP_1)
	v_cvt_f64_f32_e32 v[8:9], v11
	v_frexp_exp_i32_f64_e32 v8, v[8:9]
	v_frexp_mant_f32_e32 v9, v11
	s_delay_alu instid0(VALU_DEP_1) | instskip(SKIP_1) | instid1(VALU_DEP_1)
	v_cmp_gt_f32_e32 vcc_lo, 0x3f2aaaab, v9
	v_add_f32_e32 v9, -1.0, v11
	v_sub_f32_e32 v13, v9, v11
	v_sub_f32_e32 v9, v10, v9
	s_delay_alu instid0(VALU_DEP_2) | instskip(NEXT) | instid1(VALU_DEP_1)
	v_add_f32_e32 v13, 1.0, v13
	v_add_f32_e32 v9, v9, v13
	v_cmp_gt_f32_e64 s6, 0x33800000, v10
	v_subrev_co_ci_u32_e32 v8, vcc_lo, 0, v8, vcc_lo
	v_cmp_eq_f32_e32 vcc_lo, 0x7f800000, v10
	s_delay_alu instid0(VALU_DEP_2) | instskip(SKIP_2) | instid1(VALU_DEP_2)
	v_sub_nc_u32_e32 v12, 0, v8
	v_cvt_f32_i32_e32 v8, v8
	s_or_b32 vcc_lo, s6, vcc_lo
	v_ldexp_f32 v11, v11, v12
	v_ldexp_f32 v9, v9, v12
	s_delay_alu instid0(VALU_DEP_2) | instskip(NEXT) | instid1(VALU_DEP_1)
	v_add_f32_e32 v14, 1.0, v11
	v_dual_add_f32 v12, -1.0, v11 :: v_dual_add_f32 v13, -1.0, v14
	s_delay_alu instid0(VALU_DEP_1) | instskip(NEXT) | instid1(VALU_DEP_2)
	v_add_f32_e32 v15, 1.0, v12
	v_sub_f32_e32 v13, v11, v13
	s_delay_alu instid0(VALU_DEP_2) | instskip(NEXT) | instid1(VALU_DEP_2)
	v_sub_f32_e32 v11, v11, v15
	v_add_f32_e32 v13, v9, v13
	s_delay_alu instid0(VALU_DEP_2) | instskip(NEXT) | instid1(VALU_DEP_1)
	v_add_f32_e32 v9, v9, v11
	v_add_f32_e32 v16, v12, v9
	s_delay_alu instid0(VALU_DEP_1) | instskip(NEXT) | instid1(VALU_DEP_1)
	v_dual_add_f32 v15, v14, v13 :: v_dual_sub_f32 v12, v12, v16
	v_rcp_f32_e32 v11, v15
	v_sub_f32_e32 v14, v14, v15
	s_delay_alu instid0(VALU_DEP_1) | instskip(SKIP_2) | instid1(VALU_DEP_1)
	v_add_f32_e32 v13, v13, v14
	s_waitcnt_depctr 0xfff
	v_mul_f32_e32 v17, v16, v11
	v_mul_f32_e32 v18, v15, v17
	s_delay_alu instid0(VALU_DEP_1) | instskip(NEXT) | instid1(VALU_DEP_1)
	v_fma_f32 v14, v17, v15, -v18
	v_fmac_f32_e32 v14, v17, v13
	s_delay_alu instid0(VALU_DEP_1) | instskip(NEXT) | instid1(VALU_DEP_1)
	v_add_f32_e32 v19, v18, v14
	v_sub_f32_e32 v20, v16, v19
	s_delay_alu instid0(VALU_DEP_1) | instskip(SKIP_1) | instid1(VALU_DEP_2)
	v_sub_f32_e32 v16, v16, v20
	v_dual_add_f32 v9, v9, v12 :: v_dual_sub_f32 v12, v19, v18
	v_sub_f32_e32 v16, v16, v19
	s_delay_alu instid0(VALU_DEP_1) | instskip(NEXT) | instid1(VALU_DEP_1)
	v_dual_sub_f32 v12, v12, v14 :: v_dual_add_f32 v9, v9, v16
	v_add_f32_e32 v9, v12, v9
	s_delay_alu instid0(VALU_DEP_1) | instskip(NEXT) | instid1(VALU_DEP_1)
	v_add_f32_e32 v12, v20, v9
	v_mul_f32_e32 v14, v11, v12
	s_delay_alu instid0(VALU_DEP_1) | instskip(NEXT) | instid1(VALU_DEP_1)
	v_dual_sub_f32 v19, v20, v12 :: v_dual_mul_f32 v16, v15, v14
	v_add_f32_e32 v9, v9, v19
	s_delay_alu instid0(VALU_DEP_2) | instskip(NEXT) | instid1(VALU_DEP_1)
	v_fma_f32 v15, v14, v15, -v16
	v_fmac_f32_e32 v15, v14, v13
	s_delay_alu instid0(VALU_DEP_1) | instskip(NEXT) | instid1(VALU_DEP_1)
	v_add_f32_e32 v13, v16, v15
	v_sub_f32_e32 v18, v12, v13
	s_delay_alu instid0(VALU_DEP_1) | instskip(NEXT) | instid1(VALU_DEP_1)
	v_sub_f32_e32 v12, v12, v18
	v_sub_f32_e32 v12, v12, v13
	s_delay_alu instid0(VALU_DEP_1) | instskip(SKIP_2) | instid1(VALU_DEP_1)
	v_add_f32_e32 v9, v9, v12
	v_add_f32_e32 v12, v17, v14
	v_sub_f32_e32 v16, v13, v16
	v_sub_f32_e32 v13, v16, v15
	s_delay_alu instid0(VALU_DEP_1) | instskip(NEXT) | instid1(VALU_DEP_4)
	v_add_f32_e32 v9, v13, v9
	v_sub_f32_e32 v13, v12, v17
	s_delay_alu instid0(VALU_DEP_2) | instskip(NEXT) | instid1(VALU_DEP_2)
	v_add_f32_e32 v9, v18, v9
	v_sub_f32_e32 v13, v14, v13
	s_delay_alu instid0(VALU_DEP_2) | instskip(NEXT) | instid1(VALU_DEP_1)
	v_mul_f32_e32 v9, v11, v9
	v_add_f32_e32 v9, v13, v9
	s_delay_alu instid0(VALU_DEP_1) | instskip(NEXT) | instid1(VALU_DEP_1)
	v_add_f32_e32 v11, v12, v9
	v_mul_f32_e32 v13, v11, v11
	s_delay_alu instid0(VALU_DEP_1) | instskip(SKIP_1) | instid1(VALU_DEP_2)
	v_fmaak_f32 v14, s57, v13, 0x3ecc95a3
	v_mul_f32_e32 v15, v11, v13
	v_fmaak_f32 v13, v13, v14, 0x3f2aaada
	v_ldexp_f32 v14, v11, 1
	s_delay_alu instid0(VALU_DEP_2) | instskip(SKIP_1) | instid1(VALU_DEP_2)
	v_mul_f32_e32 v13, v15, v13
	v_sub_f32_e32 v11, v11, v12
	v_dual_mul_f32 v15, 0x3f317218, v8 :: v_dual_add_f32 v12, v14, v13
	s_delay_alu instid0(VALU_DEP_2) | instskip(NEXT) | instid1(VALU_DEP_2)
	v_sub_f32_e32 v9, v9, v11
	v_sub_f32_e32 v11, v12, v14
	s_delay_alu instid0(VALU_DEP_3) | instskip(NEXT) | instid1(VALU_DEP_3)
	v_fma_f32 v14, 0x3f317218, v8, -v15
	v_ldexp_f32 v9, v9, 1
	s_delay_alu instid0(VALU_DEP_2) | instskip(NEXT) | instid1(VALU_DEP_1)
	v_dual_sub_f32 v11, v13, v11 :: v_dual_fmac_f32 v14, 0xb102e308, v8
	v_dual_add_f32 v8, v9, v11 :: v_dual_add_f32 v9, v15, v14
	s_delay_alu instid0(VALU_DEP_1) | instskip(NEXT) | instid1(VALU_DEP_1)
	v_add_f32_e32 v11, v12, v8
	v_dual_add_f32 v13, v9, v11 :: v_dual_sub_f32 v12, v11, v12
	s_delay_alu instid0(VALU_DEP_1) | instskip(NEXT) | instid1(VALU_DEP_2)
	v_sub_f32_e32 v16, v13, v9
	v_dual_sub_f32 v15, v9, v15 :: v_dual_sub_f32 v8, v8, v12
	s_delay_alu instid0(VALU_DEP_1) | instskip(SKIP_1) | instid1(VALU_DEP_2)
	v_dual_sub_f32 v17, v13, v16 :: v_dual_sub_f32 v14, v14, v15
	v_sub_f32_e32 v11, v11, v16
	v_dual_sub_f32 v9, v9, v17 :: v_dual_add_f32 v12, v14, v8
	s_delay_alu instid0(VALU_DEP_1) | instskip(NEXT) | instid1(VALU_DEP_2)
	v_add_f32_e32 v9, v11, v9
	v_sub_f32_e32 v11, v12, v14
	s_delay_alu instid0(VALU_DEP_2) | instskip(NEXT) | instid1(VALU_DEP_2)
	v_add_f32_e32 v9, v12, v9
	v_sub_f32_e32 v12, v12, v11
	s_delay_alu instid0(VALU_DEP_2) | instskip(NEXT) | instid1(VALU_DEP_1)
	v_dual_sub_f32 v8, v8, v11 :: v_dual_add_f32 v15, v13, v9
	v_dual_sub_f32 v12, v14, v12 :: v_dual_sub_f32 v11, v15, v13
	s_delay_alu instid0(VALU_DEP_1) | instskip(NEXT) | instid1(VALU_DEP_1)
	v_dual_add_f32 v8, v8, v12 :: v_dual_sub_f32 v9, v9, v11
	v_add_f32_e32 v8, v8, v9
	s_delay_alu instid0(VALU_DEP_1) | instskip(NEXT) | instid1(VALU_DEP_1)
	v_add_f32_e32 v8, v15, v8
	v_cndmask_b32_e32 v34, v8, v10, vcc_lo
.LBB131_18:                             ;   in Loop: Header=BB131_12 Depth=1
	s_or_b32 exec_lo, exec_lo, s7
	v_add_f32_e32 v35, s48, v6
	s_delay_alu instid0(VALU_DEP_1) | instskip(SKIP_1) | instid1(SALU_CYCLE_1)
	v_cmp_ge_f32_e32 vcc_lo, 0x41a00000, v35
	s_and_b32 s6, s53, vcc_lo
	s_and_saveexec_b32 s7, s6
	s_cbranch_execz .LBB131_20
; %bb.19:                               ;   in Loop: Header=BB131_12 Depth=1
	v_mul_f32_e32 v8, 0x3fb8aa3b, v35
	v_cmp_ngt_f32_e32 vcc_lo, 0xc2ce8ed0, v35
	s_delay_alu instid0(VALU_DEP_2) | instskip(SKIP_1) | instid1(VALU_DEP_2)
	v_rndne_f32_e32 v9, v8
	v_fma_f32 v10, 0x3fb8aa3b, v35, -v8
	v_sub_f32_e32 v8, v8, v9
	s_delay_alu instid0(VALU_DEP_2) | instskip(SKIP_1) | instid1(VALU_DEP_2)
	v_fmac_f32_e32 v10, 0x32a5705f, v35
	v_cvt_i32_f32_e32 v9, v9
	v_add_f32_e32 v8, v8, v10
	s_delay_alu instid0(VALU_DEP_1) | instskip(SKIP_2) | instid1(VALU_DEP_1)
	v_exp_f32_e32 v8, v8
	s_waitcnt_depctr 0xfff
	v_ldexp_f32 v8, v8, v9
	v_cndmask_b32_e32 v8, 0, v8, vcc_lo
	v_cmp_nlt_f32_e32 vcc_lo, 0x42b17218, v35
	s_delay_alu instid0(VALU_DEP_2) | instskip(NEXT) | instid1(VALU_DEP_1)
	v_cndmask_b32_e32 v10, 0x7f800000, v8, vcc_lo
	v_add_f32_e32 v11, 1.0, v10
	s_delay_alu instid0(VALU_DEP_1) | instskip(NEXT) | instid1(VALU_DEP_1)
	v_cvt_f64_f32_e32 v[8:9], v11
	v_frexp_exp_i32_f64_e32 v8, v[8:9]
	v_frexp_mant_f32_e32 v9, v11
	s_delay_alu instid0(VALU_DEP_1) | instskip(SKIP_1) | instid1(VALU_DEP_1)
	v_cmp_gt_f32_e32 vcc_lo, 0x3f2aaaab, v9
	v_add_f32_e32 v9, -1.0, v11
	v_sub_f32_e32 v13, v9, v11
	v_sub_f32_e32 v9, v10, v9
	s_delay_alu instid0(VALU_DEP_2) | instskip(NEXT) | instid1(VALU_DEP_1)
	v_add_f32_e32 v13, 1.0, v13
	v_add_f32_e32 v9, v9, v13
	v_cmp_gt_f32_e64 s6, 0x33800000, v10
	v_subrev_co_ci_u32_e32 v8, vcc_lo, 0, v8, vcc_lo
	v_cmp_eq_f32_e32 vcc_lo, 0x7f800000, v10
	s_delay_alu instid0(VALU_DEP_2) | instskip(SKIP_2) | instid1(VALU_DEP_2)
	v_sub_nc_u32_e32 v12, 0, v8
	v_cvt_f32_i32_e32 v8, v8
	s_or_b32 vcc_lo, s6, vcc_lo
	v_ldexp_f32 v11, v11, v12
	v_ldexp_f32 v9, v9, v12
	s_delay_alu instid0(VALU_DEP_2) | instskip(NEXT) | instid1(VALU_DEP_1)
	v_add_f32_e32 v14, 1.0, v11
	v_dual_add_f32 v12, -1.0, v11 :: v_dual_add_f32 v13, -1.0, v14
	s_delay_alu instid0(VALU_DEP_1) | instskip(NEXT) | instid1(VALU_DEP_2)
	v_add_f32_e32 v15, 1.0, v12
	v_sub_f32_e32 v13, v11, v13
	s_delay_alu instid0(VALU_DEP_2) | instskip(NEXT) | instid1(VALU_DEP_2)
	v_sub_f32_e32 v11, v11, v15
	v_add_f32_e32 v13, v9, v13
	s_delay_alu instid0(VALU_DEP_2) | instskip(NEXT) | instid1(VALU_DEP_1)
	v_add_f32_e32 v9, v9, v11
	v_add_f32_e32 v16, v12, v9
	s_delay_alu instid0(VALU_DEP_1) | instskip(NEXT) | instid1(VALU_DEP_1)
	v_dual_add_f32 v15, v14, v13 :: v_dual_sub_f32 v12, v12, v16
	v_rcp_f32_e32 v11, v15
	v_sub_f32_e32 v14, v14, v15
	s_delay_alu instid0(VALU_DEP_1) | instskip(SKIP_2) | instid1(VALU_DEP_1)
	v_add_f32_e32 v13, v13, v14
	s_waitcnt_depctr 0xfff
	v_mul_f32_e32 v17, v16, v11
	v_mul_f32_e32 v18, v15, v17
	s_delay_alu instid0(VALU_DEP_1) | instskip(NEXT) | instid1(VALU_DEP_1)
	v_fma_f32 v14, v17, v15, -v18
	v_fmac_f32_e32 v14, v17, v13
	s_delay_alu instid0(VALU_DEP_1) | instskip(NEXT) | instid1(VALU_DEP_1)
	v_add_f32_e32 v19, v18, v14
	v_sub_f32_e32 v20, v16, v19
	s_delay_alu instid0(VALU_DEP_1) | instskip(SKIP_1) | instid1(VALU_DEP_2)
	v_sub_f32_e32 v16, v16, v20
	v_dual_add_f32 v9, v9, v12 :: v_dual_sub_f32 v12, v19, v18
	v_sub_f32_e32 v16, v16, v19
	s_delay_alu instid0(VALU_DEP_1) | instskip(NEXT) | instid1(VALU_DEP_1)
	v_dual_sub_f32 v12, v12, v14 :: v_dual_add_f32 v9, v9, v16
	v_add_f32_e32 v9, v12, v9
	s_delay_alu instid0(VALU_DEP_1) | instskip(NEXT) | instid1(VALU_DEP_1)
	v_add_f32_e32 v12, v20, v9
	v_mul_f32_e32 v14, v11, v12
	s_delay_alu instid0(VALU_DEP_1) | instskip(NEXT) | instid1(VALU_DEP_1)
	v_dual_sub_f32 v19, v20, v12 :: v_dual_mul_f32 v16, v15, v14
	v_add_f32_e32 v9, v9, v19
	s_delay_alu instid0(VALU_DEP_2) | instskip(NEXT) | instid1(VALU_DEP_1)
	v_fma_f32 v15, v14, v15, -v16
	v_fmac_f32_e32 v15, v14, v13
	s_delay_alu instid0(VALU_DEP_1) | instskip(NEXT) | instid1(VALU_DEP_1)
	v_add_f32_e32 v13, v16, v15
	v_sub_f32_e32 v18, v12, v13
	s_delay_alu instid0(VALU_DEP_1) | instskip(NEXT) | instid1(VALU_DEP_1)
	v_sub_f32_e32 v12, v12, v18
	v_sub_f32_e32 v12, v12, v13
	s_delay_alu instid0(VALU_DEP_1) | instskip(SKIP_2) | instid1(VALU_DEP_1)
	v_add_f32_e32 v9, v9, v12
	v_add_f32_e32 v12, v17, v14
	v_sub_f32_e32 v16, v13, v16
	v_sub_f32_e32 v13, v16, v15
	s_delay_alu instid0(VALU_DEP_1) | instskip(NEXT) | instid1(VALU_DEP_4)
	v_add_f32_e32 v9, v13, v9
	v_sub_f32_e32 v13, v12, v17
	s_delay_alu instid0(VALU_DEP_2) | instskip(NEXT) | instid1(VALU_DEP_2)
	v_add_f32_e32 v9, v18, v9
	v_sub_f32_e32 v13, v14, v13
	s_delay_alu instid0(VALU_DEP_2) | instskip(NEXT) | instid1(VALU_DEP_1)
	v_mul_f32_e32 v9, v11, v9
	v_add_f32_e32 v9, v13, v9
	s_delay_alu instid0(VALU_DEP_1) | instskip(NEXT) | instid1(VALU_DEP_1)
	v_add_f32_e32 v11, v12, v9
	v_mul_f32_e32 v13, v11, v11
	s_delay_alu instid0(VALU_DEP_1) | instskip(SKIP_1) | instid1(VALU_DEP_2)
	v_fmaak_f32 v14, s57, v13, 0x3ecc95a3
	v_mul_f32_e32 v15, v11, v13
	v_fmaak_f32 v13, v13, v14, 0x3f2aaada
	v_ldexp_f32 v14, v11, 1
	s_delay_alu instid0(VALU_DEP_2) | instskip(SKIP_1) | instid1(VALU_DEP_2)
	v_mul_f32_e32 v13, v15, v13
	v_sub_f32_e32 v11, v11, v12
	v_dual_mul_f32 v15, 0x3f317218, v8 :: v_dual_add_f32 v12, v14, v13
	s_delay_alu instid0(VALU_DEP_2) | instskip(NEXT) | instid1(VALU_DEP_2)
	v_sub_f32_e32 v9, v9, v11
	v_sub_f32_e32 v11, v12, v14
	s_delay_alu instid0(VALU_DEP_3) | instskip(NEXT) | instid1(VALU_DEP_3)
	v_fma_f32 v14, 0x3f317218, v8, -v15
	v_ldexp_f32 v9, v9, 1
	s_delay_alu instid0(VALU_DEP_2) | instskip(NEXT) | instid1(VALU_DEP_1)
	v_dual_sub_f32 v11, v13, v11 :: v_dual_fmac_f32 v14, 0xb102e308, v8
	v_dual_add_f32 v8, v9, v11 :: v_dual_add_f32 v9, v15, v14
	s_delay_alu instid0(VALU_DEP_1) | instskip(NEXT) | instid1(VALU_DEP_1)
	v_add_f32_e32 v11, v12, v8
	v_dual_add_f32 v13, v9, v11 :: v_dual_sub_f32 v12, v11, v12
	s_delay_alu instid0(VALU_DEP_1) | instskip(NEXT) | instid1(VALU_DEP_2)
	v_sub_f32_e32 v16, v13, v9
	v_dual_sub_f32 v15, v9, v15 :: v_dual_sub_f32 v8, v8, v12
	s_delay_alu instid0(VALU_DEP_1) | instskip(SKIP_1) | instid1(VALU_DEP_2)
	v_dual_sub_f32 v17, v13, v16 :: v_dual_sub_f32 v14, v14, v15
	v_sub_f32_e32 v11, v11, v16
	v_dual_sub_f32 v9, v9, v17 :: v_dual_add_f32 v12, v14, v8
	s_delay_alu instid0(VALU_DEP_1) | instskip(NEXT) | instid1(VALU_DEP_2)
	v_add_f32_e32 v9, v11, v9
	v_sub_f32_e32 v11, v12, v14
	s_delay_alu instid0(VALU_DEP_2) | instskip(NEXT) | instid1(VALU_DEP_2)
	v_add_f32_e32 v9, v12, v9
	v_sub_f32_e32 v12, v12, v11
	s_delay_alu instid0(VALU_DEP_2) | instskip(NEXT) | instid1(VALU_DEP_1)
	v_dual_sub_f32 v8, v8, v11 :: v_dual_add_f32 v15, v13, v9
	v_dual_sub_f32 v12, v14, v12 :: v_dual_sub_f32 v11, v15, v13
	s_delay_alu instid0(VALU_DEP_1) | instskip(NEXT) | instid1(VALU_DEP_1)
	v_dual_add_f32 v8, v8, v12 :: v_dual_sub_f32 v9, v9, v11
	v_add_f32_e32 v8, v8, v9
	s_delay_alu instid0(VALU_DEP_1) | instskip(NEXT) | instid1(VALU_DEP_1)
	v_add_f32_e32 v8, v15, v8
	v_cndmask_b32_e32 v35, v8, v10, vcc_lo
.LBB131_20:                             ;   in Loop: Header=BB131_12 Depth=1
	s_or_b32 exec_lo, exec_lo, s7
	v_add_f32_e32 v36, s48, v7
	s_delay_alu instid0(VALU_DEP_1) | instskip(SKIP_1) | instid1(SALU_CYCLE_1)
	v_cmp_ge_f32_e32 vcc_lo, 0x41a00000, v36
	s_and_b32 s6, s53, vcc_lo
	s_and_saveexec_b32 s7, s6
	s_cbranch_execz .LBB131_22
; %bb.21:                               ;   in Loop: Header=BB131_12 Depth=1
	v_mul_f32_e32 v8, 0x3fb8aa3b, v36
	v_cmp_ngt_f32_e32 vcc_lo, 0xc2ce8ed0, v36
	s_delay_alu instid0(VALU_DEP_2) | instskip(SKIP_1) | instid1(VALU_DEP_2)
	v_rndne_f32_e32 v9, v8
	v_fma_f32 v10, 0x3fb8aa3b, v36, -v8
	v_sub_f32_e32 v8, v8, v9
	s_delay_alu instid0(VALU_DEP_2) | instskip(SKIP_1) | instid1(VALU_DEP_2)
	v_fmac_f32_e32 v10, 0x32a5705f, v36
	v_cvt_i32_f32_e32 v9, v9
	v_add_f32_e32 v8, v8, v10
	s_delay_alu instid0(VALU_DEP_1) | instskip(SKIP_2) | instid1(VALU_DEP_1)
	v_exp_f32_e32 v8, v8
	s_waitcnt_depctr 0xfff
	v_ldexp_f32 v8, v8, v9
	v_cndmask_b32_e32 v8, 0, v8, vcc_lo
	v_cmp_nlt_f32_e32 vcc_lo, 0x42b17218, v36
	s_delay_alu instid0(VALU_DEP_2) | instskip(NEXT) | instid1(VALU_DEP_1)
	v_cndmask_b32_e32 v10, 0x7f800000, v8, vcc_lo
	v_add_f32_e32 v11, 1.0, v10
	s_delay_alu instid0(VALU_DEP_1) | instskip(NEXT) | instid1(VALU_DEP_1)
	v_cvt_f64_f32_e32 v[8:9], v11
	v_frexp_exp_i32_f64_e32 v8, v[8:9]
	v_frexp_mant_f32_e32 v9, v11
	s_delay_alu instid0(VALU_DEP_1) | instskip(SKIP_1) | instid1(VALU_DEP_1)
	v_cmp_gt_f32_e32 vcc_lo, 0x3f2aaaab, v9
	v_add_f32_e32 v9, -1.0, v11
	v_sub_f32_e32 v13, v9, v11
	v_sub_f32_e32 v9, v10, v9
	s_delay_alu instid0(VALU_DEP_2) | instskip(NEXT) | instid1(VALU_DEP_1)
	v_add_f32_e32 v13, 1.0, v13
	v_add_f32_e32 v9, v9, v13
	v_cmp_gt_f32_e64 s6, 0x33800000, v10
	v_subrev_co_ci_u32_e32 v8, vcc_lo, 0, v8, vcc_lo
	v_cmp_eq_f32_e32 vcc_lo, 0x7f800000, v10
	s_delay_alu instid0(VALU_DEP_2) | instskip(SKIP_2) | instid1(VALU_DEP_2)
	v_sub_nc_u32_e32 v12, 0, v8
	v_cvt_f32_i32_e32 v8, v8
	s_or_b32 vcc_lo, s6, vcc_lo
	v_ldexp_f32 v11, v11, v12
	v_ldexp_f32 v9, v9, v12
	s_delay_alu instid0(VALU_DEP_2) | instskip(NEXT) | instid1(VALU_DEP_1)
	v_add_f32_e32 v14, 1.0, v11
	v_dual_add_f32 v12, -1.0, v11 :: v_dual_add_f32 v13, -1.0, v14
	s_delay_alu instid0(VALU_DEP_1) | instskip(NEXT) | instid1(VALU_DEP_2)
	v_add_f32_e32 v15, 1.0, v12
	v_sub_f32_e32 v13, v11, v13
	s_delay_alu instid0(VALU_DEP_2) | instskip(NEXT) | instid1(VALU_DEP_2)
	v_sub_f32_e32 v11, v11, v15
	v_add_f32_e32 v13, v9, v13
	s_delay_alu instid0(VALU_DEP_2) | instskip(NEXT) | instid1(VALU_DEP_1)
	v_add_f32_e32 v9, v9, v11
	v_add_f32_e32 v16, v12, v9
	s_delay_alu instid0(VALU_DEP_1) | instskip(NEXT) | instid1(VALU_DEP_1)
	v_dual_add_f32 v15, v14, v13 :: v_dual_sub_f32 v12, v12, v16
	v_rcp_f32_e32 v11, v15
	v_sub_f32_e32 v14, v14, v15
	s_delay_alu instid0(VALU_DEP_1) | instskip(SKIP_2) | instid1(VALU_DEP_1)
	v_add_f32_e32 v13, v13, v14
	s_waitcnt_depctr 0xfff
	v_mul_f32_e32 v17, v16, v11
	v_mul_f32_e32 v18, v15, v17
	s_delay_alu instid0(VALU_DEP_1) | instskip(NEXT) | instid1(VALU_DEP_1)
	v_fma_f32 v14, v17, v15, -v18
	v_fmac_f32_e32 v14, v17, v13
	s_delay_alu instid0(VALU_DEP_1) | instskip(NEXT) | instid1(VALU_DEP_1)
	v_add_f32_e32 v19, v18, v14
	v_sub_f32_e32 v20, v16, v19
	s_delay_alu instid0(VALU_DEP_1) | instskip(SKIP_1) | instid1(VALU_DEP_2)
	v_sub_f32_e32 v16, v16, v20
	v_dual_add_f32 v9, v9, v12 :: v_dual_sub_f32 v12, v19, v18
	v_sub_f32_e32 v16, v16, v19
	s_delay_alu instid0(VALU_DEP_1) | instskip(NEXT) | instid1(VALU_DEP_1)
	v_dual_sub_f32 v12, v12, v14 :: v_dual_add_f32 v9, v9, v16
	v_add_f32_e32 v9, v12, v9
	s_delay_alu instid0(VALU_DEP_1) | instskip(NEXT) | instid1(VALU_DEP_1)
	v_add_f32_e32 v12, v20, v9
	v_mul_f32_e32 v14, v11, v12
	s_delay_alu instid0(VALU_DEP_1) | instskip(NEXT) | instid1(VALU_DEP_1)
	v_dual_sub_f32 v19, v20, v12 :: v_dual_mul_f32 v16, v15, v14
	v_add_f32_e32 v9, v9, v19
	s_delay_alu instid0(VALU_DEP_2) | instskip(NEXT) | instid1(VALU_DEP_1)
	v_fma_f32 v15, v14, v15, -v16
	v_fmac_f32_e32 v15, v14, v13
	s_delay_alu instid0(VALU_DEP_1) | instskip(NEXT) | instid1(VALU_DEP_1)
	v_add_f32_e32 v13, v16, v15
	v_sub_f32_e32 v18, v12, v13
	s_delay_alu instid0(VALU_DEP_1) | instskip(NEXT) | instid1(VALU_DEP_1)
	v_sub_f32_e32 v12, v12, v18
	v_sub_f32_e32 v12, v12, v13
	s_delay_alu instid0(VALU_DEP_1) | instskip(SKIP_2) | instid1(VALU_DEP_1)
	v_add_f32_e32 v9, v9, v12
	v_add_f32_e32 v12, v17, v14
	v_sub_f32_e32 v16, v13, v16
	v_sub_f32_e32 v13, v16, v15
	s_delay_alu instid0(VALU_DEP_1) | instskip(NEXT) | instid1(VALU_DEP_4)
	v_add_f32_e32 v9, v13, v9
	v_sub_f32_e32 v13, v12, v17
	s_delay_alu instid0(VALU_DEP_2) | instskip(NEXT) | instid1(VALU_DEP_2)
	v_add_f32_e32 v9, v18, v9
	v_sub_f32_e32 v13, v14, v13
	s_delay_alu instid0(VALU_DEP_2) | instskip(NEXT) | instid1(VALU_DEP_1)
	v_mul_f32_e32 v9, v11, v9
	v_add_f32_e32 v9, v13, v9
	s_delay_alu instid0(VALU_DEP_1) | instskip(NEXT) | instid1(VALU_DEP_1)
	v_add_f32_e32 v11, v12, v9
	v_mul_f32_e32 v13, v11, v11
	s_delay_alu instid0(VALU_DEP_1) | instskip(SKIP_1) | instid1(VALU_DEP_2)
	v_fmaak_f32 v14, s57, v13, 0x3ecc95a3
	v_mul_f32_e32 v15, v11, v13
	v_fmaak_f32 v13, v13, v14, 0x3f2aaada
	v_ldexp_f32 v14, v11, 1
	s_delay_alu instid0(VALU_DEP_2) | instskip(SKIP_1) | instid1(VALU_DEP_2)
	v_mul_f32_e32 v13, v15, v13
	v_sub_f32_e32 v11, v11, v12
	v_dual_mul_f32 v15, 0x3f317218, v8 :: v_dual_add_f32 v12, v14, v13
	s_delay_alu instid0(VALU_DEP_2) | instskip(NEXT) | instid1(VALU_DEP_2)
	v_sub_f32_e32 v9, v9, v11
	v_sub_f32_e32 v11, v12, v14
	s_delay_alu instid0(VALU_DEP_3) | instskip(NEXT) | instid1(VALU_DEP_3)
	v_fma_f32 v14, 0x3f317218, v8, -v15
	v_ldexp_f32 v9, v9, 1
	s_delay_alu instid0(VALU_DEP_2) | instskip(NEXT) | instid1(VALU_DEP_1)
	v_dual_sub_f32 v11, v13, v11 :: v_dual_fmac_f32 v14, 0xb102e308, v8
	v_dual_add_f32 v8, v9, v11 :: v_dual_add_f32 v9, v15, v14
	s_delay_alu instid0(VALU_DEP_1) | instskip(NEXT) | instid1(VALU_DEP_1)
	v_add_f32_e32 v11, v12, v8
	v_dual_add_f32 v13, v9, v11 :: v_dual_sub_f32 v12, v11, v12
	s_delay_alu instid0(VALU_DEP_1) | instskip(NEXT) | instid1(VALU_DEP_2)
	v_sub_f32_e32 v16, v13, v9
	v_dual_sub_f32 v15, v9, v15 :: v_dual_sub_f32 v8, v8, v12
	s_delay_alu instid0(VALU_DEP_1) | instskip(SKIP_1) | instid1(VALU_DEP_2)
	v_dual_sub_f32 v17, v13, v16 :: v_dual_sub_f32 v14, v14, v15
	v_sub_f32_e32 v11, v11, v16
	v_dual_sub_f32 v9, v9, v17 :: v_dual_add_f32 v12, v14, v8
	s_delay_alu instid0(VALU_DEP_1) | instskip(NEXT) | instid1(VALU_DEP_2)
	v_add_f32_e32 v9, v11, v9
	v_sub_f32_e32 v11, v12, v14
	s_delay_alu instid0(VALU_DEP_2) | instskip(NEXT) | instid1(VALU_DEP_2)
	v_add_f32_e32 v9, v12, v9
	v_sub_f32_e32 v12, v12, v11
	s_delay_alu instid0(VALU_DEP_2) | instskip(NEXT) | instid1(VALU_DEP_1)
	v_dual_sub_f32 v8, v8, v11 :: v_dual_add_f32 v15, v13, v9
	v_dual_sub_f32 v12, v14, v12 :: v_dual_sub_f32 v11, v15, v13
	s_delay_alu instid0(VALU_DEP_1) | instskip(NEXT) | instid1(VALU_DEP_1)
	v_dual_add_f32 v8, v8, v12 :: v_dual_sub_f32 v9, v9, v11
	v_add_f32_e32 v8, v8, v9
	s_delay_alu instid0(VALU_DEP_1) | instskip(NEXT) | instid1(VALU_DEP_1)
	v_add_f32_e32 v8, v15, v8
	v_cndmask_b32_e32 v36, v8, v10, vcc_lo
.LBB131_22:                             ;   in Loop: Header=BB131_12 Depth=1
	s_or_b32 exec_lo, exec_lo, s7
	v_dual_mul_f32 v10, s49, v2 :: v_dual_mul_f32 v9, s49, v1
	v_dual_mul_f32 v8, s49, v0 :: v_dual_mul_f32 v11, s49, v3
	s_lshl_b32 s20, s59, 8
	s_and_b32 vcc_lo, exec_lo, s54
	s_barrier
	buffer_gl0_inv
	s_cbranch_vccz .LBB131_11
; %bb.23:                               ;   in Loop: Header=BB131_12 Depth=1
	v_add_nc_u32_e32 v13, -1, v32
	v_and_b32_e32 v12, 15, v32
	v_and_b32_e32 v14, 16, v32
	v_and_b32_e32 v15, 1, v32
	s_sub_i32 s13, s34, s20
	v_cmp_gt_i32_e32 vcc_lo, 0, v13
	v_add_co_u32 v41, s6, s41, v31
	s_delay_alu instid0(VALU_DEP_1)
	v_add_co_ci_u32_e64 v42, null, s42, 0, s6
	v_cndmask_b32_e32 v13, v13, v32, vcc_lo
	v_add_co_u32 v43, s6, s43, v31
	v_cmp_gt_u32_e32 vcc_lo, s13, v23
	v_cmp_gt_u32_e64 s14, s13, v28
	v_cmp_gt_u32_e64 s15, s13, v29
	;; [unrolled: 1-line block ×3, first 2 shown]
	s_cmp_lg_u32 s59, 0
	v_dual_mul_f32 v37, v3, v36 :: v_dual_mul_f32 v38, v2, v35
	v_dual_mul_f32 v39, v1, v34 :: v_dual_mul_f32 v40, v0, v33
	v_add_co_ci_u32_e64 v44, null, s45, 0, s6
	v_cmp_ne_u32_e64 s6, 0, v12
	v_cmp_lt_u32_e64 s7, 1, v12
	v_cmp_lt_u32_e64 s8, 3, v12
	v_cmp_lt_u32_e64 s9, 7, v12
	v_cmp_ne_u32_e64 s10, 0, v14
	v_cmp_eq_u32_e64 s11, 0, v15
	v_lshlrev_b32_e32 v45, 2, v13
	v_cmp_eq_u32_e64 s12, 0, v32
	s_mov_b32 s22, 0
	s_cselect_b32 s21, -1, 0
	s_cmp_eq_u32 s59, s56
	s_mov_b32 s24, s22
	s_cselect_b32 s60, -1, 0
	s_or_b32 s13, s55, vcc_lo
	s_or_b32 s14, s55, s14
	s_or_b32 s15, s55, s15
	;; [unrolled: 1-line block ×3, first 2 shown]
	s_mov_b32 s30, s22
	s_mov_b32 s38, s22
	;; [unrolled: 1-line block ×4, first 2 shown]
	s_branch .LBB131_25
.LBB131_24:                             ;   in Loop: Header=BB131_25 Depth=2
	s_or_b32 exec_lo, exec_lo, s17
	v_cndmask_b32_e64 v17, v55, v19, s12
	v_cndmask_b32_e64 v18, v54, v18, s12
	s_add_i32 s61, s61, -1
	s_add_i32 s62, s62, 8
	s_add_i32 s38, s38, s26
	v_fma_f32 v17, v17, v53, v51
	v_mul_f32_e32 v18, v18, v53
	s_add_i32 s30, s30, s44
	s_add_i32 s24, s24, s40
	;; [unrolled: 1-line block ×3, first 2 shown]
	v_cndmask_b32_e64 v17, v17, v51, s5
	v_cndmask_b32_e64 v18, v18, v53, s5
	s_cmp_eq_u32 s61, 0
	s_waitcnt lgkmcnt(0)
	s_delay_alu instid0(VALU_DEP_1) | instskip(NEXT) | instid1(VALU_DEP_1)
	v_fmac_f32_e32 v17, v16, v18
	v_fmac_f32_e32 v46, v17, v50
	s_delay_alu instid0(VALU_DEP_1) | instskip(NEXT) | instid1(VALU_DEP_1)
	v_fmac_f32_e32 v47, v46, v52
	v_fmac_f32_e32 v48, v47, v49
	;; [unrolled: 1-line block ×3, first 2 shown]
	s_delay_alu instid0(VALU_DEP_2)
	v_dual_fmac_f32 v10, v14, v47 :: v_dual_fmac_f32 v11, v15, v48
	v_fmac_f32_e32 v9, v13, v46
	s_cbranch_scc1 .LBB131_11
.LBB131_25:                             ;   Parent Loop BB131_12 Depth=1
                                        ; =>  This Inner Loop Header: Depth=2
	s_lshl_b64 s[18:19], s[22:23], 2
	s_mov_b32 s25, s23
	s_add_u32 s18, s36, s18
	s_addc_u32 s19, s27, s19
	s_lshl_b64 s[64:65], s[24:25], 2
	s_mov_b32 s31, s23
	v_add_co_u32 v12, vcc_lo, v41, s64
	v_add_co_ci_u32_e32 v13, vcc_lo, s65, v42, vcc_lo
	s_lshl_b64 s[64:65], s[30:31], 2
	s_delay_alu instid0(SALU_CYCLE_1)
	v_add_co_u32 v14, vcc_lo, v43, s64
	v_add_co_ci_u32_e32 v15, vcc_lo, s65, v44, vcc_lo
	global_load_b32 v46, v22, s[18:19]
	global_load_b128 v[16:19], v[12:13], off
	global_load_b128 v[12:15], v[14:15], off
	s_and_not1_b32 vcc_lo, exec_lo, s21
	s_cbranch_vccnz .LBB131_27
; %bb.26:                               ;   in Loop: Header=BB131_25 Depth=2
	v_mov_b32_e32 v20, s62
	ds_load_b64 v[20:21], v20
	s_cbranch_execz .LBB131_28
	s_branch .LBB131_31
.LBB131_27:                             ;   in Loop: Header=BB131_25 Depth=2
                                        ; implicit-def: $vgpr20
.LBB131_28:                             ;   in Loop: Header=BB131_25 Depth=2
	s_waitcnt lgkmcnt(0)
	v_mov_b32_e32 v21, 0
	s_and_not1_b32 vcc_lo, exec_lo, s33
	s_cbranch_vccnz .LBB131_30
; %bb.29:                               ;   in Loop: Header=BB131_25 Depth=2
	s_mov_b32 s39, s23
	s_delay_alu instid0(SALU_CYCLE_1) | instskip(NEXT) | instid1(SALU_CYCLE_1)
	s_lshl_b64 s[18:19], s[38:39], 2
	s_add_u32 s18, s50, s18
	s_addc_u32 s19, s51, s19
	global_load_b32 v21, v22, s[18:19]
.LBB131_30:                             ;   in Loop: Header=BB131_25 Depth=2
	v_mov_b32_e32 v20, 1.0
.LBB131_31:                             ;   in Loop: Header=BB131_25 Depth=2
	s_waitcnt vmcnt(1)
	v_dual_mul_f32 v46, 0x3fb8aa3b, v46 :: v_dual_mul_f32 v17, v17, v39
	v_dual_mul_f32 v18, v18, v38 :: v_dual_mul_f32 v19, v19, v37
	v_mul_f32_e32 v16, v16, v40
	s_delay_alu instid0(VALU_DEP_3) | instskip(SKIP_2) | instid1(VALU_DEP_3)
	v_mul_f32_e32 v48, v46, v34
	v_mul_f32_e32 v47, v46, v33
	;; [unrolled: 1-line block ×3, first 2 shown]
	v_cmp_gt_f32_e64 s17, 0xc2fc0000, v48
	s_delay_alu instid0(VALU_DEP_3) | instskip(NEXT) | instid1(VALU_DEP_3)
	v_cmp_gt_f32_e32 vcc_lo, 0xc2fc0000, v47
	v_cmp_gt_f32_e64 s18, 0xc2fc0000, v49
	s_delay_alu instid0(VALU_DEP_3) | instskip(SKIP_2) | instid1(VALU_DEP_4)
	v_cndmask_b32_e64 v48, 0, 0x42800000, s17
	v_cndmask_b32_e64 v47, 0, 0x42800000, vcc_lo
	v_cndmask_b32_e64 v51, 1.0, 0x1f800000, s17
	v_cndmask_b32_e64 v49, 0, 0x42800000, s18
	v_cndmask_b32_e64 v52, 1.0, 0x1f800000, s18
	v_fmac_f32_e32 v48, v46, v34
	s_delay_alu instid0(VALU_DEP_3) | instskip(NEXT) | instid1(VALU_DEP_2)
	v_fmac_f32_e32 v49, v46, v35
	v_exp_f32_e32 v48, v48
	s_waitcnt_depctr 0xfff
	v_dual_fmac_f32 v47, v46, v33 :: v_dual_mul_f32 v48, v48, v51
	s_delay_alu instid0(VALU_DEP_1) | instskip(SKIP_2) | instid1(VALU_DEP_2)
	v_exp_f32_e32 v47, v47
	v_mul_f32_e32 v50, v46, v36
	v_cndmask_b32_e64 v51, 0, v16, s13
	v_cmp_gt_f32_e64 s19, 0xc2fc0000, v50
	s_delay_alu instid0(VALU_DEP_1) | instskip(SKIP_1) | instid1(VALU_DEP_2)
	v_cndmask_b32_e64 v50, 0, 0x42800000, s19
	v_cndmask_b32_e64 v16, 1.0, 0x1f800000, s19
	v_fmac_f32_e32 v50, v46, v36
	v_exp_f32_e32 v46, v49
	v_cndmask_b32_e64 v49, 1.0, 0x1f800000, vcc_lo
	s_delay_alu instid0(VALU_DEP_2) | instskip(SKIP_1) | instid1(VALU_DEP_2)
	v_exp_f32_e32 v54, v50
	v_cndmask_b32_e64 v50, 1.0, v48, s14
	v_mul_f32_e32 v47, v47, v49
	v_cndmask_b32_e64 v48, 0, v19, s16
	s_waitcnt_depctr 0xfff
	v_mul_f32_e32 v49, v46, v52
	v_cndmask_b32_e64 v53, 1.0, v47, s13
	v_cndmask_b32_e64 v46, 0, v17, s14
	v_cndmask_b32_e64 v47, 0, v18, s15
	v_mul_f32_e32 v16, v54, v16
	v_cndmask_b32_e64 v52, 1.0, v49, s15
	v_mul_f32_e32 v17, v50, v53
	v_fma_f32 v18, v50, v51, v46
	s_delay_alu instid0(VALU_DEP_4) | instskip(NEXT) | instid1(VALU_DEP_3)
	v_cndmask_b32_e64 v49, 1.0, v16, s16
	v_mul_f32_e32 v16, v17, v52
	s_delay_alu instid0(VALU_DEP_3) | instskip(NEXT) | instid1(VALU_DEP_2)
	v_fma_f32 v17, v18, v52, v47
	v_mul_f32_e32 v16, v16, v49
	s_delay_alu instid0(VALU_DEP_2) | instskip(NEXT) | instid1(VALU_DEP_2)
	v_fma_f32 v17, v17, v49, v48
	v_mov_b32_dpp v19, v16 row_shr:1 row_mask:0xf bank_mask:0xf
	s_delay_alu instid0(VALU_DEP_2)
	v_mov_b32_dpp v18, v17 row_shr:1 row_mask:0xf bank_mask:0xf
	s_and_saveexec_b32 s17, s6
; %bb.32:                               ;   in Loop: Header=BB131_25 Depth=2
	s_delay_alu instid0(VALU_DEP_2) | instskip(NEXT) | instid1(VALU_DEP_1)
	v_mul_f32_e32 v19, v16, v19
	v_dual_fmac_f32 v17, v16, v18 :: v_dual_mov_b32 v16, v19
; %bb.33:                               ;   in Loop: Header=BB131_25 Depth=2
	s_or_b32 exec_lo, exec_lo, s17
	s_delay_alu instid0(VALU_DEP_1) | instskip(NEXT) | instid1(VALU_DEP_2)
	v_mov_b32_dpp v18, v16 row_shr:2 row_mask:0xf bank_mask:0xf
	v_mov_b32_dpp v19, v17 row_shr:2 row_mask:0xf bank_mask:0xf
	s_and_saveexec_b32 s17, s7
; %bb.34:                               ;   in Loop: Header=BB131_25 Depth=2
	s_delay_alu instid0(VALU_DEP_1) | instskip(NEXT) | instid1(VALU_DEP_3)
	v_fmac_f32_e32 v17, v16, v19
	v_mul_f32_e32 v16, v16, v18
; %bb.35:                               ;   in Loop: Header=BB131_25 Depth=2
	s_or_b32 exec_lo, exec_lo, s17
	s_delay_alu instid0(VALU_DEP_1) | instskip(NEXT) | instid1(VALU_DEP_3)
	v_mov_b32_dpp v18, v16 row_shr:4 row_mask:0xf bank_mask:0xf
	v_mov_b32_dpp v19, v17 row_shr:4 row_mask:0xf bank_mask:0xf
	s_and_saveexec_b32 s17, s8
; %bb.36:                               ;   in Loop: Header=BB131_25 Depth=2
	s_delay_alu instid0(VALU_DEP_1) | instskip(NEXT) | instid1(VALU_DEP_3)
	v_fmac_f32_e32 v17, v16, v19
	v_mul_f32_e32 v16, v16, v18
; %bb.37:                               ;   in Loop: Header=BB131_25 Depth=2
	s_or_b32 exec_lo, exec_lo, s17
	s_delay_alu instid0(VALU_DEP_1) | instskip(NEXT) | instid1(VALU_DEP_3)
	v_mov_b32_dpp v18, v16 row_shr:8 row_mask:0xf bank_mask:0xf
	v_mov_b32_dpp v19, v17 row_shr:8 row_mask:0xf bank_mask:0xf
	s_and_saveexec_b32 s17, s9
; %bb.38:                               ;   in Loop: Header=BB131_25 Depth=2
	s_delay_alu instid0(VALU_DEP_1) | instskip(NEXT) | instid1(VALU_DEP_3)
	v_fmac_f32_e32 v17, v16, v19
	v_mul_f32_e32 v16, v16, v18
; %bb.39:                               ;   in Loop: Header=BB131_25 Depth=2
	s_or_b32 exec_lo, exec_lo, s17
	ds_swizzle_b32 v19, v16 offset:swizzle(BROADCAST,32,15)
	ds_swizzle_b32 v18, v17 offset:swizzle(BROADCAST,32,15)
	s_and_saveexec_b32 s17, s10
	s_cbranch_execz .LBB131_41
; %bb.40:                               ;   in Loop: Header=BB131_25 Depth=2
	s_waitcnt lgkmcnt(1)
	v_mul_f32_e32 v19, v16, v19
	s_waitcnt lgkmcnt(0)
	s_delay_alu instid0(VALU_DEP_1)
	v_dual_fmac_f32 v17, v16, v18 :: v_dual_mov_b32 v16, v19
.LBB131_41:                             ;   in Loop: Header=BB131_25 Depth=2
	s_or_b32 exec_lo, exec_lo, s17
	s_and_saveexec_b32 s17, s1
	s_cbranch_execz .LBB131_43
; %bb.42:                               ;   in Loop: Header=BB131_25 Depth=2
	ds_store_b64 v24, v[16:17] offset:2112
.LBB131_43:                             ;   in Loop: Header=BB131_25 Depth=2
	s_or_b32 exec_lo, exec_lo, s17
	s_waitcnt vmcnt(0) lgkmcnt(0)
	s_waitcnt_vscnt null, 0x0
	s_barrier
	buffer_gl0_inv
	s_and_saveexec_b32 s17, s2
	s_cbranch_execz .LBB131_45
; %bb.44:                               ;   in Loop: Header=BB131_25 Depth=2
	ds_load_b64 v[18:19], v25 offset:2112
	s_waitcnt lgkmcnt(0)
	v_mov_b32_dpp v54, v18 row_shr:1 row_mask:0xf bank_mask:0xf
	v_mov_b32_dpp v55, v19 row_shr:1 row_mask:0xf bank_mask:0xf
	s_delay_alu instid0(VALU_DEP_2) | instskip(NEXT) | instid1(VALU_DEP_2)
	v_mul_f32_e32 v54, v18, v54
	v_fma_f32 v55, v18, v55, v19
	s_delay_alu instid0(VALU_DEP_2) | instskip(NEXT) | instid1(VALU_DEP_2)
	v_cndmask_b32_e64 v18, v54, v18, s11
	v_cndmask_b32_e64 v19, v55, v19, s11
	ds_store_b64 v25, v[18:19] offset:2112
.LBB131_45:                             ;   in Loop: Header=BB131_25 Depth=2
	s_or_b32 exec_lo, exec_lo, s17
	s_waitcnt lgkmcnt(0)
	s_barrier
	buffer_gl0_inv
                                        ; implicit-def: $vgpr19
	s_and_saveexec_b32 s17, s4
	s_cbranch_execz .LBB131_47
; %bb.46:                               ;   in Loop: Header=BB131_25 Depth=2
	ds_load_b64 v[18:19], v24 offset:2104
	s_waitcnt lgkmcnt(0)
	v_mul_f32_e32 v54, v16, v18
	s_delay_alu instid0(VALU_DEP_1)
	v_dual_fmac_f32 v17, v16, v19 :: v_dual_mov_b32 v16, v54
.LBB131_47:                             ;   in Loop: Header=BB131_25 Depth=2
	s_or_b32 exec_lo, exec_lo, s17
	ds_bpermute_b32 v54, v45, v16
	ds_bpermute_b32 v55, v45, v17
	s_and_saveexec_b32 s17, s3
	s_cbranch_execz .LBB131_51
; %bb.48:                               ;   in Loop: Header=BB131_25 Depth=2
	ds_load_b64 v[16:17], v22 offset:2120
	s_and_saveexec_b32 s18, s5
	s_cbranch_execz .LBB131_50
; %bb.49:                               ;   in Loop: Header=BB131_25 Depth=2
	ds_store_b64 v22, v[20:21] offset:2120
.LBB131_50:                             ;   in Loop: Header=BB131_25 Depth=2
	s_or_b32 exec_lo, exec_lo, s18
	s_waitcnt lgkmcnt(0)
	v_fmac_f32_e32 v17, v21, v16
	s_delay_alu instid0(VALU_DEP_1)
	v_dual_mul_f32 v20, v20, v16 :: v_dual_mov_b32 v21, v17
.LBB131_51:                             ;   in Loop: Header=BB131_25 Depth=2
	s_or_b32 exec_lo, exec_lo, s17
	s_waitcnt lgkmcnt(0)
	s_barrier
	buffer_gl0_inv
	ds_load_b32 v16, v22 offset:2124
	s_and_saveexec_b32 s17, s5
	s_cbranch_execz .LBB131_24
; %bb.52:                               ;   in Loop: Header=BB131_25 Depth=2
	v_mov_b32_e32 v17, s62
	s_and_not1_b32 vcc_lo, exec_lo, s60
	ds_store_b64 v17, v[20:21]
	s_cbranch_vccnz .LBB131_24
; %bb.53:                               ;   in Loop: Header=BB131_25 Depth=2
	s_mov_b32 s39, s23
	s_delay_alu instid0(SALU_CYCLE_1) | instskip(NEXT) | instid1(SALU_CYCLE_1)
	s_lshl_b64 s[18:19], s[38:39], 2
	s_add_u32 s18, s50, s18
	s_addc_u32 s19, s51, s19
	global_store_b32 v22, v21, s[18:19]
	s_branch .LBB131_24
.LBB131_54:
	s_nop 0
	s_sendmsg sendmsg(MSG_DEALLOC_VGPRS)
	s_endpgm
	.section	.rodata,"a",@progbits
	.p2align	6, 0x0
	.amdhsa_kernel _Z25selective_scan_fwd_kernelI32Selective_Scan_fwd_kernel_traitsILi64ELi4ELi1ELb1ELb1ELb1ELb0ELb0EfffEEv13SSMParamsBase
		.amdhsa_group_segment_fixed_size 0
		.amdhsa_private_segment_fixed_size 0
		.amdhsa_kernarg_size 248
		.amdhsa_user_sgpr_count 14
		.amdhsa_user_sgpr_dispatch_ptr 0
		.amdhsa_user_sgpr_queue_ptr 0
		.amdhsa_user_sgpr_kernarg_segment_ptr 1
		.amdhsa_user_sgpr_dispatch_id 0
		.amdhsa_user_sgpr_private_segment_size 0
		.amdhsa_wavefront_size32 1
		.amdhsa_uses_dynamic_stack 0
		.amdhsa_enable_private_segment 0
		.amdhsa_system_sgpr_workgroup_id_x 1
		.amdhsa_system_sgpr_workgroup_id_y 1
		.amdhsa_system_sgpr_workgroup_id_z 0
		.amdhsa_system_sgpr_workgroup_info 0
		.amdhsa_system_vgpr_workitem_id 0
		.amdhsa_next_free_vgpr 56
		.amdhsa_next_free_sgpr 66
		.amdhsa_reserve_vcc 1
		.amdhsa_float_round_mode_32 0
		.amdhsa_float_round_mode_16_64 0
		.amdhsa_float_denorm_mode_32 3
		.amdhsa_float_denorm_mode_16_64 3
		.amdhsa_dx10_clamp 1
		.amdhsa_ieee_mode 1
		.amdhsa_fp16_overflow 0
		.amdhsa_workgroup_processor_mode 1
		.amdhsa_memory_ordered 1
		.amdhsa_forward_progress 0
		.amdhsa_shared_vgpr_count 0
		.amdhsa_exception_fp_ieee_invalid_op 0
		.amdhsa_exception_fp_denorm_src 0
		.amdhsa_exception_fp_ieee_div_zero 0
		.amdhsa_exception_fp_ieee_overflow 0
		.amdhsa_exception_fp_ieee_underflow 0
		.amdhsa_exception_fp_ieee_inexact 0
		.amdhsa_exception_int_div_zero 0
	.end_amdhsa_kernel
	.section	.text._Z25selective_scan_fwd_kernelI32Selective_Scan_fwd_kernel_traitsILi64ELi4ELi1ELb1ELb1ELb1ELb0ELb0EfffEEv13SSMParamsBase,"axG",@progbits,_Z25selective_scan_fwd_kernelI32Selective_Scan_fwd_kernel_traitsILi64ELi4ELi1ELb1ELb1ELb1ELb0ELb0EfffEEv13SSMParamsBase,comdat
.Lfunc_end131:
	.size	_Z25selective_scan_fwd_kernelI32Selective_Scan_fwd_kernel_traitsILi64ELi4ELi1ELb1ELb1ELb1ELb0ELb0EfffEEv13SSMParamsBase, .Lfunc_end131-_Z25selective_scan_fwd_kernelI32Selective_Scan_fwd_kernel_traitsILi64ELi4ELi1ELb1ELb1ELb1ELb0ELb0EfffEEv13SSMParamsBase
                                        ; -- End function
	.section	.AMDGPU.csdata,"",@progbits
; Kernel info:
; codeLenInByte = 5684
; NumSgprs: 68
; NumVgprs: 56
; ScratchSize: 0
; MemoryBound: 1
; FloatMode: 240
; IeeeMode: 1
; LDSByteSize: 0 bytes/workgroup (compile time only)
; SGPRBlocks: 8
; VGPRBlocks: 6
; NumSGPRsForWavesPerEU: 68
; NumVGPRsForWavesPerEU: 56
; Occupancy: 16
; WaveLimiterHint : 0
; COMPUTE_PGM_RSRC2:SCRATCH_EN: 0
; COMPUTE_PGM_RSRC2:USER_SGPR: 14
; COMPUTE_PGM_RSRC2:TRAP_HANDLER: 0
; COMPUTE_PGM_RSRC2:TGID_X_EN: 1
; COMPUTE_PGM_RSRC2:TGID_Y_EN: 1
; COMPUTE_PGM_RSRC2:TGID_Z_EN: 0
; COMPUTE_PGM_RSRC2:TIDIG_COMP_CNT: 0
	.section	.text._Z25selective_scan_fwd_kernelI32Selective_Scan_fwd_kernel_traitsILi64ELi4ELi1ELb0ELb1ELb1ELb1ELb1EfffEEv13SSMParamsBase,"axG",@progbits,_Z25selective_scan_fwd_kernelI32Selective_Scan_fwd_kernel_traitsILi64ELi4ELi1ELb0ELb1ELb1ELb1ELb1EfffEEv13SSMParamsBase,comdat
	.protected	_Z25selective_scan_fwd_kernelI32Selective_Scan_fwd_kernel_traitsILi64ELi4ELi1ELb0ELb1ELb1ELb1ELb1EfffEEv13SSMParamsBase ; -- Begin function _Z25selective_scan_fwd_kernelI32Selective_Scan_fwd_kernel_traitsILi64ELi4ELi1ELb0ELb1ELb1ELb1ELb1EfffEEv13SSMParamsBase
	.globl	_Z25selective_scan_fwd_kernelI32Selective_Scan_fwd_kernel_traitsILi64ELi4ELi1ELb0ELb1ELb1ELb1ELb1EfffEEv13SSMParamsBase
	.p2align	8
	.type	_Z25selective_scan_fwd_kernelI32Selective_Scan_fwd_kernel_traitsILi64ELi4ELi1ELb0ELb1ELb1ELb1ELb1EfffEEv13SSMParamsBase,@function
_Z25selective_scan_fwd_kernelI32Selective_Scan_fwd_kernel_traitsILi64ELi4ELi1ELb0ELb1ELb1ELb1ELb1EfffEEv13SSMParamsBase: ; @_Z25selective_scan_fwd_kernelI32Selective_Scan_fwd_kernel_traitsILi64ELi4ELi1ELb0ELb1ELb1ELb1ELb1EfffEEv13SSMParamsBase
; %bb.0:
	s_clause 0x2
	s_load_b32 s11, s[0:1], 0x18
	s_load_b256 s[52:59], s[0:1], 0xc8
	s_load_b128 s[4:7], s[0:1], 0xe8
	s_mov_b32 s12, s15
	s_ashr_i32 s15, s14, 31
	s_mov_b32 s33, 0
	s_lshl_b64 s[8:9], s[14:15], 2
	s_waitcnt lgkmcnt(0)
	s_abs_i32 s10, s11
	s_add_u32 s2, s58, s8
	v_cvt_f32_u32_e32 v1, s10
	s_addc_u32 s3, s59, s9
	s_cmp_eq_u64 s[6:7], 0
	s_delay_alu instid0(VALU_DEP_1) | instskip(SKIP_2) | instid1(VALU_DEP_1)
	v_rcp_iflag_f32_e32 v1, v1
	s_waitcnt_depctr 0xfff
	v_mul_f32_e32 v1, 0x4f7ffffe, v1
	v_cvt_u32_f32_e32 v1, v1
	s_delay_alu instid0(VALU_DEP_1)
	v_readfirstlane_b32 s60, v1
	s_cbranch_scc1 .LBB132_2
; %bb.1:
	v_mov_b32_e32 v1, 0
	s_add_u32 s6, s6, s14
	s_addc_u32 s7, s7, s15
	global_load_u8 v1, v1, s[6:7]
	s_waitcnt vmcnt(0)
	v_and_b32_e32 v1, 1, v1
	s_delay_alu instid0(VALU_DEP_1)
	v_cmp_eq_u32_e64 s33, 1, v1
.LBB132_2:
	s_load_b64 s[6:7], s[0:1], 0x20
	s_cmp_eq_u64 s[4:5], 0
	s_cbranch_scc1 .LBB132_4
; %bb.3:
	s_add_u32 s4, s4, s8
	s_addc_u32 s5, s5, s9
	s_load_b32 s14, s[4:5], 0x0
	s_waitcnt lgkmcnt(0)
	s_ashr_i32 s15, s14, 31
.LBB132_4:
	s_waitcnt lgkmcnt(0)
	s_cmp_eq_u64 s[6:7], s[14:15]
	s_cbranch_scc1 .LBB132_108
; %bb.5:
	s_load_b512 s[16:31], s[0:1], 0x88
	s_load_b64 s[34:35], s[2:3], 0x0
	s_mov_b32 s58, 0
	s_mov_b32 s59, 0
	s_waitcnt lgkmcnt(0)
	s_cmp_eq_u64 s[22:23], 0
	s_cbranch_scc1 .LBB132_7
; %bb.6:
	s_ashr_i32 s13, s12, 31
	s_delay_alu instid0(SALU_CYCLE_1) | instskip(NEXT) | instid1(SALU_CYCLE_1)
	s_lshl_b64 s[2:3], s[12:13], 2
	s_add_u32 s2, s22, s2
	s_addc_u32 s3, s23, s3
	s_load_b32 s59, s[2:3], 0x0
.LBB132_7:
	s_cmp_eq_u64 s[28:29], 0
	s_cbranch_scc1 .LBB132_9
; %bb.8:
	s_ashr_i32 s13, s12, 31
	s_delay_alu instid0(SALU_CYCLE_1) | instskip(NEXT) | instid1(SALU_CYCLE_1)
	s_lshl_b64 s[2:3], s[12:13], 2
	s_add_u32 s2, s28, s2
	s_addc_u32 s3, s29, s3
	s_load_b32 s58, s[2:3], 0x0
.LBB132_9:
	s_sub_i32 s23, s35, s34
	s_delay_alu instid0(SALU_CYCLE_1)
	s_cmp_lt_i32 s23, 1
	s_cbranch_scc1 .LBB132_108
; %bb.10:
	s_sub_i32 s2, 0, s10
	s_load_b256 s[36:43], s[0:1], 0x4c
	s_mul_i32 s2, s2, s60
	s_abs_i32 s3, s12
	s_mul_hi_u32 s2, s60, s2
	s_ashr_i32 s5, s11, 31
	s_add_i32 s60, s60, s2
	s_ashr_i32 s2, s12, 31
	s_mul_hi_u32 s4, s3, s60
	s_xor_b32 s5, s2, s5
	s_mul_i32 s6, s4, s10
	s_load_b256 s[44:51], s[0:1], 0x2c
	s_sub_i32 s2, s3, s6
	s_add_i32 s3, s4, 1
	s_sub_i32 s6, s2, s10
	s_cmp_ge_u32 s2, s10
	s_mov_b32 s29, 0
	s_cselect_b32 s3, s3, s4
	s_cselect_b32 s2, s6, s2
	s_add_i32 s4, s3, 1
	s_cmp_ge_u32 s2, s10
	s_waitcnt lgkmcnt(0)
	s_mul_i32 s28, s34, s38
	s_cselect_b32 s4, s4, s3
	s_lshl_b64 s[2:3], s[28:29], 2
	s_xor_b32 s4, s4, s5
	s_mul_i32 s28, s39, s12
	s_sub_i32 s6, s4, s5
	s_add_u32 s4, s24, s2
	s_addc_u32 s5, s25, s3
	s_lshl_b64 s[2:3], s[28:29], 2
	s_mul_i32 s28, s34, s40
	s_add_u32 s47, s4, s2
	s_addc_u32 s51, s5, s3
	s_lshl_b64 s[2:3], s[28:29], 2
	s_mul_i32 s28, s41, s12
	;; [unrolled: 4-line block ×3, first 2 shown]
	s_add_u32 s60, s4, s2
	s_addc_u32 s44, s5, s3
	s_load_b64 s[4:5], s[0:1], 0x7c
	s_lshl_b64 s[2:3], s[28:29], 2
	s_mul_i32 s28, s34, s46
	s_add_u32 s61, s16, s2
	s_addc_u32 s46, s17, s3
	s_lshl_b64 s[2:3], s[28:29], 2
	s_mul_i32 s28, s6, s49
	s_add_u32 s7, s18, s2
	s_addc_u32 s8, s19, s3
	s_load_b128 s[16:19], s[0:1], 0x6c
	s_lshl_b64 s[2:3], s[28:29], 2
	s_mul_i32 s28, s34, s50
	s_add_u32 s49, s7, s2
	s_addc_u32 s50, s8, s3
	s_lshl_b64 s[2:3], s[28:29], 2
	s_mul_i32 s28, s6, s37
	s_add_u32 s7, s20, s2
	s_addc_u32 s6, s21, s3
	s_lshl_b64 s[2:3], s[28:29], 2
	v_dual_mov_b32 v1, 0 :: v_dual_lshlrev_b32 v12, 2, v0
	s_waitcnt lgkmcnt(0)
	s_mul_i32 s28, s14, s4
	s_add_u32 s37, s7, s2
	s_addc_u32 s62, s6, s3
	s_lshl_b64 s[2:3], s[28:29], 2
	v_mbcnt_lo_u32_b32 v2, -1, 0
	s_add_u32 s4, s52, s2
	s_clause 0x2
	s_load_b32 s52, s[0:1], 0x84
	s_load_b32 s64, s[0:1], 0xc
	;; [unrolled: 1-line block ×3, first 2 shown]
	v_and_b32_e32 v3, 0x80, v12
	v_and_b32_e32 v5, 32, v0
	s_mul_i32 s28, s5, s12
	s_addc_u32 s5, s53, s3
	s_lshl_b64 s[2:3], s[28:29], 2
	v_or_b32_e32 v13, v2, v3
	v_lshrrev_b32_e32 v4, 5, v3
	s_add_u32 s53, s4, s2
	v_or_b32_e32 v8, v2, v5
	s_addc_u32 s63, s5, s3
	v_or_b32_e32 v14, 32, v13
	v_or_b32_e32 v15, 64, v13
	v_add_nc_u32_e32 v4, v4, v13
	v_or_b32_e32 v16, 0x60, v13
	s_add_i32 s2, s23, 0x7ff
	v_lshrrev_b32_e32 v6, 5, v14
	v_lshrrev_b32_e32 v7, 5, v15
	s_lshr_b32 s65, s2, 11
	v_lshl_add_u32 v17, v4, 2, 0
	s_waitcnt lgkmcnt(0)
	s_bitcmp1_b32 s0, 0
	v_add_lshl_u32 v4, v6, v13, 2
	v_add_lshl_u32 v6, v7, v13, 2
	v_lshrrev_b32_e32 v7, 5, v16
	v_lshlrev_b32_e32 v9, 2, v8
	v_bfe_u32 v8, v8, 3, 27
	s_cselect_b32 s66, -1, 0
	s_cmp_gt_i32 s64, 0
	v_add_nc_u32_e32 v18, 0, v4
	s_cselect_b32 s67, -1, 0
	s_add_i32 s0, 0, 0x420
	v_add_lshl_u32 v7, v7, v13, 2
	v_add_lshl_u32 v8, v8, v9, 2
	v_add_nc_u32_e32 v22, s0, v4
	v_and_b32_e32 v4, 15, v2
	s_and_b32 s1, s23, 0xff
	v_add_nc_u32_e32 v23, s0, v6
	v_add_nc_u32_e32 v24, s0, v7
	s_cmp_eq_u32 s1, 0
	v_add_nc_u32_e32 v25, s0, v8
	v_cmp_ne_u32_e64 s0, 0, v4
	v_cmp_lt_u32_e64 s1, 1, v4
	v_cmp_lt_u32_e64 s2, 3, v4
	;; [unrolled: 1-line block ×3, first 2 shown]
	v_add_nc_u32_e32 v4, -1, v2
	s_mul_i32 s28, s34, s16
	v_add_nc_u32_e32 v19, 0, v6
	s_cselect_b32 s68, -1, 0
	v_lshrrev_b32_e32 v6, 2, v0
	v_cmp_gt_i32_e32 vcc_lo, 0, v4
	s_lshl_b64 s[14:15], s[28:29], 2
	v_or_b32_e32 v5, 31, v5
	s_add_i32 s69, s65, -1
	s_mul_i32 s28, s17, s12
	v_cndmask_b32_e32 v4, v4, v2, vcc_lo
	s_add_u32 s13, s30, s14
	s_addc_u32 s16, s31, s15
	s_lshl_b64 s[14:15], s[28:29], 2
	s_mul_i32 s28, s34, s42
	v_lshlrev_b32_e32 v28, 2, v4
	v_lshlrev_b32_e32 v4, 2, v2
	v_and_b32_e32 v6, 8, v6
	s_add_u32 s13, s13, s14
	v_cmp_eq_u32_e64 s5, v5, v0
	v_and_b32_e32 v5, 1, v2
	s_addc_u32 s16, s16, s15
	s_lshl_b64 s[14:15], s[28:29], 2
	s_mul_i32 s28, s43, s12
	s_add_u32 s17, s54, s14
	v_cmp_gt_u32_e64 s6, 2, v0
	v_lshl_add_u32 v27, v0, 3, 0
	v_cmp_gt_u32_e64 s8, 32, v0
	v_cmp_lt_u32_e64 s9, 31, v0
	v_cmp_eq_u32_e64 s10, 0, v0
	s_addc_u32 s20, s55, s15
	s_lshl_b64 s[14:15], s[28:29], 2
	v_add_co_u32 v0, s13, s13, v4
	v_add_nc_u32_e32 v26, 0, v6
	s_mul_i32 s28, s34, s18
	v_lshlrev_b32_e32 v6, 2, v3
	v_cmp_eq_u32_e64 s7, 0, v5
	v_add_co_ci_u32_e64 v5, null, s16, 0, s13
	s_add_u32 s16, s17, s14
	s_addc_u32 s17, s20, s15
	s_lshl_b64 s[14:15], s[28:29], 2
	s_mul_i32 s28, s19, s12
	v_add_nc_u32_e32 v20, 0, v7
	v_and_b32_e32 v7, 16, v2
	s_add_u32 s14, s56, s14
	s_addc_u32 s15, s57, s15
	s_lshl_b64 s[12:13], s[28:29], 2
	v_add_co_u32 v0, vcc_lo, v0, v6
	v_add_co_ci_u32_e32 v29, vcc_lo, 0, v5, vcc_lo
	s_add_u32 s12, s14, s12
	v_add_co_u32 v5, s14, s16, v4
	v_cmp_ne_u32_e64 s4, 0, v7
	v_add_co_ci_u32_e64 v7, null, s17, 0, s14
	s_addc_u32 s13, s15, s13
	v_add_co_u32 v4, s12, s12, v4
	v_add_nc_u32_e32 v21, 0, v8
	v_add_co_ci_u32_e64 v8, null, s13, 0, s12
	v_add_co_u32 v30, vcc_lo, v5, v6
	v_add_co_ci_u32_e32 v31, vcc_lo, 0, v7, vcc_lo
	v_add_co_u32 v32, vcc_lo, v4, v6
	v_cmp_eq_u32_e64 s11, 0, v2
	v_add_co_ci_u32_e32 v33, vcc_lo, 0, v8, vcc_lo
	v_or_b32_e32 v34, 1, v12
	v_or_b32_e32 v35, 2, v12
	;; [unrolled: 1-line block ×3, first 2 shown]
	v_lshlrev_b32_e32 v37, 2, v2
	v_lshlrev_b32_e32 v38, 2, v3
	s_mov_b32 s42, 0x3e9b6dac
	s_add_i32 s43, 0, 0x850
	s_mov_b32 s54, 0
	s_mov_b32 s24, 0
	s_branch .LBB132_12
.LBB132_11:                             ;   in Loop: Header=BB132_12 Depth=1
	s_or_b32 exec_lo, exec_lo, s12
	s_add_u32 s60, s60, 0x400
	s_addc_u32 s44, s44, 0
	s_add_u32 s47, s47, 0x400
	s_addc_u32 s51, s51, 0
	;; [unrolled: 2-line block ×4, first 2 shown]
	s_add_i32 s54, s54, 1
	s_delay_alu instid0(SALU_CYCLE_1)
	s_cmp_lg_u32 s54, s65
	s_cbranch_scc0 .LBB132_108
.LBB132_12:                             ; =>This Loop Header: Depth=1
                                        ;     Child Loop BB132_37 Depth 2
	v_add_co_u32 v2, s12, s47, v37
	s_delay_alu instid0(VALU_DEP_1) | instskip(SKIP_1) | instid1(VALU_DEP_2)
	v_add_co_ci_u32_e64 v3, null, s51, 0, s12
	s_lshl_b32 s30, s54, 8
	v_add_co_u32 v2, vcc_lo, v2, v38
	s_sub_i32 s19, s23, s30
	s_delay_alu instid0(VALU_DEP_2)
	v_add_co_ci_u32_e32 v3, vcc_lo, 0, v3, vcc_lo
	v_cmp_gt_u32_e64 s12, s19, v13
	s_waitcnt lgkmcnt(0)
	v_mov_b32_e32 v4, v1
	s_waitcnt_vscnt null, 0x0
	s_barrier
	buffer_gl0_inv
	s_and_saveexec_b32 s13, s12
	s_cbranch_execz .LBB132_14
; %bb.13:                               ;   in Loop: Header=BB132_12 Depth=1
	global_load_b32 v4, v[2:3], off
.LBB132_14:                             ;   in Loop: Header=BB132_12 Depth=1
	s_or_b32 exec_lo, exec_lo, s13
	v_cmp_gt_u32_e64 s13, s19, v14
	v_dual_mov_b32 v5, 0 :: v_dual_mov_b32 v6, 0
	s_delay_alu instid0(VALU_DEP_2)
	s_and_saveexec_b32 s14, s13
	s_cbranch_execz .LBB132_16
; %bb.15:                               ;   in Loop: Header=BB132_12 Depth=1
	global_load_b32 v6, v[2:3], off offset:128
.LBB132_16:                             ;   in Loop: Header=BB132_12 Depth=1
	s_or_b32 exec_lo, exec_lo, s14
	v_cmp_gt_u32_e64 s14, s19, v15
	s_delay_alu instid0(VALU_DEP_1)
	s_and_saveexec_b32 s15, s14
	s_cbranch_execz .LBB132_18
; %bb.17:                               ;   in Loop: Header=BB132_12 Depth=1
	global_load_b32 v5, v[2:3], off offset:256
.LBB132_18:                             ;   in Loop: Header=BB132_12 Depth=1
	s_or_b32 exec_lo, exec_lo, s15
	v_cmp_gt_u32_e64 s15, s19, v16
	v_dual_mov_b32 v8, 0 :: v_dual_mov_b32 v7, 0
	s_delay_alu instid0(VALU_DEP_2)
	s_and_saveexec_b32 s16, s15
	s_cbranch_execz .LBB132_20
; %bb.19:                               ;   in Loop: Header=BB132_12 Depth=1
	global_load_b32 v7, v[2:3], off offset:384
.LBB132_20:                             ;   in Loop: Header=BB132_12 Depth=1
	s_or_b32 exec_lo, exec_lo, s16
	s_waitcnt vmcnt(0)
	ds_store_b32 v17, v4
	ds_store_b32 v18, v6 offset:128
	ds_store_b32 v19, v5 offset:256
	ds_store_b32 v20, v7 offset:384
	; wave barrier
	ds_load_2addr_b32 v[2:3], v21 offset1:1
	ds_load_2addr_b32 v[4:5], v21 offset0:2 offset1:3
	v_add_co_u32 v6, s16, s60, v37
	s_delay_alu instid0(VALU_DEP_1) | instskip(SKIP_1) | instid1(VALU_DEP_2)
	v_add_co_ci_u32_e64 v7, null, s44, 0, s16
	s_waitcnt lgkmcnt(0)
	v_add_co_u32 v6, vcc_lo, v6, v38
	s_delay_alu instid0(VALU_DEP_2)
	v_add_co_ci_u32_e32 v7, vcc_lo, 0, v7, vcc_lo
	s_barrier
	buffer_gl0_inv
	s_and_saveexec_b32 s16, s12
	s_cbranch_execz .LBB132_22
; %bb.21:                               ;   in Loop: Header=BB132_12 Depth=1
	global_load_b32 v8, v[6:7], off
.LBB132_22:                             ;   in Loop: Header=BB132_12 Depth=1
	s_or_b32 exec_lo, exec_lo, s16
	v_dual_mov_b32 v9, 0 :: v_dual_mov_b32 v10, 0
	s_and_saveexec_b32 s16, s13
	s_cbranch_execnz .LBB132_96
; %bb.23:                               ;   in Loop: Header=BB132_12 Depth=1
	s_or_b32 exec_lo, exec_lo, s16
	s_and_saveexec_b32 s16, s14
	s_cbranch_execnz .LBB132_97
.LBB132_24:                             ;   in Loop: Header=BB132_12 Depth=1
	s_or_b32 exec_lo, exec_lo, s16
	v_mov_b32_e32 v11, 0
	s_and_saveexec_b32 s16, s15
	s_cbranch_execz .LBB132_26
.LBB132_25:                             ;   in Loop: Header=BB132_12 Depth=1
	global_load_b32 v11, v[6:7], off offset:384
.LBB132_26:                             ;   in Loop: Header=BB132_12 Depth=1
	s_or_b32 exec_lo, exec_lo, s16
	s_waitcnt vmcnt(0)
	ds_store_b32 v17, v8
	ds_store_b32 v18, v10 offset:128
	ds_store_b32 v19, v9 offset:256
	;; [unrolled: 1-line block ×3, first 2 shown]
	; wave barrier
	ds_load_2addr_b32 v[8:9], v21 offset1:1
	ds_load_2addr_b32 v[6:7], v21 offset0:2 offset1:3
	s_waitcnt lgkmcnt(1)
	v_add_f32_e32 v39, s58, v8
	s_delay_alu instid0(VALU_DEP_1) | instskip(SKIP_1) | instid1(SALU_CYCLE_1)
	v_cmp_ge_f32_e32 vcc_lo, 0x41a00000, v39
	s_and_b32 s16, s66, vcc_lo
	s_and_saveexec_b32 s17, s16
	s_cbranch_execz .LBB132_28
; %bb.27:                               ;   in Loop: Header=BB132_12 Depth=1
	v_mul_f32_e32 v8, 0x3fb8aa3b, v39
	v_cmp_ngt_f32_e32 vcc_lo, 0xc2ce8ed0, v39
	s_delay_alu instid0(VALU_DEP_2) | instskip(SKIP_1) | instid1(VALU_DEP_1)
	v_rndne_f32_e32 v10, v8
	v_fma_f32 v11, 0x3fb8aa3b, v39, -v8
	v_dual_sub_f32 v8, v8, v10 :: v_dual_fmac_f32 v11, 0x32a5705f, v39
	v_cvt_i32_f32_e32 v10, v10
	s_delay_alu instid0(VALU_DEP_2) | instskip(NEXT) | instid1(VALU_DEP_1)
	v_add_f32_e32 v8, v8, v11
	v_exp_f32_e32 v8, v8
	s_waitcnt_depctr 0xfff
	v_ldexp_f32 v8, v8, v10
	s_delay_alu instid0(VALU_DEP_1) | instskip(SKIP_1) | instid1(VALU_DEP_2)
	v_cndmask_b32_e32 v8, 0, v8, vcc_lo
	v_cmp_nlt_f32_e32 vcc_lo, 0x42b17218, v39
	v_cndmask_b32_e32 v8, 0x7f800000, v8, vcc_lo
	s_delay_alu instid0(VALU_DEP_1) | instskip(NEXT) | instid1(VALU_DEP_1)
	v_add_f32_e32 v39, 1.0, v8
	v_cvt_f64_f32_e32 v[10:11], v39
	s_delay_alu instid0(VALU_DEP_1) | instskip(SKIP_1) | instid1(VALU_DEP_1)
	v_frexp_exp_i32_f64_e32 v10, v[10:11]
	v_frexp_mant_f32_e32 v11, v39
	v_cmp_gt_f32_e32 vcc_lo, 0x3f2aaaab, v11
	v_add_f32_e32 v11, -1.0, v39
	s_delay_alu instid0(VALU_DEP_1) | instskip(SKIP_2) | instid1(VALU_DEP_3)
	v_sub_f32_e32 v41, v11, v39
	v_sub_f32_e32 v11, v8, v11
	v_cmp_gt_f32_e64 s16, 0x33800000, v8
	v_add_f32_e32 v41, 1.0, v41
	s_delay_alu instid0(VALU_DEP_1) | instskip(SKIP_2) | instid1(VALU_DEP_2)
	v_add_f32_e32 v11, v11, v41
	v_subrev_co_ci_u32_e32 v10, vcc_lo, 0, v10, vcc_lo
	v_cmp_eq_f32_e32 vcc_lo, 0x7f800000, v8
	v_sub_nc_u32_e32 v40, 0, v10
	v_cvt_f32_i32_e32 v10, v10
	s_or_b32 vcc_lo, s16, vcc_lo
	s_delay_alu instid0(VALU_DEP_2) | instskip(SKIP_1) | instid1(VALU_DEP_2)
	v_ldexp_f32 v39, v39, v40
	v_ldexp_f32 v11, v11, v40
	v_add_f32_e32 v42, 1.0, v39
	s_delay_alu instid0(VALU_DEP_1) | instskip(NEXT) | instid1(VALU_DEP_1)
	v_dual_add_f32 v40, -1.0, v39 :: v_dual_add_f32 v41, -1.0, v42
	v_add_f32_e32 v43, 1.0, v40
	s_delay_alu instid0(VALU_DEP_2) | instskip(NEXT) | instid1(VALU_DEP_2)
	v_sub_f32_e32 v41, v39, v41
	v_sub_f32_e32 v39, v39, v43
	s_delay_alu instid0(VALU_DEP_2) | instskip(NEXT) | instid1(VALU_DEP_2)
	v_add_f32_e32 v41, v11, v41
	v_add_f32_e32 v11, v11, v39
	s_delay_alu instid0(VALU_DEP_1) | instskip(NEXT) | instid1(VALU_DEP_1)
	v_dual_add_f32 v44, v40, v11 :: v_dual_add_f32 v43, v42, v41
	v_sub_f32_e32 v40, v40, v44
	s_delay_alu instid0(VALU_DEP_2) | instskip(SKIP_1) | instid1(VALU_DEP_1)
	v_rcp_f32_e32 v39, v43
	v_sub_f32_e32 v42, v42, v43
	v_add_f32_e32 v41, v41, v42
	s_waitcnt_depctr 0xfff
	v_mul_f32_e32 v45, v44, v39
	s_delay_alu instid0(VALU_DEP_1) | instskip(NEXT) | instid1(VALU_DEP_1)
	v_mul_f32_e32 v46, v43, v45
	v_fma_f32 v42, v45, v43, -v46
	s_delay_alu instid0(VALU_DEP_1) | instskip(NEXT) | instid1(VALU_DEP_1)
	v_fmac_f32_e32 v42, v45, v41
	v_add_f32_e32 v47, v46, v42
	s_delay_alu instid0(VALU_DEP_1) | instskip(NEXT) | instid1(VALU_DEP_1)
	v_sub_f32_e32 v48, v44, v47
	v_sub_f32_e32 v44, v44, v48
	v_add_f32_e32 v11, v11, v40
	v_sub_f32_e32 v40, v47, v46
	s_delay_alu instid0(VALU_DEP_3) | instskip(NEXT) | instid1(VALU_DEP_1)
	v_sub_f32_e32 v44, v44, v47
	v_dual_sub_f32 v40, v40, v42 :: v_dual_add_f32 v11, v11, v44
	s_delay_alu instid0(VALU_DEP_1) | instskip(NEXT) | instid1(VALU_DEP_1)
	v_add_f32_e32 v11, v40, v11
	v_add_f32_e32 v40, v48, v11
	s_delay_alu instid0(VALU_DEP_1) | instskip(NEXT) | instid1(VALU_DEP_1)
	v_mul_f32_e32 v42, v39, v40
	v_dual_sub_f32 v47, v48, v40 :: v_dual_mul_f32 v44, v43, v42
	s_delay_alu instid0(VALU_DEP_1) | instskip(NEXT) | instid1(VALU_DEP_2)
	v_add_f32_e32 v11, v11, v47
	v_fma_f32 v43, v42, v43, -v44
	s_delay_alu instid0(VALU_DEP_1) | instskip(NEXT) | instid1(VALU_DEP_1)
	v_fmac_f32_e32 v43, v42, v41
	v_add_f32_e32 v41, v44, v43
	s_delay_alu instid0(VALU_DEP_1) | instskip(NEXT) | instid1(VALU_DEP_1)
	v_sub_f32_e32 v46, v40, v41
	v_sub_f32_e32 v40, v40, v46
	s_delay_alu instid0(VALU_DEP_1) | instskip(NEXT) | instid1(VALU_DEP_1)
	v_sub_f32_e32 v40, v40, v41
	v_dual_add_f32 v11, v11, v40 :: v_dual_add_f32 v40, v45, v42
	v_sub_f32_e32 v44, v41, v44
	s_delay_alu instid0(VALU_DEP_1) | instskip(NEXT) | instid1(VALU_DEP_1)
	v_sub_f32_e32 v41, v44, v43
	v_add_f32_e32 v11, v41, v11
	s_delay_alu instid0(VALU_DEP_4) | instskip(NEXT) | instid1(VALU_DEP_2)
	v_sub_f32_e32 v41, v40, v45
	v_add_f32_e32 v11, v46, v11
	s_delay_alu instid0(VALU_DEP_2) | instskip(NEXT) | instid1(VALU_DEP_2)
	v_sub_f32_e32 v41, v42, v41
	v_mul_f32_e32 v11, v39, v11
	s_delay_alu instid0(VALU_DEP_1) | instskip(NEXT) | instid1(VALU_DEP_1)
	v_add_f32_e32 v11, v41, v11
	v_add_f32_e32 v39, v40, v11
	s_delay_alu instid0(VALU_DEP_1) | instskip(NEXT) | instid1(VALU_DEP_1)
	v_mul_f32_e32 v41, v39, v39
	v_fmaak_f32 v42, s42, v41, 0x3ecc95a3
	v_mul_f32_e32 v43, v39, v41
	s_delay_alu instid0(VALU_DEP_2) | instskip(SKIP_2) | instid1(VALU_DEP_3)
	v_fmaak_f32 v41, v41, v42, 0x3f2aaada
	v_ldexp_f32 v42, v39, 1
	v_sub_f32_e32 v39, v39, v40
	v_mul_f32_e32 v41, v43, v41
	v_mul_f32_e32 v43, 0x3f317218, v10
	s_delay_alu instid0(VALU_DEP_2) | instskip(NEXT) | instid1(VALU_DEP_1)
	v_dual_sub_f32 v11, v11, v39 :: v_dual_add_f32 v40, v42, v41
	v_ldexp_f32 v11, v11, 1
	s_delay_alu instid0(VALU_DEP_2) | instskip(NEXT) | instid1(VALU_DEP_4)
	v_sub_f32_e32 v39, v40, v42
	v_fma_f32 v42, 0x3f317218, v10, -v43
	s_delay_alu instid0(VALU_DEP_1) | instskip(NEXT) | instid1(VALU_DEP_1)
	v_dual_sub_f32 v39, v41, v39 :: v_dual_fmac_f32 v42, 0xb102e308, v10
	v_add_f32_e32 v10, v11, v39
	s_delay_alu instid0(VALU_DEP_2) | instskip(NEXT) | instid1(VALU_DEP_2)
	v_add_f32_e32 v11, v43, v42
	v_add_f32_e32 v39, v40, v10
	s_delay_alu instid0(VALU_DEP_2) | instskip(NEXT) | instid1(VALU_DEP_2)
	v_sub_f32_e32 v43, v11, v43
	v_add_f32_e32 v41, v11, v39
	v_sub_f32_e32 v40, v39, v40
	s_delay_alu instid0(VALU_DEP_3) | instskip(NEXT) | instid1(VALU_DEP_3)
	v_sub_f32_e32 v42, v42, v43
	v_sub_f32_e32 v44, v41, v11
	s_delay_alu instid0(VALU_DEP_3) | instskip(NEXT) | instid1(VALU_DEP_2)
	v_sub_f32_e32 v10, v10, v40
	v_sub_f32_e32 v45, v41, v44
	s_delay_alu instid0(VALU_DEP_2) | instskip(NEXT) | instid1(VALU_DEP_2)
	v_dual_sub_f32 v39, v39, v44 :: v_dual_add_f32 v40, v42, v10
	v_sub_f32_e32 v11, v11, v45
	s_delay_alu instid0(VALU_DEP_1) | instskip(NEXT) | instid1(VALU_DEP_3)
	v_add_f32_e32 v11, v39, v11
	v_sub_f32_e32 v39, v40, v42
	s_delay_alu instid0(VALU_DEP_2) | instskip(NEXT) | instid1(VALU_DEP_2)
	v_add_f32_e32 v11, v40, v11
	v_sub_f32_e32 v40, v40, v39
	v_sub_f32_e32 v10, v10, v39
	s_delay_alu instid0(VALU_DEP_2) | instskip(NEXT) | instid1(VALU_DEP_1)
	v_dual_add_f32 v43, v41, v11 :: v_dual_sub_f32 v40, v42, v40
	v_dual_sub_f32 v39, v43, v41 :: v_dual_add_f32 v10, v10, v40
	s_delay_alu instid0(VALU_DEP_1) | instskip(NEXT) | instid1(VALU_DEP_1)
	v_sub_f32_e32 v11, v11, v39
	v_add_f32_e32 v10, v10, v11
	s_delay_alu instid0(VALU_DEP_1) | instskip(NEXT) | instid1(VALU_DEP_1)
	v_add_f32_e32 v10, v43, v10
	v_cndmask_b32_e32 v39, v10, v8, vcc_lo
.LBB132_28:                             ;   in Loop: Header=BB132_12 Depth=1
	s_or_b32 exec_lo, exec_lo, s17
	v_add_f32_e32 v40, s58, v9
	s_delay_alu instid0(VALU_DEP_1) | instskip(SKIP_1) | instid1(SALU_CYCLE_1)
	v_cmp_ge_f32_e32 vcc_lo, 0x41a00000, v40
	s_and_b32 s16, s66, vcc_lo
	s_and_saveexec_b32 s17, s16
	s_cbranch_execz .LBB132_30
; %bb.29:                               ;   in Loop: Header=BB132_12 Depth=1
	v_mul_f32_e32 v8, 0x3fb8aa3b, v40
	v_cmp_ngt_f32_e32 vcc_lo, 0xc2ce8ed0, v40
	s_delay_alu instid0(VALU_DEP_2) | instskip(SKIP_1) | instid1(VALU_DEP_2)
	v_rndne_f32_e32 v9, v8
	v_fma_f32 v10, 0x3fb8aa3b, v40, -v8
	v_sub_f32_e32 v8, v8, v9
	s_delay_alu instid0(VALU_DEP_2) | instskip(SKIP_1) | instid1(VALU_DEP_2)
	v_fmac_f32_e32 v10, 0x32a5705f, v40
	v_cvt_i32_f32_e32 v9, v9
	v_add_f32_e32 v8, v8, v10
	s_delay_alu instid0(VALU_DEP_1) | instskip(SKIP_2) | instid1(VALU_DEP_1)
	v_exp_f32_e32 v8, v8
	s_waitcnt_depctr 0xfff
	v_ldexp_f32 v8, v8, v9
	v_cndmask_b32_e32 v8, 0, v8, vcc_lo
	v_cmp_nlt_f32_e32 vcc_lo, 0x42b17218, v40
	s_delay_alu instid0(VALU_DEP_2) | instskip(NEXT) | instid1(VALU_DEP_1)
	v_cndmask_b32_e32 v10, 0x7f800000, v8, vcc_lo
	v_add_f32_e32 v11, 1.0, v10
	s_delay_alu instid0(VALU_DEP_1) | instskip(NEXT) | instid1(VALU_DEP_1)
	v_cvt_f64_f32_e32 v[8:9], v11
	v_frexp_exp_i32_f64_e32 v8, v[8:9]
	v_frexp_mant_f32_e32 v9, v11
	s_delay_alu instid0(VALU_DEP_1) | instskip(SKIP_1) | instid1(VALU_DEP_1)
	v_cmp_gt_f32_e32 vcc_lo, 0x3f2aaaab, v9
	v_add_f32_e32 v9, -1.0, v11
	v_sub_f32_e32 v41, v9, v11
	v_sub_f32_e32 v9, v10, v9
	s_delay_alu instid0(VALU_DEP_2) | instskip(NEXT) | instid1(VALU_DEP_1)
	v_add_f32_e32 v41, 1.0, v41
	v_add_f32_e32 v9, v9, v41
	v_cmp_gt_f32_e64 s16, 0x33800000, v10
	v_subrev_co_ci_u32_e32 v8, vcc_lo, 0, v8, vcc_lo
	v_cmp_eq_f32_e32 vcc_lo, 0x7f800000, v10
	s_delay_alu instid0(VALU_DEP_2) | instskip(SKIP_2) | instid1(VALU_DEP_2)
	v_sub_nc_u32_e32 v40, 0, v8
	v_cvt_f32_i32_e32 v8, v8
	s_or_b32 vcc_lo, s16, vcc_lo
	v_ldexp_f32 v11, v11, v40
	v_ldexp_f32 v9, v9, v40
	s_delay_alu instid0(VALU_DEP_2) | instskip(NEXT) | instid1(VALU_DEP_1)
	v_add_f32_e32 v42, 1.0, v11
	v_dual_add_f32 v40, -1.0, v11 :: v_dual_add_f32 v41, -1.0, v42
	s_delay_alu instid0(VALU_DEP_1) | instskip(NEXT) | instid1(VALU_DEP_2)
	v_add_f32_e32 v43, 1.0, v40
	v_sub_f32_e32 v41, v11, v41
	s_delay_alu instid0(VALU_DEP_2) | instskip(NEXT) | instid1(VALU_DEP_2)
	v_sub_f32_e32 v11, v11, v43
	v_add_f32_e32 v41, v9, v41
	s_delay_alu instid0(VALU_DEP_2) | instskip(NEXT) | instid1(VALU_DEP_1)
	v_add_f32_e32 v9, v9, v11
	v_add_f32_e32 v44, v40, v9
	s_delay_alu instid0(VALU_DEP_1) | instskip(NEXT) | instid1(VALU_DEP_1)
	v_dual_add_f32 v43, v42, v41 :: v_dual_sub_f32 v40, v40, v44
	v_rcp_f32_e32 v11, v43
	v_sub_f32_e32 v42, v42, v43
	s_delay_alu instid0(VALU_DEP_1) | instskip(SKIP_2) | instid1(VALU_DEP_1)
	v_add_f32_e32 v41, v41, v42
	s_waitcnt_depctr 0xfff
	v_mul_f32_e32 v45, v44, v11
	v_mul_f32_e32 v46, v43, v45
	s_delay_alu instid0(VALU_DEP_1) | instskip(NEXT) | instid1(VALU_DEP_1)
	v_fma_f32 v42, v45, v43, -v46
	v_fmac_f32_e32 v42, v45, v41
	s_delay_alu instid0(VALU_DEP_1) | instskip(NEXT) | instid1(VALU_DEP_1)
	v_add_f32_e32 v47, v46, v42
	v_sub_f32_e32 v48, v44, v47
	s_delay_alu instid0(VALU_DEP_1) | instskip(SKIP_1) | instid1(VALU_DEP_2)
	v_sub_f32_e32 v44, v44, v48
	v_dual_add_f32 v9, v9, v40 :: v_dual_sub_f32 v40, v47, v46
	v_sub_f32_e32 v44, v44, v47
	s_delay_alu instid0(VALU_DEP_1) | instskip(NEXT) | instid1(VALU_DEP_1)
	v_dual_sub_f32 v40, v40, v42 :: v_dual_add_f32 v9, v9, v44
	v_add_f32_e32 v9, v40, v9
	s_delay_alu instid0(VALU_DEP_1) | instskip(NEXT) | instid1(VALU_DEP_1)
	v_add_f32_e32 v40, v48, v9
	v_mul_f32_e32 v42, v11, v40
	s_delay_alu instid0(VALU_DEP_1) | instskip(NEXT) | instid1(VALU_DEP_1)
	v_dual_sub_f32 v47, v48, v40 :: v_dual_mul_f32 v44, v43, v42
	v_add_f32_e32 v9, v9, v47
	s_delay_alu instid0(VALU_DEP_2) | instskip(NEXT) | instid1(VALU_DEP_1)
	v_fma_f32 v43, v42, v43, -v44
	v_fmac_f32_e32 v43, v42, v41
	s_delay_alu instid0(VALU_DEP_1) | instskip(NEXT) | instid1(VALU_DEP_1)
	v_add_f32_e32 v41, v44, v43
	v_sub_f32_e32 v46, v40, v41
	s_delay_alu instid0(VALU_DEP_1) | instskip(NEXT) | instid1(VALU_DEP_1)
	v_sub_f32_e32 v40, v40, v46
	v_sub_f32_e32 v40, v40, v41
	s_delay_alu instid0(VALU_DEP_1) | instskip(SKIP_2) | instid1(VALU_DEP_1)
	v_add_f32_e32 v9, v9, v40
	v_add_f32_e32 v40, v45, v42
	v_sub_f32_e32 v44, v41, v44
	v_sub_f32_e32 v41, v44, v43
	s_delay_alu instid0(VALU_DEP_1) | instskip(NEXT) | instid1(VALU_DEP_4)
	v_add_f32_e32 v9, v41, v9
	v_sub_f32_e32 v41, v40, v45
	s_delay_alu instid0(VALU_DEP_2) | instskip(NEXT) | instid1(VALU_DEP_2)
	v_add_f32_e32 v9, v46, v9
	v_sub_f32_e32 v41, v42, v41
	s_delay_alu instid0(VALU_DEP_2) | instskip(NEXT) | instid1(VALU_DEP_1)
	v_mul_f32_e32 v9, v11, v9
	v_add_f32_e32 v9, v41, v9
	s_delay_alu instid0(VALU_DEP_1) | instskip(NEXT) | instid1(VALU_DEP_1)
	v_add_f32_e32 v11, v40, v9
	v_mul_f32_e32 v41, v11, v11
	s_delay_alu instid0(VALU_DEP_1) | instskip(SKIP_1) | instid1(VALU_DEP_2)
	v_fmaak_f32 v42, s42, v41, 0x3ecc95a3
	v_mul_f32_e32 v43, v11, v41
	v_fmaak_f32 v41, v41, v42, 0x3f2aaada
	v_ldexp_f32 v42, v11, 1
	s_delay_alu instid0(VALU_DEP_2) | instskip(SKIP_1) | instid1(VALU_DEP_2)
	v_mul_f32_e32 v41, v43, v41
	v_sub_f32_e32 v11, v11, v40
	v_dual_mul_f32 v43, 0x3f317218, v8 :: v_dual_add_f32 v40, v42, v41
	s_delay_alu instid0(VALU_DEP_2) | instskip(NEXT) | instid1(VALU_DEP_2)
	v_sub_f32_e32 v9, v9, v11
	v_sub_f32_e32 v11, v40, v42
	s_delay_alu instid0(VALU_DEP_3) | instskip(NEXT) | instid1(VALU_DEP_3)
	v_fma_f32 v42, 0x3f317218, v8, -v43
	v_ldexp_f32 v9, v9, 1
	s_delay_alu instid0(VALU_DEP_2) | instskip(NEXT) | instid1(VALU_DEP_1)
	v_dual_sub_f32 v11, v41, v11 :: v_dual_fmac_f32 v42, 0xb102e308, v8
	v_dual_add_f32 v8, v9, v11 :: v_dual_add_f32 v9, v43, v42
	s_delay_alu instid0(VALU_DEP_1) | instskip(NEXT) | instid1(VALU_DEP_1)
	v_add_f32_e32 v11, v40, v8
	v_dual_add_f32 v41, v9, v11 :: v_dual_sub_f32 v40, v11, v40
	s_delay_alu instid0(VALU_DEP_1) | instskip(NEXT) | instid1(VALU_DEP_2)
	v_sub_f32_e32 v44, v41, v9
	v_dual_sub_f32 v43, v9, v43 :: v_dual_sub_f32 v8, v8, v40
	s_delay_alu instid0(VALU_DEP_1) | instskip(SKIP_1) | instid1(VALU_DEP_2)
	v_dual_sub_f32 v45, v41, v44 :: v_dual_sub_f32 v42, v42, v43
	v_sub_f32_e32 v11, v11, v44
	v_dual_sub_f32 v9, v9, v45 :: v_dual_add_f32 v40, v42, v8
	s_delay_alu instid0(VALU_DEP_1) | instskip(NEXT) | instid1(VALU_DEP_2)
	v_add_f32_e32 v9, v11, v9
	v_sub_f32_e32 v11, v40, v42
	s_delay_alu instid0(VALU_DEP_2) | instskip(NEXT) | instid1(VALU_DEP_2)
	v_add_f32_e32 v9, v40, v9
	v_sub_f32_e32 v40, v40, v11
	s_delay_alu instid0(VALU_DEP_2) | instskip(NEXT) | instid1(VALU_DEP_1)
	v_dual_sub_f32 v8, v8, v11 :: v_dual_add_f32 v43, v41, v9
	v_dual_sub_f32 v40, v42, v40 :: v_dual_sub_f32 v11, v43, v41
	s_delay_alu instid0(VALU_DEP_1) | instskip(NEXT) | instid1(VALU_DEP_1)
	v_dual_add_f32 v8, v8, v40 :: v_dual_sub_f32 v9, v9, v11
	v_add_f32_e32 v8, v8, v9
	s_delay_alu instid0(VALU_DEP_1) | instskip(NEXT) | instid1(VALU_DEP_1)
	v_add_f32_e32 v8, v43, v8
	v_cndmask_b32_e32 v40, v8, v10, vcc_lo
.LBB132_30:                             ;   in Loop: Header=BB132_12 Depth=1
	s_or_b32 exec_lo, exec_lo, s17
	s_waitcnt lgkmcnt(0)
	v_add_f32_e32 v45, s58, v6
	s_delay_alu instid0(VALU_DEP_1) | instskip(SKIP_1) | instid1(SALU_CYCLE_1)
	v_cmp_ge_f32_e32 vcc_lo, 0x41a00000, v45
	s_and_b32 s16, s66, vcc_lo
	s_and_saveexec_b32 s17, s16
	s_cbranch_execz .LBB132_32
; %bb.31:                               ;   in Loop: Header=BB132_12 Depth=1
	v_mul_f32_e32 v6, 0x3fb8aa3b, v45
	v_cmp_ngt_f32_e32 vcc_lo, 0xc2ce8ed0, v45
	s_delay_alu instid0(VALU_DEP_2) | instskip(SKIP_1) | instid1(VALU_DEP_1)
	v_rndne_f32_e32 v8, v6
	v_fma_f32 v9, 0x3fb8aa3b, v45, -v6
	v_dual_sub_f32 v6, v6, v8 :: v_dual_fmac_f32 v9, 0x32a5705f, v45
	v_cvt_i32_f32_e32 v8, v8
	s_delay_alu instid0(VALU_DEP_2) | instskip(NEXT) | instid1(VALU_DEP_1)
	v_add_f32_e32 v6, v6, v9
	v_exp_f32_e32 v6, v6
	s_waitcnt_depctr 0xfff
	v_ldexp_f32 v6, v6, v8
	s_delay_alu instid0(VALU_DEP_1) | instskip(SKIP_1) | instid1(VALU_DEP_2)
	v_cndmask_b32_e32 v6, 0, v6, vcc_lo
	v_cmp_nlt_f32_e32 vcc_lo, 0x42b17218, v45
	v_cndmask_b32_e32 v6, 0x7f800000, v6, vcc_lo
	s_delay_alu instid0(VALU_DEP_1) | instskip(NEXT) | instid1(VALU_DEP_1)
	v_add_f32_e32 v10, 1.0, v6
	v_cvt_f64_f32_e32 v[8:9], v10
	s_delay_alu instid0(VALU_DEP_1) | instskip(SKIP_1) | instid1(VALU_DEP_1)
	v_frexp_exp_i32_f64_e32 v8, v[8:9]
	v_frexp_mant_f32_e32 v9, v10
	v_cmp_gt_f32_e32 vcc_lo, 0x3f2aaaab, v9
	v_add_f32_e32 v9, -1.0, v10
	s_delay_alu instid0(VALU_DEP_1) | instskip(SKIP_1) | instid1(VALU_DEP_2)
	v_sub_f32_e32 v41, v9, v10
	v_sub_f32_e32 v9, v6, v9
	v_add_f32_e32 v41, 1.0, v41
	s_delay_alu instid0(VALU_DEP_1) | instskip(SKIP_3) | instid1(VALU_DEP_2)
	v_add_f32_e32 v9, v9, v41
	v_cmp_gt_f32_e64 s16, 0x33800000, v6
	v_subrev_co_ci_u32_e32 v8, vcc_lo, 0, v8, vcc_lo
	v_cmp_eq_f32_e32 vcc_lo, 0x7f800000, v6
	v_sub_nc_u32_e32 v11, 0, v8
	v_cvt_f32_i32_e32 v8, v8
	s_or_b32 vcc_lo, s16, vcc_lo
	s_delay_alu instid0(VALU_DEP_2) | instskip(SKIP_1) | instid1(VALU_DEP_2)
	v_ldexp_f32 v10, v10, v11
	v_ldexp_f32 v9, v9, v11
	v_add_f32_e32 v42, 1.0, v10
	v_add_f32_e32 v11, -1.0, v10
	s_delay_alu instid0(VALU_DEP_1) | instskip(NEXT) | instid1(VALU_DEP_3)
	v_add_f32_e32 v43, 1.0, v11
	v_add_f32_e32 v41, -1.0, v42
	s_delay_alu instid0(VALU_DEP_1) | instskip(NEXT) | instid1(VALU_DEP_1)
	v_sub_f32_e32 v41, v10, v41
	v_dual_sub_f32 v10, v10, v43 :: v_dual_add_f32 v41, v9, v41
	s_delay_alu instid0(VALU_DEP_1) | instskip(NEXT) | instid1(VALU_DEP_2)
	v_add_f32_e32 v43, v42, v41
	v_add_f32_e32 v9, v9, v10
	s_delay_alu instid0(VALU_DEP_2) | instskip(SKIP_1) | instid1(VALU_DEP_1)
	v_rcp_f32_e32 v10, v43
	v_sub_f32_e32 v42, v42, v43
	v_dual_add_f32 v44, v11, v9 :: v_dual_add_f32 v41, v41, v42
	s_delay_alu instid0(VALU_DEP_1) | instskip(SKIP_2) | instid1(VALU_DEP_1)
	v_sub_f32_e32 v11, v11, v44
	s_waitcnt_depctr 0xfff
	v_mul_f32_e32 v45, v44, v10
	v_mul_f32_e32 v46, v43, v45
	s_delay_alu instid0(VALU_DEP_1) | instskip(NEXT) | instid1(VALU_DEP_1)
	v_fma_f32 v42, v45, v43, -v46
	v_fmac_f32_e32 v42, v45, v41
	s_delay_alu instid0(VALU_DEP_1) | instskip(NEXT) | instid1(VALU_DEP_1)
	v_add_f32_e32 v47, v46, v42
	v_sub_f32_e32 v48, v44, v47
	s_delay_alu instid0(VALU_DEP_1) | instskip(NEXT) | instid1(VALU_DEP_1)
	v_dual_sub_f32 v44, v44, v48 :: v_dual_add_f32 v9, v9, v11
	v_dual_sub_f32 v11, v47, v46 :: v_dual_sub_f32 v44, v44, v47
	s_delay_alu instid0(VALU_DEP_1) | instskip(NEXT) | instid1(VALU_DEP_2)
	v_sub_f32_e32 v11, v11, v42
	v_add_f32_e32 v9, v9, v44
	s_delay_alu instid0(VALU_DEP_1) | instskip(NEXT) | instid1(VALU_DEP_1)
	v_add_f32_e32 v9, v11, v9
	v_add_f32_e32 v11, v48, v9
	s_delay_alu instid0(VALU_DEP_1) | instskip(NEXT) | instid1(VALU_DEP_1)
	v_mul_f32_e32 v42, v10, v11
	v_dual_sub_f32 v47, v48, v11 :: v_dual_mul_f32 v44, v43, v42
	s_delay_alu instid0(VALU_DEP_1) | instskip(NEXT) | instid1(VALU_DEP_2)
	v_add_f32_e32 v9, v9, v47
	v_fma_f32 v43, v42, v43, -v44
	s_delay_alu instid0(VALU_DEP_1) | instskip(NEXT) | instid1(VALU_DEP_1)
	v_fmac_f32_e32 v43, v42, v41
	v_add_f32_e32 v41, v44, v43
	s_delay_alu instid0(VALU_DEP_1) | instskip(NEXT) | instid1(VALU_DEP_1)
	v_sub_f32_e32 v46, v11, v41
	v_dual_sub_f32 v44, v41, v44 :: v_dual_sub_f32 v11, v11, v46
	s_delay_alu instid0(VALU_DEP_1) | instskip(NEXT) | instid1(VALU_DEP_2)
	v_sub_f32_e32 v11, v11, v41
	v_sub_f32_e32 v41, v44, v43
	s_delay_alu instid0(VALU_DEP_2) | instskip(SKIP_1) | instid1(VALU_DEP_2)
	v_add_f32_e32 v9, v9, v11
	v_add_f32_e32 v11, v45, v42
	v_add_f32_e32 v9, v41, v9
	s_delay_alu instid0(VALU_DEP_2) | instskip(NEXT) | instid1(VALU_DEP_2)
	v_sub_f32_e32 v41, v11, v45
	v_add_f32_e32 v9, v46, v9
	s_delay_alu instid0(VALU_DEP_2) | instskip(NEXT) | instid1(VALU_DEP_2)
	v_sub_f32_e32 v41, v42, v41
	v_mul_f32_e32 v9, v10, v9
	s_delay_alu instid0(VALU_DEP_1) | instskip(NEXT) | instid1(VALU_DEP_1)
	v_add_f32_e32 v9, v41, v9
	v_add_f32_e32 v10, v11, v9
	s_delay_alu instid0(VALU_DEP_1) | instskip(NEXT) | instid1(VALU_DEP_1)
	v_mul_f32_e32 v41, v10, v10
	v_fmaak_f32 v42, s42, v41, 0x3ecc95a3
	v_mul_f32_e32 v43, v10, v41
	s_delay_alu instid0(VALU_DEP_2) | instskip(SKIP_1) | instid1(VALU_DEP_2)
	v_fmaak_f32 v41, v41, v42, 0x3f2aaada
	v_ldexp_f32 v42, v10, 1
	v_dual_sub_f32 v10, v10, v11 :: v_dual_mul_f32 v41, v43, v41
	v_mul_f32_e32 v43, 0x3f317218, v8
	s_delay_alu instid0(VALU_DEP_2) | instskip(NEXT) | instid1(VALU_DEP_3)
	v_sub_f32_e32 v9, v9, v10
	v_add_f32_e32 v11, v42, v41
	s_delay_alu instid0(VALU_DEP_2) | instskip(NEXT) | instid1(VALU_DEP_2)
	v_ldexp_f32 v9, v9, 1
	v_sub_f32_e32 v10, v11, v42
	v_fma_f32 v42, 0x3f317218, v8, -v43
	s_delay_alu instid0(VALU_DEP_2) | instskip(NEXT) | instid1(VALU_DEP_2)
	v_sub_f32_e32 v10, v41, v10
	v_fmac_f32_e32 v42, 0xb102e308, v8
	s_delay_alu instid0(VALU_DEP_2) | instskip(NEXT) | instid1(VALU_DEP_2)
	v_add_f32_e32 v8, v9, v10
	v_add_f32_e32 v9, v43, v42
	s_delay_alu instid0(VALU_DEP_1) | instskip(NEXT) | instid1(VALU_DEP_1)
	v_dual_add_f32 v10, v11, v8 :: v_dual_sub_f32 v43, v9, v43
	v_add_f32_e32 v41, v9, v10
	v_sub_f32_e32 v11, v10, v11
	s_delay_alu instid0(VALU_DEP_3) | instskip(NEXT) | instid1(VALU_DEP_3)
	v_sub_f32_e32 v42, v42, v43
	v_sub_f32_e32 v44, v41, v9
	s_delay_alu instid0(VALU_DEP_1) | instskip(SKIP_1) | instid1(VALU_DEP_2)
	v_dual_sub_f32 v8, v8, v11 :: v_dual_sub_f32 v45, v41, v44
	v_sub_f32_e32 v10, v10, v44
	v_add_f32_e32 v11, v42, v8
	s_delay_alu instid0(VALU_DEP_3) | instskip(NEXT) | instid1(VALU_DEP_1)
	v_sub_f32_e32 v9, v9, v45
	v_dual_add_f32 v9, v10, v9 :: v_dual_sub_f32 v10, v11, v42
	s_delay_alu instid0(VALU_DEP_1) | instskip(NEXT) | instid1(VALU_DEP_2)
	v_add_f32_e32 v9, v11, v9
	v_sub_f32_e32 v11, v11, v10
	s_delay_alu instid0(VALU_DEP_2) | instskip(NEXT) | instid1(VALU_DEP_1)
	v_dual_sub_f32 v8, v8, v10 :: v_dual_add_f32 v43, v41, v9
	v_dual_sub_f32 v11, v42, v11 :: v_dual_sub_f32 v10, v43, v41
	s_delay_alu instid0(VALU_DEP_1) | instskip(NEXT) | instid1(VALU_DEP_1)
	v_dual_add_f32 v8, v8, v11 :: v_dual_sub_f32 v9, v9, v10
	v_add_f32_e32 v8, v8, v9
	s_delay_alu instid0(VALU_DEP_1) | instskip(NEXT) | instid1(VALU_DEP_1)
	v_add_f32_e32 v8, v43, v8
	v_cndmask_b32_e32 v45, v8, v6, vcc_lo
.LBB132_32:                             ;   in Loop: Header=BB132_12 Depth=1
	s_or_b32 exec_lo, exec_lo, s17
	v_add_f32_e32 v46, s58, v7
	s_delay_alu instid0(VALU_DEP_1) | instskip(SKIP_1) | instid1(SALU_CYCLE_1)
	v_cmp_ge_f32_e32 vcc_lo, 0x41a00000, v46
	s_and_b32 s16, s66, vcc_lo
	s_and_saveexec_b32 s17, s16
	s_cbranch_execz .LBB132_34
; %bb.33:                               ;   in Loop: Header=BB132_12 Depth=1
	v_mul_f32_e32 v6, 0x3fb8aa3b, v46
	v_cmp_ngt_f32_e32 vcc_lo, 0xc2ce8ed0, v46
	s_delay_alu instid0(VALU_DEP_2) | instskip(SKIP_1) | instid1(VALU_DEP_2)
	v_rndne_f32_e32 v7, v6
	v_fma_f32 v8, 0x3fb8aa3b, v46, -v6
	v_sub_f32_e32 v6, v6, v7
	s_delay_alu instid0(VALU_DEP_2) | instskip(SKIP_1) | instid1(VALU_DEP_2)
	v_fmac_f32_e32 v8, 0x32a5705f, v46
	v_cvt_i32_f32_e32 v7, v7
	v_add_f32_e32 v6, v6, v8
	s_delay_alu instid0(VALU_DEP_1) | instskip(SKIP_2) | instid1(VALU_DEP_1)
	v_exp_f32_e32 v6, v6
	s_waitcnt_depctr 0xfff
	v_ldexp_f32 v6, v6, v7
	v_cndmask_b32_e32 v6, 0, v6, vcc_lo
	v_cmp_nlt_f32_e32 vcc_lo, 0x42b17218, v46
	s_delay_alu instid0(VALU_DEP_2) | instskip(NEXT) | instid1(VALU_DEP_1)
	v_cndmask_b32_e32 v8, 0x7f800000, v6, vcc_lo
	v_add_f32_e32 v9, 1.0, v8
	s_delay_alu instid0(VALU_DEP_1) | instskip(NEXT) | instid1(VALU_DEP_1)
	v_cvt_f64_f32_e32 v[6:7], v9
	v_frexp_exp_i32_f64_e32 v6, v[6:7]
	v_frexp_mant_f32_e32 v7, v9
	s_delay_alu instid0(VALU_DEP_1) | instskip(SKIP_1) | instid1(VALU_DEP_1)
	v_cmp_gt_f32_e32 vcc_lo, 0x3f2aaaab, v7
	v_add_f32_e32 v7, -1.0, v9
	v_sub_f32_e32 v11, v7, v9
	s_delay_alu instid0(VALU_DEP_1) | instskip(SKIP_1) | instid1(VALU_DEP_1)
	v_add_f32_e32 v11, 1.0, v11
	v_subrev_co_ci_u32_e32 v6, vcc_lo, 0, v6, vcc_lo
	v_sub_nc_u32_e32 v10, 0, v6
	v_cvt_f32_i32_e32 v6, v6
	s_delay_alu instid0(VALU_DEP_2) | instskip(NEXT) | instid1(VALU_DEP_1)
	v_ldexp_f32 v9, v9, v10
	v_add_f32_e32 v41, 1.0, v9
	v_sub_f32_e32 v7, v8, v7
	v_cmp_eq_f32_e32 vcc_lo, 0x7f800000, v8
	v_cmp_gt_f32_e64 s16, 0x33800000, v8
	s_delay_alu instid0(VALU_DEP_3) | instskip(NEXT) | instid1(VALU_DEP_2)
	v_add_f32_e32 v7, v7, v11
	s_or_b32 vcc_lo, s16, vcc_lo
	s_delay_alu instid0(VALU_DEP_1) | instskip(SKIP_1) | instid1(VALU_DEP_1)
	v_ldexp_f32 v7, v7, v10
	v_add_f32_e32 v10, -1.0, v9
	v_dual_add_f32 v11, -1.0, v41 :: v_dual_add_f32 v42, 1.0, v10
	s_delay_alu instid0(VALU_DEP_1) | instskip(NEXT) | instid1(VALU_DEP_2)
	v_sub_f32_e32 v11, v9, v11
	v_sub_f32_e32 v9, v9, v42
	s_delay_alu instid0(VALU_DEP_2) | instskip(NEXT) | instid1(VALU_DEP_1)
	v_add_f32_e32 v11, v7, v11
	v_dual_add_f32 v7, v7, v9 :: v_dual_add_f32 v42, v41, v11
	s_delay_alu instid0(VALU_DEP_1) | instskip(NEXT) | instid1(VALU_DEP_2)
	v_add_f32_e32 v43, v10, v7
	v_rcp_f32_e32 v9, v42
	s_delay_alu instid0(VALU_DEP_1) | instskip(NEXT) | instid1(VALU_DEP_1)
	v_dual_sub_f32 v41, v41, v42 :: v_dual_sub_f32 v10, v10, v43
	v_add_f32_e32 v7, v7, v10
	s_waitcnt_depctr 0xfff
	v_mul_f32_e32 v44, v43, v9
	s_delay_alu instid0(VALU_DEP_1) | instskip(NEXT) | instid1(VALU_DEP_1)
	v_dual_mul_f32 v46, v42, v44 :: v_dual_add_f32 v11, v11, v41
	v_fma_f32 v41, v44, v42, -v46
	s_delay_alu instid0(VALU_DEP_1) | instskip(NEXT) | instid1(VALU_DEP_1)
	v_fmac_f32_e32 v41, v44, v11
	v_add_f32_e32 v47, v46, v41
	s_delay_alu instid0(VALU_DEP_1) | instskip(SKIP_1) | instid1(VALU_DEP_1)
	v_sub_f32_e32 v10, v47, v46
	v_sub_f32_e32 v48, v43, v47
	v_dual_sub_f32 v10, v10, v41 :: v_dual_sub_f32 v43, v43, v48
	s_delay_alu instid0(VALU_DEP_1) | instskip(NEXT) | instid1(VALU_DEP_1)
	v_sub_f32_e32 v43, v43, v47
	v_add_f32_e32 v7, v7, v43
	s_delay_alu instid0(VALU_DEP_1) | instskip(NEXT) | instid1(VALU_DEP_1)
	v_add_f32_e32 v7, v10, v7
	v_add_f32_e32 v10, v48, v7
	s_delay_alu instid0(VALU_DEP_1) | instskip(SKIP_1) | instid1(VALU_DEP_2)
	v_mul_f32_e32 v41, v9, v10
	v_sub_f32_e32 v47, v48, v10
	v_mul_f32_e32 v43, v42, v41
	s_delay_alu instid0(VALU_DEP_2) | instskip(NEXT) | instid1(VALU_DEP_2)
	v_add_f32_e32 v7, v7, v47
	v_fma_f32 v42, v41, v42, -v43
	s_delay_alu instid0(VALU_DEP_1) | instskip(NEXT) | instid1(VALU_DEP_1)
	v_fmac_f32_e32 v42, v41, v11
	v_add_f32_e32 v11, v43, v42
	s_delay_alu instid0(VALU_DEP_1) | instskip(NEXT) | instid1(VALU_DEP_1)
	v_sub_f32_e32 v46, v10, v11
	v_dual_sub_f32 v43, v11, v43 :: v_dual_sub_f32 v10, v10, v46
	s_delay_alu instid0(VALU_DEP_1) | instskip(NEXT) | instid1(VALU_DEP_1)
	v_dual_sub_f32 v10, v10, v11 :: v_dual_sub_f32 v11, v43, v42
	v_dual_add_f32 v7, v7, v10 :: v_dual_add_f32 v10, v44, v41
	s_delay_alu instid0(VALU_DEP_1) | instskip(NEXT) | instid1(VALU_DEP_2)
	v_add_f32_e32 v7, v11, v7
	v_sub_f32_e32 v11, v10, v44
	s_delay_alu instid0(VALU_DEP_2) | instskip(NEXT) | instid1(VALU_DEP_2)
	v_add_f32_e32 v7, v46, v7
	v_sub_f32_e32 v11, v41, v11
	s_delay_alu instid0(VALU_DEP_2) | instskip(NEXT) | instid1(VALU_DEP_1)
	v_mul_f32_e32 v7, v9, v7
	v_add_f32_e32 v7, v11, v7
	s_delay_alu instid0(VALU_DEP_1) | instskip(NEXT) | instid1(VALU_DEP_1)
	v_add_f32_e32 v9, v10, v7
	v_mul_f32_e32 v11, v9, v9
	s_delay_alu instid0(VALU_DEP_1) | instskip(NEXT) | instid1(VALU_DEP_1)
	v_fmaak_f32 v41, s42, v11, 0x3ecc95a3
	v_dual_mul_f32 v42, v9, v11 :: v_dual_fmaak_f32 v11, v11, v41, 0x3f2aaada
	v_ldexp_f32 v41, v9, 1
	v_sub_f32_e32 v9, v9, v10
	s_delay_alu instid0(VALU_DEP_3) | instskip(NEXT) | instid1(VALU_DEP_1)
	v_dual_mul_f32 v11, v42, v11 :: v_dual_mul_f32 v42, 0x3f317218, v6
	v_dual_sub_f32 v7, v7, v9 :: v_dual_add_f32 v10, v41, v11
	s_delay_alu instid0(VALU_DEP_1) | instskip(NEXT) | instid1(VALU_DEP_2)
	v_ldexp_f32 v7, v7, 1
	v_sub_f32_e32 v9, v10, v41
	s_delay_alu instid0(VALU_DEP_4) | instskip(NEXT) | instid1(VALU_DEP_2)
	v_fma_f32 v41, 0x3f317218, v6, -v42
	v_sub_f32_e32 v9, v11, v9
	s_delay_alu instid0(VALU_DEP_1) | instskip(NEXT) | instid1(VALU_DEP_1)
	v_dual_fmac_f32 v41, 0xb102e308, v6 :: v_dual_add_f32 v6, v7, v9
	v_add_f32_e32 v7, v42, v41
	s_delay_alu instid0(VALU_DEP_2) | instskip(NEXT) | instid1(VALU_DEP_2)
	v_add_f32_e32 v9, v10, v6
	v_sub_f32_e32 v42, v7, v42
	s_delay_alu instid0(VALU_DEP_2) | instskip(NEXT) | instid1(VALU_DEP_2)
	v_dual_add_f32 v11, v7, v9 :: v_dual_sub_f32 v10, v9, v10
	v_sub_f32_e32 v41, v41, v42
	s_delay_alu instid0(VALU_DEP_2) | instskip(NEXT) | instid1(VALU_DEP_1)
	v_dual_sub_f32 v43, v11, v7 :: v_dual_sub_f32 v6, v6, v10
	v_sub_f32_e32 v44, v11, v43
	v_sub_f32_e32 v9, v9, v43
	s_delay_alu instid0(VALU_DEP_2) | instskip(NEXT) | instid1(VALU_DEP_1)
	v_dual_add_f32 v10, v41, v6 :: v_dual_sub_f32 v7, v7, v44
	v_add_f32_e32 v7, v9, v7
	s_delay_alu instid0(VALU_DEP_2) | instskip(NEXT) | instid1(VALU_DEP_2)
	v_sub_f32_e32 v9, v10, v41
	v_add_f32_e32 v7, v10, v7
	s_delay_alu instid0(VALU_DEP_2) | instskip(SKIP_1) | instid1(VALU_DEP_3)
	v_sub_f32_e32 v10, v10, v9
	v_sub_f32_e32 v6, v6, v9
	v_add_f32_e32 v42, v11, v7
	s_delay_alu instid0(VALU_DEP_1) | instskip(NEXT) | instid1(VALU_DEP_1)
	v_dual_sub_f32 v10, v41, v10 :: v_dual_sub_f32 v9, v42, v11
	v_dual_add_f32 v6, v6, v10 :: v_dual_sub_f32 v7, v7, v9
	s_delay_alu instid0(VALU_DEP_1) | instskip(NEXT) | instid1(VALU_DEP_1)
	v_add_f32_e32 v6, v6, v7
	v_add_f32_e32 v6, v42, v6
	s_delay_alu instid0(VALU_DEP_1)
	v_cndmask_b32_e32 v46, v6, v8, vcc_lo
.LBB132_34:                             ;   in Loop: Header=BB132_12 Depth=1
	s_or_b32 exec_lo, exec_lo, s17
	v_dual_mul_f32 v41, s59, v4 :: v_dual_mul_f32 v42, s59, v3
	v_dual_mul_f32 v44, s59, v2 :: v_dual_mul_f32 v43, s59, v5
	s_and_b32 vcc_lo, exec_lo, s67
	s_barrier
	buffer_gl0_inv
	s_cbranch_vccz .LBB132_82
; %bb.35:                               ;   in Loop: Header=BB132_12 Depth=1
	v_dual_mul_f32 v47, v5, v46 :: v_dual_mul_f32 v52, v4, v45
	v_add_co_u32 v5, s16, s49, v37
	s_delay_alu instid0(VALU_DEP_1) | instskip(SKIP_1) | instid1(VALU_DEP_1)
	v_add_co_ci_u32_e64 v6, null, s50, 0, s16
	v_add_co_u32 v7, s16, s37, v37
	v_add_co_ci_u32_e64 v8, null, s62, 0, s16
	s_delay_alu instid0(VALU_DEP_4) | instskip(NEXT) | instid1(VALU_DEP_4)
	v_add_co_u32 v48, vcc_lo, v5, v38
	v_add_co_ci_u32_e32 v49, vcc_lo, 0, v6, vcc_lo
	s_delay_alu instid0(VALU_DEP_4) | instskip(NEXT) | instid1(VALU_DEP_4)
	v_add_co_u32 v50, vcc_lo, v7, v38
	v_add_co_ci_u32_e32 v51, vcc_lo, 0, v8, vcc_lo
	v_cmp_gt_u32_e32 vcc_lo, s19, v12
	v_cmp_gt_u32_e64 s17, s19, v34
	v_cmp_gt_u32_e64 s18, s19, v35
	;; [unrolled: 1-line block ×3, first 2 shown]
	s_cmp_lg_u32 s54, 0
	v_dual_mul_f32 v53, v3, v40 :: v_dual_mul_f32 v54, v2, v39
	s_cselect_b32 s31, -1, 0
	s_cmp_eq_u32 s54, s69
	s_mov_b32 s28, s24
	s_cselect_b32 s55, -1, 0
	s_or_b32 s16, s68, vcc_lo
	s_or_b32 s17, s68, s17
	s_or_b32 s18, s68, s18
	;; [unrolled: 1-line block ×3, first 2 shown]
	s_mov_b32 s34, 0
	s_mov_b32 s38, 0
	;; [unrolled: 1-line block ×5, first 2 shown]
	s_branch .LBB132_37
.LBB132_36:                             ;   in Loop: Header=BB132_37 Depth=2
	s_or_b32 exec_lo, exec_lo, s20
	v_cndmask_b32_e64 v6, v64, v11, s11
	v_cndmask_b32_e64 v7, v63, v10, s11
	s_add_i32 s56, s56, -1
	s_add_i32 s57, s57, 8
	s_add_i32 s40, s40, s52
	v_fma_f32 v6, v6, v62, v60
	v_mul_f32_e32 v7, v7, v62
	s_add_i32 s38, s38, s36
	s_add_i32 s34, s34, s48
	;; [unrolled: 1-line block ×3, first 2 shown]
	v_cndmask_b32_e64 v6, v6, v60, s10
	v_cndmask_b32_e64 v7, v7, v62, s10
	s_cmp_eq_u32 s56, 0
	s_waitcnt lgkmcnt(0)
	s_delay_alu instid0(VALU_DEP_1) | instskip(NEXT) | instid1(VALU_DEP_1)
	v_fmac_f32_e32 v6, v8, v7
	v_fmac_f32_e32 v55, v6, v59
	s_delay_alu instid0(VALU_DEP_1) | instskip(NEXT) | instid1(VALU_DEP_1)
	v_fmac_f32_e32 v56, v55, v61
	v_fmac_f32_e32 v57, v56, v58
	v_dual_fmac_f32 v41, v2, v56 :: v_dual_fmac_f32 v44, v4, v6
	s_delay_alu instid0(VALU_DEP_2)
	v_dual_fmac_f32 v42, v5, v55 :: v_dual_fmac_f32 v43, v3, v57
	s_cbranch_scc1 .LBB132_82
.LBB132_37:                             ;   Parent Loop BB132_12 Depth=1
                                        ; =>  This Inner Loop Header: Depth=2
	s_lshl_b64 s[20:21], s[28:29], 2
	s_mov_b32 s35, s29
	s_add_u32 s20, s61, s20
	s_addc_u32 s21, s46, s21
	s_mov_b32 s25, s24
	global_load_b32 v55, v1, s[20:21]
	s_lshl_b64 s[20:21], s[34:35], 2
	s_mov_b32 s26, s24
	s_mov_b32 s27, s24
	v_add_co_u32 v6, vcc_lo, v48, s20
	v_dual_mov_b32 v2, s24 :: v_dual_mov_b32 v3, s25
	v_add_co_ci_u32_e32 v7, vcc_lo, s21, v49, vcc_lo
	v_dual_mov_b32 v4, s26 :: v_dual_mov_b32 v5, s27
	v_mov_b32_e32 v8, 0
	s_and_saveexec_b32 s20, s12
	s_cbranch_execnz .LBB132_49
; %bb.38:                               ;   in Loop: Header=BB132_37 Depth=2
	s_or_b32 exec_lo, exec_lo, s20
	s_and_saveexec_b32 s20, s13
	s_cbranch_execnz .LBB132_50
.LBB132_39:                             ;   in Loop: Header=BB132_37 Depth=2
	s_or_b32 exec_lo, exec_lo, s20
	s_and_saveexec_b32 s20, s14
	s_cbranch_execnz .LBB132_51
.LBB132_40:                             ;   in Loop: Header=BB132_37 Depth=2
	s_or_b32 exec_lo, exec_lo, s20
	s_and_saveexec_b32 s20, s15
	s_cbranch_execz .LBB132_42
.LBB132_41:                             ;   in Loop: Header=BB132_37 Depth=2
	global_load_b32 v5, v[6:7], off offset:384
.LBB132_42:                             ;   in Loop: Header=BB132_37 Depth=2
	s_or_b32 exec_lo, exec_lo, s20
	s_waitcnt vmcnt(0)
	ds_store_b32 v17, v8
	ds_store_b32 v18, v3 offset:128
	ds_store_b32 v19, v4 offset:256
	;; [unrolled: 1-line block ×3, first 2 shown]
	; wave barrier
	ds_load_2addr_b32 v[10:11], v21 offset1:1
	ds_load_2addr_b32 v[8:9], v21 offset0:2 offset1:3
	s_mov_b32 s39, s29
	s_mov_b32 s72, s29
	s_lshl_b64 s[20:21], s[38:39], 2
	s_mov_b32 s73, s29
	s_mov_b32 s74, s29
	;; [unrolled: 1-line block ×3, first 2 shown]
	v_add_co_u32 v6, vcc_lo, v50, s20
	v_dual_mov_b32 v2, s72 :: v_dual_mov_b32 v3, s73
	v_add_co_ci_u32_e32 v7, vcc_lo, s21, v51, vcc_lo
	v_dual_mov_b32 v4, s74 :: v_dual_mov_b32 v5, s75
	v_mov_b32_e32 v56, 0
	s_and_saveexec_b32 s20, s12
	s_cbranch_execnz .LBB132_52
; %bb.43:                               ;   in Loop: Header=BB132_37 Depth=2
	s_or_b32 exec_lo, exec_lo, s20
	s_and_saveexec_b32 s20, s13
	s_cbranch_execnz .LBB132_53
.LBB132_44:                             ;   in Loop: Header=BB132_37 Depth=2
	s_or_b32 exec_lo, exec_lo, s20
	s_and_saveexec_b32 s20, s14
	s_cbranch_execnz .LBB132_54
.LBB132_45:                             ;   in Loop: Header=BB132_37 Depth=2
	s_or_b32 exec_lo, exec_lo, s20
	s_and_saveexec_b32 s20, s15
	s_cbranch_execz .LBB132_47
.LBB132_46:                             ;   in Loop: Header=BB132_37 Depth=2
	global_load_b32 v5, v[6:7], off offset:384
.LBB132_47:                             ;   in Loop: Header=BB132_37 Depth=2
	s_or_b32 exec_lo, exec_lo, s20
	v_add_nc_u32_e32 v2, 0x420, v21
	s_waitcnt vmcnt(0)
	ds_store_b32 v17, v56 offset:1056
	ds_store_b32 v22, v3 offset:128
	;; [unrolled: 1-line block ×4, first 2 shown]
	; wave barrier
	ds_load_2addr_b32 v[4:5], v2 offset1:1
	ds_load_2addr_b32 v[2:3], v25 offset0:2 offset1:3
	s_and_not1_b32 vcc_lo, exec_lo, s31
	s_cbranch_vccnz .LBB132_55
; %bb.48:                               ;   in Loop: Header=BB132_37 Depth=2
	v_mov_b32_e32 v6, s57
	ds_load_b64 v[6:7], v6
	s_cbranch_execz .LBB132_56
	s_branch .LBB132_59
.LBB132_49:                             ;   in Loop: Header=BB132_37 Depth=2
	global_load_b32 v8, v[6:7], off
	v_mov_b32_e32 v3, v1
	v_mov_b32_e32 v2, v1
	s_delay_alu instid0(VALU_DEP_2) | instskip(NEXT) | instid1(VALU_DEP_2)
	v_mov_b32_e32 v5, v3
	v_dual_mov_b32 v4, v2 :: v_dual_mov_b32 v3, v1
	v_mov_b32_e32 v2, v0
	s_or_b32 exec_lo, exec_lo, s20
	s_and_saveexec_b32 s20, s13
	s_cbranch_execz .LBB132_39
.LBB132_50:                             ;   in Loop: Header=BB132_37 Depth=2
	global_load_b32 v3, v[6:7], off offset:128
	s_or_b32 exec_lo, exec_lo, s20
	s_and_saveexec_b32 s20, s14
	s_cbranch_execz .LBB132_40
.LBB132_51:                             ;   in Loop: Header=BB132_37 Depth=2
	global_load_b32 v4, v[6:7], off offset:256
	s_or_b32 exec_lo, exec_lo, s20
	s_and_saveexec_b32 s20, s15
	s_cbranch_execnz .LBB132_41
	s_branch .LBB132_42
.LBB132_52:                             ;   in Loop: Header=BB132_37 Depth=2
	global_load_b32 v56, v[6:7], off
	v_mov_b32_e32 v3, v1
	v_mov_b32_e32 v2, v1
	s_delay_alu instid0(VALU_DEP_2) | instskip(NEXT) | instid1(VALU_DEP_2)
	v_mov_b32_e32 v5, v3
	v_dual_mov_b32 v4, v2 :: v_dual_mov_b32 v3, v1
	v_mov_b32_e32 v2, v0
	s_or_b32 exec_lo, exec_lo, s20
	s_and_saveexec_b32 s20, s13
	s_cbranch_execz .LBB132_44
.LBB132_53:                             ;   in Loop: Header=BB132_37 Depth=2
	global_load_b32 v3, v[6:7], off offset:128
	s_or_b32 exec_lo, exec_lo, s20
	s_and_saveexec_b32 s20, s14
	s_cbranch_execz .LBB132_45
.LBB132_54:                             ;   in Loop: Header=BB132_37 Depth=2
	global_load_b32 v4, v[6:7], off offset:256
	s_or_b32 exec_lo, exec_lo, s20
	s_and_saveexec_b32 s20, s15
	s_cbranch_execnz .LBB132_46
	s_branch .LBB132_47
.LBB132_55:                             ;   in Loop: Header=BB132_37 Depth=2
                                        ; implicit-def: $vgpr6
.LBB132_56:                             ;   in Loop: Header=BB132_37 Depth=2
	s_waitcnt lgkmcnt(0)
	v_mov_b32_e32 v7, 0
	s_and_not1_b32 vcc_lo, exec_lo, s33
	s_cbranch_vccnz .LBB132_58
; %bb.57:                               ;   in Loop: Header=BB132_37 Depth=2
	s_mov_b32 s41, s29
	s_delay_alu instid0(SALU_CYCLE_1) | instskip(NEXT) | instid1(SALU_CYCLE_1)
	s_lshl_b64 s[20:21], s[40:41], 2
	s_add_u32 s20, s53, s20
	s_addc_u32 s21, s63, s21
	global_load_b32 v7, v1, s[20:21]
.LBB132_58:                             ;   in Loop: Header=BB132_37 Depth=2
	v_mov_b32_e32 v6, 1.0
.LBB132_59:                             ;   in Loop: Header=BB132_37 Depth=2
	s_waitcnt lgkmcnt(7)
	v_dual_mul_f32 v55, 0x3fb8aa3b, v55 :: v_dual_mul_f32 v10, v10, v54
	s_waitcnt lgkmcnt(6)
	v_dual_mul_f32 v11, v11, v53 :: v_dual_mul_f32 v8, v8, v52
	v_mul_f32_e32 v9, v9, v47
	s_delay_alu instid0(VALU_DEP_3) | instskip(SKIP_2) | instid1(VALU_DEP_3)
	v_mul_f32_e32 v57, v55, v40
	v_mul_f32_e32 v58, v55, v45
	;; [unrolled: 1-line block ×3, first 2 shown]
	v_cmp_gt_f32_e64 s20, 0xc2fc0000, v57
	s_delay_alu instid0(VALU_DEP_3) | instskip(NEXT) | instid1(VALU_DEP_3)
	v_cmp_gt_f32_e64 s21, 0xc2fc0000, v58
	v_cmp_gt_f32_e64 s22, 0xc2fc0000, v59
	s_delay_alu instid0(VALU_DEP_3) | instskip(SKIP_1) | instid1(VALU_DEP_4)
	v_cndmask_b32_e64 v57, 0, 0x42800000, s20
	v_cndmask_b32_e64 v60, 1.0, 0x1f800000, s20
	v_cndmask_b32_e64 v58, 0, 0x42800000, s21
	s_delay_alu instid0(VALU_DEP_4) | instskip(SKIP_2) | instid1(VALU_DEP_4)
	v_cndmask_b32_e64 v59, 0, 0x42800000, s22
	v_cndmask_b32_e64 v61, 1.0, 0x1f800000, s21
	v_fmac_f32_e32 v57, v55, v40
	v_fmac_f32_e32 v58, v55, v45
	s_delay_alu instid0(VALU_DEP_4) | instskip(NEXT) | instid1(VALU_DEP_3)
	v_fmac_f32_e32 v59, v55, v46
	v_exp_f32_e32 v57, v57
	v_mul_f32_e32 v56, v55, v39
	s_delay_alu instid0(VALU_DEP_2)
	v_exp_f32_e32 v63, v59
	s_waitcnt_depctr 0xfff
	v_mul_f32_e32 v57, v57, v60
	v_cmp_gt_f32_e32 vcc_lo, 0xc2fc0000, v56
	v_cndmask_b32_e64 v60, 0, v10, s16
	v_cndmask_b32_e64 v10, 1.0, 0x1f800000, s22
	s_delay_alu instid0(VALU_DEP_4) | instskip(SKIP_2) | instid1(VALU_DEP_2)
	v_cndmask_b32_e64 v59, 1.0, v57, s17
	v_cndmask_b32_e64 v56, 0, 0x42800000, vcc_lo
	v_cndmask_b32_e64 v57, 0, v9, s19
	v_fmac_f32_e32 v56, v55, v39
	v_exp_f32_e32 v55, v58
	v_cndmask_b32_e64 v58, 1.0, 0x1f800000, vcc_lo
	s_delay_alu instid0(VALU_DEP_2) | instskip(SKIP_4) | instid1(VALU_DEP_3)
	v_exp_f32_e32 v56, v56
	s_waitcnt_depctr 0xfff
	v_mul_f32_e32 v56, v56, v58
	v_mul_f32_e32 v58, v55, v61
	v_cndmask_b32_e64 v55, 0, v11, s17
	v_cndmask_b32_e64 v62, 1.0, v56, s16
	v_cndmask_b32_e64 v56, 0, v8, s18
	v_mul_f32_e32 v8, v63, v10
	v_cndmask_b32_e64 v61, 1.0, v58, s18
	v_fma_f32 v11, v59, v60, v55
	v_mul_f32_e32 v10, v59, v62
	s_delay_alu instid0(VALU_DEP_4) | instskip(NEXT) | instid1(VALU_DEP_3)
	v_cndmask_b32_e64 v58, 1.0, v8, s19
	v_fma_f32 v9, v11, v61, v56
	s_delay_alu instid0(VALU_DEP_3) | instskip(NEXT) | instid1(VALU_DEP_2)
	v_mul_f32_e32 v8, v10, v61
	v_fma_f32 v9, v9, v58, v57
	s_delay_alu instid0(VALU_DEP_2) | instskip(NEXT) | instid1(VALU_DEP_2)
	v_mul_f32_e32 v8, v8, v58
	v_mov_b32_dpp v10, v9 row_shr:1 row_mask:0xf bank_mask:0xf
	s_delay_alu instid0(VALU_DEP_2)
	v_mov_b32_dpp v11, v8 row_shr:1 row_mask:0xf bank_mask:0xf
	s_and_saveexec_b32 s20, s0
; %bb.60:                               ;   in Loop: Header=BB132_37 Depth=2
	s_delay_alu instid0(VALU_DEP_1) | instskip(NEXT) | instid1(VALU_DEP_1)
	v_mul_f32_e32 v11, v8, v11
	v_dual_fmac_f32 v9, v8, v10 :: v_dual_mov_b32 v8, v11
; %bb.61:                               ;   in Loop: Header=BB132_37 Depth=2
	s_or_b32 exec_lo, exec_lo, s20
	s_delay_alu instid0(VALU_DEP_1) | instskip(NEXT) | instid1(VALU_DEP_2)
	v_mov_b32_dpp v10, v8 row_shr:2 row_mask:0xf bank_mask:0xf
	v_mov_b32_dpp v11, v9 row_shr:2 row_mask:0xf bank_mask:0xf
	s_and_saveexec_b32 s20, s1
; %bb.62:                               ;   in Loop: Header=BB132_37 Depth=2
	s_delay_alu instid0(VALU_DEP_1) | instskip(NEXT) | instid1(VALU_DEP_3)
	v_fmac_f32_e32 v9, v8, v11
	v_mul_f32_e32 v8, v8, v10
; %bb.63:                               ;   in Loop: Header=BB132_37 Depth=2
	s_or_b32 exec_lo, exec_lo, s20
	s_delay_alu instid0(VALU_DEP_1) | instskip(NEXT) | instid1(VALU_DEP_3)
	v_mov_b32_dpp v10, v8 row_shr:4 row_mask:0xf bank_mask:0xf
	v_mov_b32_dpp v11, v9 row_shr:4 row_mask:0xf bank_mask:0xf
	s_and_saveexec_b32 s20, s2
; %bb.64:                               ;   in Loop: Header=BB132_37 Depth=2
	s_delay_alu instid0(VALU_DEP_1) | instskip(NEXT) | instid1(VALU_DEP_3)
	v_fmac_f32_e32 v9, v8, v11
	v_mul_f32_e32 v8, v8, v10
; %bb.65:                               ;   in Loop: Header=BB132_37 Depth=2
	s_or_b32 exec_lo, exec_lo, s20
	s_delay_alu instid0(VALU_DEP_1) | instskip(NEXT) | instid1(VALU_DEP_3)
	v_mov_b32_dpp v10, v8 row_shr:8 row_mask:0xf bank_mask:0xf
	v_mov_b32_dpp v11, v9 row_shr:8 row_mask:0xf bank_mask:0xf
	s_and_saveexec_b32 s20, s3
; %bb.66:                               ;   in Loop: Header=BB132_37 Depth=2
	s_delay_alu instid0(VALU_DEP_1) | instskip(NEXT) | instid1(VALU_DEP_3)
	v_fmac_f32_e32 v9, v8, v11
	v_mul_f32_e32 v8, v8, v10
; %bb.67:                               ;   in Loop: Header=BB132_37 Depth=2
	s_or_b32 exec_lo, exec_lo, s20
	ds_swizzle_b32 v11, v8 offset:swizzle(BROADCAST,32,15)
	ds_swizzle_b32 v10, v9 offset:swizzle(BROADCAST,32,15)
	s_and_saveexec_b32 s20, s4
	s_cbranch_execz .LBB132_69
; %bb.68:                               ;   in Loop: Header=BB132_37 Depth=2
	s_waitcnt lgkmcnt(1)
	v_mul_f32_e32 v11, v8, v11
	s_waitcnt lgkmcnt(0)
	s_delay_alu instid0(VALU_DEP_1)
	v_dual_fmac_f32 v9, v8, v10 :: v_dual_mov_b32 v8, v11
.LBB132_69:                             ;   in Loop: Header=BB132_37 Depth=2
	s_or_b32 exec_lo, exec_lo, s20
	s_and_saveexec_b32 s20, s5
	s_cbranch_execz .LBB132_71
; %bb.70:                               ;   in Loop: Header=BB132_37 Depth=2
	ds_store_b64 v26, v[8:9] offset:2112
.LBB132_71:                             ;   in Loop: Header=BB132_37 Depth=2
	s_or_b32 exec_lo, exec_lo, s20
	s_waitcnt vmcnt(0) lgkmcnt(0)
	s_waitcnt_vscnt null, 0x0
	s_barrier
	buffer_gl0_inv
	s_and_saveexec_b32 s20, s6
	s_cbranch_execz .LBB132_73
; %bb.72:                               ;   in Loop: Header=BB132_37 Depth=2
	ds_load_b64 v[10:11], v27 offset:2112
	s_waitcnt lgkmcnt(0)
	v_mov_b32_dpp v63, v10 row_shr:1 row_mask:0xf bank_mask:0xf
	v_mov_b32_dpp v64, v11 row_shr:1 row_mask:0xf bank_mask:0xf
	s_delay_alu instid0(VALU_DEP_2) | instskip(NEXT) | instid1(VALU_DEP_2)
	v_mul_f32_e32 v63, v10, v63
	v_fma_f32 v64, v10, v64, v11
	s_delay_alu instid0(VALU_DEP_2) | instskip(NEXT) | instid1(VALU_DEP_2)
	v_cndmask_b32_e64 v10, v63, v10, s7
	v_cndmask_b32_e64 v11, v64, v11, s7
	ds_store_b64 v27, v[10:11] offset:2112
.LBB132_73:                             ;   in Loop: Header=BB132_37 Depth=2
	s_or_b32 exec_lo, exec_lo, s20
	s_waitcnt lgkmcnt(0)
	s_barrier
	buffer_gl0_inv
                                        ; implicit-def: $vgpr11
	s_and_saveexec_b32 s20, s9
	s_cbranch_execz .LBB132_75
; %bb.74:                               ;   in Loop: Header=BB132_37 Depth=2
	ds_load_b64 v[10:11], v26 offset:2104
	s_waitcnt lgkmcnt(0)
	v_mul_f32_e32 v63, v8, v10
	s_delay_alu instid0(VALU_DEP_1)
	v_dual_fmac_f32 v9, v8, v11 :: v_dual_mov_b32 v8, v63
.LBB132_75:                             ;   in Loop: Header=BB132_37 Depth=2
	s_or_b32 exec_lo, exec_lo, s20
	ds_bpermute_b32 v63, v28, v8
	ds_bpermute_b32 v64, v28, v9
	s_and_saveexec_b32 s20, s8
	s_cbranch_execz .LBB132_79
; %bb.76:                               ;   in Loop: Header=BB132_37 Depth=2
	ds_load_b64 v[8:9], v1 offset:2120
	s_and_saveexec_b32 s21, s10
	s_cbranch_execz .LBB132_78
; %bb.77:                               ;   in Loop: Header=BB132_37 Depth=2
	ds_store_b64 v1, v[6:7] offset:2120
.LBB132_78:                             ;   in Loop: Header=BB132_37 Depth=2
	s_or_b32 exec_lo, exec_lo, s21
	s_waitcnt lgkmcnt(0)
	v_fmac_f32_e32 v9, v7, v8
	s_delay_alu instid0(VALU_DEP_1)
	v_dual_mul_f32 v6, v6, v8 :: v_dual_mov_b32 v7, v9
.LBB132_79:                             ;   in Loop: Header=BB132_37 Depth=2
	s_or_b32 exec_lo, exec_lo, s20
	s_waitcnt lgkmcnt(0)
	s_barrier
	buffer_gl0_inv
	ds_load_b32 v8, v1 offset:2124
	s_and_saveexec_b32 s20, s10
	s_cbranch_execz .LBB132_36
; %bb.80:                               ;   in Loop: Header=BB132_37 Depth=2
	v_mov_b32_e32 v9, s57
	s_and_not1_b32 vcc_lo, exec_lo, s55
	ds_store_b64 v9, v[6:7]
	s_cbranch_vccnz .LBB132_36
; %bb.81:                               ;   in Loop: Header=BB132_37 Depth=2
	s_mov_b32 s41, s29
	s_delay_alu instid0(SALU_CYCLE_1) | instskip(NEXT) | instid1(SALU_CYCLE_1)
	s_lshl_b64 s[26:27], s[40:41], 2
	s_add_u32 s26, s53, s26
	s_addc_u32 s27, s63, s27
	global_store_b32 v1, v7, s[26:27]
	s_branch .LBB132_36
.LBB132_82:                             ;   in Loop: Header=BB132_12 Depth=1
	s_waitcnt_vscnt null, 0x0
	s_barrier
	buffer_gl0_inv
	ds_store_2addr_b32 v21, v44, v42 offset1:1
	ds_store_2addr_b32 v21, v41, v43 offset0:2 offset1:3
	; wave barrier
	ds_load_b32 v6, v18 offset:128
	ds_load_b32 v5, v19 offset:256
	;; [unrolled: 1-line block ×3, first 2 shown]
	s_mov_b32 s31, s29
	s_delay_alu instid0(SALU_CYCLE_1) | instskip(NEXT) | instid1(SALU_CYCLE_1)
	s_lshl_b64 s[20:21], s[30:31], 2
	v_add_co_u32 v2, vcc_lo, v0, s20
	v_add_co_ci_u32_e32 v3, vcc_lo, s21, v29, vcc_lo
	s_and_saveexec_b32 s16, s12
	s_cbranch_execnz .LBB132_98
; %bb.83:                               ;   in Loop: Header=BB132_12 Depth=1
	s_or_b32 exec_lo, exec_lo, s16
	s_and_saveexec_b32 s16, s13
	s_cbranch_execnz .LBB132_99
.LBB132_84:                             ;   in Loop: Header=BB132_12 Depth=1
	s_or_b32 exec_lo, exec_lo, s16
	s_and_saveexec_b32 s16, s14
	s_cbranch_execnz .LBB132_100
.LBB132_85:                             ;   in Loop: Header=BB132_12 Depth=1
	s_or_b32 exec_lo, exec_lo, s16
	s_and_saveexec_b32 s16, s15
	s_cbranch_execz .LBB132_87
.LBB132_86:                             ;   in Loop: Header=BB132_12 Depth=1
	s_waitcnt lgkmcnt(0)
	global_store_b32 v[2:3], v4, off offset:384
.LBB132_87:                             ;   in Loop: Header=BB132_12 Depth=1
	s_or_b32 exec_lo, exec_lo, s16
	s_mov_b32 s28, s29
	s_mov_b32 s30, s29
	;; [unrolled: 1-line block ×3, first 2 shown]
	s_waitcnt lgkmcnt(2)
	v_add_co_u32 v6, vcc_lo, v30, s20
	s_waitcnt lgkmcnt(0)
	v_dual_mov_b32 v2, s28 :: v_dual_mov_b32 v3, s29
	v_add_co_ci_u32_e32 v7, vcc_lo, s21, v31, vcc_lo
	v_dual_mov_b32 v4, s30 :: v_dual_mov_b32 v5, s31
	v_mov_b32_e32 v8, 0
	s_waitcnt_vscnt null, 0x0
	s_barrier
	buffer_gl0_inv
	s_and_saveexec_b32 s16, s12
	s_cbranch_execnz .LBB132_101
; %bb.88:                               ;   in Loop: Header=BB132_12 Depth=1
	s_or_b32 exec_lo, exec_lo, s16
	s_and_saveexec_b32 s16, s13
	s_cbranch_execnz .LBB132_102
.LBB132_89:                             ;   in Loop: Header=BB132_12 Depth=1
	s_or_b32 exec_lo, exec_lo, s16
	s_and_saveexec_b32 s16, s14
	s_cbranch_execnz .LBB132_103
.LBB132_90:                             ;   in Loop: Header=BB132_12 Depth=1
	s_or_b32 exec_lo, exec_lo, s16
	s_and_saveexec_b32 s16, s15
	s_cbranch_execz .LBB132_92
.LBB132_91:                             ;   in Loop: Header=BB132_12 Depth=1
	global_load_b32 v5, v[6:7], off offset:384
.LBB132_92:                             ;   in Loop: Header=BB132_12 Depth=1
	s_or_b32 exec_lo, exec_lo, s16
	s_waitcnt vmcnt(0)
	ds_store_b32 v17, v8
	ds_store_b32 v18, v3 offset:128
	ds_store_b32 v19, v4 offset:256
	;; [unrolled: 1-line block ×3, first 2 shown]
	; wave barrier
	ds_load_2addr_b32 v[2:3], v21 offset1:1
	ds_load_2addr_b32 v[4:5], v21 offset0:2 offset1:3
	s_waitcnt lgkmcnt(0)
	s_barrier
	buffer_gl0_inv
	v_dual_mul_f32 v6, 0xbfb8aa3b, v2 :: v_dual_mul_f32 v7, 0xbfb8aa3b, v3
	v_dual_mul_f32 v8, 0xbfb8aa3b, v4 :: v_dual_mul_f32 v9, 0xbfb8aa3b, v5
	v_cmp_nlt_f32_e32 vcc_lo, 0x42ce8ed0, v2
	s_delay_alu instid0(VALU_DEP_3)
	v_rndne_f32_e32 v10, v6
	v_fma_f32 v11, 0xbfb8aa3b, v2, -v6
	v_rndne_f32_e32 v39, v7
	v_fma_f32 v40, 0xbfb8aa3b, v3, -v7
	v_rndne_f32_e32 v45, v8
	v_rndne_f32_e32 v47, v9
	v_fma_f32 v48, 0xbfb8aa3b, v5, -v9
	v_dual_sub_f32 v6, v6, v10 :: v_dual_sub_f32 v7, v7, v39
	v_dual_fmac_f32 v11, 0xb2a5705f, v2 :: v_dual_fmac_f32 v40, 0xb2a5705f, v3
	v_fma_f32 v46, 0xbfb8aa3b, v4, -v8
	v_dual_sub_f32 v8, v8, v45 :: v_dual_sub_f32 v9, v9, v47
	s_delay_alu instid0(VALU_DEP_3) | instskip(NEXT) | instid1(VALU_DEP_4)
	v_dual_fmac_f32 v48, 0xb2a5705f, v5 :: v_dual_add_f32 v7, v7, v40
	v_add_f32_e32 v6, v6, v11
	v_cvt_i32_f32_e32 v10, v10
	v_cvt_i32_f32_e32 v11, v39
	s_delay_alu instid0(VALU_DEP_4)
	v_add_f32_e32 v9, v9, v48
	v_exp_f32_e32 v7, v7
	v_exp_f32_e32 v6, v6
	v_cvt_i32_f32_e32 v40, v47
	v_cvt_i32_f32_e32 v39, v45
	v_exp_f32_e32 v9, v9
	s_delay_alu instid0(TRANS32_DEP_3) | instskip(SKIP_3) | instid1(VALU_DEP_2)
	v_ldexp_f32 v7, v7, v11
	s_waitcnt_depctr 0xfff
	v_ldexp_f32 v6, v6, v10
	v_ldexp_f32 v9, v9, v40
	v_cndmask_b32_e32 v6, 0, v6, vcc_lo
	v_cmp_nlt_f32_e32 vcc_lo, 0x42ce8ed0, v3
	v_dual_fmac_f32 v46, 0xb2a5705f, v4 :: v_dual_cndmask_b32 v7, 0, v7
	s_delay_alu instid0(VALU_DEP_1) | instskip(SKIP_1) | instid1(VALU_DEP_2)
	v_add_f32_e32 v8, v8, v46
	v_cmp_nlt_f32_e32 vcc_lo, 0x42ce8ed0, v4
	v_exp_f32_e32 v8, v8
	s_waitcnt_depctr 0xfff
	v_ldexp_f32 v8, v8, v39
	s_delay_alu instid0(VALU_DEP_1)
	v_cndmask_b32_e32 v8, 0, v8, vcc_lo
	v_cmp_nlt_f32_e32 vcc_lo, 0x42ce8ed0, v5
	v_cndmask_b32_e32 v9, 0, v9, vcc_lo
	v_cmp_ngt_f32_e32 vcc_lo, 0xc2b17218, v2
	v_cndmask_b32_e32 v6, 0x7f800000, v6, vcc_lo
	v_cmp_ngt_f32_e32 vcc_lo, 0xc2b17218, v3
	s_delay_alu instid0(VALU_DEP_2) | instskip(SKIP_1) | instid1(VALU_DEP_2)
	v_dual_add_f32 v6, 1.0, v6 :: v_dual_cndmask_b32 v7, 0x7f800000, v7
	v_cmp_ngt_f32_e32 vcc_lo, 0xc2b17218, v4
	v_div_scale_f32 v10, null, v6, v6, v2
	v_cndmask_b32_e32 v8, 0x7f800000, v8, vcc_lo
	v_cmp_ngt_f32_e32 vcc_lo, 0xc2b17218, v5
	v_add_f32_e32 v7, 1.0, v7
	s_delay_alu instid0(VALU_DEP_4) | instskip(NEXT) | instid1(VALU_DEP_3)
	v_rcp_f32_e32 v45, v10
	v_dual_add_f32 v8, 1.0, v8 :: v_dual_cndmask_b32 v9, 0x7f800000, v9
	s_delay_alu instid0(VALU_DEP_2) | instskip(SKIP_1) | instid1(VALU_DEP_3)
	v_div_scale_f32 v11, null, v7, v7, v3
	v_div_scale_f32 v50, s16, v3, v7, v3
	v_add_f32_e32 v9, 1.0, v9
	s_delay_alu instid0(VALU_DEP_3) | instskip(SKIP_1) | instid1(TRANS32_DEP_2)
	v_rcp_f32_e32 v46, v11
	v_div_scale_f32 v39, null, v8, v8, v4
	v_fma_f32 v52, -v10, v45, 1.0
	s_delay_alu instid0(VALU_DEP_3) | instskip(NEXT) | instid1(VALU_DEP_3)
	v_div_scale_f32 v40, null, v9, v9, v5
	v_rcp_f32_e32 v47, v39
	v_div_scale_f32 v56, s18, v5, v9, v5
	s_delay_alu instid0(VALU_DEP_2) | instskip(NEXT) | instid1(TRANS32_DEP_3)
	v_rcp_f32_e32 v48, v40
	v_fma_f32 v53, -v11, v46, 1.0
	v_div_scale_f32 v49, vcc_lo, v2, v6, v2
	v_fmac_f32_e32 v45, v52, v45
	v_div_scale_f32 v51, s17, v4, v8, v4
	s_delay_alu instid0(TRANS32_DEP_2) | instskip(SKIP_2) | instid1(VALU_DEP_1)
	v_fma_f32 v54, -v39, v47, 1.0
	s_waitcnt_depctr 0xfff
	v_fma_f32 v55, -v40, v48, 1.0
	v_dual_fmac_f32 v47, v54, v47 :: v_dual_fmac_f32 v48, v55, v48
	s_delay_alu instid0(VALU_DEP_1) | instskip(NEXT) | instid1(VALU_DEP_1)
	v_dual_fmac_f32 v46, v53, v46 :: v_dual_mul_f32 v55, v56, v48
	v_mul_f32_e32 v53, v50, v46
	s_delay_alu instid0(VALU_DEP_2) | instskip(NEXT) | instid1(VALU_DEP_2)
	v_fma_f32 v60, -v40, v55, v56
	v_fma_f32 v58, -v11, v53, v50
	v_mul_f32_e32 v52, v49, v45
	s_delay_alu instid0(VALU_DEP_3) | instskip(NEXT) | instid1(VALU_DEP_3)
	v_dual_mul_f32 v54, v51, v47 :: v_dual_fmac_f32 v55, v60, v48
	v_fmac_f32_e32 v53, v58, v46
	s_delay_alu instid0(VALU_DEP_3) | instskip(NEXT) | instid1(VALU_DEP_3)
	v_fma_f32 v57, -v10, v52, v49
	v_fma_f32 v59, -v39, v54, v51
	s_delay_alu instid0(VALU_DEP_4) | instskip(NEXT) | instid1(VALU_DEP_4)
	v_fma_f32 v40, -v40, v55, v56
	v_fma_f32 v11, -v11, v53, v50
	s_delay_alu instid0(VALU_DEP_4) | instskip(NEXT) | instid1(VALU_DEP_4)
	v_fmac_f32_e32 v52, v57, v45
	v_fmac_f32_e32 v54, v59, v47
	s_delay_alu instid0(VALU_DEP_2) | instskip(NEXT) | instid1(VALU_DEP_2)
	v_fma_f32 v10, -v10, v52, v49
	v_fma_f32 v39, -v39, v54, v51
	s_delay_alu instid0(VALU_DEP_2) | instskip(SKIP_3) | instid1(VALU_DEP_2)
	v_div_fmas_f32 v10, v10, v45, v52
	s_mov_b32 vcc_lo, s16
	v_div_fmas_f32 v11, v11, v46, v53
	s_mov_b32 vcc_lo, s17
	v_div_fixup_f32 v2, v10, v6, v2
	v_div_fmas_f32 v39, v39, v47, v54
	s_mov_b32 vcc_lo, s18
	v_div_fixup_f32 v3, v11, v7, v3
	v_div_fmas_f32 v40, v40, v48, v55
	s_delay_alu instid0(VALU_DEP_3) | instskip(NEXT) | instid1(VALU_DEP_3)
	v_div_fixup_f32 v4, v39, v8, v4
	v_mul_f32_e32 v3, v3, v42
	s_delay_alu instid0(VALU_DEP_3) | instskip(SKIP_1) | instid1(VALU_DEP_2)
	v_div_fixup_f32 v5, v40, v9, v5
	v_mul_f32_e32 v2, v2, v44
	v_dual_mul_f32 v4, v4, v41 :: v_dual_mul_f32 v5, v5, v43
	ds_store_2addr_b32 v21, v2, v3 offset1:1
	ds_store_2addr_b32 v21, v4, v5 offset0:2 offset1:3
	; wave barrier
	ds_load_b32 v6, v18 offset:128
	ds_load_b32 v5, v19 offset:256
	;; [unrolled: 1-line block ×3, first 2 shown]
	v_add_co_u32 v2, vcc_lo, v32, s20
	v_add_co_ci_u32_e32 v3, vcc_lo, s21, v33, vcc_lo
	s_and_saveexec_b32 s16, s12
	s_cbranch_execnz .LBB132_104
; %bb.93:                               ;   in Loop: Header=BB132_12 Depth=1
	s_or_b32 exec_lo, exec_lo, s16
	s_and_saveexec_b32 s12, s13
	s_cbranch_execnz .LBB132_105
.LBB132_94:                             ;   in Loop: Header=BB132_12 Depth=1
	s_or_b32 exec_lo, exec_lo, s12
	s_and_saveexec_b32 s12, s14
	s_cbranch_execnz .LBB132_106
.LBB132_95:                             ;   in Loop: Header=BB132_12 Depth=1
	s_or_b32 exec_lo, exec_lo, s12
	s_and_saveexec_b32 s12, s15
	s_cbranch_execz .LBB132_11
	s_branch .LBB132_107
.LBB132_96:                             ;   in Loop: Header=BB132_12 Depth=1
	global_load_b32 v10, v[6:7], off offset:128
	s_or_b32 exec_lo, exec_lo, s16
	s_and_saveexec_b32 s16, s14
	s_cbranch_execz .LBB132_24
.LBB132_97:                             ;   in Loop: Header=BB132_12 Depth=1
	global_load_b32 v9, v[6:7], off offset:256
	s_or_b32 exec_lo, exec_lo, s16
	v_mov_b32_e32 v11, 0
	s_and_saveexec_b32 s16, s15
	s_cbranch_execnz .LBB132_25
	s_branch .LBB132_26
.LBB132_98:                             ;   in Loop: Header=BB132_12 Depth=1
	ds_load_b32 v7, v17
	s_waitcnt lgkmcnt(0)
	global_store_b32 v[2:3], v7, off
	s_or_b32 exec_lo, exec_lo, s16
	s_and_saveexec_b32 s16, s13
	s_cbranch_execz .LBB132_84
.LBB132_99:                             ;   in Loop: Header=BB132_12 Depth=1
	s_waitcnt lgkmcnt(2)
	global_store_b32 v[2:3], v6, off offset:128
	s_or_b32 exec_lo, exec_lo, s16
	s_and_saveexec_b32 s16, s14
	s_cbranch_execz .LBB132_85
.LBB132_100:                            ;   in Loop: Header=BB132_12 Depth=1
	s_waitcnt lgkmcnt(1)
	global_store_b32 v[2:3], v5, off offset:256
	s_or_b32 exec_lo, exec_lo, s16
	s_and_saveexec_b32 s16, s15
	s_cbranch_execnz .LBB132_86
	s_branch .LBB132_87
.LBB132_101:                            ;   in Loop: Header=BB132_12 Depth=1
	global_load_b32 v8, v[6:7], off
	v_mov_b32_e32 v3, v1
	v_mov_b32_e32 v2, v1
	s_delay_alu instid0(VALU_DEP_2) | instskip(NEXT) | instid1(VALU_DEP_2)
	v_mov_b32_e32 v5, v3
	v_dual_mov_b32 v4, v2 :: v_dual_mov_b32 v3, v1
	v_mov_b32_e32 v2, v0
	s_or_b32 exec_lo, exec_lo, s16
	s_and_saveexec_b32 s16, s13
	s_cbranch_execz .LBB132_89
.LBB132_102:                            ;   in Loop: Header=BB132_12 Depth=1
	global_load_b32 v3, v[6:7], off offset:128
	s_or_b32 exec_lo, exec_lo, s16
	s_and_saveexec_b32 s16, s14
	s_cbranch_execz .LBB132_90
.LBB132_103:                            ;   in Loop: Header=BB132_12 Depth=1
	global_load_b32 v4, v[6:7], off offset:256
	s_or_b32 exec_lo, exec_lo, s16
	s_and_saveexec_b32 s16, s15
	s_cbranch_execnz .LBB132_91
	s_branch .LBB132_92
.LBB132_104:                            ;   in Loop: Header=BB132_12 Depth=1
	ds_load_b32 v7, v17
	s_waitcnt lgkmcnt(0)
	global_store_b32 v[2:3], v7, off
	s_or_b32 exec_lo, exec_lo, s16
	s_and_saveexec_b32 s12, s13
	s_cbranch_execz .LBB132_94
.LBB132_105:                            ;   in Loop: Header=BB132_12 Depth=1
	s_waitcnt lgkmcnt(2)
	global_store_b32 v[2:3], v6, off offset:128
	s_or_b32 exec_lo, exec_lo, s12
	s_and_saveexec_b32 s12, s14
	s_cbranch_execz .LBB132_95
.LBB132_106:                            ;   in Loop: Header=BB132_12 Depth=1
	s_waitcnt lgkmcnt(1)
	global_store_b32 v[2:3], v5, off offset:256
	s_or_b32 exec_lo, exec_lo, s12
	s_and_saveexec_b32 s12, s15
	s_cbranch_execz .LBB132_11
.LBB132_107:                            ;   in Loop: Header=BB132_12 Depth=1
	s_waitcnt lgkmcnt(0)
	global_store_b32 v[2:3], v4, off offset:384
	s_branch .LBB132_11
.LBB132_108:
	s_nop 0
	s_sendmsg sendmsg(MSG_DEALLOC_VGPRS)
	s_endpgm
	.section	.rodata,"a",@progbits
	.p2align	6, 0x0
	.amdhsa_kernel _Z25selective_scan_fwd_kernelI32Selective_Scan_fwd_kernel_traitsILi64ELi4ELi1ELb0ELb1ELb1ELb1ELb1EfffEEv13SSMParamsBase
		.amdhsa_group_segment_fixed_size 0
		.amdhsa_private_segment_fixed_size 0
		.amdhsa_kernarg_size 248
		.amdhsa_user_sgpr_count 14
		.amdhsa_user_sgpr_dispatch_ptr 0
		.amdhsa_user_sgpr_queue_ptr 0
		.amdhsa_user_sgpr_kernarg_segment_ptr 1
		.amdhsa_user_sgpr_dispatch_id 0
		.amdhsa_user_sgpr_private_segment_size 0
		.amdhsa_wavefront_size32 1
		.amdhsa_uses_dynamic_stack 0
		.amdhsa_enable_private_segment 0
		.amdhsa_system_sgpr_workgroup_id_x 1
		.amdhsa_system_sgpr_workgroup_id_y 1
		.amdhsa_system_sgpr_workgroup_id_z 0
		.amdhsa_system_sgpr_workgroup_info 0
		.amdhsa_system_vgpr_workitem_id 0
		.amdhsa_next_free_vgpr 65
		.amdhsa_next_free_sgpr 76
		.amdhsa_reserve_vcc 1
		.amdhsa_float_round_mode_32 0
		.amdhsa_float_round_mode_16_64 0
		.amdhsa_float_denorm_mode_32 3
		.amdhsa_float_denorm_mode_16_64 3
		.amdhsa_dx10_clamp 1
		.amdhsa_ieee_mode 1
		.amdhsa_fp16_overflow 0
		.amdhsa_workgroup_processor_mode 1
		.amdhsa_memory_ordered 1
		.amdhsa_forward_progress 0
		.amdhsa_shared_vgpr_count 0
		.amdhsa_exception_fp_ieee_invalid_op 0
		.amdhsa_exception_fp_denorm_src 0
		.amdhsa_exception_fp_ieee_div_zero 0
		.amdhsa_exception_fp_ieee_overflow 0
		.amdhsa_exception_fp_ieee_underflow 0
		.amdhsa_exception_fp_ieee_inexact 0
		.amdhsa_exception_int_div_zero 0
	.end_amdhsa_kernel
	.section	.text._Z25selective_scan_fwd_kernelI32Selective_Scan_fwd_kernel_traitsILi64ELi4ELi1ELb0ELb1ELb1ELb1ELb1EfffEEv13SSMParamsBase,"axG",@progbits,_Z25selective_scan_fwd_kernelI32Selective_Scan_fwd_kernel_traitsILi64ELi4ELi1ELb0ELb1ELb1ELb1ELb1EfffEEv13SSMParamsBase,comdat
.Lfunc_end132:
	.size	_Z25selective_scan_fwd_kernelI32Selective_Scan_fwd_kernel_traitsILi64ELi4ELi1ELb0ELb1ELb1ELb1ELb1EfffEEv13SSMParamsBase, .Lfunc_end132-_Z25selective_scan_fwd_kernelI32Selective_Scan_fwd_kernel_traitsILi64ELi4ELi1ELb0ELb1ELb1ELb1ELb1EfffEEv13SSMParamsBase
                                        ; -- End function
	.section	.AMDGPU.csdata,"",@progbits
; Kernel info:
; codeLenInByte = 8320
; NumSgprs: 78
; NumVgprs: 65
; ScratchSize: 0
; MemoryBound: 0
; FloatMode: 240
; IeeeMode: 1
; LDSByteSize: 0 bytes/workgroup (compile time only)
; SGPRBlocks: 9
; VGPRBlocks: 8
; NumSGPRsForWavesPerEU: 78
; NumVGPRsForWavesPerEU: 65
; Occupancy: 16
; WaveLimiterHint : 1
; COMPUTE_PGM_RSRC2:SCRATCH_EN: 0
; COMPUTE_PGM_RSRC2:USER_SGPR: 14
; COMPUTE_PGM_RSRC2:TRAP_HANDLER: 0
; COMPUTE_PGM_RSRC2:TGID_X_EN: 1
; COMPUTE_PGM_RSRC2:TGID_Y_EN: 1
; COMPUTE_PGM_RSRC2:TGID_Z_EN: 0
; COMPUTE_PGM_RSRC2:TIDIG_COMP_CNT: 0
	.section	.text._Z25selective_scan_fwd_kernelI32Selective_Scan_fwd_kernel_traitsILi64ELi4ELi1ELb0ELb1ELb1ELb1ELb0EfffEEv13SSMParamsBase,"axG",@progbits,_Z25selective_scan_fwd_kernelI32Selective_Scan_fwd_kernel_traitsILi64ELi4ELi1ELb0ELb1ELb1ELb1ELb0EfffEEv13SSMParamsBase,comdat
	.protected	_Z25selective_scan_fwd_kernelI32Selective_Scan_fwd_kernel_traitsILi64ELi4ELi1ELb0ELb1ELb1ELb1ELb0EfffEEv13SSMParamsBase ; -- Begin function _Z25selective_scan_fwd_kernelI32Selective_Scan_fwd_kernel_traitsILi64ELi4ELi1ELb0ELb1ELb1ELb1ELb0EfffEEv13SSMParamsBase
	.globl	_Z25selective_scan_fwd_kernelI32Selective_Scan_fwd_kernel_traitsILi64ELi4ELi1ELb0ELb1ELb1ELb1ELb0EfffEEv13SSMParamsBase
	.p2align	8
	.type	_Z25selective_scan_fwd_kernelI32Selective_Scan_fwd_kernel_traitsILi64ELi4ELi1ELb0ELb1ELb1ELb1ELb0EfffEEv13SSMParamsBase,@function
_Z25selective_scan_fwd_kernelI32Selective_Scan_fwd_kernel_traitsILi64ELi4ELi1ELb0ELb1ELb1ELb1ELb0EfffEEv13SSMParamsBase: ; @_Z25selective_scan_fwd_kernelI32Selective_Scan_fwd_kernel_traitsILi64ELi4ELi1ELb0ELb1ELb1ELb1ELb0EfffEEv13SSMParamsBase
; %bb.0:
	s_clause 0x1
	s_load_b32 s9, s[0:1], 0x18
	s_load_b128 s[4:7], s[0:1], 0xe8
	s_mov_b32 s12, s15
	s_mov_b32 s33, 0
	s_waitcnt lgkmcnt(0)
	s_abs_i32 s8, s9
	s_cmp_eq_u64 s[6:7], 0
	v_cvt_f32_u32_e32 v1, s8
	s_delay_alu instid0(VALU_DEP_1) | instskip(SKIP_2) | instid1(VALU_DEP_1)
	v_rcp_iflag_f32_e32 v1, v1
	s_waitcnt_depctr 0xfff
	v_mul_f32_e32 v1, 0x4f7ffffe, v1
	v_cvt_u32_f32_e32 v1, v1
	s_delay_alu instid0(VALU_DEP_1)
	v_readfirstlane_b32 s10, v1
	s_cbranch_scc1 .LBB133_2
; %bb.1:
	v_mov_b32_e32 v1, 0
	s_ashr_i32 s3, s14, 31
	s_add_u32 s2, s6, s14
	s_addc_u32 s3, s7, s3
	global_load_u8 v1, v1, s[2:3]
	s_waitcnt vmcnt(0)
	v_and_b32_e32 v1, 1, v1
	s_delay_alu instid0(VALU_DEP_1)
	v_cmp_eq_u32_e64 s33, 1, v1
.LBB133_2:
	s_load_b64 s[6:7], s[0:1], 0x20
	s_cmp_eq_u64 s[4:5], 0
	s_cbranch_scc1 .LBB133_4
; %bb.3:
	s_ashr_i32 s15, s14, 31
	s_delay_alu instid0(SALU_CYCLE_1) | instskip(NEXT) | instid1(SALU_CYCLE_1)
	s_lshl_b64 s[2:3], s[14:15], 2
	s_add_u32 s2, s4, s2
	s_addc_u32 s3, s5, s3
	s_load_b32 s2, s[2:3], 0x0
	s_waitcnt lgkmcnt(0)
	s_ashr_i32 s3, s2, 31
	s_delay_alu instid0(SALU_CYCLE_1)
	s_cmp_eq_u64 s[6:7], s[2:3]
	s_cbranch_scc0 .LBB133_5
	s_branch .LBB133_108
.LBB133_4:
	s_mov_b32 s2, s14
	s_delay_alu instid0(SALU_CYCLE_1)
	s_ashr_i32 s3, s2, 31
	s_waitcnt lgkmcnt(0)
	s_cmp_eq_u64 s[6:7], s[2:3]
	s_cbranch_scc1 .LBB133_108
.LBB133_5:
	s_clause 0x1
	s_load_b512 s[16:31], s[0:1], 0x88
	s_load_b64 s[34:35], s[0:1], 0x8
	s_mov_b32 s52, 0
	s_mov_b32 s53, 0
	s_waitcnt lgkmcnt(0)
	s_cmp_eq_u64 s[22:23], 0
	s_cbranch_scc1 .LBB133_7
; %bb.6:
	s_ashr_i32 s13, s12, 31
	s_delay_alu instid0(SALU_CYCLE_1) | instskip(NEXT) | instid1(SALU_CYCLE_1)
	s_lshl_b64 s[4:5], s[12:13], 2
	s_add_u32 s4, s22, s4
	s_addc_u32 s5, s23, s5
	s_load_b32 s53, s[4:5], 0x0
.LBB133_7:
	s_cmp_eq_u64 s[28:29], 0
	s_cbranch_scc1 .LBB133_9
; %bb.8:
	s_ashr_i32 s13, s12, 31
	s_delay_alu instid0(SALU_CYCLE_1) | instskip(NEXT) | instid1(SALU_CYCLE_1)
	s_lshl_b64 s[4:5], s[12:13], 2
	s_add_u32 s4, s28, s4
	s_addc_u32 s5, s29, s5
	s_load_b32 s52, s[4:5], 0x0
.LBB133_9:
	s_cmp_lt_i32 s34, 1
	s_cbranch_scc1 .LBB133_108
; %bb.10:
	s_sub_i32 s3, 0, s8
	s_load_b256 s[36:43], s[0:1], 0x4c
	s_mul_i32 s3, s3, s10
	s_abs_i32 s4, s12
	s_mul_hi_u32 s3, s10, s3
	s_ashr_i32 s6, s9, 31
	s_add_i32 s10, s10, s3
	s_ashr_i32 s3, s12, 31
	s_mul_hi_u32 s5, s4, s10
	s_xor_b32 s3, s3, s6
	s_mul_i32 s7, s5, s8
	s_add_i32 s6, s5, 1
	s_sub_i32 s4, s4, s7
	s_load_b256 s[44:51], s[0:1], 0x2c
	s_sub_i32 s7, s4, s8
	s_cmp_ge_u32 s4, s8
	s_mov_b32 s29, 0
	s_cselect_b32 s5, s6, s5
	s_cselect_b32 s4, s7, s4
	s_add_i32 s6, s5, 1
	s_cmp_ge_u32 s4, s8
	s_waitcnt lgkmcnt(0)
	s_mul_i32 s28, s38, s14
	s_cselect_b32 s6, s6, s5
	s_lshl_b64 s[4:5], s[28:29], 2
	s_xor_b32 s6, s6, s3
	s_mul_i32 s28, s39, s12
	s_sub_i32 s3, s6, s3
	s_add_u32 s6, s24, s4
	s_addc_u32 s7, s25, s5
	s_lshl_b64 s[4:5], s[28:29], 2
	s_mul_i32 s28, s40, s14
	s_add_u32 s23, s6, s4
	s_addc_u32 s47, s7, s5
	s_lshl_b64 s[4:5], s[28:29], 2
	s_mul_i32 s28, s41, s12
	;; [unrolled: 4-line block ×4, first 2 shown]
	s_load_b64 s[6:7], s[0:1], 0x7c
	s_add_u32 s54, s16, s4
	s_addc_u32 s46, s17, s5
	s_lshl_b64 s[4:5], s[28:29], 2
	s_mul_i32 s28, s3, s49
	s_load_b128 s[24:27], s[0:1], 0xc8
	s_add_u32 s8, s18, s4
	s_addc_u32 s9, s19, s5
	s_lshl_b64 s[4:5], s[28:29], 2
	s_mul_i32 s28, s50, s14
	s_add_u32 s49, s8, s4
	v_dual_mov_b32 v1, 0 :: v_dual_lshlrev_b32 v12, 2, v0
	s_addc_u32 s50, s9, s5
	s_lshl_b64 s[4:5], s[28:29], 2
	s_load_b128 s[16:19], s[0:1], 0x6c
	s_add_u32 s8, s20, s4
	s_mul_i32 s28, s3, s37
	s_addc_u32 s3, s21, s5
	s_clause 0x2
	s_load_b32 s37, s[0:1], 0x84
	s_load_b64 s[20:21], s[0:1], 0xd8
	s_load_b32 s0, s[0:1], 0x28
	v_mbcnt_lo_u32_b32 v2, -1, 0
	v_and_b32_e32 v3, 0x80, v12
	s_lshl_b64 s[4:5], s[28:29], 2
	s_waitcnt lgkmcnt(0)
	s_mul_i32 s28, s2, s6
	s_add_u32 s55, s8, s4
	s_addc_u32 s56, s3, s5
	v_or_b32_e32 v13, v2, v3
	s_lshl_b64 s[2:3], s[28:29], 2
	v_lshrrev_b32_e32 v4, 5, v3
	v_and_b32_e32 v5, 32, v0
	s_mul_i32 s28, s7, s12
	v_or_b32_e32 v14, 32, v13
	v_or_b32_e32 v15, 64, v13
	s_add_u32 s4, s24, s2
	s_addc_u32 s5, s25, s3
	s_lshl_b64 s[2:3], s[28:29], 2
	v_add_nc_u32_e32 v4, v4, v13
	s_add_u32 s57, s4, s2
	v_lshrrev_b32_e32 v6, 5, v14
	v_lshrrev_b32_e32 v7, 5, v15
	v_or_b32_e32 v16, 0x60, v13
	v_or_b32_e32 v8, v2, v5
	s_addc_u32 s58, s5, s3
	s_add_i32 s2, s34, 0x7ff
	v_lshl_add_u32 v17, v4, 2, 0
	s_lshr_b32 s59, s2, 11
	s_bitcmp1_b32 s0, 0
	v_add_lshl_u32 v4, v6, v13, 2
	v_add_lshl_u32 v6, v7, v13, 2
	v_lshrrev_b32_e32 v7, 5, v16
	v_lshlrev_b32_e32 v9, 2, v8
	v_bfe_u32 v8, v8, 3, 27
	s_cselect_b32 s60, -1, 0
	s_cmp_gt_i32 s35, 0
	v_add_nc_u32_e32 v18, 0, v4
	s_cselect_b32 s61, -1, 0
	s_add_i32 s0, 0, 0x420
	v_add_lshl_u32 v7, v7, v13, 2
	v_add_lshl_u32 v8, v8, v9, 2
	v_add_nc_u32_e32 v22, s0, v4
	v_and_b32_e32 v4, 15, v2
	s_and_b32 s1, s34, 0xff
	v_add_nc_u32_e32 v23, s0, v6
	v_add_nc_u32_e32 v24, s0, v7
	s_cmp_eq_u32 s1, 0
	v_add_nc_u32_e32 v25, s0, v8
	v_cmp_ne_u32_e64 s0, 0, v4
	v_cmp_lt_u32_e64 s1, 1, v4
	v_cmp_lt_u32_e64 s2, 3, v4
	;; [unrolled: 1-line block ×3, first 2 shown]
	v_add_nc_u32_e32 v4, -1, v2
	s_mul_i32 s28, s16, s14
	v_add_nc_u32_e32 v19, 0, v6
	s_cselect_b32 s62, -1, 0
	v_lshrrev_b32_e32 v6, 2, v0
	v_cmp_gt_i32_e32 vcc_lo, 0, v4
	s_lshl_b64 s[24:25], s[28:29], 2
	s_add_i32 s63, s59, -1
	s_mul_i32 s28, s17, s12
	v_or_b32_e32 v5, 31, v5
	v_cndmask_b32_e32 v4, v4, v2, vcc_lo
	s_add_u32 s13, s30, s24
	s_addc_u32 s15, s31, s25
	s_lshl_b64 s[16:17], s[28:29], 2
	s_mul_i32 s28, s42, s14
	v_and_b32_e32 v6, 8, v6
	v_lshlrev_b32_e32 v28, 2, v4
	s_add_u32 s13, s13, s16
	v_lshlrev_b32_e32 v4, 2, v2
	s_addc_u32 s15, s15, s17
	s_lshl_b64 s[16:17], s[28:29], 2
	v_cmp_eq_u32_e64 s5, v5, v0
	v_and_b32_e32 v5, 1, v2
	s_mul_i32 s28, s43, s12
	s_add_u32 s22, s26, s16
	s_addc_u32 s24, s27, s17
	s_lshl_b64 s[16:17], s[28:29], 2
	v_add_nc_u32_e32 v26, 0, v6
	v_cmp_gt_u32_e64 s6, 2, v0
	v_lshl_add_u32 v27, v0, 3, 0
	v_cmp_gt_u32_e64 s8, 32, v0
	v_cmp_lt_u32_e64 s9, 31, v0
	v_cmp_eq_u32_e64 s10, 0, v0
	v_add_co_u32 v0, s13, s13, v4
	s_mul_i32 s28, s18, s14
	v_lshlrev_b32_e32 v6, 2, v3
	s_add_u32 s16, s22, s16
	v_cmp_eq_u32_e64 s7, 0, v5
	v_add_co_ci_u32_e64 v5, null, s15, 0, s13
	s_addc_u32 s17, s24, s17
	s_lshl_b64 s[14:15], s[28:29], 2
	s_mul_i32 s28, s19, s12
	v_add_nc_u32_e32 v20, 0, v7
	v_and_b32_e32 v7, 16, v2
	s_add_u32 s14, s20, s14
	s_addc_u32 s15, s21, s15
	s_lshl_b64 s[12:13], s[28:29], 2
	v_add_co_u32 v0, vcc_lo, v0, v6
	v_add_co_ci_u32_e32 v29, vcc_lo, 0, v5, vcc_lo
	s_add_u32 s12, s14, s12
	v_add_co_u32 v5, s14, s16, v4
	v_cmp_ne_u32_e64 s4, 0, v7
	v_add_co_ci_u32_e64 v7, null, s17, 0, s14
	s_addc_u32 s13, s15, s13
	v_add_co_u32 v4, s12, s12, v4
	v_add_nc_u32_e32 v21, 0, v8
	v_add_co_ci_u32_e64 v8, null, s13, 0, s12
	v_add_co_u32 v30, vcc_lo, v5, v6
	v_add_co_ci_u32_e32 v31, vcc_lo, 0, v7, vcc_lo
	v_add_co_u32 v32, vcc_lo, v4, v6
	v_cmp_eq_u32_e64 s11, 0, v2
	v_add_co_ci_u32_e32 v33, vcc_lo, 0, v8, vcc_lo
	v_or_b32_e32 v34, 1, v12
	v_or_b32_e32 v35, 2, v12
	;; [unrolled: 1-line block ×3, first 2 shown]
	v_lshlrev_b32_e32 v37, 2, v2
	v_lshlrev_b32_e32 v38, 2, v3
	s_mov_b32 s64, 0x3e9b6dac
	s_add_i32 s65, 0, 0x850
	s_mov_b32 s66, 0
	s_mov_b32 s24, 0
	s_branch .LBB133_12
.LBB133_11:                             ;   in Loop: Header=BB133_12 Depth=1
	s_or_b32 exec_lo, exec_lo, s12
	s_add_u32 s51, s51, 0x400
	s_addc_u32 s44, s44, 0
	s_add_u32 s23, s23, 0x400
	s_addc_u32 s47, s47, 0
	;; [unrolled: 2-line block ×4, first 2 shown]
	s_add_i32 s66, s66, 1
	s_delay_alu instid0(SALU_CYCLE_1)
	s_cmp_lg_u32 s66, s59
	s_cbranch_scc0 .LBB133_108
.LBB133_12:                             ; =>This Loop Header: Depth=1
                                        ;     Child Loop BB133_37 Depth 2
	v_add_co_u32 v2, s12, s23, v37
	s_delay_alu instid0(VALU_DEP_1) | instskip(SKIP_1) | instid1(VALU_DEP_2)
	v_add_co_ci_u32_e64 v3, null, s47, 0, s12
	s_lshl_b32 s30, s66, 8
	v_add_co_u32 v2, vcc_lo, v2, v38
	s_sub_i32 s19, s34, s30
	s_delay_alu instid0(VALU_DEP_2)
	v_add_co_ci_u32_e32 v3, vcc_lo, 0, v3, vcc_lo
	v_cmp_gt_u32_e64 s12, s19, v13
	s_waitcnt lgkmcnt(0)
	v_mov_b32_e32 v4, v1
	s_waitcnt_vscnt null, 0x0
	s_barrier
	buffer_gl0_inv
	s_and_saveexec_b32 s13, s12
	s_cbranch_execz .LBB133_14
; %bb.13:                               ;   in Loop: Header=BB133_12 Depth=1
	global_load_b32 v4, v[2:3], off
.LBB133_14:                             ;   in Loop: Header=BB133_12 Depth=1
	s_or_b32 exec_lo, exec_lo, s13
	v_cmp_gt_u32_e64 s13, s19, v14
	v_dual_mov_b32 v5, 0 :: v_dual_mov_b32 v6, 0
	s_delay_alu instid0(VALU_DEP_2)
	s_and_saveexec_b32 s14, s13
	s_cbranch_execz .LBB133_16
; %bb.15:                               ;   in Loop: Header=BB133_12 Depth=1
	global_load_b32 v6, v[2:3], off offset:128
.LBB133_16:                             ;   in Loop: Header=BB133_12 Depth=1
	s_or_b32 exec_lo, exec_lo, s14
	v_cmp_gt_u32_e64 s14, s19, v15
	s_delay_alu instid0(VALU_DEP_1)
	s_and_saveexec_b32 s15, s14
	s_cbranch_execz .LBB133_18
; %bb.17:                               ;   in Loop: Header=BB133_12 Depth=1
	global_load_b32 v5, v[2:3], off offset:256
.LBB133_18:                             ;   in Loop: Header=BB133_12 Depth=1
	s_or_b32 exec_lo, exec_lo, s15
	v_cmp_gt_u32_e64 s15, s19, v16
	v_dual_mov_b32 v8, 0 :: v_dual_mov_b32 v7, 0
	s_delay_alu instid0(VALU_DEP_2)
	s_and_saveexec_b32 s16, s15
	s_cbranch_execz .LBB133_20
; %bb.19:                               ;   in Loop: Header=BB133_12 Depth=1
	global_load_b32 v7, v[2:3], off offset:384
.LBB133_20:                             ;   in Loop: Header=BB133_12 Depth=1
	s_or_b32 exec_lo, exec_lo, s16
	s_waitcnt vmcnt(0)
	ds_store_b32 v17, v4
	ds_store_b32 v18, v6 offset:128
	ds_store_b32 v19, v5 offset:256
	;; [unrolled: 1-line block ×3, first 2 shown]
	; wave barrier
	ds_load_2addr_b32 v[2:3], v21 offset1:1
	ds_load_2addr_b32 v[4:5], v21 offset0:2 offset1:3
	v_add_co_u32 v6, s16, s51, v37
	s_delay_alu instid0(VALU_DEP_1) | instskip(SKIP_1) | instid1(VALU_DEP_2)
	v_add_co_ci_u32_e64 v7, null, s44, 0, s16
	s_waitcnt lgkmcnt(0)
	v_add_co_u32 v6, vcc_lo, v6, v38
	s_delay_alu instid0(VALU_DEP_2)
	v_add_co_ci_u32_e32 v7, vcc_lo, 0, v7, vcc_lo
	s_barrier
	buffer_gl0_inv
	s_and_saveexec_b32 s16, s12
	s_cbranch_execz .LBB133_22
; %bb.21:                               ;   in Loop: Header=BB133_12 Depth=1
	global_load_b32 v8, v[6:7], off
.LBB133_22:                             ;   in Loop: Header=BB133_12 Depth=1
	s_or_b32 exec_lo, exec_lo, s16
	v_dual_mov_b32 v9, 0 :: v_dual_mov_b32 v10, 0
	s_and_saveexec_b32 s16, s13
	s_cbranch_execnz .LBB133_96
; %bb.23:                               ;   in Loop: Header=BB133_12 Depth=1
	s_or_b32 exec_lo, exec_lo, s16
	s_and_saveexec_b32 s16, s14
	s_cbranch_execnz .LBB133_97
.LBB133_24:                             ;   in Loop: Header=BB133_12 Depth=1
	s_or_b32 exec_lo, exec_lo, s16
	v_mov_b32_e32 v11, 0
	s_and_saveexec_b32 s16, s15
	s_cbranch_execz .LBB133_26
.LBB133_25:                             ;   in Loop: Header=BB133_12 Depth=1
	global_load_b32 v11, v[6:7], off offset:384
.LBB133_26:                             ;   in Loop: Header=BB133_12 Depth=1
	s_or_b32 exec_lo, exec_lo, s16
	s_waitcnt vmcnt(0)
	ds_store_b32 v17, v8
	ds_store_b32 v18, v10 offset:128
	ds_store_b32 v19, v9 offset:256
	;; [unrolled: 1-line block ×3, first 2 shown]
	; wave barrier
	ds_load_2addr_b32 v[8:9], v21 offset1:1
	ds_load_2addr_b32 v[6:7], v21 offset0:2 offset1:3
	s_waitcnt lgkmcnt(1)
	v_add_f32_e32 v39, s52, v8
	s_delay_alu instid0(VALU_DEP_1) | instskip(SKIP_1) | instid1(SALU_CYCLE_1)
	v_cmp_ge_f32_e32 vcc_lo, 0x41a00000, v39
	s_and_b32 s16, s60, vcc_lo
	s_and_saveexec_b32 s17, s16
	s_cbranch_execz .LBB133_28
; %bb.27:                               ;   in Loop: Header=BB133_12 Depth=1
	v_mul_f32_e32 v8, 0x3fb8aa3b, v39
	v_cmp_ngt_f32_e32 vcc_lo, 0xc2ce8ed0, v39
	s_delay_alu instid0(VALU_DEP_2) | instskip(SKIP_1) | instid1(VALU_DEP_1)
	v_rndne_f32_e32 v10, v8
	v_fma_f32 v11, 0x3fb8aa3b, v39, -v8
	v_dual_sub_f32 v8, v8, v10 :: v_dual_fmac_f32 v11, 0x32a5705f, v39
	v_cvt_i32_f32_e32 v10, v10
	s_delay_alu instid0(VALU_DEP_2) | instskip(NEXT) | instid1(VALU_DEP_1)
	v_add_f32_e32 v8, v8, v11
	v_exp_f32_e32 v8, v8
	s_waitcnt_depctr 0xfff
	v_ldexp_f32 v8, v8, v10
	s_delay_alu instid0(VALU_DEP_1) | instskip(SKIP_1) | instid1(VALU_DEP_2)
	v_cndmask_b32_e32 v8, 0, v8, vcc_lo
	v_cmp_nlt_f32_e32 vcc_lo, 0x42b17218, v39
	v_cndmask_b32_e32 v8, 0x7f800000, v8, vcc_lo
	s_delay_alu instid0(VALU_DEP_1) | instskip(NEXT) | instid1(VALU_DEP_1)
	v_add_f32_e32 v39, 1.0, v8
	v_cvt_f64_f32_e32 v[10:11], v39
	s_delay_alu instid0(VALU_DEP_1) | instskip(SKIP_1) | instid1(VALU_DEP_1)
	v_frexp_exp_i32_f64_e32 v10, v[10:11]
	v_frexp_mant_f32_e32 v11, v39
	v_cmp_gt_f32_e32 vcc_lo, 0x3f2aaaab, v11
	v_add_f32_e32 v11, -1.0, v39
	s_delay_alu instid0(VALU_DEP_1) | instskip(SKIP_2) | instid1(VALU_DEP_3)
	v_sub_f32_e32 v41, v11, v39
	v_sub_f32_e32 v11, v8, v11
	v_cmp_gt_f32_e64 s16, 0x33800000, v8
	v_add_f32_e32 v41, 1.0, v41
	s_delay_alu instid0(VALU_DEP_1) | instskip(SKIP_2) | instid1(VALU_DEP_2)
	v_add_f32_e32 v11, v11, v41
	v_subrev_co_ci_u32_e32 v10, vcc_lo, 0, v10, vcc_lo
	v_cmp_eq_f32_e32 vcc_lo, 0x7f800000, v8
	v_sub_nc_u32_e32 v40, 0, v10
	v_cvt_f32_i32_e32 v10, v10
	s_or_b32 vcc_lo, s16, vcc_lo
	s_delay_alu instid0(VALU_DEP_2) | instskip(SKIP_1) | instid1(VALU_DEP_2)
	v_ldexp_f32 v39, v39, v40
	v_ldexp_f32 v11, v11, v40
	v_add_f32_e32 v42, 1.0, v39
	s_delay_alu instid0(VALU_DEP_1) | instskip(NEXT) | instid1(VALU_DEP_1)
	v_dual_add_f32 v40, -1.0, v39 :: v_dual_add_f32 v41, -1.0, v42
	v_add_f32_e32 v43, 1.0, v40
	s_delay_alu instid0(VALU_DEP_2) | instskip(NEXT) | instid1(VALU_DEP_2)
	v_sub_f32_e32 v41, v39, v41
	v_sub_f32_e32 v39, v39, v43
	s_delay_alu instid0(VALU_DEP_2) | instskip(NEXT) | instid1(VALU_DEP_2)
	v_add_f32_e32 v41, v11, v41
	v_add_f32_e32 v11, v11, v39
	s_delay_alu instid0(VALU_DEP_1) | instskip(NEXT) | instid1(VALU_DEP_1)
	v_dual_add_f32 v44, v40, v11 :: v_dual_add_f32 v43, v42, v41
	v_sub_f32_e32 v40, v40, v44
	s_delay_alu instid0(VALU_DEP_2) | instskip(SKIP_1) | instid1(VALU_DEP_1)
	v_rcp_f32_e32 v39, v43
	v_sub_f32_e32 v42, v42, v43
	v_add_f32_e32 v41, v41, v42
	s_waitcnt_depctr 0xfff
	v_mul_f32_e32 v45, v44, v39
	s_delay_alu instid0(VALU_DEP_1) | instskip(NEXT) | instid1(VALU_DEP_1)
	v_mul_f32_e32 v46, v43, v45
	v_fma_f32 v42, v45, v43, -v46
	s_delay_alu instid0(VALU_DEP_1) | instskip(NEXT) | instid1(VALU_DEP_1)
	v_fmac_f32_e32 v42, v45, v41
	v_add_f32_e32 v47, v46, v42
	s_delay_alu instid0(VALU_DEP_1) | instskip(NEXT) | instid1(VALU_DEP_1)
	v_sub_f32_e32 v48, v44, v47
	v_sub_f32_e32 v44, v44, v48
	v_add_f32_e32 v11, v11, v40
	v_sub_f32_e32 v40, v47, v46
	s_delay_alu instid0(VALU_DEP_3) | instskip(NEXT) | instid1(VALU_DEP_1)
	v_sub_f32_e32 v44, v44, v47
	v_dual_sub_f32 v40, v40, v42 :: v_dual_add_f32 v11, v11, v44
	s_delay_alu instid0(VALU_DEP_1) | instskip(NEXT) | instid1(VALU_DEP_1)
	v_add_f32_e32 v11, v40, v11
	v_add_f32_e32 v40, v48, v11
	s_delay_alu instid0(VALU_DEP_1) | instskip(NEXT) | instid1(VALU_DEP_1)
	v_mul_f32_e32 v42, v39, v40
	v_dual_sub_f32 v47, v48, v40 :: v_dual_mul_f32 v44, v43, v42
	s_delay_alu instid0(VALU_DEP_1) | instskip(NEXT) | instid1(VALU_DEP_2)
	v_add_f32_e32 v11, v11, v47
	v_fma_f32 v43, v42, v43, -v44
	s_delay_alu instid0(VALU_DEP_1) | instskip(NEXT) | instid1(VALU_DEP_1)
	v_fmac_f32_e32 v43, v42, v41
	v_add_f32_e32 v41, v44, v43
	s_delay_alu instid0(VALU_DEP_1) | instskip(NEXT) | instid1(VALU_DEP_1)
	v_sub_f32_e32 v46, v40, v41
	v_sub_f32_e32 v40, v40, v46
	s_delay_alu instid0(VALU_DEP_1) | instskip(NEXT) | instid1(VALU_DEP_1)
	v_sub_f32_e32 v40, v40, v41
	v_dual_add_f32 v11, v11, v40 :: v_dual_add_f32 v40, v45, v42
	v_sub_f32_e32 v44, v41, v44
	s_delay_alu instid0(VALU_DEP_1) | instskip(NEXT) | instid1(VALU_DEP_1)
	v_sub_f32_e32 v41, v44, v43
	v_add_f32_e32 v11, v41, v11
	s_delay_alu instid0(VALU_DEP_4) | instskip(NEXT) | instid1(VALU_DEP_2)
	v_sub_f32_e32 v41, v40, v45
	v_add_f32_e32 v11, v46, v11
	s_delay_alu instid0(VALU_DEP_2) | instskip(NEXT) | instid1(VALU_DEP_2)
	v_sub_f32_e32 v41, v42, v41
	v_mul_f32_e32 v11, v39, v11
	s_delay_alu instid0(VALU_DEP_1) | instskip(NEXT) | instid1(VALU_DEP_1)
	v_add_f32_e32 v11, v41, v11
	v_add_f32_e32 v39, v40, v11
	s_delay_alu instid0(VALU_DEP_1) | instskip(NEXT) | instid1(VALU_DEP_1)
	v_mul_f32_e32 v41, v39, v39
	v_fmaak_f32 v42, s64, v41, 0x3ecc95a3
	v_mul_f32_e32 v43, v39, v41
	s_delay_alu instid0(VALU_DEP_2) | instskip(SKIP_2) | instid1(VALU_DEP_3)
	v_fmaak_f32 v41, v41, v42, 0x3f2aaada
	v_ldexp_f32 v42, v39, 1
	v_sub_f32_e32 v39, v39, v40
	v_mul_f32_e32 v41, v43, v41
	v_mul_f32_e32 v43, 0x3f317218, v10
	s_delay_alu instid0(VALU_DEP_2) | instskip(NEXT) | instid1(VALU_DEP_1)
	v_dual_sub_f32 v11, v11, v39 :: v_dual_add_f32 v40, v42, v41
	v_ldexp_f32 v11, v11, 1
	s_delay_alu instid0(VALU_DEP_2) | instskip(NEXT) | instid1(VALU_DEP_4)
	v_sub_f32_e32 v39, v40, v42
	v_fma_f32 v42, 0x3f317218, v10, -v43
	s_delay_alu instid0(VALU_DEP_1) | instskip(NEXT) | instid1(VALU_DEP_1)
	v_dual_sub_f32 v39, v41, v39 :: v_dual_fmac_f32 v42, 0xb102e308, v10
	v_add_f32_e32 v10, v11, v39
	s_delay_alu instid0(VALU_DEP_2) | instskip(NEXT) | instid1(VALU_DEP_2)
	v_add_f32_e32 v11, v43, v42
	v_add_f32_e32 v39, v40, v10
	s_delay_alu instid0(VALU_DEP_2) | instskip(NEXT) | instid1(VALU_DEP_2)
	v_sub_f32_e32 v43, v11, v43
	v_add_f32_e32 v41, v11, v39
	v_sub_f32_e32 v40, v39, v40
	s_delay_alu instid0(VALU_DEP_3) | instskip(NEXT) | instid1(VALU_DEP_3)
	v_sub_f32_e32 v42, v42, v43
	v_sub_f32_e32 v44, v41, v11
	s_delay_alu instid0(VALU_DEP_3) | instskip(NEXT) | instid1(VALU_DEP_2)
	v_sub_f32_e32 v10, v10, v40
	v_sub_f32_e32 v45, v41, v44
	s_delay_alu instid0(VALU_DEP_2) | instskip(NEXT) | instid1(VALU_DEP_2)
	v_dual_sub_f32 v39, v39, v44 :: v_dual_add_f32 v40, v42, v10
	v_sub_f32_e32 v11, v11, v45
	s_delay_alu instid0(VALU_DEP_1) | instskip(NEXT) | instid1(VALU_DEP_3)
	v_add_f32_e32 v11, v39, v11
	v_sub_f32_e32 v39, v40, v42
	s_delay_alu instid0(VALU_DEP_2) | instskip(NEXT) | instid1(VALU_DEP_2)
	v_add_f32_e32 v11, v40, v11
	v_sub_f32_e32 v40, v40, v39
	v_sub_f32_e32 v10, v10, v39
	s_delay_alu instid0(VALU_DEP_2) | instskip(NEXT) | instid1(VALU_DEP_1)
	v_dual_add_f32 v43, v41, v11 :: v_dual_sub_f32 v40, v42, v40
	v_dual_sub_f32 v39, v43, v41 :: v_dual_add_f32 v10, v10, v40
	s_delay_alu instid0(VALU_DEP_1) | instskip(NEXT) | instid1(VALU_DEP_1)
	v_sub_f32_e32 v11, v11, v39
	v_add_f32_e32 v10, v10, v11
	s_delay_alu instid0(VALU_DEP_1) | instskip(NEXT) | instid1(VALU_DEP_1)
	v_add_f32_e32 v10, v43, v10
	v_cndmask_b32_e32 v39, v10, v8, vcc_lo
.LBB133_28:                             ;   in Loop: Header=BB133_12 Depth=1
	s_or_b32 exec_lo, exec_lo, s17
	v_add_f32_e32 v40, s52, v9
	s_delay_alu instid0(VALU_DEP_1) | instskip(SKIP_1) | instid1(SALU_CYCLE_1)
	v_cmp_ge_f32_e32 vcc_lo, 0x41a00000, v40
	s_and_b32 s16, s60, vcc_lo
	s_and_saveexec_b32 s17, s16
	s_cbranch_execz .LBB133_30
; %bb.29:                               ;   in Loop: Header=BB133_12 Depth=1
	v_mul_f32_e32 v8, 0x3fb8aa3b, v40
	v_cmp_ngt_f32_e32 vcc_lo, 0xc2ce8ed0, v40
	s_delay_alu instid0(VALU_DEP_2) | instskip(SKIP_1) | instid1(VALU_DEP_2)
	v_rndne_f32_e32 v9, v8
	v_fma_f32 v10, 0x3fb8aa3b, v40, -v8
	v_sub_f32_e32 v8, v8, v9
	s_delay_alu instid0(VALU_DEP_2) | instskip(SKIP_1) | instid1(VALU_DEP_2)
	v_fmac_f32_e32 v10, 0x32a5705f, v40
	v_cvt_i32_f32_e32 v9, v9
	v_add_f32_e32 v8, v8, v10
	s_delay_alu instid0(VALU_DEP_1) | instskip(SKIP_2) | instid1(VALU_DEP_1)
	v_exp_f32_e32 v8, v8
	s_waitcnt_depctr 0xfff
	v_ldexp_f32 v8, v8, v9
	v_cndmask_b32_e32 v8, 0, v8, vcc_lo
	v_cmp_nlt_f32_e32 vcc_lo, 0x42b17218, v40
	s_delay_alu instid0(VALU_DEP_2) | instskip(NEXT) | instid1(VALU_DEP_1)
	v_cndmask_b32_e32 v10, 0x7f800000, v8, vcc_lo
	v_add_f32_e32 v11, 1.0, v10
	s_delay_alu instid0(VALU_DEP_1) | instskip(NEXT) | instid1(VALU_DEP_1)
	v_cvt_f64_f32_e32 v[8:9], v11
	v_frexp_exp_i32_f64_e32 v8, v[8:9]
	v_frexp_mant_f32_e32 v9, v11
	s_delay_alu instid0(VALU_DEP_1) | instskip(SKIP_1) | instid1(VALU_DEP_1)
	v_cmp_gt_f32_e32 vcc_lo, 0x3f2aaaab, v9
	v_add_f32_e32 v9, -1.0, v11
	v_sub_f32_e32 v41, v9, v11
	v_sub_f32_e32 v9, v10, v9
	s_delay_alu instid0(VALU_DEP_2) | instskip(NEXT) | instid1(VALU_DEP_1)
	v_add_f32_e32 v41, 1.0, v41
	v_add_f32_e32 v9, v9, v41
	v_cmp_gt_f32_e64 s16, 0x33800000, v10
	v_subrev_co_ci_u32_e32 v8, vcc_lo, 0, v8, vcc_lo
	v_cmp_eq_f32_e32 vcc_lo, 0x7f800000, v10
	s_delay_alu instid0(VALU_DEP_2) | instskip(SKIP_2) | instid1(VALU_DEP_2)
	v_sub_nc_u32_e32 v40, 0, v8
	v_cvt_f32_i32_e32 v8, v8
	s_or_b32 vcc_lo, s16, vcc_lo
	v_ldexp_f32 v11, v11, v40
	v_ldexp_f32 v9, v9, v40
	s_delay_alu instid0(VALU_DEP_2) | instskip(NEXT) | instid1(VALU_DEP_1)
	v_add_f32_e32 v42, 1.0, v11
	v_dual_add_f32 v40, -1.0, v11 :: v_dual_add_f32 v41, -1.0, v42
	s_delay_alu instid0(VALU_DEP_1) | instskip(NEXT) | instid1(VALU_DEP_2)
	v_add_f32_e32 v43, 1.0, v40
	v_sub_f32_e32 v41, v11, v41
	s_delay_alu instid0(VALU_DEP_2) | instskip(NEXT) | instid1(VALU_DEP_2)
	v_sub_f32_e32 v11, v11, v43
	v_add_f32_e32 v41, v9, v41
	s_delay_alu instid0(VALU_DEP_2) | instskip(NEXT) | instid1(VALU_DEP_1)
	v_add_f32_e32 v9, v9, v11
	v_add_f32_e32 v44, v40, v9
	s_delay_alu instid0(VALU_DEP_1) | instskip(NEXT) | instid1(VALU_DEP_1)
	v_dual_add_f32 v43, v42, v41 :: v_dual_sub_f32 v40, v40, v44
	v_rcp_f32_e32 v11, v43
	v_sub_f32_e32 v42, v42, v43
	s_delay_alu instid0(VALU_DEP_1) | instskip(SKIP_2) | instid1(VALU_DEP_1)
	v_add_f32_e32 v41, v41, v42
	s_waitcnt_depctr 0xfff
	v_mul_f32_e32 v45, v44, v11
	v_mul_f32_e32 v46, v43, v45
	s_delay_alu instid0(VALU_DEP_1) | instskip(NEXT) | instid1(VALU_DEP_1)
	v_fma_f32 v42, v45, v43, -v46
	v_fmac_f32_e32 v42, v45, v41
	s_delay_alu instid0(VALU_DEP_1) | instskip(NEXT) | instid1(VALU_DEP_1)
	v_add_f32_e32 v47, v46, v42
	v_sub_f32_e32 v48, v44, v47
	s_delay_alu instid0(VALU_DEP_1) | instskip(SKIP_1) | instid1(VALU_DEP_2)
	v_sub_f32_e32 v44, v44, v48
	v_dual_add_f32 v9, v9, v40 :: v_dual_sub_f32 v40, v47, v46
	v_sub_f32_e32 v44, v44, v47
	s_delay_alu instid0(VALU_DEP_1) | instskip(NEXT) | instid1(VALU_DEP_1)
	v_dual_sub_f32 v40, v40, v42 :: v_dual_add_f32 v9, v9, v44
	v_add_f32_e32 v9, v40, v9
	s_delay_alu instid0(VALU_DEP_1) | instskip(NEXT) | instid1(VALU_DEP_1)
	v_add_f32_e32 v40, v48, v9
	v_mul_f32_e32 v42, v11, v40
	s_delay_alu instid0(VALU_DEP_1) | instskip(NEXT) | instid1(VALU_DEP_1)
	v_dual_sub_f32 v47, v48, v40 :: v_dual_mul_f32 v44, v43, v42
	v_add_f32_e32 v9, v9, v47
	s_delay_alu instid0(VALU_DEP_2) | instskip(NEXT) | instid1(VALU_DEP_1)
	v_fma_f32 v43, v42, v43, -v44
	v_fmac_f32_e32 v43, v42, v41
	s_delay_alu instid0(VALU_DEP_1) | instskip(NEXT) | instid1(VALU_DEP_1)
	v_add_f32_e32 v41, v44, v43
	v_sub_f32_e32 v46, v40, v41
	s_delay_alu instid0(VALU_DEP_1) | instskip(NEXT) | instid1(VALU_DEP_1)
	v_sub_f32_e32 v40, v40, v46
	v_sub_f32_e32 v40, v40, v41
	s_delay_alu instid0(VALU_DEP_1) | instskip(SKIP_2) | instid1(VALU_DEP_1)
	v_add_f32_e32 v9, v9, v40
	v_add_f32_e32 v40, v45, v42
	v_sub_f32_e32 v44, v41, v44
	v_sub_f32_e32 v41, v44, v43
	s_delay_alu instid0(VALU_DEP_1) | instskip(NEXT) | instid1(VALU_DEP_4)
	v_add_f32_e32 v9, v41, v9
	v_sub_f32_e32 v41, v40, v45
	s_delay_alu instid0(VALU_DEP_2) | instskip(NEXT) | instid1(VALU_DEP_2)
	v_add_f32_e32 v9, v46, v9
	v_sub_f32_e32 v41, v42, v41
	s_delay_alu instid0(VALU_DEP_2) | instskip(NEXT) | instid1(VALU_DEP_1)
	v_mul_f32_e32 v9, v11, v9
	v_add_f32_e32 v9, v41, v9
	s_delay_alu instid0(VALU_DEP_1) | instskip(NEXT) | instid1(VALU_DEP_1)
	v_add_f32_e32 v11, v40, v9
	v_mul_f32_e32 v41, v11, v11
	s_delay_alu instid0(VALU_DEP_1) | instskip(SKIP_1) | instid1(VALU_DEP_2)
	v_fmaak_f32 v42, s64, v41, 0x3ecc95a3
	v_mul_f32_e32 v43, v11, v41
	v_fmaak_f32 v41, v41, v42, 0x3f2aaada
	v_ldexp_f32 v42, v11, 1
	s_delay_alu instid0(VALU_DEP_2) | instskip(SKIP_1) | instid1(VALU_DEP_2)
	v_mul_f32_e32 v41, v43, v41
	v_sub_f32_e32 v11, v11, v40
	v_dual_mul_f32 v43, 0x3f317218, v8 :: v_dual_add_f32 v40, v42, v41
	s_delay_alu instid0(VALU_DEP_2) | instskip(NEXT) | instid1(VALU_DEP_2)
	v_sub_f32_e32 v9, v9, v11
	v_sub_f32_e32 v11, v40, v42
	s_delay_alu instid0(VALU_DEP_3) | instskip(NEXT) | instid1(VALU_DEP_3)
	v_fma_f32 v42, 0x3f317218, v8, -v43
	v_ldexp_f32 v9, v9, 1
	s_delay_alu instid0(VALU_DEP_2) | instskip(NEXT) | instid1(VALU_DEP_1)
	v_dual_sub_f32 v11, v41, v11 :: v_dual_fmac_f32 v42, 0xb102e308, v8
	v_dual_add_f32 v8, v9, v11 :: v_dual_add_f32 v9, v43, v42
	s_delay_alu instid0(VALU_DEP_1) | instskip(NEXT) | instid1(VALU_DEP_1)
	v_add_f32_e32 v11, v40, v8
	v_dual_add_f32 v41, v9, v11 :: v_dual_sub_f32 v40, v11, v40
	s_delay_alu instid0(VALU_DEP_1) | instskip(NEXT) | instid1(VALU_DEP_2)
	v_sub_f32_e32 v44, v41, v9
	v_dual_sub_f32 v43, v9, v43 :: v_dual_sub_f32 v8, v8, v40
	s_delay_alu instid0(VALU_DEP_1) | instskip(SKIP_1) | instid1(VALU_DEP_2)
	v_dual_sub_f32 v45, v41, v44 :: v_dual_sub_f32 v42, v42, v43
	v_sub_f32_e32 v11, v11, v44
	v_dual_sub_f32 v9, v9, v45 :: v_dual_add_f32 v40, v42, v8
	s_delay_alu instid0(VALU_DEP_1) | instskip(NEXT) | instid1(VALU_DEP_2)
	v_add_f32_e32 v9, v11, v9
	v_sub_f32_e32 v11, v40, v42
	s_delay_alu instid0(VALU_DEP_2) | instskip(NEXT) | instid1(VALU_DEP_2)
	v_add_f32_e32 v9, v40, v9
	v_sub_f32_e32 v40, v40, v11
	s_delay_alu instid0(VALU_DEP_2) | instskip(NEXT) | instid1(VALU_DEP_1)
	v_dual_sub_f32 v8, v8, v11 :: v_dual_add_f32 v43, v41, v9
	v_dual_sub_f32 v40, v42, v40 :: v_dual_sub_f32 v11, v43, v41
	s_delay_alu instid0(VALU_DEP_1) | instskip(NEXT) | instid1(VALU_DEP_1)
	v_dual_add_f32 v8, v8, v40 :: v_dual_sub_f32 v9, v9, v11
	v_add_f32_e32 v8, v8, v9
	s_delay_alu instid0(VALU_DEP_1) | instskip(NEXT) | instid1(VALU_DEP_1)
	v_add_f32_e32 v8, v43, v8
	v_cndmask_b32_e32 v40, v8, v10, vcc_lo
.LBB133_30:                             ;   in Loop: Header=BB133_12 Depth=1
	s_or_b32 exec_lo, exec_lo, s17
	s_waitcnt lgkmcnt(0)
	v_add_f32_e32 v45, s52, v6
	s_delay_alu instid0(VALU_DEP_1) | instskip(SKIP_1) | instid1(SALU_CYCLE_1)
	v_cmp_ge_f32_e32 vcc_lo, 0x41a00000, v45
	s_and_b32 s16, s60, vcc_lo
	s_and_saveexec_b32 s17, s16
	s_cbranch_execz .LBB133_32
; %bb.31:                               ;   in Loop: Header=BB133_12 Depth=1
	v_mul_f32_e32 v6, 0x3fb8aa3b, v45
	v_cmp_ngt_f32_e32 vcc_lo, 0xc2ce8ed0, v45
	s_delay_alu instid0(VALU_DEP_2) | instskip(SKIP_1) | instid1(VALU_DEP_1)
	v_rndne_f32_e32 v8, v6
	v_fma_f32 v9, 0x3fb8aa3b, v45, -v6
	v_dual_sub_f32 v6, v6, v8 :: v_dual_fmac_f32 v9, 0x32a5705f, v45
	v_cvt_i32_f32_e32 v8, v8
	s_delay_alu instid0(VALU_DEP_2) | instskip(NEXT) | instid1(VALU_DEP_1)
	v_add_f32_e32 v6, v6, v9
	v_exp_f32_e32 v6, v6
	s_waitcnt_depctr 0xfff
	v_ldexp_f32 v6, v6, v8
	s_delay_alu instid0(VALU_DEP_1) | instskip(SKIP_1) | instid1(VALU_DEP_2)
	v_cndmask_b32_e32 v6, 0, v6, vcc_lo
	v_cmp_nlt_f32_e32 vcc_lo, 0x42b17218, v45
	v_cndmask_b32_e32 v6, 0x7f800000, v6, vcc_lo
	s_delay_alu instid0(VALU_DEP_1) | instskip(NEXT) | instid1(VALU_DEP_1)
	v_add_f32_e32 v10, 1.0, v6
	v_cvt_f64_f32_e32 v[8:9], v10
	s_delay_alu instid0(VALU_DEP_1) | instskip(SKIP_1) | instid1(VALU_DEP_1)
	v_frexp_exp_i32_f64_e32 v8, v[8:9]
	v_frexp_mant_f32_e32 v9, v10
	v_cmp_gt_f32_e32 vcc_lo, 0x3f2aaaab, v9
	v_add_f32_e32 v9, -1.0, v10
	s_delay_alu instid0(VALU_DEP_1) | instskip(SKIP_1) | instid1(VALU_DEP_2)
	v_sub_f32_e32 v41, v9, v10
	v_sub_f32_e32 v9, v6, v9
	v_add_f32_e32 v41, 1.0, v41
	s_delay_alu instid0(VALU_DEP_1) | instskip(SKIP_3) | instid1(VALU_DEP_2)
	v_add_f32_e32 v9, v9, v41
	v_cmp_gt_f32_e64 s16, 0x33800000, v6
	v_subrev_co_ci_u32_e32 v8, vcc_lo, 0, v8, vcc_lo
	v_cmp_eq_f32_e32 vcc_lo, 0x7f800000, v6
	v_sub_nc_u32_e32 v11, 0, v8
	v_cvt_f32_i32_e32 v8, v8
	s_or_b32 vcc_lo, s16, vcc_lo
	s_delay_alu instid0(VALU_DEP_2) | instskip(SKIP_1) | instid1(VALU_DEP_2)
	v_ldexp_f32 v10, v10, v11
	v_ldexp_f32 v9, v9, v11
	v_add_f32_e32 v42, 1.0, v10
	v_add_f32_e32 v11, -1.0, v10
	s_delay_alu instid0(VALU_DEP_1) | instskip(NEXT) | instid1(VALU_DEP_3)
	v_add_f32_e32 v43, 1.0, v11
	v_add_f32_e32 v41, -1.0, v42
	s_delay_alu instid0(VALU_DEP_1) | instskip(NEXT) | instid1(VALU_DEP_1)
	v_sub_f32_e32 v41, v10, v41
	v_dual_sub_f32 v10, v10, v43 :: v_dual_add_f32 v41, v9, v41
	s_delay_alu instid0(VALU_DEP_1) | instskip(NEXT) | instid1(VALU_DEP_2)
	v_add_f32_e32 v43, v42, v41
	v_add_f32_e32 v9, v9, v10
	s_delay_alu instid0(VALU_DEP_2) | instskip(SKIP_1) | instid1(VALU_DEP_1)
	v_rcp_f32_e32 v10, v43
	v_sub_f32_e32 v42, v42, v43
	v_dual_add_f32 v44, v11, v9 :: v_dual_add_f32 v41, v41, v42
	s_delay_alu instid0(VALU_DEP_1) | instskip(SKIP_2) | instid1(VALU_DEP_1)
	v_sub_f32_e32 v11, v11, v44
	s_waitcnt_depctr 0xfff
	v_mul_f32_e32 v45, v44, v10
	v_mul_f32_e32 v46, v43, v45
	s_delay_alu instid0(VALU_DEP_1) | instskip(NEXT) | instid1(VALU_DEP_1)
	v_fma_f32 v42, v45, v43, -v46
	v_fmac_f32_e32 v42, v45, v41
	s_delay_alu instid0(VALU_DEP_1) | instskip(NEXT) | instid1(VALU_DEP_1)
	v_add_f32_e32 v47, v46, v42
	v_sub_f32_e32 v48, v44, v47
	s_delay_alu instid0(VALU_DEP_1) | instskip(NEXT) | instid1(VALU_DEP_1)
	v_dual_sub_f32 v44, v44, v48 :: v_dual_add_f32 v9, v9, v11
	v_dual_sub_f32 v11, v47, v46 :: v_dual_sub_f32 v44, v44, v47
	s_delay_alu instid0(VALU_DEP_1) | instskip(NEXT) | instid1(VALU_DEP_2)
	v_sub_f32_e32 v11, v11, v42
	v_add_f32_e32 v9, v9, v44
	s_delay_alu instid0(VALU_DEP_1) | instskip(NEXT) | instid1(VALU_DEP_1)
	v_add_f32_e32 v9, v11, v9
	v_add_f32_e32 v11, v48, v9
	s_delay_alu instid0(VALU_DEP_1) | instskip(NEXT) | instid1(VALU_DEP_1)
	v_mul_f32_e32 v42, v10, v11
	v_dual_sub_f32 v47, v48, v11 :: v_dual_mul_f32 v44, v43, v42
	s_delay_alu instid0(VALU_DEP_1) | instskip(NEXT) | instid1(VALU_DEP_2)
	v_add_f32_e32 v9, v9, v47
	v_fma_f32 v43, v42, v43, -v44
	s_delay_alu instid0(VALU_DEP_1) | instskip(NEXT) | instid1(VALU_DEP_1)
	v_fmac_f32_e32 v43, v42, v41
	v_add_f32_e32 v41, v44, v43
	s_delay_alu instid0(VALU_DEP_1) | instskip(NEXT) | instid1(VALU_DEP_1)
	v_sub_f32_e32 v46, v11, v41
	v_dual_sub_f32 v44, v41, v44 :: v_dual_sub_f32 v11, v11, v46
	s_delay_alu instid0(VALU_DEP_1) | instskip(NEXT) | instid1(VALU_DEP_2)
	v_sub_f32_e32 v11, v11, v41
	v_sub_f32_e32 v41, v44, v43
	s_delay_alu instid0(VALU_DEP_2) | instskip(SKIP_1) | instid1(VALU_DEP_2)
	v_add_f32_e32 v9, v9, v11
	v_add_f32_e32 v11, v45, v42
	;; [unrolled: 1-line block ×3, first 2 shown]
	s_delay_alu instid0(VALU_DEP_2) | instskip(NEXT) | instid1(VALU_DEP_2)
	v_sub_f32_e32 v41, v11, v45
	v_add_f32_e32 v9, v46, v9
	s_delay_alu instid0(VALU_DEP_2) | instskip(NEXT) | instid1(VALU_DEP_2)
	v_sub_f32_e32 v41, v42, v41
	v_mul_f32_e32 v9, v10, v9
	s_delay_alu instid0(VALU_DEP_1) | instskip(NEXT) | instid1(VALU_DEP_1)
	v_add_f32_e32 v9, v41, v9
	v_add_f32_e32 v10, v11, v9
	s_delay_alu instid0(VALU_DEP_1) | instskip(NEXT) | instid1(VALU_DEP_1)
	v_mul_f32_e32 v41, v10, v10
	v_fmaak_f32 v42, s64, v41, 0x3ecc95a3
	v_mul_f32_e32 v43, v10, v41
	s_delay_alu instid0(VALU_DEP_2) | instskip(SKIP_1) | instid1(VALU_DEP_2)
	v_fmaak_f32 v41, v41, v42, 0x3f2aaada
	v_ldexp_f32 v42, v10, 1
	v_dual_sub_f32 v10, v10, v11 :: v_dual_mul_f32 v41, v43, v41
	v_mul_f32_e32 v43, 0x3f317218, v8
	s_delay_alu instid0(VALU_DEP_2) | instskip(NEXT) | instid1(VALU_DEP_3)
	v_sub_f32_e32 v9, v9, v10
	v_add_f32_e32 v11, v42, v41
	s_delay_alu instid0(VALU_DEP_2) | instskip(NEXT) | instid1(VALU_DEP_2)
	v_ldexp_f32 v9, v9, 1
	v_sub_f32_e32 v10, v11, v42
	v_fma_f32 v42, 0x3f317218, v8, -v43
	s_delay_alu instid0(VALU_DEP_2) | instskip(NEXT) | instid1(VALU_DEP_2)
	v_sub_f32_e32 v10, v41, v10
	v_fmac_f32_e32 v42, 0xb102e308, v8
	s_delay_alu instid0(VALU_DEP_2) | instskip(NEXT) | instid1(VALU_DEP_2)
	v_add_f32_e32 v8, v9, v10
	v_add_f32_e32 v9, v43, v42
	s_delay_alu instid0(VALU_DEP_1) | instskip(NEXT) | instid1(VALU_DEP_1)
	v_dual_add_f32 v10, v11, v8 :: v_dual_sub_f32 v43, v9, v43
	v_add_f32_e32 v41, v9, v10
	v_sub_f32_e32 v11, v10, v11
	s_delay_alu instid0(VALU_DEP_3) | instskip(NEXT) | instid1(VALU_DEP_3)
	v_sub_f32_e32 v42, v42, v43
	v_sub_f32_e32 v44, v41, v9
	s_delay_alu instid0(VALU_DEP_1) | instskip(SKIP_1) | instid1(VALU_DEP_2)
	v_dual_sub_f32 v8, v8, v11 :: v_dual_sub_f32 v45, v41, v44
	v_sub_f32_e32 v10, v10, v44
	v_add_f32_e32 v11, v42, v8
	s_delay_alu instid0(VALU_DEP_3) | instskip(NEXT) | instid1(VALU_DEP_1)
	v_sub_f32_e32 v9, v9, v45
	v_dual_add_f32 v9, v10, v9 :: v_dual_sub_f32 v10, v11, v42
	s_delay_alu instid0(VALU_DEP_1) | instskip(NEXT) | instid1(VALU_DEP_2)
	v_add_f32_e32 v9, v11, v9
	v_sub_f32_e32 v11, v11, v10
	s_delay_alu instid0(VALU_DEP_2) | instskip(NEXT) | instid1(VALU_DEP_1)
	v_dual_sub_f32 v8, v8, v10 :: v_dual_add_f32 v43, v41, v9
	v_dual_sub_f32 v11, v42, v11 :: v_dual_sub_f32 v10, v43, v41
	s_delay_alu instid0(VALU_DEP_1) | instskip(NEXT) | instid1(VALU_DEP_1)
	v_dual_add_f32 v8, v8, v11 :: v_dual_sub_f32 v9, v9, v10
	v_add_f32_e32 v8, v8, v9
	s_delay_alu instid0(VALU_DEP_1) | instskip(NEXT) | instid1(VALU_DEP_1)
	v_add_f32_e32 v8, v43, v8
	v_cndmask_b32_e32 v45, v8, v6, vcc_lo
.LBB133_32:                             ;   in Loop: Header=BB133_12 Depth=1
	s_or_b32 exec_lo, exec_lo, s17
	v_add_f32_e32 v46, s52, v7
	s_delay_alu instid0(VALU_DEP_1) | instskip(SKIP_1) | instid1(SALU_CYCLE_1)
	v_cmp_ge_f32_e32 vcc_lo, 0x41a00000, v46
	s_and_b32 s16, s60, vcc_lo
	s_and_saveexec_b32 s17, s16
	s_cbranch_execz .LBB133_34
; %bb.33:                               ;   in Loop: Header=BB133_12 Depth=1
	v_mul_f32_e32 v6, 0x3fb8aa3b, v46
	v_cmp_ngt_f32_e32 vcc_lo, 0xc2ce8ed0, v46
	s_delay_alu instid0(VALU_DEP_2) | instskip(SKIP_1) | instid1(VALU_DEP_2)
	v_rndne_f32_e32 v7, v6
	v_fma_f32 v8, 0x3fb8aa3b, v46, -v6
	v_sub_f32_e32 v6, v6, v7
	s_delay_alu instid0(VALU_DEP_2) | instskip(SKIP_1) | instid1(VALU_DEP_2)
	v_fmac_f32_e32 v8, 0x32a5705f, v46
	v_cvt_i32_f32_e32 v7, v7
	v_add_f32_e32 v6, v6, v8
	s_delay_alu instid0(VALU_DEP_1) | instskip(SKIP_2) | instid1(VALU_DEP_1)
	v_exp_f32_e32 v6, v6
	s_waitcnt_depctr 0xfff
	v_ldexp_f32 v6, v6, v7
	v_cndmask_b32_e32 v6, 0, v6, vcc_lo
	v_cmp_nlt_f32_e32 vcc_lo, 0x42b17218, v46
	s_delay_alu instid0(VALU_DEP_2) | instskip(NEXT) | instid1(VALU_DEP_1)
	v_cndmask_b32_e32 v8, 0x7f800000, v6, vcc_lo
	v_add_f32_e32 v9, 1.0, v8
	s_delay_alu instid0(VALU_DEP_1) | instskip(NEXT) | instid1(VALU_DEP_1)
	v_cvt_f64_f32_e32 v[6:7], v9
	v_frexp_exp_i32_f64_e32 v6, v[6:7]
	v_frexp_mant_f32_e32 v7, v9
	s_delay_alu instid0(VALU_DEP_1) | instskip(SKIP_1) | instid1(VALU_DEP_1)
	v_cmp_gt_f32_e32 vcc_lo, 0x3f2aaaab, v7
	v_add_f32_e32 v7, -1.0, v9
	v_sub_f32_e32 v11, v7, v9
	s_delay_alu instid0(VALU_DEP_1) | instskip(SKIP_1) | instid1(VALU_DEP_1)
	v_add_f32_e32 v11, 1.0, v11
	v_subrev_co_ci_u32_e32 v6, vcc_lo, 0, v6, vcc_lo
	v_sub_nc_u32_e32 v10, 0, v6
	v_cvt_f32_i32_e32 v6, v6
	s_delay_alu instid0(VALU_DEP_2) | instskip(NEXT) | instid1(VALU_DEP_1)
	v_ldexp_f32 v9, v9, v10
	v_add_f32_e32 v41, 1.0, v9
	v_sub_f32_e32 v7, v8, v7
	v_cmp_eq_f32_e32 vcc_lo, 0x7f800000, v8
	v_cmp_gt_f32_e64 s16, 0x33800000, v8
	s_delay_alu instid0(VALU_DEP_3) | instskip(NEXT) | instid1(VALU_DEP_2)
	v_add_f32_e32 v7, v7, v11
	s_or_b32 vcc_lo, s16, vcc_lo
	s_delay_alu instid0(VALU_DEP_1) | instskip(SKIP_1) | instid1(VALU_DEP_1)
	v_ldexp_f32 v7, v7, v10
	v_add_f32_e32 v10, -1.0, v9
	v_dual_add_f32 v11, -1.0, v41 :: v_dual_add_f32 v42, 1.0, v10
	s_delay_alu instid0(VALU_DEP_1) | instskip(NEXT) | instid1(VALU_DEP_2)
	v_sub_f32_e32 v11, v9, v11
	v_sub_f32_e32 v9, v9, v42
	s_delay_alu instid0(VALU_DEP_2) | instskip(NEXT) | instid1(VALU_DEP_1)
	v_add_f32_e32 v11, v7, v11
	v_dual_add_f32 v7, v7, v9 :: v_dual_add_f32 v42, v41, v11
	s_delay_alu instid0(VALU_DEP_1) | instskip(NEXT) | instid1(VALU_DEP_2)
	v_add_f32_e32 v43, v10, v7
	v_rcp_f32_e32 v9, v42
	s_delay_alu instid0(VALU_DEP_1) | instskip(NEXT) | instid1(VALU_DEP_1)
	v_dual_sub_f32 v41, v41, v42 :: v_dual_sub_f32 v10, v10, v43
	v_add_f32_e32 v7, v7, v10
	s_waitcnt_depctr 0xfff
	v_mul_f32_e32 v44, v43, v9
	s_delay_alu instid0(VALU_DEP_1) | instskip(NEXT) | instid1(VALU_DEP_1)
	v_dual_mul_f32 v46, v42, v44 :: v_dual_add_f32 v11, v11, v41
	v_fma_f32 v41, v44, v42, -v46
	s_delay_alu instid0(VALU_DEP_1) | instskip(NEXT) | instid1(VALU_DEP_1)
	v_fmac_f32_e32 v41, v44, v11
	v_add_f32_e32 v47, v46, v41
	s_delay_alu instid0(VALU_DEP_1) | instskip(SKIP_1) | instid1(VALU_DEP_1)
	v_sub_f32_e32 v10, v47, v46
	v_sub_f32_e32 v48, v43, v47
	v_dual_sub_f32 v10, v10, v41 :: v_dual_sub_f32 v43, v43, v48
	s_delay_alu instid0(VALU_DEP_1) | instskip(NEXT) | instid1(VALU_DEP_1)
	v_sub_f32_e32 v43, v43, v47
	v_add_f32_e32 v7, v7, v43
	s_delay_alu instid0(VALU_DEP_1) | instskip(NEXT) | instid1(VALU_DEP_1)
	v_add_f32_e32 v7, v10, v7
	v_add_f32_e32 v10, v48, v7
	s_delay_alu instid0(VALU_DEP_1) | instskip(SKIP_1) | instid1(VALU_DEP_2)
	v_mul_f32_e32 v41, v9, v10
	v_sub_f32_e32 v47, v48, v10
	v_mul_f32_e32 v43, v42, v41
	s_delay_alu instid0(VALU_DEP_2) | instskip(NEXT) | instid1(VALU_DEP_2)
	v_add_f32_e32 v7, v7, v47
	v_fma_f32 v42, v41, v42, -v43
	s_delay_alu instid0(VALU_DEP_1) | instskip(NEXT) | instid1(VALU_DEP_1)
	v_fmac_f32_e32 v42, v41, v11
	v_add_f32_e32 v11, v43, v42
	s_delay_alu instid0(VALU_DEP_1) | instskip(NEXT) | instid1(VALU_DEP_1)
	v_sub_f32_e32 v46, v10, v11
	v_dual_sub_f32 v43, v11, v43 :: v_dual_sub_f32 v10, v10, v46
	s_delay_alu instid0(VALU_DEP_1) | instskip(NEXT) | instid1(VALU_DEP_1)
	v_dual_sub_f32 v10, v10, v11 :: v_dual_sub_f32 v11, v43, v42
	v_dual_add_f32 v7, v7, v10 :: v_dual_add_f32 v10, v44, v41
	s_delay_alu instid0(VALU_DEP_1) | instskip(NEXT) | instid1(VALU_DEP_2)
	v_add_f32_e32 v7, v11, v7
	v_sub_f32_e32 v11, v10, v44
	s_delay_alu instid0(VALU_DEP_2) | instskip(NEXT) | instid1(VALU_DEP_2)
	v_add_f32_e32 v7, v46, v7
	v_sub_f32_e32 v11, v41, v11
	s_delay_alu instid0(VALU_DEP_2) | instskip(NEXT) | instid1(VALU_DEP_1)
	v_mul_f32_e32 v7, v9, v7
	v_add_f32_e32 v7, v11, v7
	s_delay_alu instid0(VALU_DEP_1) | instskip(NEXT) | instid1(VALU_DEP_1)
	v_add_f32_e32 v9, v10, v7
	v_mul_f32_e32 v11, v9, v9
	s_delay_alu instid0(VALU_DEP_1) | instskip(NEXT) | instid1(VALU_DEP_1)
	v_fmaak_f32 v41, s64, v11, 0x3ecc95a3
	v_dual_mul_f32 v42, v9, v11 :: v_dual_fmaak_f32 v11, v11, v41, 0x3f2aaada
	v_ldexp_f32 v41, v9, 1
	v_sub_f32_e32 v9, v9, v10
	s_delay_alu instid0(VALU_DEP_3) | instskip(NEXT) | instid1(VALU_DEP_1)
	v_dual_mul_f32 v11, v42, v11 :: v_dual_mul_f32 v42, 0x3f317218, v6
	v_dual_sub_f32 v7, v7, v9 :: v_dual_add_f32 v10, v41, v11
	s_delay_alu instid0(VALU_DEP_1) | instskip(NEXT) | instid1(VALU_DEP_2)
	v_ldexp_f32 v7, v7, 1
	v_sub_f32_e32 v9, v10, v41
	s_delay_alu instid0(VALU_DEP_4) | instskip(NEXT) | instid1(VALU_DEP_2)
	v_fma_f32 v41, 0x3f317218, v6, -v42
	v_sub_f32_e32 v9, v11, v9
	s_delay_alu instid0(VALU_DEP_1) | instskip(NEXT) | instid1(VALU_DEP_1)
	v_dual_fmac_f32 v41, 0xb102e308, v6 :: v_dual_add_f32 v6, v7, v9
	v_add_f32_e32 v7, v42, v41
	s_delay_alu instid0(VALU_DEP_2) | instskip(NEXT) | instid1(VALU_DEP_2)
	v_add_f32_e32 v9, v10, v6
	v_sub_f32_e32 v42, v7, v42
	s_delay_alu instid0(VALU_DEP_2) | instskip(NEXT) | instid1(VALU_DEP_2)
	v_dual_add_f32 v11, v7, v9 :: v_dual_sub_f32 v10, v9, v10
	v_sub_f32_e32 v41, v41, v42
	s_delay_alu instid0(VALU_DEP_2) | instskip(NEXT) | instid1(VALU_DEP_1)
	v_dual_sub_f32 v43, v11, v7 :: v_dual_sub_f32 v6, v6, v10
	v_sub_f32_e32 v44, v11, v43
	v_sub_f32_e32 v9, v9, v43
	s_delay_alu instid0(VALU_DEP_2) | instskip(NEXT) | instid1(VALU_DEP_1)
	v_dual_add_f32 v10, v41, v6 :: v_dual_sub_f32 v7, v7, v44
	v_add_f32_e32 v7, v9, v7
	s_delay_alu instid0(VALU_DEP_2) | instskip(NEXT) | instid1(VALU_DEP_2)
	v_sub_f32_e32 v9, v10, v41
	v_add_f32_e32 v7, v10, v7
	s_delay_alu instid0(VALU_DEP_2) | instskip(SKIP_1) | instid1(VALU_DEP_3)
	v_sub_f32_e32 v10, v10, v9
	v_sub_f32_e32 v6, v6, v9
	v_add_f32_e32 v42, v11, v7
	s_delay_alu instid0(VALU_DEP_1) | instskip(NEXT) | instid1(VALU_DEP_1)
	v_dual_sub_f32 v10, v41, v10 :: v_dual_sub_f32 v9, v42, v11
	v_dual_add_f32 v6, v6, v10 :: v_dual_sub_f32 v7, v7, v9
	s_delay_alu instid0(VALU_DEP_1) | instskip(NEXT) | instid1(VALU_DEP_1)
	v_add_f32_e32 v6, v6, v7
	v_add_f32_e32 v6, v42, v6
	s_delay_alu instid0(VALU_DEP_1)
	v_cndmask_b32_e32 v46, v6, v8, vcc_lo
.LBB133_34:                             ;   in Loop: Header=BB133_12 Depth=1
	s_or_b32 exec_lo, exec_lo, s17
	v_dual_mul_f32 v41, s53, v4 :: v_dual_mul_f32 v42, s53, v3
	v_dual_mul_f32 v44, s53, v2 :: v_dual_mul_f32 v43, s53, v5
	s_and_b32 vcc_lo, exec_lo, s61
	s_barrier
	buffer_gl0_inv
	s_cbranch_vccz .LBB133_82
; %bb.35:                               ;   in Loop: Header=BB133_12 Depth=1
	v_dual_mul_f32 v47, v5, v46 :: v_dual_mul_f32 v52, v4, v45
	v_add_co_u32 v5, s16, s49, v37
	s_delay_alu instid0(VALU_DEP_1) | instskip(SKIP_1) | instid1(VALU_DEP_1)
	v_add_co_ci_u32_e64 v6, null, s50, 0, s16
	v_add_co_u32 v7, s16, s55, v37
	v_add_co_ci_u32_e64 v8, null, s56, 0, s16
	s_delay_alu instid0(VALU_DEP_4) | instskip(NEXT) | instid1(VALU_DEP_4)
	v_add_co_u32 v48, vcc_lo, v5, v38
	v_add_co_ci_u32_e32 v49, vcc_lo, 0, v6, vcc_lo
	s_delay_alu instid0(VALU_DEP_4) | instskip(NEXT) | instid1(VALU_DEP_4)
	v_add_co_u32 v50, vcc_lo, v7, v38
	v_add_co_ci_u32_e32 v51, vcc_lo, 0, v8, vcc_lo
	v_cmp_gt_u32_e32 vcc_lo, s19, v12
	v_cmp_gt_u32_e64 s17, s19, v34
	v_cmp_gt_u32_e64 s18, s19, v35
	;; [unrolled: 1-line block ×3, first 2 shown]
	s_cmp_lg_u32 s66, 0
	v_dual_mul_f32 v53, v3, v40 :: v_dual_mul_f32 v54, v2, v39
	s_cselect_b32 s31, -1, 0
	s_cmp_eq_u32 s66, s63
	s_mov_b32 s28, s24
	s_cselect_b32 s67, -1, 0
	s_or_b32 s16, s62, vcc_lo
	s_or_b32 s17, s62, s17
	s_or_b32 s18, s62, s18
	;; [unrolled: 1-line block ×3, first 2 shown]
	s_mov_b32 s38, 0
	s_mov_b32 s40, 0
	;; [unrolled: 1-line block ×5, first 2 shown]
	s_branch .LBB133_37
.LBB133_36:                             ;   in Loop: Header=BB133_37 Depth=2
	s_or_b32 exec_lo, exec_lo, s20
	v_cndmask_b32_e64 v6, v64, v11, s11
	v_cndmask_b32_e64 v7, v63, v10, s11
	s_add_i32 s68, s68, -1
	s_add_i32 s69, s69, 8
	s_add_i32 s42, s42, s37
	v_fma_f32 v6, v6, v62, v60
	v_mul_f32_e32 v7, v7, v62
	s_add_i32 s40, s40, s36
	s_add_i32 s38, s38, s48
	;; [unrolled: 1-line block ×3, first 2 shown]
	v_cndmask_b32_e64 v6, v6, v60, s10
	v_cndmask_b32_e64 v7, v7, v62, s10
	s_cmp_eq_u32 s68, 0
	s_waitcnt lgkmcnt(0)
	s_delay_alu instid0(VALU_DEP_1) | instskip(NEXT) | instid1(VALU_DEP_1)
	v_fmac_f32_e32 v6, v8, v7
	v_fmac_f32_e32 v55, v6, v59
	s_delay_alu instid0(VALU_DEP_1) | instskip(NEXT) | instid1(VALU_DEP_1)
	v_fmac_f32_e32 v56, v55, v61
	v_fmac_f32_e32 v57, v56, v58
	v_dual_fmac_f32 v41, v2, v56 :: v_dual_fmac_f32 v44, v4, v6
	s_delay_alu instid0(VALU_DEP_2)
	v_dual_fmac_f32 v42, v5, v55 :: v_dual_fmac_f32 v43, v3, v57
	s_cbranch_scc1 .LBB133_82
.LBB133_37:                             ;   Parent Loop BB133_12 Depth=1
                                        ; =>  This Inner Loop Header: Depth=2
	s_lshl_b64 s[20:21], s[28:29], 2
	s_mov_b32 s39, s29
	s_add_u32 s20, s54, s20
	s_addc_u32 s21, s46, s21
	s_mov_b32 s25, s24
	global_load_b32 v55, v1, s[20:21]
	s_lshl_b64 s[20:21], s[38:39], 2
	s_mov_b32 s26, s24
	s_mov_b32 s27, s24
	v_add_co_u32 v6, vcc_lo, v48, s20
	v_dual_mov_b32 v2, s24 :: v_dual_mov_b32 v3, s25
	v_add_co_ci_u32_e32 v7, vcc_lo, s21, v49, vcc_lo
	v_dual_mov_b32 v4, s26 :: v_dual_mov_b32 v5, s27
	v_mov_b32_e32 v8, 0
	s_and_saveexec_b32 s20, s12
	s_cbranch_execnz .LBB133_49
; %bb.38:                               ;   in Loop: Header=BB133_37 Depth=2
	s_or_b32 exec_lo, exec_lo, s20
	s_and_saveexec_b32 s20, s13
	s_cbranch_execnz .LBB133_50
.LBB133_39:                             ;   in Loop: Header=BB133_37 Depth=2
	s_or_b32 exec_lo, exec_lo, s20
	s_and_saveexec_b32 s20, s14
	s_cbranch_execnz .LBB133_51
.LBB133_40:                             ;   in Loop: Header=BB133_37 Depth=2
	s_or_b32 exec_lo, exec_lo, s20
	s_and_saveexec_b32 s20, s15
	s_cbranch_execz .LBB133_42
.LBB133_41:                             ;   in Loop: Header=BB133_37 Depth=2
	global_load_b32 v5, v[6:7], off offset:384
.LBB133_42:                             ;   in Loop: Header=BB133_37 Depth=2
	s_or_b32 exec_lo, exec_lo, s20
	s_waitcnt vmcnt(0)
	ds_store_b32 v17, v8
	ds_store_b32 v18, v3 offset:128
	ds_store_b32 v19, v4 offset:256
	;; [unrolled: 1-line block ×3, first 2 shown]
	; wave barrier
	ds_load_2addr_b32 v[10:11], v21 offset1:1
	ds_load_2addr_b32 v[8:9], v21 offset0:2 offset1:3
	s_mov_b32 s41, s29
	s_mov_b32 s72, s29
	s_lshl_b64 s[20:21], s[40:41], 2
	s_mov_b32 s73, s29
	s_mov_b32 s74, s29
	;; [unrolled: 1-line block ×3, first 2 shown]
	v_add_co_u32 v6, vcc_lo, v50, s20
	v_dual_mov_b32 v2, s72 :: v_dual_mov_b32 v3, s73
	v_add_co_ci_u32_e32 v7, vcc_lo, s21, v51, vcc_lo
	v_dual_mov_b32 v4, s74 :: v_dual_mov_b32 v5, s75
	v_mov_b32_e32 v56, 0
	s_and_saveexec_b32 s20, s12
	s_cbranch_execnz .LBB133_52
; %bb.43:                               ;   in Loop: Header=BB133_37 Depth=2
	s_or_b32 exec_lo, exec_lo, s20
	s_and_saveexec_b32 s20, s13
	s_cbranch_execnz .LBB133_53
.LBB133_44:                             ;   in Loop: Header=BB133_37 Depth=2
	s_or_b32 exec_lo, exec_lo, s20
	s_and_saveexec_b32 s20, s14
	s_cbranch_execnz .LBB133_54
.LBB133_45:                             ;   in Loop: Header=BB133_37 Depth=2
	s_or_b32 exec_lo, exec_lo, s20
	s_and_saveexec_b32 s20, s15
	s_cbranch_execz .LBB133_47
.LBB133_46:                             ;   in Loop: Header=BB133_37 Depth=2
	global_load_b32 v5, v[6:7], off offset:384
.LBB133_47:                             ;   in Loop: Header=BB133_37 Depth=2
	s_or_b32 exec_lo, exec_lo, s20
	v_add_nc_u32_e32 v2, 0x420, v21
	s_waitcnt vmcnt(0)
	ds_store_b32 v17, v56 offset:1056
	ds_store_b32 v22, v3 offset:128
	ds_store_b32 v23, v4 offset:256
	ds_store_b32 v24, v5 offset:384
	; wave barrier
	ds_load_2addr_b32 v[4:5], v2 offset1:1
	ds_load_2addr_b32 v[2:3], v25 offset0:2 offset1:3
	s_and_not1_b32 vcc_lo, exec_lo, s31
	s_cbranch_vccnz .LBB133_55
; %bb.48:                               ;   in Loop: Header=BB133_37 Depth=2
	v_mov_b32_e32 v6, s69
	ds_load_b64 v[6:7], v6
	s_cbranch_execz .LBB133_56
	s_branch .LBB133_59
.LBB133_49:                             ;   in Loop: Header=BB133_37 Depth=2
	global_load_b32 v8, v[6:7], off
	v_mov_b32_e32 v3, v1
	v_mov_b32_e32 v2, v1
	s_delay_alu instid0(VALU_DEP_2) | instskip(NEXT) | instid1(VALU_DEP_2)
	v_mov_b32_e32 v5, v3
	v_dual_mov_b32 v4, v2 :: v_dual_mov_b32 v3, v1
	v_mov_b32_e32 v2, v0
	s_or_b32 exec_lo, exec_lo, s20
	s_and_saveexec_b32 s20, s13
	s_cbranch_execz .LBB133_39
.LBB133_50:                             ;   in Loop: Header=BB133_37 Depth=2
	global_load_b32 v3, v[6:7], off offset:128
	s_or_b32 exec_lo, exec_lo, s20
	s_and_saveexec_b32 s20, s14
	s_cbranch_execz .LBB133_40
.LBB133_51:                             ;   in Loop: Header=BB133_37 Depth=2
	global_load_b32 v4, v[6:7], off offset:256
	s_or_b32 exec_lo, exec_lo, s20
	s_and_saveexec_b32 s20, s15
	s_cbranch_execnz .LBB133_41
	s_branch .LBB133_42
.LBB133_52:                             ;   in Loop: Header=BB133_37 Depth=2
	global_load_b32 v56, v[6:7], off
	v_mov_b32_e32 v3, v1
	v_mov_b32_e32 v2, v1
	s_delay_alu instid0(VALU_DEP_2) | instskip(NEXT) | instid1(VALU_DEP_2)
	v_mov_b32_e32 v5, v3
	v_dual_mov_b32 v4, v2 :: v_dual_mov_b32 v3, v1
	v_mov_b32_e32 v2, v0
	s_or_b32 exec_lo, exec_lo, s20
	s_and_saveexec_b32 s20, s13
	s_cbranch_execz .LBB133_44
.LBB133_53:                             ;   in Loop: Header=BB133_37 Depth=2
	global_load_b32 v3, v[6:7], off offset:128
	s_or_b32 exec_lo, exec_lo, s20
	s_and_saveexec_b32 s20, s14
	s_cbranch_execz .LBB133_45
.LBB133_54:                             ;   in Loop: Header=BB133_37 Depth=2
	global_load_b32 v4, v[6:7], off offset:256
	s_or_b32 exec_lo, exec_lo, s20
	s_and_saveexec_b32 s20, s15
	s_cbranch_execnz .LBB133_46
	s_branch .LBB133_47
.LBB133_55:                             ;   in Loop: Header=BB133_37 Depth=2
                                        ; implicit-def: $vgpr6
.LBB133_56:                             ;   in Loop: Header=BB133_37 Depth=2
	s_waitcnt lgkmcnt(0)
	v_mov_b32_e32 v7, 0
	s_and_not1_b32 vcc_lo, exec_lo, s33
	s_cbranch_vccnz .LBB133_58
; %bb.57:                               ;   in Loop: Header=BB133_37 Depth=2
	s_mov_b32 s43, s29
	s_delay_alu instid0(SALU_CYCLE_1) | instskip(NEXT) | instid1(SALU_CYCLE_1)
	s_lshl_b64 s[20:21], s[42:43], 2
	s_add_u32 s20, s57, s20
	s_addc_u32 s21, s58, s21
	global_load_b32 v7, v1, s[20:21]
.LBB133_58:                             ;   in Loop: Header=BB133_37 Depth=2
	v_mov_b32_e32 v6, 1.0
.LBB133_59:                             ;   in Loop: Header=BB133_37 Depth=2
	s_waitcnt lgkmcnt(7)
	v_dual_mul_f32 v55, 0x3fb8aa3b, v55 :: v_dual_mul_f32 v10, v10, v54
	s_waitcnt lgkmcnt(6)
	v_dual_mul_f32 v11, v11, v53 :: v_dual_mul_f32 v8, v8, v52
	v_mul_f32_e32 v9, v9, v47
	s_delay_alu instid0(VALU_DEP_3) | instskip(SKIP_2) | instid1(VALU_DEP_3)
	v_mul_f32_e32 v57, v55, v40
	v_mul_f32_e32 v58, v55, v45
	;; [unrolled: 1-line block ×3, first 2 shown]
	v_cmp_gt_f32_e64 s20, 0xc2fc0000, v57
	s_delay_alu instid0(VALU_DEP_3) | instskip(NEXT) | instid1(VALU_DEP_3)
	v_cmp_gt_f32_e64 s21, 0xc2fc0000, v58
	v_cmp_gt_f32_e64 s22, 0xc2fc0000, v59
	s_delay_alu instid0(VALU_DEP_3) | instskip(SKIP_1) | instid1(VALU_DEP_4)
	v_cndmask_b32_e64 v57, 0, 0x42800000, s20
	v_cndmask_b32_e64 v60, 1.0, 0x1f800000, s20
	v_cndmask_b32_e64 v58, 0, 0x42800000, s21
	s_delay_alu instid0(VALU_DEP_4) | instskip(SKIP_2) | instid1(VALU_DEP_4)
	v_cndmask_b32_e64 v59, 0, 0x42800000, s22
	v_cndmask_b32_e64 v61, 1.0, 0x1f800000, s21
	v_fmac_f32_e32 v57, v55, v40
	v_fmac_f32_e32 v58, v55, v45
	s_delay_alu instid0(VALU_DEP_4) | instskip(NEXT) | instid1(VALU_DEP_3)
	v_fmac_f32_e32 v59, v55, v46
	v_exp_f32_e32 v57, v57
	v_mul_f32_e32 v56, v55, v39
	s_delay_alu instid0(VALU_DEP_2)
	v_exp_f32_e32 v63, v59
	s_waitcnt_depctr 0xfff
	v_mul_f32_e32 v57, v57, v60
	v_cmp_gt_f32_e32 vcc_lo, 0xc2fc0000, v56
	v_cndmask_b32_e64 v60, 0, v10, s16
	v_cndmask_b32_e64 v10, 1.0, 0x1f800000, s22
	s_delay_alu instid0(VALU_DEP_4) | instskip(SKIP_2) | instid1(VALU_DEP_2)
	v_cndmask_b32_e64 v59, 1.0, v57, s17
	v_cndmask_b32_e64 v56, 0, 0x42800000, vcc_lo
	v_cndmask_b32_e64 v57, 0, v9, s19
	v_fmac_f32_e32 v56, v55, v39
	v_exp_f32_e32 v55, v58
	v_cndmask_b32_e64 v58, 1.0, 0x1f800000, vcc_lo
	s_delay_alu instid0(VALU_DEP_2) | instskip(SKIP_4) | instid1(VALU_DEP_3)
	v_exp_f32_e32 v56, v56
	s_waitcnt_depctr 0xfff
	v_mul_f32_e32 v56, v56, v58
	v_mul_f32_e32 v58, v55, v61
	v_cndmask_b32_e64 v55, 0, v11, s17
	v_cndmask_b32_e64 v62, 1.0, v56, s16
	v_cndmask_b32_e64 v56, 0, v8, s18
	v_mul_f32_e32 v8, v63, v10
	v_cndmask_b32_e64 v61, 1.0, v58, s18
	v_fma_f32 v11, v59, v60, v55
	v_mul_f32_e32 v10, v59, v62
	s_delay_alu instid0(VALU_DEP_4) | instskip(NEXT) | instid1(VALU_DEP_3)
	v_cndmask_b32_e64 v58, 1.0, v8, s19
	v_fma_f32 v9, v11, v61, v56
	s_delay_alu instid0(VALU_DEP_3) | instskip(NEXT) | instid1(VALU_DEP_2)
	v_mul_f32_e32 v8, v10, v61
	v_fma_f32 v9, v9, v58, v57
	s_delay_alu instid0(VALU_DEP_2) | instskip(NEXT) | instid1(VALU_DEP_2)
	v_mul_f32_e32 v8, v8, v58
	v_mov_b32_dpp v10, v9 row_shr:1 row_mask:0xf bank_mask:0xf
	s_delay_alu instid0(VALU_DEP_2)
	v_mov_b32_dpp v11, v8 row_shr:1 row_mask:0xf bank_mask:0xf
	s_and_saveexec_b32 s20, s0
; %bb.60:                               ;   in Loop: Header=BB133_37 Depth=2
	s_delay_alu instid0(VALU_DEP_1) | instskip(NEXT) | instid1(VALU_DEP_1)
	v_mul_f32_e32 v11, v8, v11
	v_dual_fmac_f32 v9, v8, v10 :: v_dual_mov_b32 v8, v11
; %bb.61:                               ;   in Loop: Header=BB133_37 Depth=2
	s_or_b32 exec_lo, exec_lo, s20
	s_delay_alu instid0(VALU_DEP_1) | instskip(NEXT) | instid1(VALU_DEP_2)
	v_mov_b32_dpp v10, v8 row_shr:2 row_mask:0xf bank_mask:0xf
	v_mov_b32_dpp v11, v9 row_shr:2 row_mask:0xf bank_mask:0xf
	s_and_saveexec_b32 s20, s1
; %bb.62:                               ;   in Loop: Header=BB133_37 Depth=2
	s_delay_alu instid0(VALU_DEP_1) | instskip(NEXT) | instid1(VALU_DEP_3)
	v_fmac_f32_e32 v9, v8, v11
	v_mul_f32_e32 v8, v8, v10
; %bb.63:                               ;   in Loop: Header=BB133_37 Depth=2
	s_or_b32 exec_lo, exec_lo, s20
	s_delay_alu instid0(VALU_DEP_1) | instskip(NEXT) | instid1(VALU_DEP_3)
	v_mov_b32_dpp v10, v8 row_shr:4 row_mask:0xf bank_mask:0xf
	v_mov_b32_dpp v11, v9 row_shr:4 row_mask:0xf bank_mask:0xf
	s_and_saveexec_b32 s20, s2
; %bb.64:                               ;   in Loop: Header=BB133_37 Depth=2
	s_delay_alu instid0(VALU_DEP_1) | instskip(NEXT) | instid1(VALU_DEP_3)
	v_fmac_f32_e32 v9, v8, v11
	v_mul_f32_e32 v8, v8, v10
; %bb.65:                               ;   in Loop: Header=BB133_37 Depth=2
	s_or_b32 exec_lo, exec_lo, s20
	s_delay_alu instid0(VALU_DEP_1) | instskip(NEXT) | instid1(VALU_DEP_3)
	v_mov_b32_dpp v10, v8 row_shr:8 row_mask:0xf bank_mask:0xf
	v_mov_b32_dpp v11, v9 row_shr:8 row_mask:0xf bank_mask:0xf
	s_and_saveexec_b32 s20, s3
; %bb.66:                               ;   in Loop: Header=BB133_37 Depth=2
	s_delay_alu instid0(VALU_DEP_1) | instskip(NEXT) | instid1(VALU_DEP_3)
	v_fmac_f32_e32 v9, v8, v11
	v_mul_f32_e32 v8, v8, v10
; %bb.67:                               ;   in Loop: Header=BB133_37 Depth=2
	s_or_b32 exec_lo, exec_lo, s20
	ds_swizzle_b32 v11, v8 offset:swizzle(BROADCAST,32,15)
	ds_swizzle_b32 v10, v9 offset:swizzle(BROADCAST,32,15)
	s_and_saveexec_b32 s20, s4
	s_cbranch_execz .LBB133_69
; %bb.68:                               ;   in Loop: Header=BB133_37 Depth=2
	s_waitcnt lgkmcnt(1)
	v_mul_f32_e32 v11, v8, v11
	s_waitcnt lgkmcnt(0)
	s_delay_alu instid0(VALU_DEP_1)
	v_dual_fmac_f32 v9, v8, v10 :: v_dual_mov_b32 v8, v11
.LBB133_69:                             ;   in Loop: Header=BB133_37 Depth=2
	s_or_b32 exec_lo, exec_lo, s20
	s_and_saveexec_b32 s20, s5
	s_cbranch_execz .LBB133_71
; %bb.70:                               ;   in Loop: Header=BB133_37 Depth=2
	ds_store_b64 v26, v[8:9] offset:2112
.LBB133_71:                             ;   in Loop: Header=BB133_37 Depth=2
	s_or_b32 exec_lo, exec_lo, s20
	s_waitcnt vmcnt(0) lgkmcnt(0)
	s_waitcnt_vscnt null, 0x0
	s_barrier
	buffer_gl0_inv
	s_and_saveexec_b32 s20, s6
	s_cbranch_execz .LBB133_73
; %bb.72:                               ;   in Loop: Header=BB133_37 Depth=2
	ds_load_b64 v[10:11], v27 offset:2112
	s_waitcnt lgkmcnt(0)
	v_mov_b32_dpp v63, v10 row_shr:1 row_mask:0xf bank_mask:0xf
	v_mov_b32_dpp v64, v11 row_shr:1 row_mask:0xf bank_mask:0xf
	s_delay_alu instid0(VALU_DEP_2) | instskip(NEXT) | instid1(VALU_DEP_2)
	v_mul_f32_e32 v63, v10, v63
	v_fma_f32 v64, v10, v64, v11
	s_delay_alu instid0(VALU_DEP_2) | instskip(NEXT) | instid1(VALU_DEP_2)
	v_cndmask_b32_e64 v10, v63, v10, s7
	v_cndmask_b32_e64 v11, v64, v11, s7
	ds_store_b64 v27, v[10:11] offset:2112
.LBB133_73:                             ;   in Loop: Header=BB133_37 Depth=2
	s_or_b32 exec_lo, exec_lo, s20
	s_waitcnt lgkmcnt(0)
	s_barrier
	buffer_gl0_inv
                                        ; implicit-def: $vgpr11
	s_and_saveexec_b32 s20, s9
	s_cbranch_execz .LBB133_75
; %bb.74:                               ;   in Loop: Header=BB133_37 Depth=2
	ds_load_b64 v[10:11], v26 offset:2104
	s_waitcnt lgkmcnt(0)
	v_mul_f32_e32 v63, v8, v10
	s_delay_alu instid0(VALU_DEP_1)
	v_dual_fmac_f32 v9, v8, v11 :: v_dual_mov_b32 v8, v63
.LBB133_75:                             ;   in Loop: Header=BB133_37 Depth=2
	s_or_b32 exec_lo, exec_lo, s20
	ds_bpermute_b32 v63, v28, v8
	ds_bpermute_b32 v64, v28, v9
	s_and_saveexec_b32 s20, s8
	s_cbranch_execz .LBB133_79
; %bb.76:                               ;   in Loop: Header=BB133_37 Depth=2
	ds_load_b64 v[8:9], v1 offset:2120
	s_and_saveexec_b32 s21, s10
	s_cbranch_execz .LBB133_78
; %bb.77:                               ;   in Loop: Header=BB133_37 Depth=2
	ds_store_b64 v1, v[6:7] offset:2120
.LBB133_78:                             ;   in Loop: Header=BB133_37 Depth=2
	s_or_b32 exec_lo, exec_lo, s21
	s_waitcnt lgkmcnt(0)
	v_fmac_f32_e32 v9, v7, v8
	s_delay_alu instid0(VALU_DEP_1)
	v_dual_mul_f32 v6, v6, v8 :: v_dual_mov_b32 v7, v9
.LBB133_79:                             ;   in Loop: Header=BB133_37 Depth=2
	s_or_b32 exec_lo, exec_lo, s20
	s_waitcnt lgkmcnt(0)
	s_barrier
	buffer_gl0_inv
	ds_load_b32 v8, v1 offset:2124
	s_and_saveexec_b32 s20, s10
	s_cbranch_execz .LBB133_36
; %bb.80:                               ;   in Loop: Header=BB133_37 Depth=2
	v_mov_b32_e32 v9, s69
	s_and_not1_b32 vcc_lo, exec_lo, s67
	ds_store_b64 v9, v[6:7]
	s_cbranch_vccnz .LBB133_36
; %bb.81:                               ;   in Loop: Header=BB133_37 Depth=2
	s_mov_b32 s43, s29
	s_delay_alu instid0(SALU_CYCLE_1) | instskip(NEXT) | instid1(SALU_CYCLE_1)
	s_lshl_b64 s[26:27], s[42:43], 2
	s_add_u32 s26, s57, s26
	s_addc_u32 s27, s58, s27
	global_store_b32 v1, v7, s[26:27]
	s_branch .LBB133_36
.LBB133_82:                             ;   in Loop: Header=BB133_12 Depth=1
	s_waitcnt_vscnt null, 0x0
	s_barrier
	buffer_gl0_inv
	ds_store_2addr_b32 v21, v44, v42 offset1:1
	ds_store_2addr_b32 v21, v41, v43 offset0:2 offset1:3
	; wave barrier
	ds_load_b32 v6, v18 offset:128
	ds_load_b32 v5, v19 offset:256
	;; [unrolled: 1-line block ×3, first 2 shown]
	s_mov_b32 s31, s29
	s_delay_alu instid0(SALU_CYCLE_1) | instskip(NEXT) | instid1(SALU_CYCLE_1)
	s_lshl_b64 s[20:21], s[30:31], 2
	v_add_co_u32 v2, vcc_lo, v0, s20
	v_add_co_ci_u32_e32 v3, vcc_lo, s21, v29, vcc_lo
	s_and_saveexec_b32 s16, s12
	s_cbranch_execnz .LBB133_98
; %bb.83:                               ;   in Loop: Header=BB133_12 Depth=1
	s_or_b32 exec_lo, exec_lo, s16
	s_and_saveexec_b32 s16, s13
	s_cbranch_execnz .LBB133_99
.LBB133_84:                             ;   in Loop: Header=BB133_12 Depth=1
	s_or_b32 exec_lo, exec_lo, s16
	s_and_saveexec_b32 s16, s14
	s_cbranch_execnz .LBB133_100
.LBB133_85:                             ;   in Loop: Header=BB133_12 Depth=1
	s_or_b32 exec_lo, exec_lo, s16
	s_and_saveexec_b32 s16, s15
	s_cbranch_execz .LBB133_87
.LBB133_86:                             ;   in Loop: Header=BB133_12 Depth=1
	s_waitcnt lgkmcnt(0)
	global_store_b32 v[2:3], v4, off offset:384
.LBB133_87:                             ;   in Loop: Header=BB133_12 Depth=1
	s_or_b32 exec_lo, exec_lo, s16
	s_mov_b32 s28, s29
	s_mov_b32 s30, s29
	;; [unrolled: 1-line block ×3, first 2 shown]
	s_waitcnt lgkmcnt(2)
	v_add_co_u32 v6, vcc_lo, v30, s20
	s_waitcnt lgkmcnt(0)
	v_dual_mov_b32 v2, s28 :: v_dual_mov_b32 v3, s29
	v_add_co_ci_u32_e32 v7, vcc_lo, s21, v31, vcc_lo
	v_dual_mov_b32 v4, s30 :: v_dual_mov_b32 v5, s31
	v_mov_b32_e32 v8, 0
	s_waitcnt_vscnt null, 0x0
	s_barrier
	buffer_gl0_inv
	s_and_saveexec_b32 s16, s12
	s_cbranch_execnz .LBB133_101
; %bb.88:                               ;   in Loop: Header=BB133_12 Depth=1
	s_or_b32 exec_lo, exec_lo, s16
	s_and_saveexec_b32 s16, s13
	s_cbranch_execnz .LBB133_102
.LBB133_89:                             ;   in Loop: Header=BB133_12 Depth=1
	s_or_b32 exec_lo, exec_lo, s16
	s_and_saveexec_b32 s16, s14
	s_cbranch_execnz .LBB133_103
.LBB133_90:                             ;   in Loop: Header=BB133_12 Depth=1
	s_or_b32 exec_lo, exec_lo, s16
	s_and_saveexec_b32 s16, s15
	s_cbranch_execz .LBB133_92
.LBB133_91:                             ;   in Loop: Header=BB133_12 Depth=1
	global_load_b32 v5, v[6:7], off offset:384
.LBB133_92:                             ;   in Loop: Header=BB133_12 Depth=1
	s_or_b32 exec_lo, exec_lo, s16
	s_waitcnt vmcnt(0)
	ds_store_b32 v17, v8
	ds_store_b32 v18, v3 offset:128
	ds_store_b32 v19, v4 offset:256
	;; [unrolled: 1-line block ×3, first 2 shown]
	; wave barrier
	ds_load_2addr_b32 v[2:3], v21 offset1:1
	ds_load_2addr_b32 v[4:5], v21 offset0:2 offset1:3
	s_waitcnt lgkmcnt(0)
	s_barrier
	buffer_gl0_inv
	v_dual_mul_f32 v6, 0xbfb8aa3b, v2 :: v_dual_mul_f32 v7, 0xbfb8aa3b, v3
	v_dual_mul_f32 v8, 0xbfb8aa3b, v4 :: v_dual_mul_f32 v9, 0xbfb8aa3b, v5
	v_cmp_nlt_f32_e32 vcc_lo, 0x42ce8ed0, v2
	s_delay_alu instid0(VALU_DEP_3)
	v_rndne_f32_e32 v10, v6
	v_fma_f32 v11, 0xbfb8aa3b, v2, -v6
	v_rndne_f32_e32 v39, v7
	v_fma_f32 v40, 0xbfb8aa3b, v3, -v7
	v_rndne_f32_e32 v45, v8
	v_rndne_f32_e32 v47, v9
	v_fma_f32 v48, 0xbfb8aa3b, v5, -v9
	v_dual_sub_f32 v6, v6, v10 :: v_dual_sub_f32 v7, v7, v39
	v_dual_fmac_f32 v11, 0xb2a5705f, v2 :: v_dual_fmac_f32 v40, 0xb2a5705f, v3
	v_fma_f32 v46, 0xbfb8aa3b, v4, -v8
	v_dual_sub_f32 v8, v8, v45 :: v_dual_sub_f32 v9, v9, v47
	s_delay_alu instid0(VALU_DEP_3) | instskip(NEXT) | instid1(VALU_DEP_4)
	v_dual_fmac_f32 v48, 0xb2a5705f, v5 :: v_dual_add_f32 v7, v7, v40
	v_add_f32_e32 v6, v6, v11
	v_cvt_i32_f32_e32 v10, v10
	v_cvt_i32_f32_e32 v11, v39
	s_delay_alu instid0(VALU_DEP_4)
	v_add_f32_e32 v9, v9, v48
	v_exp_f32_e32 v7, v7
	v_exp_f32_e32 v6, v6
	v_cvt_i32_f32_e32 v40, v47
	v_cvt_i32_f32_e32 v39, v45
	v_exp_f32_e32 v9, v9
	s_delay_alu instid0(TRANS32_DEP_3) | instskip(SKIP_3) | instid1(VALU_DEP_2)
	v_ldexp_f32 v7, v7, v11
	s_waitcnt_depctr 0xfff
	v_ldexp_f32 v6, v6, v10
	v_ldexp_f32 v9, v9, v40
	v_cndmask_b32_e32 v6, 0, v6, vcc_lo
	v_cmp_nlt_f32_e32 vcc_lo, 0x42ce8ed0, v3
	v_dual_fmac_f32 v46, 0xb2a5705f, v4 :: v_dual_cndmask_b32 v7, 0, v7
	s_delay_alu instid0(VALU_DEP_1) | instskip(SKIP_1) | instid1(VALU_DEP_2)
	v_add_f32_e32 v8, v8, v46
	v_cmp_nlt_f32_e32 vcc_lo, 0x42ce8ed0, v4
	v_exp_f32_e32 v8, v8
	s_waitcnt_depctr 0xfff
	v_ldexp_f32 v8, v8, v39
	s_delay_alu instid0(VALU_DEP_1)
	v_cndmask_b32_e32 v8, 0, v8, vcc_lo
	v_cmp_nlt_f32_e32 vcc_lo, 0x42ce8ed0, v5
	v_cndmask_b32_e32 v9, 0, v9, vcc_lo
	v_cmp_ngt_f32_e32 vcc_lo, 0xc2b17218, v2
	v_cndmask_b32_e32 v6, 0x7f800000, v6, vcc_lo
	v_cmp_ngt_f32_e32 vcc_lo, 0xc2b17218, v3
	s_delay_alu instid0(VALU_DEP_2) | instskip(SKIP_1) | instid1(VALU_DEP_2)
	v_dual_add_f32 v6, 1.0, v6 :: v_dual_cndmask_b32 v7, 0x7f800000, v7
	v_cmp_ngt_f32_e32 vcc_lo, 0xc2b17218, v4
	v_div_scale_f32 v10, null, v6, v6, v2
	v_cndmask_b32_e32 v8, 0x7f800000, v8, vcc_lo
	v_cmp_ngt_f32_e32 vcc_lo, 0xc2b17218, v5
	v_add_f32_e32 v7, 1.0, v7
	s_delay_alu instid0(VALU_DEP_4) | instskip(NEXT) | instid1(VALU_DEP_3)
	v_rcp_f32_e32 v45, v10
	v_dual_add_f32 v8, 1.0, v8 :: v_dual_cndmask_b32 v9, 0x7f800000, v9
	s_delay_alu instid0(VALU_DEP_2) | instskip(SKIP_1) | instid1(VALU_DEP_3)
	v_div_scale_f32 v11, null, v7, v7, v3
	v_div_scale_f32 v50, s16, v3, v7, v3
	v_add_f32_e32 v9, 1.0, v9
	s_delay_alu instid0(VALU_DEP_3) | instskip(SKIP_1) | instid1(TRANS32_DEP_2)
	v_rcp_f32_e32 v46, v11
	v_div_scale_f32 v39, null, v8, v8, v4
	v_fma_f32 v52, -v10, v45, 1.0
	s_delay_alu instid0(VALU_DEP_3) | instskip(NEXT) | instid1(VALU_DEP_3)
	v_div_scale_f32 v40, null, v9, v9, v5
	v_rcp_f32_e32 v47, v39
	v_div_scale_f32 v56, s18, v5, v9, v5
	s_delay_alu instid0(VALU_DEP_2) | instskip(NEXT) | instid1(TRANS32_DEP_3)
	v_rcp_f32_e32 v48, v40
	v_fma_f32 v53, -v11, v46, 1.0
	v_div_scale_f32 v49, vcc_lo, v2, v6, v2
	v_fmac_f32_e32 v45, v52, v45
	v_div_scale_f32 v51, s17, v4, v8, v4
	s_delay_alu instid0(TRANS32_DEP_2) | instskip(SKIP_2) | instid1(VALU_DEP_1)
	v_fma_f32 v54, -v39, v47, 1.0
	s_waitcnt_depctr 0xfff
	v_fma_f32 v55, -v40, v48, 1.0
	v_dual_fmac_f32 v47, v54, v47 :: v_dual_fmac_f32 v48, v55, v48
	s_delay_alu instid0(VALU_DEP_1) | instskip(NEXT) | instid1(VALU_DEP_1)
	v_dual_fmac_f32 v46, v53, v46 :: v_dual_mul_f32 v55, v56, v48
	v_mul_f32_e32 v53, v50, v46
	s_delay_alu instid0(VALU_DEP_2) | instskip(NEXT) | instid1(VALU_DEP_2)
	v_fma_f32 v60, -v40, v55, v56
	v_fma_f32 v58, -v11, v53, v50
	v_mul_f32_e32 v52, v49, v45
	s_delay_alu instid0(VALU_DEP_3) | instskip(NEXT) | instid1(VALU_DEP_3)
	v_dual_mul_f32 v54, v51, v47 :: v_dual_fmac_f32 v55, v60, v48
	v_fmac_f32_e32 v53, v58, v46
	s_delay_alu instid0(VALU_DEP_3) | instskip(NEXT) | instid1(VALU_DEP_3)
	v_fma_f32 v57, -v10, v52, v49
	v_fma_f32 v59, -v39, v54, v51
	s_delay_alu instid0(VALU_DEP_4) | instskip(NEXT) | instid1(VALU_DEP_4)
	v_fma_f32 v40, -v40, v55, v56
	v_fma_f32 v11, -v11, v53, v50
	s_delay_alu instid0(VALU_DEP_4) | instskip(NEXT) | instid1(VALU_DEP_4)
	v_fmac_f32_e32 v52, v57, v45
	v_fmac_f32_e32 v54, v59, v47
	s_delay_alu instid0(VALU_DEP_2) | instskip(NEXT) | instid1(VALU_DEP_2)
	v_fma_f32 v10, -v10, v52, v49
	v_fma_f32 v39, -v39, v54, v51
	s_delay_alu instid0(VALU_DEP_2) | instskip(SKIP_3) | instid1(VALU_DEP_2)
	v_div_fmas_f32 v10, v10, v45, v52
	s_mov_b32 vcc_lo, s16
	v_div_fmas_f32 v11, v11, v46, v53
	s_mov_b32 vcc_lo, s17
	v_div_fixup_f32 v2, v10, v6, v2
	v_div_fmas_f32 v39, v39, v47, v54
	s_mov_b32 vcc_lo, s18
	v_div_fixup_f32 v3, v11, v7, v3
	v_div_fmas_f32 v40, v40, v48, v55
	s_delay_alu instid0(VALU_DEP_3) | instskip(NEXT) | instid1(VALU_DEP_3)
	v_div_fixup_f32 v4, v39, v8, v4
	v_mul_f32_e32 v3, v3, v42
	s_delay_alu instid0(VALU_DEP_3) | instskip(SKIP_1) | instid1(VALU_DEP_2)
	v_div_fixup_f32 v5, v40, v9, v5
	v_mul_f32_e32 v2, v2, v44
	v_dual_mul_f32 v4, v4, v41 :: v_dual_mul_f32 v5, v5, v43
	ds_store_2addr_b32 v21, v2, v3 offset1:1
	ds_store_2addr_b32 v21, v4, v5 offset0:2 offset1:3
	; wave barrier
	ds_load_b32 v6, v18 offset:128
	ds_load_b32 v5, v19 offset:256
	;; [unrolled: 1-line block ×3, first 2 shown]
	v_add_co_u32 v2, vcc_lo, v32, s20
	v_add_co_ci_u32_e32 v3, vcc_lo, s21, v33, vcc_lo
	s_and_saveexec_b32 s16, s12
	s_cbranch_execnz .LBB133_104
; %bb.93:                               ;   in Loop: Header=BB133_12 Depth=1
	s_or_b32 exec_lo, exec_lo, s16
	s_and_saveexec_b32 s12, s13
	s_cbranch_execnz .LBB133_105
.LBB133_94:                             ;   in Loop: Header=BB133_12 Depth=1
	s_or_b32 exec_lo, exec_lo, s12
	s_and_saveexec_b32 s12, s14
	s_cbranch_execnz .LBB133_106
.LBB133_95:                             ;   in Loop: Header=BB133_12 Depth=1
	s_or_b32 exec_lo, exec_lo, s12
	s_and_saveexec_b32 s12, s15
	s_cbranch_execz .LBB133_11
	s_branch .LBB133_107
.LBB133_96:                             ;   in Loop: Header=BB133_12 Depth=1
	global_load_b32 v10, v[6:7], off offset:128
	s_or_b32 exec_lo, exec_lo, s16
	s_and_saveexec_b32 s16, s14
	s_cbranch_execz .LBB133_24
.LBB133_97:                             ;   in Loop: Header=BB133_12 Depth=1
	global_load_b32 v9, v[6:7], off offset:256
	s_or_b32 exec_lo, exec_lo, s16
	v_mov_b32_e32 v11, 0
	s_and_saveexec_b32 s16, s15
	s_cbranch_execnz .LBB133_25
	s_branch .LBB133_26
.LBB133_98:                             ;   in Loop: Header=BB133_12 Depth=1
	ds_load_b32 v7, v17
	s_waitcnt lgkmcnt(0)
	global_store_b32 v[2:3], v7, off
	s_or_b32 exec_lo, exec_lo, s16
	s_and_saveexec_b32 s16, s13
	s_cbranch_execz .LBB133_84
.LBB133_99:                             ;   in Loop: Header=BB133_12 Depth=1
	s_waitcnt lgkmcnt(2)
	global_store_b32 v[2:3], v6, off offset:128
	s_or_b32 exec_lo, exec_lo, s16
	s_and_saveexec_b32 s16, s14
	s_cbranch_execz .LBB133_85
.LBB133_100:                            ;   in Loop: Header=BB133_12 Depth=1
	s_waitcnt lgkmcnt(1)
	global_store_b32 v[2:3], v5, off offset:256
	s_or_b32 exec_lo, exec_lo, s16
	s_and_saveexec_b32 s16, s15
	s_cbranch_execnz .LBB133_86
	s_branch .LBB133_87
.LBB133_101:                            ;   in Loop: Header=BB133_12 Depth=1
	global_load_b32 v8, v[6:7], off
	v_mov_b32_e32 v3, v1
	v_mov_b32_e32 v2, v1
	s_delay_alu instid0(VALU_DEP_2) | instskip(NEXT) | instid1(VALU_DEP_2)
	v_mov_b32_e32 v5, v3
	v_dual_mov_b32 v4, v2 :: v_dual_mov_b32 v3, v1
	v_mov_b32_e32 v2, v0
	s_or_b32 exec_lo, exec_lo, s16
	s_and_saveexec_b32 s16, s13
	s_cbranch_execz .LBB133_89
.LBB133_102:                            ;   in Loop: Header=BB133_12 Depth=1
	global_load_b32 v3, v[6:7], off offset:128
	s_or_b32 exec_lo, exec_lo, s16
	s_and_saveexec_b32 s16, s14
	s_cbranch_execz .LBB133_90
.LBB133_103:                            ;   in Loop: Header=BB133_12 Depth=1
	global_load_b32 v4, v[6:7], off offset:256
	s_or_b32 exec_lo, exec_lo, s16
	s_and_saveexec_b32 s16, s15
	s_cbranch_execnz .LBB133_91
	s_branch .LBB133_92
.LBB133_104:                            ;   in Loop: Header=BB133_12 Depth=1
	ds_load_b32 v7, v17
	s_waitcnt lgkmcnt(0)
	global_store_b32 v[2:3], v7, off
	s_or_b32 exec_lo, exec_lo, s16
	s_and_saveexec_b32 s12, s13
	s_cbranch_execz .LBB133_94
.LBB133_105:                            ;   in Loop: Header=BB133_12 Depth=1
	s_waitcnt lgkmcnt(2)
	global_store_b32 v[2:3], v6, off offset:128
	s_or_b32 exec_lo, exec_lo, s12
	s_and_saveexec_b32 s12, s14
	s_cbranch_execz .LBB133_95
.LBB133_106:                            ;   in Loop: Header=BB133_12 Depth=1
	s_waitcnt lgkmcnt(1)
	global_store_b32 v[2:3], v5, off offset:256
	s_or_b32 exec_lo, exec_lo, s12
	s_and_saveexec_b32 s12, s15
	s_cbranch_execz .LBB133_11
.LBB133_107:                            ;   in Loop: Header=BB133_12 Depth=1
	s_waitcnt lgkmcnt(0)
	global_store_b32 v[2:3], v4, off offset:384
	s_branch .LBB133_11
.LBB133_108:
	s_nop 0
	s_sendmsg sendmsg(MSG_DEALLOC_VGPRS)
	s_endpgm
	.section	.rodata,"a",@progbits
	.p2align	6, 0x0
	.amdhsa_kernel _Z25selective_scan_fwd_kernelI32Selective_Scan_fwd_kernel_traitsILi64ELi4ELi1ELb0ELb1ELb1ELb1ELb0EfffEEv13SSMParamsBase
		.amdhsa_group_segment_fixed_size 0
		.amdhsa_private_segment_fixed_size 0
		.amdhsa_kernarg_size 248
		.amdhsa_user_sgpr_count 14
		.amdhsa_user_sgpr_dispatch_ptr 0
		.amdhsa_user_sgpr_queue_ptr 0
		.amdhsa_user_sgpr_kernarg_segment_ptr 1
		.amdhsa_user_sgpr_dispatch_id 0
		.amdhsa_user_sgpr_private_segment_size 0
		.amdhsa_wavefront_size32 1
		.amdhsa_uses_dynamic_stack 0
		.amdhsa_enable_private_segment 0
		.amdhsa_system_sgpr_workgroup_id_x 1
		.amdhsa_system_sgpr_workgroup_id_y 1
		.amdhsa_system_sgpr_workgroup_id_z 0
		.amdhsa_system_sgpr_workgroup_info 0
		.amdhsa_system_vgpr_workitem_id 0
		.amdhsa_next_free_vgpr 65
		.amdhsa_next_free_sgpr 76
		.amdhsa_reserve_vcc 1
		.amdhsa_float_round_mode_32 0
		.amdhsa_float_round_mode_16_64 0
		.amdhsa_float_denorm_mode_32 3
		.amdhsa_float_denorm_mode_16_64 3
		.amdhsa_dx10_clamp 1
		.amdhsa_ieee_mode 1
		.amdhsa_fp16_overflow 0
		.amdhsa_workgroup_processor_mode 1
		.amdhsa_memory_ordered 1
		.amdhsa_forward_progress 0
		.amdhsa_shared_vgpr_count 0
		.amdhsa_exception_fp_ieee_invalid_op 0
		.amdhsa_exception_fp_denorm_src 0
		.amdhsa_exception_fp_ieee_div_zero 0
		.amdhsa_exception_fp_ieee_overflow 0
		.amdhsa_exception_fp_ieee_underflow 0
		.amdhsa_exception_fp_ieee_inexact 0
		.amdhsa_exception_int_div_zero 0
	.end_amdhsa_kernel
	.section	.text._Z25selective_scan_fwd_kernelI32Selective_Scan_fwd_kernel_traitsILi64ELi4ELi1ELb0ELb1ELb1ELb1ELb0EfffEEv13SSMParamsBase,"axG",@progbits,_Z25selective_scan_fwd_kernelI32Selective_Scan_fwd_kernel_traitsILi64ELi4ELi1ELb0ELb1ELb1ELb1ELb0EfffEEv13SSMParamsBase,comdat
.Lfunc_end133:
	.size	_Z25selective_scan_fwd_kernelI32Selective_Scan_fwd_kernel_traitsILi64ELi4ELi1ELb0ELb1ELb1ELb1ELb0EfffEEv13SSMParamsBase, .Lfunc_end133-_Z25selective_scan_fwd_kernelI32Selective_Scan_fwd_kernel_traitsILi64ELi4ELi1ELb0ELb1ELb1ELb1ELb0EfffEEv13SSMParamsBase
                                        ; -- End function
	.section	.AMDGPU.csdata,"",@progbits
; Kernel info:
; codeLenInByte = 8340
; NumSgprs: 78
; NumVgprs: 65
; ScratchSize: 0
; MemoryBound: 0
; FloatMode: 240
; IeeeMode: 1
; LDSByteSize: 0 bytes/workgroup (compile time only)
; SGPRBlocks: 9
; VGPRBlocks: 8
; NumSGPRsForWavesPerEU: 78
; NumVGPRsForWavesPerEU: 65
; Occupancy: 16
; WaveLimiterHint : 0
; COMPUTE_PGM_RSRC2:SCRATCH_EN: 0
; COMPUTE_PGM_RSRC2:USER_SGPR: 14
; COMPUTE_PGM_RSRC2:TRAP_HANDLER: 0
; COMPUTE_PGM_RSRC2:TGID_X_EN: 1
; COMPUTE_PGM_RSRC2:TGID_Y_EN: 1
; COMPUTE_PGM_RSRC2:TGID_Z_EN: 0
; COMPUTE_PGM_RSRC2:TIDIG_COMP_CNT: 0
	.section	.text._Z25selective_scan_fwd_kernelI32Selective_Scan_fwd_kernel_traitsILi64ELi4ELi1ELb0ELb1ELb1ELb0ELb1EfffEEv13SSMParamsBase,"axG",@progbits,_Z25selective_scan_fwd_kernelI32Selective_Scan_fwd_kernel_traitsILi64ELi4ELi1ELb0ELb1ELb1ELb0ELb1EfffEEv13SSMParamsBase,comdat
	.protected	_Z25selective_scan_fwd_kernelI32Selective_Scan_fwd_kernel_traitsILi64ELi4ELi1ELb0ELb1ELb1ELb0ELb1EfffEEv13SSMParamsBase ; -- Begin function _Z25selective_scan_fwd_kernelI32Selective_Scan_fwd_kernel_traitsILi64ELi4ELi1ELb0ELb1ELb1ELb0ELb1EfffEEv13SSMParamsBase
	.globl	_Z25selective_scan_fwd_kernelI32Selective_Scan_fwd_kernel_traitsILi64ELi4ELi1ELb0ELb1ELb1ELb0ELb1EfffEEv13SSMParamsBase
	.p2align	8
	.type	_Z25selective_scan_fwd_kernelI32Selective_Scan_fwd_kernel_traitsILi64ELi4ELi1ELb0ELb1ELb1ELb0ELb1EfffEEv13SSMParamsBase,@function
_Z25selective_scan_fwd_kernelI32Selective_Scan_fwd_kernel_traitsILi64ELi4ELi1ELb0ELb1ELb1ELb0ELb1EfffEEv13SSMParamsBase: ; @_Z25selective_scan_fwd_kernelI32Selective_Scan_fwd_kernel_traitsILi64ELi4ELi1ELb0ELb1ELb1ELb0ELb1EfffEEv13SSMParamsBase
; %bb.0:
	s_clause 0x2
	s_load_b32 s35, s[0:1], 0x18
	s_load_b128 s[4:7], s[0:1], 0xe0
	s_load_b64 s[10:11], s[0:1], 0xf0
	s_mov_b32 s12, s15
	s_ashr_i32 s15, s14, 31
	s_mov_b32 s33, 0
	s_lshl_b64 s[8:9], s[14:15], 2
	s_waitcnt lgkmcnt(0)
	s_abs_i32 s34, s35
	s_add_u32 s2, s4, s8
	v_cvt_f32_u32_e32 v1, s34
	s_addc_u32 s3, s5, s9
	s_cmp_eq_u64 s[10:11], 0
	s_delay_alu instid0(VALU_DEP_1) | instskip(SKIP_2) | instid1(VALU_DEP_1)
	v_rcp_iflag_f32_e32 v1, v1
	s_waitcnt_depctr 0xfff
	v_mul_f32_e32 v1, 0x4f7ffffe, v1
	v_cvt_u32_f32_e32 v1, v1
	s_delay_alu instid0(VALU_DEP_1)
	v_readfirstlane_b32 s36, v1
	s_cbranch_scc1 .LBB134_2
; %bb.1:
	v_mov_b32_e32 v1, 0
	s_add_u32 s4, s10, s14
	s_addc_u32 s5, s11, s15
	global_load_u8 v1, v1, s[4:5]
	s_waitcnt vmcnt(0)
	v_and_b32_e32 v1, 1, v1
	s_delay_alu instid0(VALU_DEP_1)
	v_cmp_eq_u32_e64 s33, 1, v1
.LBB134_2:
	s_load_b64 s[4:5], s[0:1], 0x20
	s_cmp_eq_u64 s[6:7], 0
	s_cbranch_scc1 .LBB134_4
; %bb.3:
	s_add_u32 s6, s6, s8
	s_addc_u32 s7, s7, s9
	s_load_b32 s14, s[6:7], 0x0
	s_waitcnt lgkmcnt(0)
	s_ashr_i32 s15, s14, 31
.LBB134_4:
	s_waitcnt lgkmcnt(0)
	s_cmp_eq_u64 s[4:5], s[14:15]
	s_cbranch_scc1 .LBB134_92
; %bb.5:
	s_load_b512 s[16:31], s[0:1], 0x88
	s_load_b64 s[10:11], s[2:3], 0x0
	s_mov_b32 s48, 0
	s_mov_b32 s49, 0
	s_waitcnt lgkmcnt(0)
	s_cmp_eq_u64 s[22:23], 0
	s_cbranch_scc1 .LBB134_7
; %bb.6:
	s_ashr_i32 s13, s12, 31
	s_delay_alu instid0(SALU_CYCLE_1) | instskip(NEXT) | instid1(SALU_CYCLE_1)
	s_lshl_b64 s[2:3], s[12:13], 2
	s_add_u32 s2, s22, s2
	s_addc_u32 s3, s23, s3
	s_load_b32 s49, s[2:3], 0x0
.LBB134_7:
	s_cmp_eq_u64 s[28:29], 0
	s_cbranch_scc1 .LBB134_9
; %bb.8:
	s_ashr_i32 s13, s12, 31
	s_delay_alu instid0(SALU_CYCLE_1) | instskip(NEXT) | instid1(SALU_CYCLE_1)
	s_lshl_b64 s[2:3], s[12:13], 2
	s_add_u32 s2, s28, s2
	s_addc_u32 s3, s29, s3
	s_load_b32 s48, s[2:3], 0x0
.LBB134_9:
	s_sub_i32 s23, s11, s10
	s_delay_alu instid0(SALU_CYCLE_1)
	s_cmp_lt_i32 s23, 1
	s_cbranch_scc1 .LBB134_92
; %bb.10:
	s_sub_i32 s2, 0, s34
	s_abs_i32 s5, s12
	s_mul_i32 s4, s2, s36
	s_clause 0x1
	s_load_b64 s[2:3], s[0:1], 0x5c
	s_load_b128 s[44:47], s[0:1], 0x4c
	s_mul_hi_u32 s4, s36, s4
	s_ashr_i32 s7, s35, 31
	s_add_i32 s36, s36, s4
	s_ashr_i32 s4, s12, 31
	s_mul_hi_u32 s6, s5, s36
	s_xor_b32 s7, s4, s7
	s_mul_i32 s8, s6, s34
	s_load_b256 s[36:43], s[0:1], 0x2c
	s_sub_i32 s4, s5, s8
	s_add_i32 s5, s6, 1
	s_sub_i32 s8, s4, s34
	s_cmp_ge_u32 s4, s34
	s_mov_b32 s35, 0
	s_cselect_b32 s5, s5, s6
	s_cselect_b32 s4, s8, s4
	s_add_i32 s6, s5, 1
	s_cmp_ge_u32 s4, s34
	v_dual_mov_b32 v1, 0 :: v_dual_lshlrev_b32 v12, 2, v0
	s_cselect_b32 s4, s6, s5
	s_waitcnt lgkmcnt(0)
	s_mul_i32 s34, s10, s46
	s_xor_b32 s6, s4, s7
	s_lshl_b64 s[4:5], s[34:35], 2
	s_sub_i32 s6, s6, s7
	s_mul_i32 s34, s47, s12
	s_add_u32 s7, s24, s4
	s_addc_u32 s8, s25, s5
	s_lshl_b64 s[4:5], s[34:35], 2
	s_mul_i32 s34, s10, s2
	s_add_u32 s50, s7, s4
	s_addc_u32 s51, s8, s5
	s_lshl_b64 s[4:5], s[34:35], 2
	s_mul_i32 s34, s3, s12
	s_add_u32 s4, s26, s4
	s_addc_u32 s5, s27, s5
	s_load_b128 s[24:27], s[0:1], 0x7c
	s_lshl_b64 s[2:3], s[34:35], 2
	s_mul_i32 s34, s36, s12
	s_add_u32 s52, s4, s2
	s_addc_u32 s36, s5, s3
	s_load_b64 s[4:5], s[0:1], 0xc8
	s_lshl_b64 s[2:3], s[34:35], 2
	s_mul_i32 s34, s10, s38
	s_add_u32 s53, s16, s2
	s_waitcnt lgkmcnt(0)
	s_addc_u32 s27, s17, s3
	s_load_b64 s[16:17], s[0:1], 0x6c
	s_lshl_b64 s[2:3], s[34:35], 2
	s_mul_i32 s34, s6, s41
	s_clause 0x1
	s_load_b32 s58, s[0:1], 0xc
	s_load_b32 s0, s[0:1], 0x28
	s_add_u32 s7, s18, s2
	v_mbcnt_lo_u32_b32 v2, -1, 0
	v_and_b32_e32 v3, 0x80, v12
	s_addc_u32 s8, s19, s3
	s_lshl_b64 s[2:3], s[34:35], 2
	s_mul_i32 s34, s10, s42
	s_add_u32 s41, s7, s2
	s_addc_u32 s54, s8, s3
	s_lshl_b64 s[2:3], s[34:35], 2
	s_mul_i32 s34, s6, s45
	v_or_b32_e32 v13, v2, v3
	s_add_u32 s7, s20, s2
	s_addc_u32 s6, s21, s3
	s_lshl_b64 s[2:3], s[34:35], 2
	s_mul_i32 s34, s14, s24
	s_add_u32 s45, s7, s2
	s_addc_u32 s55, s6, s3
	s_lshl_b64 s[2:3], s[34:35], 2
	v_lshrrev_b32_e32 v4, 5, v3
	v_or_b32_e32 v14, 32, v13
	v_or_b32_e32 v15, 64, v13
	v_and_b32_e32 v5, 32, v0
	s_mul_i32 s34, s25, s12
	s_add_u32 s4, s4, s2
	s_addc_u32 s5, s5, s3
	s_lshl_b64 s[2:3], s[34:35], 2
	v_add_nc_u32_e32 v4, v4, v13
	s_add_u32 s56, s4, s2
	v_lshrrev_b32_e32 v6, 5, v14
	v_lshrrev_b32_e32 v7, 5, v15
	v_or_b32_e32 v16, 0x60, v13
	v_or_b32_e32 v8, v2, v5
	s_addc_u32 s57, s5, s3
	s_add_i32 s2, s23, 0x7ff
	v_lshl_add_u32 v17, v4, 2, 0
	s_lshr_b32 s59, s2, 11
	s_waitcnt lgkmcnt(0)
	s_bitcmp1_b32 s0, 0
	v_add_lshl_u32 v4, v6, v13, 2
	v_add_lshl_u32 v6, v7, v13, 2
	v_lshrrev_b32_e32 v7, 5, v16
	v_lshlrev_b32_e32 v9, 2, v8
	v_bfe_u32 v8, v8, 3, 27
	s_cselect_b32 s60, -1, 0
	s_cmp_gt_i32 s58, 0
	v_add_nc_u32_e32 v18, 0, v4
	s_cselect_b32 s61, -1, 0
	s_add_i32 s0, 0, 0x420
	v_add_lshl_u32 v7, v7, v13, 2
	v_add_lshl_u32 v8, v8, v9, 2
	v_add_nc_u32_e32 v22, s0, v4
	v_and_b32_e32 v4, 15, v2
	s_and_b32 s1, s23, 0xff
	v_add_nc_u32_e32 v23, s0, v6
	v_add_nc_u32_e32 v24, s0, v7
	s_cmp_eq_u32 s1, 0
	v_add_nc_u32_e32 v25, s0, v8
	v_cmp_ne_u32_e64 s0, 0, v4
	v_cmp_lt_u32_e64 s1, 1, v4
	v_cmp_lt_u32_e64 s2, 3, v4
	;; [unrolled: 1-line block ×3, first 2 shown]
	v_add_nc_u32_e32 v4, -1, v2
	v_or_b32_e32 v5, 31, v5
	s_mul_i32 s34, s10, s16
	s_cselect_b32 s62, -1, 0
	s_lshl_b64 s[14:15], s[34:35], 2
	v_cmp_gt_i32_e32 vcc_lo, 0, v4
	s_add_i32 s63, s59, -1
	s_mul_i32 s34, s17, s12
	v_add_nc_u32_e32 v19, 0, v6
	v_lshrrev_b32_e32 v6, 2, v0
	v_cndmask_b32_e32 v4, v4, v2, vcc_lo
	v_cmp_eq_u32_e64 s5, v5, v0
	v_cmp_gt_u32_e64 s6, 2, v0
	v_lshl_add_u32 v27, v0, 3, 0
	v_cmp_gt_u32_e64 s8, 32, v0
	v_cmp_lt_u32_e64 s9, 31, v0
	v_cmp_eq_u32_e64 s10, 0, v0
	s_add_u32 s11, s30, s14
	v_lshlrev_b32_e32 v0, 2, v2
	s_addc_u32 s14, s31, s15
	s_lshl_b64 s[12:13], s[34:35], 2
	v_and_b32_e32 v5, 1, v2
	s_add_u32 s11, s11, s12
	v_lshlrev_b32_e32 v28, 2, v4
	s_addc_u32 s12, s14, s13
	v_lshlrev_b32_e32 v4, 2, v3
	v_add_co_u32 v0, s11, s11, v0
	v_add_nc_u32_e32 v20, 0, v7
	v_and_b32_e32 v7, 16, v2
	v_and_b32_e32 v6, 8, v6
	v_cmp_eq_u32_e64 s7, 0, v5
	v_add_co_ci_u32_e64 v5, null, s12, 0, s11
	v_add_co_u32 v0, vcc_lo, v0, v4
	v_add_nc_u32_e32 v21, 0, v8
	v_cmp_ne_u32_e64 s4, 0, v7
	v_add_nc_u32_e32 v26, 0, v6
	v_cmp_eq_u32_e64 s11, 0, v2
	v_add_co_ci_u32_e32 v29, vcc_lo, 0, v5, vcc_lo
	v_or_b32_e32 v30, 1, v12
	v_or_b32_e32 v31, 2, v12
	;; [unrolled: 1-line block ×3, first 2 shown]
	v_lshlrev_b32_e32 v33, 2, v2
	v_lshlrev_b32_e32 v34, 2, v3
	s_mov_b32 s64, 0x3e9b6dac
	s_add_i32 s65, 0, 0x850
	s_mov_b32 s66, 0
	s_mov_b32 s28, 0
	s_branch .LBB134_12
.LBB134_11:                             ;   in Loop: Header=BB134_12 Depth=1
	s_or_b32 exec_lo, exec_lo, s12
	s_add_u32 s52, s52, 0x400
	s_addc_u32 s36, s36, 0
	s_add_u32 s50, s50, 0x400
	s_addc_u32 s51, s51, 0
	;; [unrolled: 2-line block ×4, first 2 shown]
	s_add_i32 s66, s66, 1
	s_delay_alu instid0(SALU_CYCLE_1)
	s_cmp_eq_u32 s66, s59
	s_cbranch_scc1 .LBB134_92
.LBB134_12:                             ; =>This Loop Header: Depth=1
                                        ;     Child Loop BB134_37 Depth 2
	v_add_co_u32 v2, s12, s50, v33
	s_delay_alu instid0(VALU_DEP_1) | instskip(SKIP_1) | instid1(VALU_DEP_2)
	v_add_co_ci_u32_e64 v3, null, s51, 0, s12
	s_lshl_b32 s24, s66, 8
	v_add_co_u32 v2, vcc_lo, v2, v34
	s_sub_i32 s19, s23, s24
	s_delay_alu instid0(VALU_DEP_2)
	v_add_co_ci_u32_e32 v3, vcc_lo, 0, v3, vcc_lo
	v_cmp_gt_u32_e64 s12, s19, v13
	s_waitcnt lgkmcnt(0)
	v_mov_b32_e32 v4, v1
	s_waitcnt_vscnt null, 0x0
	s_barrier
	buffer_gl0_inv
	s_and_saveexec_b32 s13, s12
	s_cbranch_execz .LBB134_14
; %bb.13:                               ;   in Loop: Header=BB134_12 Depth=1
	global_load_b32 v4, v[2:3], off
.LBB134_14:                             ;   in Loop: Header=BB134_12 Depth=1
	s_or_b32 exec_lo, exec_lo, s13
	v_cmp_gt_u32_e64 s13, s19, v14
	v_dual_mov_b32 v5, 0 :: v_dual_mov_b32 v6, 0
	s_delay_alu instid0(VALU_DEP_2)
	s_and_saveexec_b32 s14, s13
	s_cbranch_execz .LBB134_16
; %bb.15:                               ;   in Loop: Header=BB134_12 Depth=1
	global_load_b32 v6, v[2:3], off offset:128
.LBB134_16:                             ;   in Loop: Header=BB134_12 Depth=1
	s_or_b32 exec_lo, exec_lo, s14
	v_cmp_gt_u32_e64 s14, s19, v15
	s_delay_alu instid0(VALU_DEP_1)
	s_and_saveexec_b32 s15, s14
	s_cbranch_execz .LBB134_18
; %bb.17:                               ;   in Loop: Header=BB134_12 Depth=1
	global_load_b32 v5, v[2:3], off offset:256
.LBB134_18:                             ;   in Loop: Header=BB134_12 Depth=1
	s_or_b32 exec_lo, exec_lo, s15
	v_cmp_gt_u32_e64 s15, s19, v16
	v_dual_mov_b32 v8, 0 :: v_dual_mov_b32 v7, 0
	s_delay_alu instid0(VALU_DEP_2)
	s_and_saveexec_b32 s16, s15
	s_cbranch_execz .LBB134_20
; %bb.19:                               ;   in Loop: Header=BB134_12 Depth=1
	global_load_b32 v7, v[2:3], off offset:384
.LBB134_20:                             ;   in Loop: Header=BB134_12 Depth=1
	s_or_b32 exec_lo, exec_lo, s16
	s_waitcnt vmcnt(0)
	ds_store_b32 v17, v4
	ds_store_b32 v18, v6 offset:128
	ds_store_b32 v19, v5 offset:256
	;; [unrolled: 1-line block ×3, first 2 shown]
	; wave barrier
	ds_load_2addr_b32 v[2:3], v21 offset1:1
	ds_load_2addr_b32 v[4:5], v21 offset0:2 offset1:3
	v_add_co_u32 v6, s16, s52, v33
	s_delay_alu instid0(VALU_DEP_1) | instskip(SKIP_1) | instid1(VALU_DEP_2)
	v_add_co_ci_u32_e64 v7, null, s36, 0, s16
	s_waitcnt lgkmcnt(0)
	v_add_co_u32 v6, vcc_lo, v6, v34
	s_delay_alu instid0(VALU_DEP_2)
	v_add_co_ci_u32_e32 v7, vcc_lo, 0, v7, vcc_lo
	s_barrier
	buffer_gl0_inv
	s_and_saveexec_b32 s16, s12
	s_cbranch_execz .LBB134_22
; %bb.21:                               ;   in Loop: Header=BB134_12 Depth=1
	global_load_b32 v8, v[6:7], off
.LBB134_22:                             ;   in Loop: Header=BB134_12 Depth=1
	s_or_b32 exec_lo, exec_lo, s16
	v_dual_mov_b32 v9, 0 :: v_dual_mov_b32 v10, 0
	s_and_saveexec_b32 s16, s13
	s_cbranch_execnz .LBB134_86
; %bb.23:                               ;   in Loop: Header=BB134_12 Depth=1
	s_or_b32 exec_lo, exec_lo, s16
	s_and_saveexec_b32 s16, s14
	s_cbranch_execnz .LBB134_87
.LBB134_24:                             ;   in Loop: Header=BB134_12 Depth=1
	s_or_b32 exec_lo, exec_lo, s16
	v_mov_b32_e32 v11, 0
	s_and_saveexec_b32 s16, s15
	s_cbranch_execz .LBB134_26
.LBB134_25:                             ;   in Loop: Header=BB134_12 Depth=1
	global_load_b32 v11, v[6:7], off offset:384
.LBB134_26:                             ;   in Loop: Header=BB134_12 Depth=1
	s_or_b32 exec_lo, exec_lo, s16
	s_waitcnt vmcnt(0)
	ds_store_b32 v17, v8
	ds_store_b32 v18, v10 offset:128
	ds_store_b32 v19, v9 offset:256
	;; [unrolled: 1-line block ×3, first 2 shown]
	; wave barrier
	ds_load_2addr_b32 v[8:9], v21 offset1:1
	ds_load_2addr_b32 v[6:7], v21 offset0:2 offset1:3
	s_waitcnt lgkmcnt(1)
	v_add_f32_e32 v35, s48, v8
	s_delay_alu instid0(VALU_DEP_1) | instskip(SKIP_1) | instid1(SALU_CYCLE_1)
	v_cmp_ge_f32_e32 vcc_lo, 0x41a00000, v35
	s_and_b32 s16, s60, vcc_lo
	s_and_saveexec_b32 s17, s16
	s_cbranch_execz .LBB134_28
; %bb.27:                               ;   in Loop: Header=BB134_12 Depth=1
	v_mul_f32_e32 v8, 0x3fb8aa3b, v35
	v_cmp_ngt_f32_e32 vcc_lo, 0xc2ce8ed0, v35
	s_delay_alu instid0(VALU_DEP_2) | instskip(SKIP_1) | instid1(VALU_DEP_1)
	v_rndne_f32_e32 v10, v8
	v_fma_f32 v11, 0x3fb8aa3b, v35, -v8
	v_dual_sub_f32 v8, v8, v10 :: v_dual_fmac_f32 v11, 0x32a5705f, v35
	v_cvt_i32_f32_e32 v10, v10
	s_delay_alu instid0(VALU_DEP_2) | instskip(NEXT) | instid1(VALU_DEP_1)
	v_add_f32_e32 v8, v8, v11
	v_exp_f32_e32 v8, v8
	s_waitcnt_depctr 0xfff
	v_ldexp_f32 v8, v8, v10
	s_delay_alu instid0(VALU_DEP_1) | instskip(SKIP_1) | instid1(VALU_DEP_2)
	v_cndmask_b32_e32 v8, 0, v8, vcc_lo
	v_cmp_nlt_f32_e32 vcc_lo, 0x42b17218, v35
	v_cndmask_b32_e32 v8, 0x7f800000, v8, vcc_lo
	s_delay_alu instid0(VALU_DEP_1) | instskip(NEXT) | instid1(VALU_DEP_1)
	v_add_f32_e32 v35, 1.0, v8
	v_cvt_f64_f32_e32 v[10:11], v35
	s_delay_alu instid0(VALU_DEP_1) | instskip(SKIP_1) | instid1(VALU_DEP_1)
	v_frexp_exp_i32_f64_e32 v10, v[10:11]
	v_frexp_mant_f32_e32 v11, v35
	v_cmp_gt_f32_e32 vcc_lo, 0x3f2aaaab, v11
	v_add_f32_e32 v11, -1.0, v35
	s_delay_alu instid0(VALU_DEP_1) | instskip(SKIP_2) | instid1(VALU_DEP_3)
	v_sub_f32_e32 v37, v11, v35
	v_sub_f32_e32 v11, v8, v11
	v_cmp_gt_f32_e64 s16, 0x33800000, v8
	v_add_f32_e32 v37, 1.0, v37
	s_delay_alu instid0(VALU_DEP_1) | instskip(SKIP_2) | instid1(VALU_DEP_2)
	v_add_f32_e32 v11, v11, v37
	v_subrev_co_ci_u32_e32 v10, vcc_lo, 0, v10, vcc_lo
	v_cmp_eq_f32_e32 vcc_lo, 0x7f800000, v8
	v_sub_nc_u32_e32 v36, 0, v10
	v_cvt_f32_i32_e32 v10, v10
	s_or_b32 vcc_lo, s16, vcc_lo
	s_delay_alu instid0(VALU_DEP_2) | instskip(SKIP_1) | instid1(VALU_DEP_2)
	v_ldexp_f32 v35, v35, v36
	v_ldexp_f32 v11, v11, v36
	v_add_f32_e32 v38, 1.0, v35
	s_delay_alu instid0(VALU_DEP_1) | instskip(NEXT) | instid1(VALU_DEP_1)
	v_dual_add_f32 v36, -1.0, v35 :: v_dual_add_f32 v37, -1.0, v38
	v_add_f32_e32 v39, 1.0, v36
	s_delay_alu instid0(VALU_DEP_2) | instskip(NEXT) | instid1(VALU_DEP_2)
	v_sub_f32_e32 v37, v35, v37
	v_sub_f32_e32 v35, v35, v39
	s_delay_alu instid0(VALU_DEP_2) | instskip(NEXT) | instid1(VALU_DEP_2)
	v_add_f32_e32 v37, v11, v37
	v_add_f32_e32 v11, v11, v35
	s_delay_alu instid0(VALU_DEP_1) | instskip(NEXT) | instid1(VALU_DEP_1)
	v_dual_add_f32 v40, v36, v11 :: v_dual_add_f32 v39, v38, v37
	v_sub_f32_e32 v36, v36, v40
	s_delay_alu instid0(VALU_DEP_2) | instskip(SKIP_1) | instid1(VALU_DEP_1)
	v_rcp_f32_e32 v35, v39
	v_sub_f32_e32 v38, v38, v39
	v_add_f32_e32 v37, v37, v38
	s_waitcnt_depctr 0xfff
	v_mul_f32_e32 v41, v40, v35
	s_delay_alu instid0(VALU_DEP_1) | instskip(NEXT) | instid1(VALU_DEP_1)
	v_mul_f32_e32 v42, v39, v41
	v_fma_f32 v38, v41, v39, -v42
	s_delay_alu instid0(VALU_DEP_1) | instskip(NEXT) | instid1(VALU_DEP_1)
	v_fmac_f32_e32 v38, v41, v37
	v_add_f32_e32 v43, v42, v38
	s_delay_alu instid0(VALU_DEP_1) | instskip(NEXT) | instid1(VALU_DEP_1)
	v_sub_f32_e32 v44, v40, v43
	v_sub_f32_e32 v40, v40, v44
	v_add_f32_e32 v11, v11, v36
	v_sub_f32_e32 v36, v43, v42
	s_delay_alu instid0(VALU_DEP_3) | instskip(NEXT) | instid1(VALU_DEP_1)
	v_sub_f32_e32 v40, v40, v43
	v_dual_sub_f32 v36, v36, v38 :: v_dual_add_f32 v11, v11, v40
	s_delay_alu instid0(VALU_DEP_1) | instskip(NEXT) | instid1(VALU_DEP_1)
	v_add_f32_e32 v11, v36, v11
	v_add_f32_e32 v36, v44, v11
	s_delay_alu instid0(VALU_DEP_1) | instskip(NEXT) | instid1(VALU_DEP_1)
	v_mul_f32_e32 v38, v35, v36
	v_dual_sub_f32 v43, v44, v36 :: v_dual_mul_f32 v40, v39, v38
	s_delay_alu instid0(VALU_DEP_1) | instskip(NEXT) | instid1(VALU_DEP_2)
	v_add_f32_e32 v11, v11, v43
	v_fma_f32 v39, v38, v39, -v40
	s_delay_alu instid0(VALU_DEP_1) | instskip(NEXT) | instid1(VALU_DEP_1)
	v_fmac_f32_e32 v39, v38, v37
	v_add_f32_e32 v37, v40, v39
	s_delay_alu instid0(VALU_DEP_1) | instskip(NEXT) | instid1(VALU_DEP_1)
	v_sub_f32_e32 v42, v36, v37
	v_sub_f32_e32 v36, v36, v42
	s_delay_alu instid0(VALU_DEP_1) | instskip(NEXT) | instid1(VALU_DEP_1)
	v_sub_f32_e32 v36, v36, v37
	v_dual_add_f32 v11, v11, v36 :: v_dual_add_f32 v36, v41, v38
	v_sub_f32_e32 v40, v37, v40
	s_delay_alu instid0(VALU_DEP_1) | instskip(NEXT) | instid1(VALU_DEP_1)
	v_sub_f32_e32 v37, v40, v39
	v_add_f32_e32 v11, v37, v11
	s_delay_alu instid0(VALU_DEP_4) | instskip(NEXT) | instid1(VALU_DEP_2)
	v_sub_f32_e32 v37, v36, v41
	v_add_f32_e32 v11, v42, v11
	s_delay_alu instid0(VALU_DEP_2) | instskip(NEXT) | instid1(VALU_DEP_2)
	v_sub_f32_e32 v37, v38, v37
	v_mul_f32_e32 v11, v35, v11
	s_delay_alu instid0(VALU_DEP_1) | instskip(NEXT) | instid1(VALU_DEP_1)
	v_add_f32_e32 v11, v37, v11
	v_add_f32_e32 v35, v36, v11
	s_delay_alu instid0(VALU_DEP_1) | instskip(NEXT) | instid1(VALU_DEP_1)
	v_mul_f32_e32 v37, v35, v35
	v_fmaak_f32 v38, s64, v37, 0x3ecc95a3
	v_mul_f32_e32 v39, v35, v37
	s_delay_alu instid0(VALU_DEP_2) | instskip(SKIP_2) | instid1(VALU_DEP_3)
	v_fmaak_f32 v37, v37, v38, 0x3f2aaada
	v_ldexp_f32 v38, v35, 1
	v_sub_f32_e32 v35, v35, v36
	v_mul_f32_e32 v37, v39, v37
	v_mul_f32_e32 v39, 0x3f317218, v10
	s_delay_alu instid0(VALU_DEP_2) | instskip(NEXT) | instid1(VALU_DEP_1)
	v_dual_sub_f32 v11, v11, v35 :: v_dual_add_f32 v36, v38, v37
	v_ldexp_f32 v11, v11, 1
	s_delay_alu instid0(VALU_DEP_2) | instskip(NEXT) | instid1(VALU_DEP_4)
	v_sub_f32_e32 v35, v36, v38
	v_fma_f32 v38, 0x3f317218, v10, -v39
	s_delay_alu instid0(VALU_DEP_1) | instskip(NEXT) | instid1(VALU_DEP_1)
	v_dual_sub_f32 v35, v37, v35 :: v_dual_fmac_f32 v38, 0xb102e308, v10
	v_add_f32_e32 v10, v11, v35
	s_delay_alu instid0(VALU_DEP_2) | instskip(NEXT) | instid1(VALU_DEP_2)
	v_add_f32_e32 v11, v39, v38
	v_add_f32_e32 v35, v36, v10
	s_delay_alu instid0(VALU_DEP_2) | instskip(NEXT) | instid1(VALU_DEP_2)
	v_sub_f32_e32 v39, v11, v39
	v_add_f32_e32 v37, v11, v35
	v_sub_f32_e32 v36, v35, v36
	s_delay_alu instid0(VALU_DEP_3) | instskip(NEXT) | instid1(VALU_DEP_3)
	v_sub_f32_e32 v38, v38, v39
	v_sub_f32_e32 v40, v37, v11
	s_delay_alu instid0(VALU_DEP_3) | instskip(NEXT) | instid1(VALU_DEP_2)
	v_sub_f32_e32 v10, v10, v36
	v_sub_f32_e32 v41, v37, v40
	s_delay_alu instid0(VALU_DEP_2) | instskip(NEXT) | instid1(VALU_DEP_2)
	v_dual_sub_f32 v35, v35, v40 :: v_dual_add_f32 v36, v38, v10
	v_sub_f32_e32 v11, v11, v41
	s_delay_alu instid0(VALU_DEP_1) | instskip(NEXT) | instid1(VALU_DEP_3)
	v_add_f32_e32 v11, v35, v11
	v_sub_f32_e32 v35, v36, v38
	s_delay_alu instid0(VALU_DEP_2) | instskip(NEXT) | instid1(VALU_DEP_2)
	v_add_f32_e32 v11, v36, v11
	v_sub_f32_e32 v36, v36, v35
	v_sub_f32_e32 v10, v10, v35
	s_delay_alu instid0(VALU_DEP_2) | instskip(NEXT) | instid1(VALU_DEP_1)
	v_dual_add_f32 v39, v37, v11 :: v_dual_sub_f32 v36, v38, v36
	v_dual_sub_f32 v35, v39, v37 :: v_dual_add_f32 v10, v10, v36
	s_delay_alu instid0(VALU_DEP_1) | instskip(NEXT) | instid1(VALU_DEP_1)
	v_sub_f32_e32 v11, v11, v35
	v_add_f32_e32 v10, v10, v11
	s_delay_alu instid0(VALU_DEP_1) | instskip(NEXT) | instid1(VALU_DEP_1)
	v_add_f32_e32 v10, v39, v10
	v_cndmask_b32_e32 v35, v10, v8, vcc_lo
.LBB134_28:                             ;   in Loop: Header=BB134_12 Depth=1
	s_or_b32 exec_lo, exec_lo, s17
	v_add_f32_e32 v36, s48, v9
	s_delay_alu instid0(VALU_DEP_1) | instskip(SKIP_1) | instid1(SALU_CYCLE_1)
	v_cmp_ge_f32_e32 vcc_lo, 0x41a00000, v36
	s_and_b32 s16, s60, vcc_lo
	s_and_saveexec_b32 s17, s16
	s_cbranch_execz .LBB134_30
; %bb.29:                               ;   in Loop: Header=BB134_12 Depth=1
	v_mul_f32_e32 v8, 0x3fb8aa3b, v36
	v_cmp_ngt_f32_e32 vcc_lo, 0xc2ce8ed0, v36
	s_delay_alu instid0(VALU_DEP_2) | instskip(SKIP_1) | instid1(VALU_DEP_2)
	v_rndne_f32_e32 v9, v8
	v_fma_f32 v10, 0x3fb8aa3b, v36, -v8
	v_sub_f32_e32 v8, v8, v9
	s_delay_alu instid0(VALU_DEP_2) | instskip(SKIP_1) | instid1(VALU_DEP_2)
	v_fmac_f32_e32 v10, 0x32a5705f, v36
	v_cvt_i32_f32_e32 v9, v9
	v_add_f32_e32 v8, v8, v10
	s_delay_alu instid0(VALU_DEP_1) | instskip(SKIP_2) | instid1(VALU_DEP_1)
	v_exp_f32_e32 v8, v8
	s_waitcnt_depctr 0xfff
	v_ldexp_f32 v8, v8, v9
	v_cndmask_b32_e32 v8, 0, v8, vcc_lo
	v_cmp_nlt_f32_e32 vcc_lo, 0x42b17218, v36
	s_delay_alu instid0(VALU_DEP_2) | instskip(NEXT) | instid1(VALU_DEP_1)
	v_cndmask_b32_e32 v10, 0x7f800000, v8, vcc_lo
	v_add_f32_e32 v11, 1.0, v10
	s_delay_alu instid0(VALU_DEP_1) | instskip(NEXT) | instid1(VALU_DEP_1)
	v_cvt_f64_f32_e32 v[8:9], v11
	v_frexp_exp_i32_f64_e32 v8, v[8:9]
	v_frexp_mant_f32_e32 v9, v11
	s_delay_alu instid0(VALU_DEP_1) | instskip(SKIP_1) | instid1(VALU_DEP_1)
	v_cmp_gt_f32_e32 vcc_lo, 0x3f2aaaab, v9
	v_add_f32_e32 v9, -1.0, v11
	v_sub_f32_e32 v37, v9, v11
	v_sub_f32_e32 v9, v10, v9
	s_delay_alu instid0(VALU_DEP_2) | instskip(NEXT) | instid1(VALU_DEP_1)
	v_add_f32_e32 v37, 1.0, v37
	v_add_f32_e32 v9, v9, v37
	v_cmp_gt_f32_e64 s16, 0x33800000, v10
	v_subrev_co_ci_u32_e32 v8, vcc_lo, 0, v8, vcc_lo
	v_cmp_eq_f32_e32 vcc_lo, 0x7f800000, v10
	s_delay_alu instid0(VALU_DEP_2) | instskip(SKIP_2) | instid1(VALU_DEP_2)
	v_sub_nc_u32_e32 v36, 0, v8
	v_cvt_f32_i32_e32 v8, v8
	s_or_b32 vcc_lo, s16, vcc_lo
	v_ldexp_f32 v11, v11, v36
	v_ldexp_f32 v9, v9, v36
	s_delay_alu instid0(VALU_DEP_2) | instskip(NEXT) | instid1(VALU_DEP_1)
	v_add_f32_e32 v38, 1.0, v11
	v_dual_add_f32 v36, -1.0, v11 :: v_dual_add_f32 v37, -1.0, v38
	s_delay_alu instid0(VALU_DEP_1) | instskip(NEXT) | instid1(VALU_DEP_2)
	v_add_f32_e32 v39, 1.0, v36
	v_sub_f32_e32 v37, v11, v37
	s_delay_alu instid0(VALU_DEP_2) | instskip(NEXT) | instid1(VALU_DEP_2)
	v_sub_f32_e32 v11, v11, v39
	v_add_f32_e32 v37, v9, v37
	s_delay_alu instid0(VALU_DEP_2) | instskip(NEXT) | instid1(VALU_DEP_1)
	v_add_f32_e32 v9, v9, v11
	v_add_f32_e32 v40, v36, v9
	s_delay_alu instid0(VALU_DEP_1) | instskip(NEXT) | instid1(VALU_DEP_1)
	v_dual_add_f32 v39, v38, v37 :: v_dual_sub_f32 v36, v36, v40
	v_rcp_f32_e32 v11, v39
	v_sub_f32_e32 v38, v38, v39
	s_delay_alu instid0(VALU_DEP_1) | instskip(SKIP_2) | instid1(VALU_DEP_1)
	v_add_f32_e32 v37, v37, v38
	s_waitcnt_depctr 0xfff
	v_mul_f32_e32 v41, v40, v11
	v_mul_f32_e32 v42, v39, v41
	s_delay_alu instid0(VALU_DEP_1) | instskip(NEXT) | instid1(VALU_DEP_1)
	v_fma_f32 v38, v41, v39, -v42
	v_fmac_f32_e32 v38, v41, v37
	s_delay_alu instid0(VALU_DEP_1) | instskip(NEXT) | instid1(VALU_DEP_1)
	v_add_f32_e32 v43, v42, v38
	v_sub_f32_e32 v44, v40, v43
	s_delay_alu instid0(VALU_DEP_1) | instskip(SKIP_1) | instid1(VALU_DEP_2)
	v_sub_f32_e32 v40, v40, v44
	v_dual_add_f32 v9, v9, v36 :: v_dual_sub_f32 v36, v43, v42
	v_sub_f32_e32 v40, v40, v43
	s_delay_alu instid0(VALU_DEP_1) | instskip(NEXT) | instid1(VALU_DEP_1)
	v_dual_sub_f32 v36, v36, v38 :: v_dual_add_f32 v9, v9, v40
	v_add_f32_e32 v9, v36, v9
	s_delay_alu instid0(VALU_DEP_1) | instskip(NEXT) | instid1(VALU_DEP_1)
	v_add_f32_e32 v36, v44, v9
	v_mul_f32_e32 v38, v11, v36
	s_delay_alu instid0(VALU_DEP_1) | instskip(NEXT) | instid1(VALU_DEP_1)
	v_dual_sub_f32 v43, v44, v36 :: v_dual_mul_f32 v40, v39, v38
	v_add_f32_e32 v9, v9, v43
	s_delay_alu instid0(VALU_DEP_2) | instskip(NEXT) | instid1(VALU_DEP_1)
	v_fma_f32 v39, v38, v39, -v40
	v_fmac_f32_e32 v39, v38, v37
	s_delay_alu instid0(VALU_DEP_1) | instskip(NEXT) | instid1(VALU_DEP_1)
	v_add_f32_e32 v37, v40, v39
	v_sub_f32_e32 v42, v36, v37
	s_delay_alu instid0(VALU_DEP_1) | instskip(NEXT) | instid1(VALU_DEP_1)
	v_sub_f32_e32 v36, v36, v42
	v_sub_f32_e32 v36, v36, v37
	s_delay_alu instid0(VALU_DEP_1) | instskip(SKIP_2) | instid1(VALU_DEP_1)
	v_add_f32_e32 v9, v9, v36
	v_add_f32_e32 v36, v41, v38
	v_sub_f32_e32 v40, v37, v40
	v_sub_f32_e32 v37, v40, v39
	s_delay_alu instid0(VALU_DEP_1) | instskip(NEXT) | instid1(VALU_DEP_4)
	v_add_f32_e32 v9, v37, v9
	v_sub_f32_e32 v37, v36, v41
	s_delay_alu instid0(VALU_DEP_2) | instskip(NEXT) | instid1(VALU_DEP_2)
	v_add_f32_e32 v9, v42, v9
	v_sub_f32_e32 v37, v38, v37
	s_delay_alu instid0(VALU_DEP_2) | instskip(NEXT) | instid1(VALU_DEP_1)
	v_mul_f32_e32 v9, v11, v9
	v_add_f32_e32 v9, v37, v9
	s_delay_alu instid0(VALU_DEP_1) | instskip(NEXT) | instid1(VALU_DEP_1)
	v_add_f32_e32 v11, v36, v9
	v_mul_f32_e32 v37, v11, v11
	s_delay_alu instid0(VALU_DEP_1) | instskip(SKIP_1) | instid1(VALU_DEP_2)
	v_fmaak_f32 v38, s64, v37, 0x3ecc95a3
	v_mul_f32_e32 v39, v11, v37
	v_fmaak_f32 v37, v37, v38, 0x3f2aaada
	v_ldexp_f32 v38, v11, 1
	s_delay_alu instid0(VALU_DEP_2) | instskip(SKIP_1) | instid1(VALU_DEP_2)
	v_mul_f32_e32 v37, v39, v37
	v_sub_f32_e32 v11, v11, v36
	v_dual_mul_f32 v39, 0x3f317218, v8 :: v_dual_add_f32 v36, v38, v37
	s_delay_alu instid0(VALU_DEP_2) | instskip(NEXT) | instid1(VALU_DEP_2)
	v_sub_f32_e32 v9, v9, v11
	v_sub_f32_e32 v11, v36, v38
	s_delay_alu instid0(VALU_DEP_3) | instskip(NEXT) | instid1(VALU_DEP_3)
	v_fma_f32 v38, 0x3f317218, v8, -v39
	v_ldexp_f32 v9, v9, 1
	s_delay_alu instid0(VALU_DEP_2) | instskip(NEXT) | instid1(VALU_DEP_1)
	v_dual_sub_f32 v11, v37, v11 :: v_dual_fmac_f32 v38, 0xb102e308, v8
	v_dual_add_f32 v8, v9, v11 :: v_dual_add_f32 v9, v39, v38
	s_delay_alu instid0(VALU_DEP_1) | instskip(NEXT) | instid1(VALU_DEP_1)
	v_add_f32_e32 v11, v36, v8
	v_dual_add_f32 v37, v9, v11 :: v_dual_sub_f32 v36, v11, v36
	s_delay_alu instid0(VALU_DEP_1) | instskip(NEXT) | instid1(VALU_DEP_2)
	v_sub_f32_e32 v40, v37, v9
	v_dual_sub_f32 v39, v9, v39 :: v_dual_sub_f32 v8, v8, v36
	s_delay_alu instid0(VALU_DEP_1) | instskip(SKIP_1) | instid1(VALU_DEP_2)
	v_dual_sub_f32 v41, v37, v40 :: v_dual_sub_f32 v38, v38, v39
	v_sub_f32_e32 v11, v11, v40
	v_dual_sub_f32 v9, v9, v41 :: v_dual_add_f32 v36, v38, v8
	s_delay_alu instid0(VALU_DEP_1) | instskip(NEXT) | instid1(VALU_DEP_2)
	v_add_f32_e32 v9, v11, v9
	v_sub_f32_e32 v11, v36, v38
	s_delay_alu instid0(VALU_DEP_2) | instskip(NEXT) | instid1(VALU_DEP_2)
	v_add_f32_e32 v9, v36, v9
	v_sub_f32_e32 v36, v36, v11
	s_delay_alu instid0(VALU_DEP_2) | instskip(NEXT) | instid1(VALU_DEP_1)
	v_dual_sub_f32 v8, v8, v11 :: v_dual_add_f32 v39, v37, v9
	v_dual_sub_f32 v36, v38, v36 :: v_dual_sub_f32 v11, v39, v37
	s_delay_alu instid0(VALU_DEP_1) | instskip(NEXT) | instid1(VALU_DEP_1)
	v_dual_add_f32 v8, v8, v36 :: v_dual_sub_f32 v9, v9, v11
	v_add_f32_e32 v8, v8, v9
	s_delay_alu instid0(VALU_DEP_1) | instskip(NEXT) | instid1(VALU_DEP_1)
	v_add_f32_e32 v8, v39, v8
	v_cndmask_b32_e32 v36, v8, v10, vcc_lo
.LBB134_30:                             ;   in Loop: Header=BB134_12 Depth=1
	s_or_b32 exec_lo, exec_lo, s17
	s_waitcnt lgkmcnt(0)
	v_add_f32_e32 v37, s48, v6
	s_delay_alu instid0(VALU_DEP_1) | instskip(SKIP_1) | instid1(SALU_CYCLE_1)
	v_cmp_ge_f32_e32 vcc_lo, 0x41a00000, v37
	s_and_b32 s16, s60, vcc_lo
	s_and_saveexec_b32 s17, s16
	s_cbranch_execz .LBB134_32
; %bb.31:                               ;   in Loop: Header=BB134_12 Depth=1
	v_mul_f32_e32 v6, 0x3fb8aa3b, v37
	v_cmp_ngt_f32_e32 vcc_lo, 0xc2ce8ed0, v37
	s_delay_alu instid0(VALU_DEP_2) | instskip(SKIP_1) | instid1(VALU_DEP_1)
	v_rndne_f32_e32 v8, v6
	v_fma_f32 v9, 0x3fb8aa3b, v37, -v6
	v_dual_sub_f32 v6, v6, v8 :: v_dual_fmac_f32 v9, 0x32a5705f, v37
	v_cvt_i32_f32_e32 v8, v8
	s_delay_alu instid0(VALU_DEP_2) | instskip(NEXT) | instid1(VALU_DEP_1)
	v_add_f32_e32 v6, v6, v9
	v_exp_f32_e32 v6, v6
	s_waitcnt_depctr 0xfff
	v_ldexp_f32 v6, v6, v8
	s_delay_alu instid0(VALU_DEP_1) | instskip(SKIP_1) | instid1(VALU_DEP_2)
	v_cndmask_b32_e32 v6, 0, v6, vcc_lo
	v_cmp_nlt_f32_e32 vcc_lo, 0x42b17218, v37
	v_cndmask_b32_e32 v6, 0x7f800000, v6, vcc_lo
	s_delay_alu instid0(VALU_DEP_1) | instskip(NEXT) | instid1(VALU_DEP_1)
	v_add_f32_e32 v10, 1.0, v6
	v_cvt_f64_f32_e32 v[8:9], v10
	s_delay_alu instid0(VALU_DEP_1) | instskip(SKIP_1) | instid1(VALU_DEP_1)
	v_frexp_exp_i32_f64_e32 v8, v[8:9]
	v_frexp_mant_f32_e32 v9, v10
	v_cmp_gt_f32_e32 vcc_lo, 0x3f2aaaab, v9
	v_add_f32_e32 v9, -1.0, v10
	s_delay_alu instid0(VALU_DEP_1) | instskip(SKIP_1) | instid1(VALU_DEP_2)
	v_sub_f32_e32 v37, v9, v10
	v_sub_f32_e32 v9, v6, v9
	v_add_f32_e32 v37, 1.0, v37
	s_delay_alu instid0(VALU_DEP_1) | instskip(SKIP_3) | instid1(VALU_DEP_2)
	v_add_f32_e32 v9, v9, v37
	v_cmp_gt_f32_e64 s16, 0x33800000, v6
	v_subrev_co_ci_u32_e32 v8, vcc_lo, 0, v8, vcc_lo
	v_cmp_eq_f32_e32 vcc_lo, 0x7f800000, v6
	v_sub_nc_u32_e32 v11, 0, v8
	v_cvt_f32_i32_e32 v8, v8
	s_or_b32 vcc_lo, s16, vcc_lo
	s_delay_alu instid0(VALU_DEP_2) | instskip(SKIP_1) | instid1(VALU_DEP_2)
	v_ldexp_f32 v10, v10, v11
	v_ldexp_f32 v9, v9, v11
	v_add_f32_e32 v38, 1.0, v10
	v_add_f32_e32 v11, -1.0, v10
	s_delay_alu instid0(VALU_DEP_1) | instskip(NEXT) | instid1(VALU_DEP_3)
	v_add_f32_e32 v39, 1.0, v11
	v_add_f32_e32 v37, -1.0, v38
	s_delay_alu instid0(VALU_DEP_1) | instskip(NEXT) | instid1(VALU_DEP_1)
	v_sub_f32_e32 v37, v10, v37
	v_dual_sub_f32 v10, v10, v39 :: v_dual_add_f32 v37, v9, v37
	s_delay_alu instid0(VALU_DEP_1) | instskip(NEXT) | instid1(VALU_DEP_2)
	v_add_f32_e32 v39, v38, v37
	v_add_f32_e32 v9, v9, v10
	s_delay_alu instid0(VALU_DEP_2) | instskip(SKIP_1) | instid1(VALU_DEP_1)
	v_rcp_f32_e32 v10, v39
	v_sub_f32_e32 v38, v38, v39
	v_dual_add_f32 v40, v11, v9 :: v_dual_add_f32 v37, v37, v38
	s_delay_alu instid0(VALU_DEP_1) | instskip(SKIP_2) | instid1(VALU_DEP_1)
	v_sub_f32_e32 v11, v11, v40
	s_waitcnt_depctr 0xfff
	v_mul_f32_e32 v41, v40, v10
	v_mul_f32_e32 v42, v39, v41
	s_delay_alu instid0(VALU_DEP_1) | instskip(NEXT) | instid1(VALU_DEP_1)
	v_fma_f32 v38, v41, v39, -v42
	v_fmac_f32_e32 v38, v41, v37
	s_delay_alu instid0(VALU_DEP_1) | instskip(NEXT) | instid1(VALU_DEP_1)
	v_add_f32_e32 v43, v42, v38
	v_sub_f32_e32 v44, v40, v43
	s_delay_alu instid0(VALU_DEP_1) | instskip(NEXT) | instid1(VALU_DEP_1)
	v_dual_sub_f32 v40, v40, v44 :: v_dual_add_f32 v9, v9, v11
	v_dual_sub_f32 v11, v43, v42 :: v_dual_sub_f32 v40, v40, v43
	s_delay_alu instid0(VALU_DEP_1) | instskip(NEXT) | instid1(VALU_DEP_2)
	v_sub_f32_e32 v11, v11, v38
	v_add_f32_e32 v9, v9, v40
	s_delay_alu instid0(VALU_DEP_1) | instskip(NEXT) | instid1(VALU_DEP_1)
	v_add_f32_e32 v9, v11, v9
	v_add_f32_e32 v11, v44, v9
	s_delay_alu instid0(VALU_DEP_1) | instskip(NEXT) | instid1(VALU_DEP_1)
	v_mul_f32_e32 v38, v10, v11
	v_dual_sub_f32 v43, v44, v11 :: v_dual_mul_f32 v40, v39, v38
	s_delay_alu instid0(VALU_DEP_1) | instskip(NEXT) | instid1(VALU_DEP_2)
	v_add_f32_e32 v9, v9, v43
	v_fma_f32 v39, v38, v39, -v40
	s_delay_alu instid0(VALU_DEP_1) | instskip(NEXT) | instid1(VALU_DEP_1)
	v_fmac_f32_e32 v39, v38, v37
	v_add_f32_e32 v37, v40, v39
	s_delay_alu instid0(VALU_DEP_1) | instskip(NEXT) | instid1(VALU_DEP_1)
	v_sub_f32_e32 v42, v11, v37
	v_dual_sub_f32 v40, v37, v40 :: v_dual_sub_f32 v11, v11, v42
	s_delay_alu instid0(VALU_DEP_1) | instskip(NEXT) | instid1(VALU_DEP_2)
	v_sub_f32_e32 v11, v11, v37
	v_sub_f32_e32 v37, v40, v39
	s_delay_alu instid0(VALU_DEP_2) | instskip(SKIP_1) | instid1(VALU_DEP_2)
	v_add_f32_e32 v9, v9, v11
	v_add_f32_e32 v11, v41, v38
	;; [unrolled: 1-line block ×3, first 2 shown]
	s_delay_alu instid0(VALU_DEP_2) | instskip(NEXT) | instid1(VALU_DEP_2)
	v_sub_f32_e32 v37, v11, v41
	v_add_f32_e32 v9, v42, v9
	s_delay_alu instid0(VALU_DEP_2) | instskip(NEXT) | instid1(VALU_DEP_2)
	v_sub_f32_e32 v37, v38, v37
	v_mul_f32_e32 v9, v10, v9
	s_delay_alu instid0(VALU_DEP_1) | instskip(NEXT) | instid1(VALU_DEP_1)
	v_add_f32_e32 v9, v37, v9
	v_add_f32_e32 v10, v11, v9
	s_delay_alu instid0(VALU_DEP_1) | instskip(NEXT) | instid1(VALU_DEP_1)
	v_mul_f32_e32 v37, v10, v10
	v_fmaak_f32 v38, s64, v37, 0x3ecc95a3
	v_mul_f32_e32 v39, v10, v37
	s_delay_alu instid0(VALU_DEP_2) | instskip(SKIP_1) | instid1(VALU_DEP_2)
	v_fmaak_f32 v37, v37, v38, 0x3f2aaada
	v_ldexp_f32 v38, v10, 1
	v_dual_sub_f32 v10, v10, v11 :: v_dual_mul_f32 v37, v39, v37
	v_mul_f32_e32 v39, 0x3f317218, v8
	s_delay_alu instid0(VALU_DEP_2) | instskip(NEXT) | instid1(VALU_DEP_3)
	v_sub_f32_e32 v9, v9, v10
	v_add_f32_e32 v11, v38, v37
	s_delay_alu instid0(VALU_DEP_2) | instskip(NEXT) | instid1(VALU_DEP_2)
	v_ldexp_f32 v9, v9, 1
	v_sub_f32_e32 v10, v11, v38
	v_fma_f32 v38, 0x3f317218, v8, -v39
	s_delay_alu instid0(VALU_DEP_2) | instskip(NEXT) | instid1(VALU_DEP_2)
	v_sub_f32_e32 v10, v37, v10
	v_fmac_f32_e32 v38, 0xb102e308, v8
	s_delay_alu instid0(VALU_DEP_2) | instskip(NEXT) | instid1(VALU_DEP_2)
	v_add_f32_e32 v8, v9, v10
	v_add_f32_e32 v9, v39, v38
	s_delay_alu instid0(VALU_DEP_1) | instskip(NEXT) | instid1(VALU_DEP_1)
	v_dual_add_f32 v10, v11, v8 :: v_dual_sub_f32 v39, v9, v39
	v_add_f32_e32 v37, v9, v10
	v_sub_f32_e32 v11, v10, v11
	s_delay_alu instid0(VALU_DEP_3) | instskip(NEXT) | instid1(VALU_DEP_3)
	v_sub_f32_e32 v38, v38, v39
	v_sub_f32_e32 v40, v37, v9
	s_delay_alu instid0(VALU_DEP_1) | instskip(SKIP_1) | instid1(VALU_DEP_2)
	v_dual_sub_f32 v8, v8, v11 :: v_dual_sub_f32 v41, v37, v40
	v_sub_f32_e32 v10, v10, v40
	v_add_f32_e32 v11, v38, v8
	s_delay_alu instid0(VALU_DEP_3) | instskip(NEXT) | instid1(VALU_DEP_1)
	v_sub_f32_e32 v9, v9, v41
	v_dual_add_f32 v9, v10, v9 :: v_dual_sub_f32 v10, v11, v38
	s_delay_alu instid0(VALU_DEP_1) | instskip(NEXT) | instid1(VALU_DEP_2)
	v_add_f32_e32 v9, v11, v9
	v_sub_f32_e32 v11, v11, v10
	s_delay_alu instid0(VALU_DEP_2) | instskip(NEXT) | instid1(VALU_DEP_1)
	v_dual_sub_f32 v8, v8, v10 :: v_dual_add_f32 v39, v37, v9
	v_dual_sub_f32 v11, v38, v11 :: v_dual_sub_f32 v10, v39, v37
	s_delay_alu instid0(VALU_DEP_1) | instskip(NEXT) | instid1(VALU_DEP_1)
	v_dual_add_f32 v8, v8, v11 :: v_dual_sub_f32 v9, v9, v10
	v_add_f32_e32 v8, v8, v9
	s_delay_alu instid0(VALU_DEP_1) | instskip(NEXT) | instid1(VALU_DEP_1)
	v_add_f32_e32 v8, v39, v8
	v_cndmask_b32_e32 v37, v8, v6, vcc_lo
.LBB134_32:                             ;   in Loop: Header=BB134_12 Depth=1
	s_or_b32 exec_lo, exec_lo, s17
	v_add_f32_e32 v38, s48, v7
	s_delay_alu instid0(VALU_DEP_1) | instskip(SKIP_1) | instid1(SALU_CYCLE_1)
	v_cmp_ge_f32_e32 vcc_lo, 0x41a00000, v38
	s_and_b32 s16, s60, vcc_lo
	s_and_saveexec_b32 s17, s16
	s_cbranch_execz .LBB134_34
; %bb.33:                               ;   in Loop: Header=BB134_12 Depth=1
	v_mul_f32_e32 v6, 0x3fb8aa3b, v38
	v_cmp_ngt_f32_e32 vcc_lo, 0xc2ce8ed0, v38
	s_delay_alu instid0(VALU_DEP_2) | instskip(SKIP_1) | instid1(VALU_DEP_2)
	v_rndne_f32_e32 v7, v6
	v_fma_f32 v8, 0x3fb8aa3b, v38, -v6
	v_sub_f32_e32 v6, v6, v7
	s_delay_alu instid0(VALU_DEP_2) | instskip(SKIP_1) | instid1(VALU_DEP_2)
	v_fmac_f32_e32 v8, 0x32a5705f, v38
	v_cvt_i32_f32_e32 v7, v7
	v_add_f32_e32 v6, v6, v8
	s_delay_alu instid0(VALU_DEP_1) | instskip(SKIP_2) | instid1(VALU_DEP_1)
	v_exp_f32_e32 v6, v6
	s_waitcnt_depctr 0xfff
	v_ldexp_f32 v6, v6, v7
	v_cndmask_b32_e32 v6, 0, v6, vcc_lo
	v_cmp_nlt_f32_e32 vcc_lo, 0x42b17218, v38
	s_delay_alu instid0(VALU_DEP_2) | instskip(NEXT) | instid1(VALU_DEP_1)
	v_cndmask_b32_e32 v8, 0x7f800000, v6, vcc_lo
	v_add_f32_e32 v9, 1.0, v8
	s_delay_alu instid0(VALU_DEP_1) | instskip(NEXT) | instid1(VALU_DEP_1)
	v_cvt_f64_f32_e32 v[6:7], v9
	v_frexp_exp_i32_f64_e32 v6, v[6:7]
	v_frexp_mant_f32_e32 v7, v9
	s_delay_alu instid0(VALU_DEP_1) | instskip(SKIP_1) | instid1(VALU_DEP_1)
	v_cmp_gt_f32_e32 vcc_lo, 0x3f2aaaab, v7
	v_add_f32_e32 v7, -1.0, v9
	v_sub_f32_e32 v11, v7, v9
	v_sub_f32_e32 v7, v8, v7
	s_delay_alu instid0(VALU_DEP_2) | instskip(NEXT) | instid1(VALU_DEP_1)
	v_add_f32_e32 v11, 1.0, v11
	v_add_f32_e32 v7, v7, v11
	v_cmp_gt_f32_e64 s16, 0x33800000, v8
	v_subrev_co_ci_u32_e32 v6, vcc_lo, 0, v6, vcc_lo
	v_cmp_eq_f32_e32 vcc_lo, 0x7f800000, v8
	s_delay_alu instid0(VALU_DEP_2) | instskip(SKIP_2) | instid1(VALU_DEP_2)
	v_sub_nc_u32_e32 v10, 0, v6
	v_cvt_f32_i32_e32 v6, v6
	s_or_b32 vcc_lo, s16, vcc_lo
	v_ldexp_f32 v9, v9, v10
	v_ldexp_f32 v7, v7, v10
	s_delay_alu instid0(VALU_DEP_2) | instskip(NEXT) | instid1(VALU_DEP_1)
	v_add_f32_e32 v38, 1.0, v9
	v_dual_add_f32 v10, -1.0, v9 :: v_dual_add_f32 v11, -1.0, v38
	s_delay_alu instid0(VALU_DEP_1) | instskip(NEXT) | instid1(VALU_DEP_2)
	v_add_f32_e32 v39, 1.0, v10
	v_sub_f32_e32 v11, v9, v11
	s_delay_alu instid0(VALU_DEP_2) | instskip(NEXT) | instid1(VALU_DEP_2)
	v_sub_f32_e32 v9, v9, v39
	v_add_f32_e32 v11, v7, v11
	s_delay_alu instid0(VALU_DEP_2) | instskip(NEXT) | instid1(VALU_DEP_1)
	v_add_f32_e32 v7, v7, v9
	v_add_f32_e32 v40, v10, v7
	s_delay_alu instid0(VALU_DEP_1) | instskip(NEXT) | instid1(VALU_DEP_4)
	v_sub_f32_e32 v10, v10, v40
	v_add_f32_e32 v39, v38, v11
	s_delay_alu instid0(VALU_DEP_1) | instskip(NEXT) | instid1(VALU_DEP_2)
	v_rcp_f32_e32 v9, v39
	v_dual_sub_f32 v38, v38, v39 :: v_dual_add_f32 v7, v7, v10
	s_delay_alu instid0(VALU_DEP_1) | instskip(SKIP_2) | instid1(VALU_DEP_1)
	v_add_f32_e32 v11, v11, v38
	s_waitcnt_depctr 0xfff
	v_mul_f32_e32 v41, v40, v9
	v_mul_f32_e32 v42, v39, v41
	s_delay_alu instid0(VALU_DEP_1) | instskip(NEXT) | instid1(VALU_DEP_1)
	v_fma_f32 v38, v41, v39, -v42
	v_fmac_f32_e32 v38, v41, v11
	s_delay_alu instid0(VALU_DEP_1) | instskip(NEXT) | instid1(VALU_DEP_1)
	v_add_f32_e32 v43, v42, v38
	v_sub_f32_e32 v44, v40, v43
	v_sub_f32_e32 v10, v43, v42
	s_delay_alu instid0(VALU_DEP_2) | instskip(NEXT) | instid1(VALU_DEP_1)
	v_sub_f32_e32 v40, v40, v44
	v_sub_f32_e32 v40, v40, v43
	s_delay_alu instid0(VALU_DEP_1) | instskip(NEXT) | instid1(VALU_DEP_1)
	v_dual_sub_f32 v10, v10, v38 :: v_dual_add_f32 v7, v7, v40
	v_add_f32_e32 v7, v10, v7
	s_delay_alu instid0(VALU_DEP_1) | instskip(NEXT) | instid1(VALU_DEP_1)
	v_add_f32_e32 v10, v44, v7
	v_mul_f32_e32 v38, v9, v10
	v_sub_f32_e32 v43, v44, v10
	s_delay_alu instid0(VALU_DEP_2) | instskip(NEXT) | instid1(VALU_DEP_2)
	v_mul_f32_e32 v40, v39, v38
	v_add_f32_e32 v7, v7, v43
	s_delay_alu instid0(VALU_DEP_2) | instskip(NEXT) | instid1(VALU_DEP_1)
	v_fma_f32 v39, v38, v39, -v40
	v_fmac_f32_e32 v39, v38, v11
	s_delay_alu instid0(VALU_DEP_1) | instskip(NEXT) | instid1(VALU_DEP_1)
	v_add_f32_e32 v11, v40, v39
	v_sub_f32_e32 v42, v10, v11
	s_delay_alu instid0(VALU_DEP_1) | instskip(NEXT) | instid1(VALU_DEP_1)
	v_sub_f32_e32 v10, v10, v42
	v_sub_f32_e32 v10, v10, v11
	s_delay_alu instid0(VALU_DEP_1) | instskip(SKIP_2) | instid1(VALU_DEP_1)
	v_add_f32_e32 v7, v7, v10
	v_add_f32_e32 v10, v41, v38
	v_sub_f32_e32 v40, v11, v40
	v_sub_f32_e32 v11, v40, v39
	s_delay_alu instid0(VALU_DEP_1) | instskip(NEXT) | instid1(VALU_DEP_4)
	v_add_f32_e32 v7, v11, v7
	v_sub_f32_e32 v11, v10, v41
	s_delay_alu instid0(VALU_DEP_2) | instskip(NEXT) | instid1(VALU_DEP_2)
	v_add_f32_e32 v7, v42, v7
	v_sub_f32_e32 v11, v38, v11
	s_delay_alu instid0(VALU_DEP_2) | instskip(NEXT) | instid1(VALU_DEP_1)
	v_mul_f32_e32 v7, v9, v7
	v_add_f32_e32 v7, v11, v7
	s_delay_alu instid0(VALU_DEP_1) | instskip(NEXT) | instid1(VALU_DEP_1)
	v_add_f32_e32 v9, v10, v7
	v_mul_f32_e32 v11, v9, v9
	s_delay_alu instid0(VALU_DEP_1) | instskip(SKIP_1) | instid1(VALU_DEP_2)
	v_fmaak_f32 v38, s64, v11, 0x3ecc95a3
	v_mul_f32_e32 v39, v9, v11
	v_fmaak_f32 v11, v11, v38, 0x3f2aaada
	v_ldexp_f32 v38, v9, 1
	v_sub_f32_e32 v9, v9, v10
	s_delay_alu instid0(VALU_DEP_3) | instskip(SKIP_1) | instid1(VALU_DEP_2)
	v_mul_f32_e32 v11, v39, v11
	v_mul_f32_e32 v39, 0x3f317218, v6
	v_dual_sub_f32 v7, v7, v9 :: v_dual_add_f32 v10, v38, v11
	s_delay_alu instid0(VALU_DEP_1) | instskip(NEXT) | instid1(VALU_DEP_2)
	v_ldexp_f32 v7, v7, 1
	v_sub_f32_e32 v9, v10, v38
	s_delay_alu instid0(VALU_DEP_4) | instskip(NEXT) | instid1(VALU_DEP_1)
	v_fma_f32 v38, 0x3f317218, v6, -v39
	v_dual_sub_f32 v9, v11, v9 :: v_dual_fmac_f32 v38, 0xb102e308, v6
	s_delay_alu instid0(VALU_DEP_1) | instskip(NEXT) | instid1(VALU_DEP_1)
	v_add_f32_e32 v6, v7, v9
	v_add_f32_e32 v9, v10, v6
	s_delay_alu instid0(VALU_DEP_1) | instskip(NEXT) | instid1(VALU_DEP_1)
	v_sub_f32_e32 v10, v9, v10
	v_sub_f32_e32 v6, v6, v10
	v_add_f32_e32 v7, v39, v38
	s_delay_alu instid0(VALU_DEP_1) | instskip(SKIP_1) | instid1(VALU_DEP_2)
	v_add_f32_e32 v11, v7, v9
	v_sub_f32_e32 v39, v7, v39
	v_sub_f32_e32 v40, v11, v7
	s_delay_alu instid0(VALU_DEP_1) | instskip(NEXT) | instid1(VALU_DEP_1)
	v_dual_sub_f32 v38, v38, v39 :: v_dual_sub_f32 v41, v11, v40
	v_dual_sub_f32 v9, v9, v40 :: v_dual_add_f32 v10, v38, v6
	s_delay_alu instid0(VALU_DEP_2) | instskip(NEXT) | instid1(VALU_DEP_1)
	v_sub_f32_e32 v7, v7, v41
	v_add_f32_e32 v7, v9, v7
	s_delay_alu instid0(VALU_DEP_3) | instskip(NEXT) | instid1(VALU_DEP_2)
	v_sub_f32_e32 v9, v10, v38
	v_add_f32_e32 v7, v10, v7
	s_delay_alu instid0(VALU_DEP_2) | instskip(NEXT) | instid1(VALU_DEP_2)
	v_sub_f32_e32 v10, v10, v9
	v_dual_sub_f32 v6, v6, v9 :: v_dual_add_f32 v39, v11, v7
	s_delay_alu instid0(VALU_DEP_1) | instskip(NEXT) | instid1(VALU_DEP_1)
	v_dual_sub_f32 v10, v38, v10 :: v_dual_sub_f32 v9, v39, v11
	v_dual_add_f32 v6, v6, v10 :: v_dual_sub_f32 v7, v7, v9
	s_delay_alu instid0(VALU_DEP_1) | instskip(NEXT) | instid1(VALU_DEP_1)
	v_add_f32_e32 v6, v6, v7
	v_add_f32_e32 v6, v39, v6
	s_delay_alu instid0(VALU_DEP_1)
	v_cndmask_b32_e32 v38, v6, v8, vcc_lo
.LBB134_34:                             ;   in Loop: Header=BB134_12 Depth=1
	s_or_b32 exec_lo, exec_lo, s17
	v_dual_mul_f32 v39, s49, v4 :: v_dual_mul_f32 v40, s49, v3
	v_dual_mul_f32 v41, s49, v2 :: v_dual_mul_f32 v42, s49, v5
	s_and_b32 vcc_lo, exec_lo, s61
	s_barrier
	buffer_gl0_inv
	s_cbranch_vccz .LBB134_82
; %bb.35:                               ;   in Loop: Header=BB134_12 Depth=1
	v_dual_mul_f32 v43, v5, v38 :: v_dual_mul_f32 v48, v4, v37
	v_add_co_u32 v5, s16, s41, v33
	s_delay_alu instid0(VALU_DEP_1) | instskip(SKIP_1) | instid1(VALU_DEP_1)
	v_add_co_ci_u32_e64 v6, null, s54, 0, s16
	v_add_co_u32 v7, s16, s45, v33
	v_add_co_ci_u32_e64 v8, null, s55, 0, s16
	s_delay_alu instid0(VALU_DEP_4) | instskip(NEXT) | instid1(VALU_DEP_4)
	v_add_co_u32 v44, vcc_lo, v5, v34
	v_add_co_ci_u32_e32 v45, vcc_lo, 0, v6, vcc_lo
	s_delay_alu instid0(VALU_DEP_4) | instskip(NEXT) | instid1(VALU_DEP_4)
	v_add_co_u32 v46, vcc_lo, v7, v34
	v_add_co_ci_u32_e32 v47, vcc_lo, 0, v8, vcc_lo
	v_cmp_gt_u32_e32 vcc_lo, s19, v12
	v_cmp_gt_u32_e64 s17, s19, v30
	v_cmp_gt_u32_e64 s18, s19, v31
	v_cmp_gt_u32_e64 s19, s19, v32
	s_cmp_lg_u32 s66, 0
	v_dual_mul_f32 v49, v3, v36 :: v_dual_mul_f32 v50, v2, v35
	s_cselect_b32 s25, -1, 0
	s_cmp_eq_u32 s66, s63
	s_mov_b32 s34, s28
	s_cselect_b32 s67, -1, 0
	s_or_b32 s16, s62, vcc_lo
	s_or_b32 s17, s62, s17
	s_or_b32 s18, s62, s18
	;; [unrolled: 1-line block ×3, first 2 shown]
	s_mov_b32 s38, 0
	s_mov_b32 s42, 0
	;; [unrolled: 1-line block ×5, first 2 shown]
	s_branch .LBB134_37
.LBB134_36:                             ;   in Loop: Header=BB134_37 Depth=2
	s_or_b32 exec_lo, exec_lo, s20
	v_cndmask_b32_e64 v6, v60, v11, s11
	v_cndmask_b32_e64 v7, v59, v10, s11
	s_add_i32 s68, s68, -1
	s_add_i32 s69, s69, 8
	s_add_i32 s46, s46, s26
	v_fma_f32 v6, v6, v58, v56
	v_mul_f32_e32 v7, v7, v58
	s_add_i32 s42, s42, s44
	s_add_i32 s38, s38, s40
	;; [unrolled: 1-line block ×3, first 2 shown]
	v_cndmask_b32_e64 v6, v6, v56, s10
	v_cndmask_b32_e64 v7, v7, v58, s10
	s_cmp_eq_u32 s68, 0
	s_waitcnt lgkmcnt(0)
	s_delay_alu instid0(VALU_DEP_1) | instskip(NEXT) | instid1(VALU_DEP_1)
	v_fmac_f32_e32 v6, v8, v7
	v_fmac_f32_e32 v51, v6, v55
	s_delay_alu instid0(VALU_DEP_1) | instskip(NEXT) | instid1(VALU_DEP_1)
	v_fmac_f32_e32 v52, v51, v57
	v_fmac_f32_e32 v39, v2, v52
	;; [unrolled: 1-line block ×4, first 2 shown]
	s_delay_alu instid0(VALU_DEP_1)
	v_fmac_f32_e32 v42, v3, v53
	v_fmac_f32_e32 v40, v5, v51
	s_cbranch_scc1 .LBB134_82
.LBB134_37:                             ;   Parent Loop BB134_12 Depth=1
                                        ; =>  This Inner Loop Header: Depth=2
	s_lshl_b64 s[20:21], s[34:35], 2
	s_mov_b32 s39, s35
	s_add_u32 s20, s53, s20
	s_addc_u32 s21, s27, s21
	s_mov_b32 s29, s28
	global_load_b32 v51, v1, s[20:21]
	s_lshl_b64 s[20:21], s[38:39], 2
	s_mov_b32 s30, s28
	s_mov_b32 s31, s28
	v_add_co_u32 v6, vcc_lo, v44, s20
	v_dual_mov_b32 v2, s28 :: v_dual_mov_b32 v3, s29
	v_add_co_ci_u32_e32 v7, vcc_lo, s21, v45, vcc_lo
	v_dual_mov_b32 v4, s30 :: v_dual_mov_b32 v5, s31
	v_mov_b32_e32 v8, 0
	s_and_saveexec_b32 s20, s12
	s_cbranch_execnz .LBB134_49
; %bb.38:                               ;   in Loop: Header=BB134_37 Depth=2
	s_or_b32 exec_lo, exec_lo, s20
	s_and_saveexec_b32 s20, s13
	s_cbranch_execnz .LBB134_50
.LBB134_39:                             ;   in Loop: Header=BB134_37 Depth=2
	s_or_b32 exec_lo, exec_lo, s20
	s_and_saveexec_b32 s20, s14
	s_cbranch_execnz .LBB134_51
.LBB134_40:                             ;   in Loop: Header=BB134_37 Depth=2
	s_or_b32 exec_lo, exec_lo, s20
	s_and_saveexec_b32 s20, s15
	s_cbranch_execz .LBB134_42
.LBB134_41:                             ;   in Loop: Header=BB134_37 Depth=2
	global_load_b32 v5, v[6:7], off offset:384
.LBB134_42:                             ;   in Loop: Header=BB134_37 Depth=2
	s_or_b32 exec_lo, exec_lo, s20
	s_waitcnt vmcnt(0)
	ds_store_b32 v17, v8
	ds_store_b32 v18, v3 offset:128
	ds_store_b32 v19, v4 offset:256
	;; [unrolled: 1-line block ×3, first 2 shown]
	; wave barrier
	ds_load_2addr_b32 v[10:11], v21 offset1:1
	ds_load_2addr_b32 v[8:9], v21 offset0:2 offset1:3
	s_mov_b32 s43, s35
	s_mov_b32 s72, s35
	s_lshl_b64 s[20:21], s[42:43], 2
	s_mov_b32 s73, s35
	s_mov_b32 s74, s35
	;; [unrolled: 1-line block ×3, first 2 shown]
	v_add_co_u32 v6, vcc_lo, v46, s20
	v_dual_mov_b32 v2, s72 :: v_dual_mov_b32 v3, s73
	v_add_co_ci_u32_e32 v7, vcc_lo, s21, v47, vcc_lo
	v_dual_mov_b32 v4, s74 :: v_dual_mov_b32 v5, s75
	v_mov_b32_e32 v52, 0
	s_and_saveexec_b32 s20, s12
	s_cbranch_execnz .LBB134_52
; %bb.43:                               ;   in Loop: Header=BB134_37 Depth=2
	s_or_b32 exec_lo, exec_lo, s20
	s_and_saveexec_b32 s20, s13
	s_cbranch_execnz .LBB134_53
.LBB134_44:                             ;   in Loop: Header=BB134_37 Depth=2
	s_or_b32 exec_lo, exec_lo, s20
	s_and_saveexec_b32 s20, s14
	s_cbranch_execnz .LBB134_54
.LBB134_45:                             ;   in Loop: Header=BB134_37 Depth=2
	s_or_b32 exec_lo, exec_lo, s20
	s_and_saveexec_b32 s20, s15
	s_cbranch_execz .LBB134_47
.LBB134_46:                             ;   in Loop: Header=BB134_37 Depth=2
	global_load_b32 v5, v[6:7], off offset:384
.LBB134_47:                             ;   in Loop: Header=BB134_37 Depth=2
	s_or_b32 exec_lo, exec_lo, s20
	v_add_nc_u32_e32 v2, 0x420, v21
	s_waitcnt vmcnt(0)
	ds_store_b32 v17, v52 offset:1056
	ds_store_b32 v22, v3 offset:128
	;; [unrolled: 1-line block ×4, first 2 shown]
	; wave barrier
	ds_load_2addr_b32 v[4:5], v2 offset1:1
	ds_load_2addr_b32 v[2:3], v25 offset0:2 offset1:3
	s_and_not1_b32 vcc_lo, exec_lo, s25
	s_cbranch_vccnz .LBB134_55
; %bb.48:                               ;   in Loop: Header=BB134_37 Depth=2
	v_mov_b32_e32 v6, s69
	ds_load_b64 v[6:7], v6
	s_cbranch_execz .LBB134_56
	s_branch .LBB134_59
.LBB134_49:                             ;   in Loop: Header=BB134_37 Depth=2
	global_load_b32 v8, v[6:7], off
	v_mov_b32_e32 v3, v1
	v_mov_b32_e32 v2, v1
	s_delay_alu instid0(VALU_DEP_2) | instskip(NEXT) | instid1(VALU_DEP_2)
	v_mov_b32_e32 v5, v3
	v_dual_mov_b32 v4, v2 :: v_dual_mov_b32 v3, v1
	v_mov_b32_e32 v2, v0
	s_or_b32 exec_lo, exec_lo, s20
	s_and_saveexec_b32 s20, s13
	s_cbranch_execz .LBB134_39
.LBB134_50:                             ;   in Loop: Header=BB134_37 Depth=2
	global_load_b32 v3, v[6:7], off offset:128
	s_or_b32 exec_lo, exec_lo, s20
	s_and_saveexec_b32 s20, s14
	s_cbranch_execz .LBB134_40
.LBB134_51:                             ;   in Loop: Header=BB134_37 Depth=2
	global_load_b32 v4, v[6:7], off offset:256
	s_or_b32 exec_lo, exec_lo, s20
	s_and_saveexec_b32 s20, s15
	s_cbranch_execnz .LBB134_41
	s_branch .LBB134_42
.LBB134_52:                             ;   in Loop: Header=BB134_37 Depth=2
	global_load_b32 v52, v[6:7], off
	v_mov_b32_e32 v3, v1
	v_mov_b32_e32 v2, v1
	s_delay_alu instid0(VALU_DEP_2) | instskip(NEXT) | instid1(VALU_DEP_2)
	v_mov_b32_e32 v5, v3
	v_dual_mov_b32 v4, v2 :: v_dual_mov_b32 v3, v1
	v_mov_b32_e32 v2, v0
	s_or_b32 exec_lo, exec_lo, s20
	s_and_saveexec_b32 s20, s13
	s_cbranch_execz .LBB134_44
.LBB134_53:                             ;   in Loop: Header=BB134_37 Depth=2
	global_load_b32 v3, v[6:7], off offset:128
	s_or_b32 exec_lo, exec_lo, s20
	s_and_saveexec_b32 s20, s14
	s_cbranch_execz .LBB134_45
.LBB134_54:                             ;   in Loop: Header=BB134_37 Depth=2
	global_load_b32 v4, v[6:7], off offset:256
	s_or_b32 exec_lo, exec_lo, s20
	s_and_saveexec_b32 s20, s15
	s_cbranch_execnz .LBB134_46
	s_branch .LBB134_47
.LBB134_55:                             ;   in Loop: Header=BB134_37 Depth=2
                                        ; implicit-def: $vgpr6
.LBB134_56:                             ;   in Loop: Header=BB134_37 Depth=2
	s_waitcnt lgkmcnt(0)
	v_mov_b32_e32 v7, 0
	s_and_not1_b32 vcc_lo, exec_lo, s33
	s_cbranch_vccnz .LBB134_58
; %bb.57:                               ;   in Loop: Header=BB134_37 Depth=2
	s_mov_b32 s47, s35
	s_delay_alu instid0(SALU_CYCLE_1) | instskip(NEXT) | instid1(SALU_CYCLE_1)
	s_lshl_b64 s[20:21], s[46:47], 2
	s_add_u32 s20, s56, s20
	s_addc_u32 s21, s57, s21
	global_load_b32 v7, v1, s[20:21]
.LBB134_58:                             ;   in Loop: Header=BB134_37 Depth=2
	v_mov_b32_e32 v6, 1.0
.LBB134_59:                             ;   in Loop: Header=BB134_37 Depth=2
	s_waitcnt lgkmcnt(7)
	v_dual_mul_f32 v51, 0x3fb8aa3b, v51 :: v_dual_mul_f32 v10, v10, v50
	s_waitcnt lgkmcnt(6)
	v_dual_mul_f32 v11, v11, v49 :: v_dual_mul_f32 v8, v8, v48
	v_mul_f32_e32 v9, v9, v43
	s_delay_alu instid0(VALU_DEP_3) | instskip(SKIP_2) | instid1(VALU_DEP_3)
	v_mul_f32_e32 v53, v51, v36
	v_mul_f32_e32 v54, v51, v37
	;; [unrolled: 1-line block ×3, first 2 shown]
	v_cmp_gt_f32_e64 s20, 0xc2fc0000, v53
	s_delay_alu instid0(VALU_DEP_3) | instskip(NEXT) | instid1(VALU_DEP_3)
	v_cmp_gt_f32_e64 s21, 0xc2fc0000, v54
	v_cmp_gt_f32_e64 s22, 0xc2fc0000, v55
	s_delay_alu instid0(VALU_DEP_3) | instskip(SKIP_1) | instid1(VALU_DEP_4)
	v_cndmask_b32_e64 v53, 0, 0x42800000, s20
	v_cndmask_b32_e64 v56, 1.0, 0x1f800000, s20
	v_cndmask_b32_e64 v54, 0, 0x42800000, s21
	s_delay_alu instid0(VALU_DEP_4) | instskip(SKIP_2) | instid1(VALU_DEP_4)
	v_cndmask_b32_e64 v55, 0, 0x42800000, s22
	v_cndmask_b32_e64 v57, 1.0, 0x1f800000, s21
	v_fmac_f32_e32 v53, v51, v36
	v_fmac_f32_e32 v54, v51, v37
	s_delay_alu instid0(VALU_DEP_4) | instskip(NEXT) | instid1(VALU_DEP_3)
	v_fmac_f32_e32 v55, v51, v38
	v_exp_f32_e32 v53, v53
	v_mul_f32_e32 v52, v51, v35
	s_delay_alu instid0(VALU_DEP_2)
	v_exp_f32_e32 v59, v55
	s_waitcnt_depctr 0xfff
	v_mul_f32_e32 v53, v53, v56
	v_cmp_gt_f32_e32 vcc_lo, 0xc2fc0000, v52
	v_cndmask_b32_e64 v56, 0, v10, s16
	v_cndmask_b32_e64 v10, 1.0, 0x1f800000, s22
	s_delay_alu instid0(VALU_DEP_4) | instskip(SKIP_2) | instid1(VALU_DEP_2)
	v_cndmask_b32_e64 v55, 1.0, v53, s17
	v_cndmask_b32_e64 v52, 0, 0x42800000, vcc_lo
	v_cndmask_b32_e64 v53, 0, v9, s19
	v_fmac_f32_e32 v52, v51, v35
	v_exp_f32_e32 v51, v54
	v_cndmask_b32_e64 v54, 1.0, 0x1f800000, vcc_lo
	s_delay_alu instid0(VALU_DEP_2) | instskip(SKIP_4) | instid1(VALU_DEP_3)
	v_exp_f32_e32 v52, v52
	s_waitcnt_depctr 0xfff
	v_mul_f32_e32 v52, v52, v54
	v_mul_f32_e32 v54, v51, v57
	v_cndmask_b32_e64 v51, 0, v11, s17
	v_cndmask_b32_e64 v58, 1.0, v52, s16
	v_cndmask_b32_e64 v52, 0, v8, s18
	v_mul_f32_e32 v8, v59, v10
	v_cndmask_b32_e64 v57, 1.0, v54, s18
	v_fma_f32 v11, v55, v56, v51
	v_mul_f32_e32 v10, v55, v58
	s_delay_alu instid0(VALU_DEP_4) | instskip(NEXT) | instid1(VALU_DEP_3)
	v_cndmask_b32_e64 v54, 1.0, v8, s19
	v_fma_f32 v9, v11, v57, v52
	s_delay_alu instid0(VALU_DEP_3) | instskip(NEXT) | instid1(VALU_DEP_2)
	v_mul_f32_e32 v8, v10, v57
	v_fma_f32 v9, v9, v54, v53
	s_delay_alu instid0(VALU_DEP_2) | instskip(NEXT) | instid1(VALU_DEP_2)
	v_mul_f32_e32 v8, v8, v54
	v_mov_b32_dpp v10, v9 row_shr:1 row_mask:0xf bank_mask:0xf
	s_delay_alu instid0(VALU_DEP_2)
	v_mov_b32_dpp v11, v8 row_shr:1 row_mask:0xf bank_mask:0xf
	s_and_saveexec_b32 s20, s0
; %bb.60:                               ;   in Loop: Header=BB134_37 Depth=2
	s_delay_alu instid0(VALU_DEP_1) | instskip(NEXT) | instid1(VALU_DEP_1)
	v_mul_f32_e32 v11, v8, v11
	v_dual_fmac_f32 v9, v8, v10 :: v_dual_mov_b32 v8, v11
; %bb.61:                               ;   in Loop: Header=BB134_37 Depth=2
	s_or_b32 exec_lo, exec_lo, s20
	s_delay_alu instid0(VALU_DEP_1) | instskip(NEXT) | instid1(VALU_DEP_2)
	v_mov_b32_dpp v10, v8 row_shr:2 row_mask:0xf bank_mask:0xf
	v_mov_b32_dpp v11, v9 row_shr:2 row_mask:0xf bank_mask:0xf
	s_and_saveexec_b32 s20, s1
; %bb.62:                               ;   in Loop: Header=BB134_37 Depth=2
	s_delay_alu instid0(VALU_DEP_1) | instskip(NEXT) | instid1(VALU_DEP_3)
	v_fmac_f32_e32 v9, v8, v11
	v_mul_f32_e32 v8, v8, v10
; %bb.63:                               ;   in Loop: Header=BB134_37 Depth=2
	s_or_b32 exec_lo, exec_lo, s20
	s_delay_alu instid0(VALU_DEP_1) | instskip(NEXT) | instid1(VALU_DEP_3)
	v_mov_b32_dpp v10, v8 row_shr:4 row_mask:0xf bank_mask:0xf
	v_mov_b32_dpp v11, v9 row_shr:4 row_mask:0xf bank_mask:0xf
	s_and_saveexec_b32 s20, s2
; %bb.64:                               ;   in Loop: Header=BB134_37 Depth=2
	s_delay_alu instid0(VALU_DEP_1) | instskip(NEXT) | instid1(VALU_DEP_3)
	v_fmac_f32_e32 v9, v8, v11
	v_mul_f32_e32 v8, v8, v10
; %bb.65:                               ;   in Loop: Header=BB134_37 Depth=2
	s_or_b32 exec_lo, exec_lo, s20
	s_delay_alu instid0(VALU_DEP_1) | instskip(NEXT) | instid1(VALU_DEP_3)
	v_mov_b32_dpp v10, v8 row_shr:8 row_mask:0xf bank_mask:0xf
	v_mov_b32_dpp v11, v9 row_shr:8 row_mask:0xf bank_mask:0xf
	s_and_saveexec_b32 s20, s3
; %bb.66:                               ;   in Loop: Header=BB134_37 Depth=2
	s_delay_alu instid0(VALU_DEP_1) | instskip(NEXT) | instid1(VALU_DEP_3)
	v_fmac_f32_e32 v9, v8, v11
	v_mul_f32_e32 v8, v8, v10
; %bb.67:                               ;   in Loop: Header=BB134_37 Depth=2
	s_or_b32 exec_lo, exec_lo, s20
	ds_swizzle_b32 v11, v8 offset:swizzle(BROADCAST,32,15)
	ds_swizzle_b32 v10, v9 offset:swizzle(BROADCAST,32,15)
	s_and_saveexec_b32 s20, s4
	s_cbranch_execz .LBB134_69
; %bb.68:                               ;   in Loop: Header=BB134_37 Depth=2
	s_waitcnt lgkmcnt(1)
	v_mul_f32_e32 v11, v8, v11
	s_waitcnt lgkmcnt(0)
	s_delay_alu instid0(VALU_DEP_1)
	v_dual_fmac_f32 v9, v8, v10 :: v_dual_mov_b32 v8, v11
.LBB134_69:                             ;   in Loop: Header=BB134_37 Depth=2
	s_or_b32 exec_lo, exec_lo, s20
	s_and_saveexec_b32 s20, s5
	s_cbranch_execz .LBB134_71
; %bb.70:                               ;   in Loop: Header=BB134_37 Depth=2
	ds_store_b64 v26, v[8:9] offset:2112
.LBB134_71:                             ;   in Loop: Header=BB134_37 Depth=2
	s_or_b32 exec_lo, exec_lo, s20
	s_waitcnt vmcnt(0) lgkmcnt(0)
	s_waitcnt_vscnt null, 0x0
	s_barrier
	buffer_gl0_inv
	s_and_saveexec_b32 s20, s6
	s_cbranch_execz .LBB134_73
; %bb.72:                               ;   in Loop: Header=BB134_37 Depth=2
	ds_load_b64 v[10:11], v27 offset:2112
	s_waitcnt lgkmcnt(0)
	v_mov_b32_dpp v59, v10 row_shr:1 row_mask:0xf bank_mask:0xf
	v_mov_b32_dpp v60, v11 row_shr:1 row_mask:0xf bank_mask:0xf
	s_delay_alu instid0(VALU_DEP_2) | instskip(NEXT) | instid1(VALU_DEP_2)
	v_mul_f32_e32 v59, v10, v59
	v_fma_f32 v60, v10, v60, v11
	s_delay_alu instid0(VALU_DEP_2) | instskip(NEXT) | instid1(VALU_DEP_2)
	v_cndmask_b32_e64 v10, v59, v10, s7
	v_cndmask_b32_e64 v11, v60, v11, s7
	ds_store_b64 v27, v[10:11] offset:2112
.LBB134_73:                             ;   in Loop: Header=BB134_37 Depth=2
	s_or_b32 exec_lo, exec_lo, s20
	s_waitcnt lgkmcnt(0)
	s_barrier
	buffer_gl0_inv
                                        ; implicit-def: $vgpr11
	s_and_saveexec_b32 s20, s9
	s_cbranch_execz .LBB134_75
; %bb.74:                               ;   in Loop: Header=BB134_37 Depth=2
	ds_load_b64 v[10:11], v26 offset:2104
	s_waitcnt lgkmcnt(0)
	v_mul_f32_e32 v59, v8, v10
	s_delay_alu instid0(VALU_DEP_1)
	v_dual_fmac_f32 v9, v8, v11 :: v_dual_mov_b32 v8, v59
.LBB134_75:                             ;   in Loop: Header=BB134_37 Depth=2
	s_or_b32 exec_lo, exec_lo, s20
	ds_bpermute_b32 v59, v28, v8
	ds_bpermute_b32 v60, v28, v9
	s_and_saveexec_b32 s20, s8
	s_cbranch_execz .LBB134_79
; %bb.76:                               ;   in Loop: Header=BB134_37 Depth=2
	ds_load_b64 v[8:9], v1 offset:2120
	s_and_saveexec_b32 s21, s10
	s_cbranch_execz .LBB134_78
; %bb.77:                               ;   in Loop: Header=BB134_37 Depth=2
	ds_store_b64 v1, v[6:7] offset:2120
.LBB134_78:                             ;   in Loop: Header=BB134_37 Depth=2
	s_or_b32 exec_lo, exec_lo, s21
	s_waitcnt lgkmcnt(0)
	v_fmac_f32_e32 v9, v7, v8
	s_delay_alu instid0(VALU_DEP_1)
	v_dual_mul_f32 v6, v6, v8 :: v_dual_mov_b32 v7, v9
.LBB134_79:                             ;   in Loop: Header=BB134_37 Depth=2
	s_or_b32 exec_lo, exec_lo, s20
	s_waitcnt lgkmcnt(0)
	s_barrier
	buffer_gl0_inv
	ds_load_b32 v8, v1 offset:2124
	s_and_saveexec_b32 s20, s10
	s_cbranch_execz .LBB134_36
; %bb.80:                               ;   in Loop: Header=BB134_37 Depth=2
	v_mov_b32_e32 v9, s69
	s_and_not1_b32 vcc_lo, exec_lo, s67
	ds_store_b64 v9, v[6:7]
	s_cbranch_vccnz .LBB134_36
; %bb.81:                               ;   in Loop: Header=BB134_37 Depth=2
	s_mov_b32 s47, s35
	s_delay_alu instid0(SALU_CYCLE_1) | instskip(NEXT) | instid1(SALU_CYCLE_1)
	s_lshl_b64 s[30:31], s[46:47], 2
	s_add_u32 s30, s56, s30
	s_addc_u32 s31, s57, s31
	global_store_b32 v1, v7, s[30:31]
	s_branch .LBB134_36
.LBB134_82:                             ;   in Loop: Header=BB134_12 Depth=1
	s_waitcnt_vscnt null, 0x0
	s_barrier
	buffer_gl0_inv
	ds_store_2addr_b32 v21, v41, v40 offset1:1
	ds_store_2addr_b32 v21, v39, v42 offset0:2 offset1:3
	; wave barrier
	ds_load_b32 v6, v18 offset:128
	ds_load_b32 v5, v19 offset:256
	;; [unrolled: 1-line block ×3, first 2 shown]
	s_mov_b32 s25, s35
	s_delay_alu instid0(SALU_CYCLE_1) | instskip(NEXT) | instid1(SALU_CYCLE_1)
	s_lshl_b64 s[16:17], s[24:25], 2
	v_add_co_u32 v2, vcc_lo, v0, s16
	v_add_co_ci_u32_e32 v3, vcc_lo, s17, v29, vcc_lo
	s_and_saveexec_b32 s16, s12
	s_cbranch_execnz .LBB134_88
; %bb.83:                               ;   in Loop: Header=BB134_12 Depth=1
	s_or_b32 exec_lo, exec_lo, s16
	s_and_saveexec_b32 s12, s13
	s_cbranch_execnz .LBB134_89
.LBB134_84:                             ;   in Loop: Header=BB134_12 Depth=1
	s_or_b32 exec_lo, exec_lo, s12
	s_and_saveexec_b32 s12, s14
	s_cbranch_execnz .LBB134_90
.LBB134_85:                             ;   in Loop: Header=BB134_12 Depth=1
	s_or_b32 exec_lo, exec_lo, s12
	s_and_saveexec_b32 s12, s15
	s_cbranch_execz .LBB134_11
	s_branch .LBB134_91
.LBB134_86:                             ;   in Loop: Header=BB134_12 Depth=1
	global_load_b32 v10, v[6:7], off offset:128
	s_or_b32 exec_lo, exec_lo, s16
	s_and_saveexec_b32 s16, s14
	s_cbranch_execz .LBB134_24
.LBB134_87:                             ;   in Loop: Header=BB134_12 Depth=1
	global_load_b32 v9, v[6:7], off offset:256
	s_or_b32 exec_lo, exec_lo, s16
	v_mov_b32_e32 v11, 0
	s_and_saveexec_b32 s16, s15
	s_cbranch_execnz .LBB134_25
	s_branch .LBB134_26
.LBB134_88:                             ;   in Loop: Header=BB134_12 Depth=1
	ds_load_b32 v7, v17
	s_waitcnt lgkmcnt(0)
	global_store_b32 v[2:3], v7, off
	s_or_b32 exec_lo, exec_lo, s16
	s_and_saveexec_b32 s12, s13
	s_cbranch_execz .LBB134_84
.LBB134_89:                             ;   in Loop: Header=BB134_12 Depth=1
	s_waitcnt lgkmcnt(2)
	global_store_b32 v[2:3], v6, off offset:128
	s_or_b32 exec_lo, exec_lo, s12
	s_and_saveexec_b32 s12, s14
	s_cbranch_execz .LBB134_85
.LBB134_90:                             ;   in Loop: Header=BB134_12 Depth=1
	s_waitcnt lgkmcnt(1)
	global_store_b32 v[2:3], v5, off offset:256
	s_or_b32 exec_lo, exec_lo, s12
	s_and_saveexec_b32 s12, s15
	s_cbranch_execz .LBB134_11
.LBB134_91:                             ;   in Loop: Header=BB134_12 Depth=1
	s_waitcnt lgkmcnt(0)
	global_store_b32 v[2:3], v4, off offset:384
	s_branch .LBB134_11
.LBB134_92:
	s_nop 0
	s_sendmsg sendmsg(MSG_DEALLOC_VGPRS)
	s_endpgm
	.section	.rodata,"a",@progbits
	.p2align	6, 0x0
	.amdhsa_kernel _Z25selective_scan_fwd_kernelI32Selective_Scan_fwd_kernel_traitsILi64ELi4ELi1ELb0ELb1ELb1ELb0ELb1EfffEEv13SSMParamsBase
		.amdhsa_group_segment_fixed_size 0
		.amdhsa_private_segment_fixed_size 0
		.amdhsa_kernarg_size 248
		.amdhsa_user_sgpr_count 14
		.amdhsa_user_sgpr_dispatch_ptr 0
		.amdhsa_user_sgpr_queue_ptr 0
		.amdhsa_user_sgpr_kernarg_segment_ptr 1
		.amdhsa_user_sgpr_dispatch_id 0
		.amdhsa_user_sgpr_private_segment_size 0
		.amdhsa_wavefront_size32 1
		.amdhsa_uses_dynamic_stack 0
		.amdhsa_enable_private_segment 0
		.amdhsa_system_sgpr_workgroup_id_x 1
		.amdhsa_system_sgpr_workgroup_id_y 1
		.amdhsa_system_sgpr_workgroup_id_z 0
		.amdhsa_system_sgpr_workgroup_info 0
		.amdhsa_system_vgpr_workitem_id 0
		.amdhsa_next_free_vgpr 61
		.amdhsa_next_free_sgpr 76
		.amdhsa_reserve_vcc 1
		.amdhsa_float_round_mode_32 0
		.amdhsa_float_round_mode_16_64 0
		.amdhsa_float_denorm_mode_32 3
		.amdhsa_float_denorm_mode_16_64 3
		.amdhsa_dx10_clamp 1
		.amdhsa_ieee_mode 1
		.amdhsa_fp16_overflow 0
		.amdhsa_workgroup_processor_mode 1
		.amdhsa_memory_ordered 1
		.amdhsa_forward_progress 0
		.amdhsa_shared_vgpr_count 0
		.amdhsa_exception_fp_ieee_invalid_op 0
		.amdhsa_exception_fp_denorm_src 0
		.amdhsa_exception_fp_ieee_div_zero 0
		.amdhsa_exception_fp_ieee_overflow 0
		.amdhsa_exception_fp_ieee_underflow 0
		.amdhsa_exception_fp_ieee_inexact 0
		.amdhsa_exception_int_div_zero 0
	.end_amdhsa_kernel
	.section	.text._Z25selective_scan_fwd_kernelI32Selective_Scan_fwd_kernel_traitsILi64ELi4ELi1ELb0ELb1ELb1ELb0ELb1EfffEEv13SSMParamsBase,"axG",@progbits,_Z25selective_scan_fwd_kernelI32Selective_Scan_fwd_kernel_traitsILi64ELi4ELi1ELb0ELb1ELb1ELb0ELb1EfffEEv13SSMParamsBase,comdat
.Lfunc_end134:
	.size	_Z25selective_scan_fwd_kernelI32Selective_Scan_fwd_kernel_traitsILi64ELi4ELi1ELb0ELb1ELb1ELb0ELb1EfffEEv13SSMParamsBase, .Lfunc_end134-_Z25selective_scan_fwd_kernelI32Selective_Scan_fwd_kernel_traitsILi64ELi4ELi1ELb0ELb1ELb1ELb0ELb1EfffEEv13SSMParamsBase
                                        ; -- End function
	.section	.AMDGPU.csdata,"",@progbits
; Kernel info:
; codeLenInByte = 6976
; NumSgprs: 78
; NumVgprs: 61
; ScratchSize: 0
; MemoryBound: 0
; FloatMode: 240
; IeeeMode: 1
; LDSByteSize: 0 bytes/workgroup (compile time only)
; SGPRBlocks: 9
; VGPRBlocks: 7
; NumSGPRsForWavesPerEU: 78
; NumVGPRsForWavesPerEU: 61
; Occupancy: 16
; WaveLimiterHint : 1
; COMPUTE_PGM_RSRC2:SCRATCH_EN: 0
; COMPUTE_PGM_RSRC2:USER_SGPR: 14
; COMPUTE_PGM_RSRC2:TRAP_HANDLER: 0
; COMPUTE_PGM_RSRC2:TGID_X_EN: 1
; COMPUTE_PGM_RSRC2:TGID_Y_EN: 1
; COMPUTE_PGM_RSRC2:TGID_Z_EN: 0
; COMPUTE_PGM_RSRC2:TIDIG_COMP_CNT: 0
	.section	.text._Z25selective_scan_fwd_kernelI32Selective_Scan_fwd_kernel_traitsILi64ELi4ELi1ELb0ELb1ELb1ELb0ELb0EfffEEv13SSMParamsBase,"axG",@progbits,_Z25selective_scan_fwd_kernelI32Selective_Scan_fwd_kernel_traitsILi64ELi4ELi1ELb0ELb1ELb1ELb0ELb0EfffEEv13SSMParamsBase,comdat
	.protected	_Z25selective_scan_fwd_kernelI32Selective_Scan_fwd_kernel_traitsILi64ELi4ELi1ELb0ELb1ELb1ELb0ELb0EfffEEv13SSMParamsBase ; -- Begin function _Z25selective_scan_fwd_kernelI32Selective_Scan_fwd_kernel_traitsILi64ELi4ELi1ELb0ELb1ELb1ELb0ELb0EfffEEv13SSMParamsBase
	.globl	_Z25selective_scan_fwd_kernelI32Selective_Scan_fwd_kernel_traitsILi64ELi4ELi1ELb0ELb1ELb1ELb0ELb0EfffEEv13SSMParamsBase
	.p2align	8
	.type	_Z25selective_scan_fwd_kernelI32Selective_Scan_fwd_kernel_traitsILi64ELi4ELi1ELb0ELb1ELb1ELb0ELb0EfffEEv13SSMParamsBase,@function
_Z25selective_scan_fwd_kernelI32Selective_Scan_fwd_kernel_traitsILi64ELi4ELi1ELb0ELb1ELb1ELb0ELb0EfffEEv13SSMParamsBase: ; @_Z25selective_scan_fwd_kernelI32Selective_Scan_fwd_kernel_traitsILi64ELi4ELi1ELb0ELb1ELb1ELb0ELb0EfffEEv13SSMParamsBase
; %bb.0:
	s_clause 0x1
	s_load_b32 s9, s[0:1], 0x18
	s_load_b128 s[4:7], s[0:1], 0xe8
	s_mov_b32 s12, s15
	s_mov_b32 s33, 0
	s_waitcnt lgkmcnt(0)
	s_abs_i32 s8, s9
	s_cmp_eq_u64 s[6:7], 0
	v_cvt_f32_u32_e32 v1, s8
	s_delay_alu instid0(VALU_DEP_1) | instskip(SKIP_2) | instid1(VALU_DEP_1)
	v_rcp_iflag_f32_e32 v1, v1
	s_waitcnt_depctr 0xfff
	v_mul_f32_e32 v1, 0x4f7ffffe, v1
	v_cvt_u32_f32_e32 v1, v1
	s_delay_alu instid0(VALU_DEP_1)
	v_readfirstlane_b32 s10, v1
	s_cbranch_scc1 .LBB135_2
; %bb.1:
	v_mov_b32_e32 v1, 0
	s_ashr_i32 s3, s14, 31
	s_add_u32 s2, s6, s14
	s_addc_u32 s3, s7, s3
	global_load_u8 v1, v1, s[2:3]
	s_waitcnt vmcnt(0)
	v_and_b32_e32 v1, 1, v1
	s_delay_alu instid0(VALU_DEP_1)
	v_cmp_eq_u32_e64 s33, 1, v1
.LBB135_2:
	s_load_b64 s[6:7], s[0:1], 0x20
	s_cmp_eq_u64 s[4:5], 0
	s_cbranch_scc1 .LBB135_4
; %bb.3:
	s_ashr_i32 s15, s14, 31
	s_delay_alu instid0(SALU_CYCLE_1) | instskip(NEXT) | instid1(SALU_CYCLE_1)
	s_lshl_b64 s[2:3], s[14:15], 2
	s_add_u32 s2, s4, s2
	s_addc_u32 s3, s5, s3
	s_load_b32 s2, s[2:3], 0x0
	s_waitcnt lgkmcnt(0)
	s_ashr_i32 s3, s2, 31
	s_delay_alu instid0(SALU_CYCLE_1)
	s_cmp_eq_u64 s[6:7], s[2:3]
	s_cbranch_scc0 .LBB135_5
	s_branch .LBB135_92
.LBB135_4:
	s_mov_b32 s2, s14
	s_delay_alu instid0(SALU_CYCLE_1)
	s_ashr_i32 s3, s2, 31
	s_waitcnt lgkmcnt(0)
	s_cmp_eq_u64 s[6:7], s[2:3]
	s_cbranch_scc1 .LBB135_92
.LBB135_5:
	s_clause 0x1
	s_load_b512 s[16:31], s[0:1], 0x88
	s_load_b64 s[34:35], s[0:1], 0x8
	s_mov_b32 s50, 0
	s_mov_b32 s51, 0
	s_waitcnt lgkmcnt(0)
	s_cmp_eq_u64 s[22:23], 0
	s_cbranch_scc1 .LBB135_7
; %bb.6:
	s_ashr_i32 s13, s12, 31
	s_delay_alu instid0(SALU_CYCLE_1) | instskip(NEXT) | instid1(SALU_CYCLE_1)
	s_lshl_b64 s[4:5], s[12:13], 2
	s_add_u32 s4, s22, s4
	s_addc_u32 s5, s23, s5
	s_load_b32 s51, s[4:5], 0x0
.LBB135_7:
	s_cmp_eq_u64 s[28:29], 0
	s_cbranch_scc1 .LBB135_9
; %bb.8:
	s_ashr_i32 s13, s12, 31
	s_delay_alu instid0(SALU_CYCLE_1) | instskip(NEXT) | instid1(SALU_CYCLE_1)
	s_lshl_b64 s[4:5], s[12:13], 2
	s_add_u32 s4, s28, s4
	s_addc_u32 s5, s29, s5
	s_load_b32 s50, s[4:5], 0x0
.LBB135_9:
	s_cmp_lt_i32 s34, 1
	s_cbranch_scc1 .LBB135_92
; %bb.10:
	s_sub_i32 s3, 0, s8
	s_clause 0x1
	s_load_b64 s[4:5], s[0:1], 0x5c
	s_load_b128 s[44:47], s[0:1], 0x4c
	s_mul_i32 s3, s3, s10
	s_abs_i32 s6, s12
	s_mul_hi_u32 s3, s10, s3
	s_ashr_i32 s9, s9, 31
	s_add_i32 s10, s10, s3
	s_ashr_i32 s3, s12, 31
	s_mul_hi_u32 s7, s6, s10
	s_xor_b32 s3, s3, s9
	s_mul_i32 s10, s7, s8
	s_add_i32 s9, s7, 1
	s_sub_i32 s6, s6, s10
	s_load_b256 s[36:43], s[0:1], 0x2c
	s_sub_i32 s10, s6, s8
	s_cmp_ge_u32 s6, s8
	s_mov_b32 s49, 0
	s_cselect_b32 s7, s9, s7
	s_cselect_b32 s6, s10, s6
	s_add_i32 s9, s7, 1
	s_cmp_ge_u32 s6, s8
	s_waitcnt lgkmcnt(0)
	s_mul_i32 s48, s46, s14
	s_cselect_b32 s6, s9, s7
	v_dual_mov_b32 v1, 0 :: v_dual_lshlrev_b32 v12, 2, v0
	s_xor_b32 s8, s6, s3
	s_lshl_b64 s[6:7], s[48:49], 2
	s_sub_i32 s3, s8, s3
	s_mul_i32 s48, s47, s12
	s_add_u32 s8, s24, s6
	s_addc_u32 s9, s25, s7
	s_lshl_b64 s[6:7], s[48:49], 2
	s_mul_i32 s48, s4, s14
	s_add_u32 s23, s8, s6
	s_addc_u32 s52, s9, s7
	s_lshl_b64 s[6:7], s[48:49], 2
	s_mul_i32 s48, s5, s12
	s_add_u32 s6, s26, s6
	s_addc_u32 s7, s27, s7
	s_clause 0x1
	s_load_b128 s[24:27], s[0:1], 0x7c
	s_load_b64 s[10:11], s[0:1], 0x6c
	s_lshl_b64 s[4:5], s[48:49], 2
	s_mul_i32 s48, s36, s12
	s_add_u32 s53, s6, s4
	s_addc_u32 s36, s7, s5
	s_load_b64 s[6:7], s[0:1], 0xc8
	s_lshl_b64 s[4:5], s[48:49], 2
	s_mul_i32 s48, s38, s14
	s_add_u32 s54, s16, s4
	s_waitcnt lgkmcnt(0)
	s_addc_u32 s27, s17, s5
	s_lshl_b64 s[4:5], s[48:49], 2
	s_mul_i32 s48, s3, s41
	s_load_b32 s0, s[0:1], 0x28
	s_add_u32 s8, s18, s4
	v_mbcnt_lo_u32_b32 v2, -1, 0
	v_and_b32_e32 v3, 0x80, v12
	s_addc_u32 s9, s19, s5
	s_lshl_b64 s[4:5], s[48:49], 2
	s_mul_i32 s48, s42, s14
	s_add_u32 s41, s8, s4
	s_addc_u32 s55, s9, s5
	s_lshl_b64 s[4:5], s[48:49], 2
	s_mul_i32 s48, s3, s45
	v_or_b32_e32 v13, v2, v3
	s_add_u32 s8, s20, s4
	s_addc_u32 s3, s21, s5
	s_lshl_b64 s[4:5], s[48:49], 2
	s_mul_i32 s48, s2, s24
	s_add_u32 s45, s8, s4
	s_addc_u32 s56, s3, s5
	s_lshl_b64 s[2:3], s[48:49], 2
	v_lshrrev_b32_e32 v4, 5, v3
	v_or_b32_e32 v14, 32, v13
	v_or_b32_e32 v15, 64, v13
	v_and_b32_e32 v5, 32, v0
	s_mul_i32 s48, s25, s12
	s_add_u32 s4, s6, s2
	s_addc_u32 s5, s7, s3
	s_lshl_b64 s[2:3], s[48:49], 2
	v_add_nc_u32_e32 v4, v4, v13
	s_add_u32 s57, s4, s2
	v_lshrrev_b32_e32 v6, 5, v14
	v_lshrrev_b32_e32 v7, 5, v15
	v_or_b32_e32 v16, 0x60, v13
	v_or_b32_e32 v8, v2, v5
	s_addc_u32 s58, s5, s3
	s_add_i32 s2, s34, 0x7ff
	v_lshl_add_u32 v17, v4, 2, 0
	s_lshr_b32 s59, s2, 11
	s_waitcnt lgkmcnt(0)
	s_bitcmp1_b32 s0, 0
	v_add_lshl_u32 v4, v6, v13, 2
	v_add_lshl_u32 v6, v7, v13, 2
	v_lshrrev_b32_e32 v7, 5, v16
	v_lshlrev_b32_e32 v9, 2, v8
	v_bfe_u32 v8, v8, 3, 27
	s_cselect_b32 s60, -1, 0
	s_cmp_gt_i32 s35, 0
	v_add_nc_u32_e32 v18, 0, v4
	s_cselect_b32 s61, -1, 0
	s_add_i32 s0, 0, 0x420
	v_add_lshl_u32 v7, v7, v13, 2
	v_add_lshl_u32 v8, v8, v9, 2
	v_add_nc_u32_e32 v22, s0, v4
	v_and_b32_e32 v4, 15, v2
	s_and_b32 s1, s34, 0xff
	v_add_nc_u32_e32 v23, s0, v6
	v_add_nc_u32_e32 v24, s0, v7
	s_cmp_eq_u32 s1, 0
	v_add_nc_u32_e32 v25, s0, v8
	v_cmp_ne_u32_e64 s0, 0, v4
	v_cmp_lt_u32_e64 s1, 1, v4
	v_cmp_lt_u32_e64 s2, 3, v4
	;; [unrolled: 1-line block ×3, first 2 shown]
	v_add_nc_u32_e32 v4, -1, v2
	v_or_b32_e32 v5, 31, v5
	s_mul_i32 s48, s10, s14
	s_cselect_b32 s62, -1, 0
	s_lshl_b64 s[14:15], s[48:49], 2
	v_cmp_gt_i32_e32 vcc_lo, 0, v4
	s_add_i32 s63, s59, -1
	s_mul_i32 s48, s11, s12
	v_add_nc_u32_e32 v19, 0, v6
	v_lshrrev_b32_e32 v6, 2, v0
	v_cndmask_b32_e32 v4, v4, v2, vcc_lo
	v_cmp_eq_u32_e64 s5, v5, v0
	v_cmp_gt_u32_e64 s6, 2, v0
	v_lshl_add_u32 v27, v0, 3, 0
	v_cmp_gt_u32_e64 s8, 32, v0
	v_cmp_lt_u32_e64 s9, 31, v0
	v_cmp_eq_u32_e64 s10, 0, v0
	s_add_u32 s14, s30, s14
	v_lshlrev_b32_e32 v0, 2, v2
	s_addc_u32 s11, s31, s15
	s_lshl_b64 s[12:13], s[48:49], 2
	v_and_b32_e32 v5, 1, v2
	s_add_u32 s12, s14, s12
	v_lshlrev_b32_e32 v28, 2, v4
	s_addc_u32 s11, s11, s13
	v_lshlrev_b32_e32 v4, 2, v3
	v_add_co_u32 v0, s12, s12, v0
	v_add_nc_u32_e32 v20, 0, v7
	v_and_b32_e32 v7, 16, v2
	v_and_b32_e32 v6, 8, v6
	v_cmp_eq_u32_e64 s7, 0, v5
	v_add_co_ci_u32_e64 v5, null, s11, 0, s12
	v_add_co_u32 v0, vcc_lo, v0, v4
	v_add_nc_u32_e32 v21, 0, v8
	v_cmp_ne_u32_e64 s4, 0, v7
	v_add_nc_u32_e32 v26, 0, v6
	v_cmp_eq_u32_e64 s11, 0, v2
	v_add_co_ci_u32_e32 v29, vcc_lo, 0, v5, vcc_lo
	v_or_b32_e32 v30, 1, v12
	v_or_b32_e32 v31, 2, v12
	;; [unrolled: 1-line block ×3, first 2 shown]
	v_lshlrev_b32_e32 v33, 2, v2
	v_lshlrev_b32_e32 v34, 2, v3
	s_mov_b32 s64, 0x3e9b6dac
	s_add_i32 s65, 0, 0x850
	s_mov_b32 s66, 0
	s_mov_b32 s28, 0
	s_branch .LBB135_12
.LBB135_11:                             ;   in Loop: Header=BB135_12 Depth=1
	s_or_b32 exec_lo, exec_lo, s12
	s_add_u32 s53, s53, 0x400
	s_addc_u32 s36, s36, 0
	s_add_u32 s23, s23, 0x400
	s_addc_u32 s52, s52, 0
	;; [unrolled: 2-line block ×4, first 2 shown]
	s_add_i32 s66, s66, 1
	s_delay_alu instid0(SALU_CYCLE_1)
	s_cmp_eq_u32 s66, s59
	s_cbranch_scc1 .LBB135_92
.LBB135_12:                             ; =>This Loop Header: Depth=1
                                        ;     Child Loop BB135_37 Depth 2
	v_add_co_u32 v2, s12, s23, v33
	s_delay_alu instid0(VALU_DEP_1) | instskip(SKIP_1) | instid1(VALU_DEP_2)
	v_add_co_ci_u32_e64 v3, null, s52, 0, s12
	s_lshl_b32 s24, s66, 8
	v_add_co_u32 v2, vcc_lo, v2, v34
	s_sub_i32 s19, s34, s24
	s_delay_alu instid0(VALU_DEP_2)
	v_add_co_ci_u32_e32 v3, vcc_lo, 0, v3, vcc_lo
	v_cmp_gt_u32_e64 s12, s19, v13
	s_waitcnt lgkmcnt(0)
	v_mov_b32_e32 v4, v1
	s_waitcnt_vscnt null, 0x0
	s_barrier
	buffer_gl0_inv
	s_and_saveexec_b32 s13, s12
	s_cbranch_execz .LBB135_14
; %bb.13:                               ;   in Loop: Header=BB135_12 Depth=1
	global_load_b32 v4, v[2:3], off
.LBB135_14:                             ;   in Loop: Header=BB135_12 Depth=1
	s_or_b32 exec_lo, exec_lo, s13
	v_cmp_gt_u32_e64 s13, s19, v14
	v_dual_mov_b32 v5, 0 :: v_dual_mov_b32 v6, 0
	s_delay_alu instid0(VALU_DEP_2)
	s_and_saveexec_b32 s14, s13
	s_cbranch_execz .LBB135_16
; %bb.15:                               ;   in Loop: Header=BB135_12 Depth=1
	global_load_b32 v6, v[2:3], off offset:128
.LBB135_16:                             ;   in Loop: Header=BB135_12 Depth=1
	s_or_b32 exec_lo, exec_lo, s14
	v_cmp_gt_u32_e64 s14, s19, v15
	s_delay_alu instid0(VALU_DEP_1)
	s_and_saveexec_b32 s15, s14
	s_cbranch_execz .LBB135_18
; %bb.17:                               ;   in Loop: Header=BB135_12 Depth=1
	global_load_b32 v5, v[2:3], off offset:256
.LBB135_18:                             ;   in Loop: Header=BB135_12 Depth=1
	s_or_b32 exec_lo, exec_lo, s15
	v_cmp_gt_u32_e64 s15, s19, v16
	v_dual_mov_b32 v8, 0 :: v_dual_mov_b32 v7, 0
	s_delay_alu instid0(VALU_DEP_2)
	s_and_saveexec_b32 s16, s15
	s_cbranch_execz .LBB135_20
; %bb.19:                               ;   in Loop: Header=BB135_12 Depth=1
	global_load_b32 v7, v[2:3], off offset:384
.LBB135_20:                             ;   in Loop: Header=BB135_12 Depth=1
	s_or_b32 exec_lo, exec_lo, s16
	s_waitcnt vmcnt(0)
	ds_store_b32 v17, v4
	ds_store_b32 v18, v6 offset:128
	ds_store_b32 v19, v5 offset:256
	;; [unrolled: 1-line block ×3, first 2 shown]
	; wave barrier
	ds_load_2addr_b32 v[2:3], v21 offset1:1
	ds_load_2addr_b32 v[4:5], v21 offset0:2 offset1:3
	v_add_co_u32 v6, s16, s53, v33
	s_delay_alu instid0(VALU_DEP_1) | instskip(SKIP_1) | instid1(VALU_DEP_2)
	v_add_co_ci_u32_e64 v7, null, s36, 0, s16
	s_waitcnt lgkmcnt(0)
	v_add_co_u32 v6, vcc_lo, v6, v34
	s_delay_alu instid0(VALU_DEP_2)
	v_add_co_ci_u32_e32 v7, vcc_lo, 0, v7, vcc_lo
	s_barrier
	buffer_gl0_inv
	s_and_saveexec_b32 s16, s12
	s_cbranch_execz .LBB135_22
; %bb.21:                               ;   in Loop: Header=BB135_12 Depth=1
	global_load_b32 v8, v[6:7], off
.LBB135_22:                             ;   in Loop: Header=BB135_12 Depth=1
	s_or_b32 exec_lo, exec_lo, s16
	v_dual_mov_b32 v9, 0 :: v_dual_mov_b32 v10, 0
	s_and_saveexec_b32 s16, s13
	s_cbranch_execnz .LBB135_86
; %bb.23:                               ;   in Loop: Header=BB135_12 Depth=1
	s_or_b32 exec_lo, exec_lo, s16
	s_and_saveexec_b32 s16, s14
	s_cbranch_execnz .LBB135_87
.LBB135_24:                             ;   in Loop: Header=BB135_12 Depth=1
	s_or_b32 exec_lo, exec_lo, s16
	v_mov_b32_e32 v11, 0
	s_and_saveexec_b32 s16, s15
	s_cbranch_execz .LBB135_26
.LBB135_25:                             ;   in Loop: Header=BB135_12 Depth=1
	global_load_b32 v11, v[6:7], off offset:384
.LBB135_26:                             ;   in Loop: Header=BB135_12 Depth=1
	s_or_b32 exec_lo, exec_lo, s16
	s_waitcnt vmcnt(0)
	ds_store_b32 v17, v8
	ds_store_b32 v18, v10 offset:128
	ds_store_b32 v19, v9 offset:256
	;; [unrolled: 1-line block ×3, first 2 shown]
	; wave barrier
	ds_load_2addr_b32 v[8:9], v21 offset1:1
	ds_load_2addr_b32 v[6:7], v21 offset0:2 offset1:3
	s_waitcnt lgkmcnt(1)
	v_add_f32_e32 v35, s50, v8
	s_delay_alu instid0(VALU_DEP_1) | instskip(SKIP_1) | instid1(SALU_CYCLE_1)
	v_cmp_ge_f32_e32 vcc_lo, 0x41a00000, v35
	s_and_b32 s16, s60, vcc_lo
	s_and_saveexec_b32 s17, s16
	s_cbranch_execz .LBB135_28
; %bb.27:                               ;   in Loop: Header=BB135_12 Depth=1
	v_mul_f32_e32 v8, 0x3fb8aa3b, v35
	v_cmp_ngt_f32_e32 vcc_lo, 0xc2ce8ed0, v35
	s_delay_alu instid0(VALU_DEP_2) | instskip(SKIP_1) | instid1(VALU_DEP_1)
	v_rndne_f32_e32 v10, v8
	v_fma_f32 v11, 0x3fb8aa3b, v35, -v8
	v_dual_sub_f32 v8, v8, v10 :: v_dual_fmac_f32 v11, 0x32a5705f, v35
	v_cvt_i32_f32_e32 v10, v10
	s_delay_alu instid0(VALU_DEP_2) | instskip(NEXT) | instid1(VALU_DEP_1)
	v_add_f32_e32 v8, v8, v11
	v_exp_f32_e32 v8, v8
	s_waitcnt_depctr 0xfff
	v_ldexp_f32 v8, v8, v10
	s_delay_alu instid0(VALU_DEP_1) | instskip(SKIP_1) | instid1(VALU_DEP_2)
	v_cndmask_b32_e32 v8, 0, v8, vcc_lo
	v_cmp_nlt_f32_e32 vcc_lo, 0x42b17218, v35
	v_cndmask_b32_e32 v8, 0x7f800000, v8, vcc_lo
	s_delay_alu instid0(VALU_DEP_1) | instskip(NEXT) | instid1(VALU_DEP_1)
	v_add_f32_e32 v35, 1.0, v8
	v_cvt_f64_f32_e32 v[10:11], v35
	s_delay_alu instid0(VALU_DEP_1) | instskip(SKIP_1) | instid1(VALU_DEP_1)
	v_frexp_exp_i32_f64_e32 v10, v[10:11]
	v_frexp_mant_f32_e32 v11, v35
	v_cmp_gt_f32_e32 vcc_lo, 0x3f2aaaab, v11
	v_add_f32_e32 v11, -1.0, v35
	s_delay_alu instid0(VALU_DEP_1) | instskip(SKIP_2) | instid1(VALU_DEP_3)
	v_sub_f32_e32 v37, v11, v35
	v_sub_f32_e32 v11, v8, v11
	v_cmp_gt_f32_e64 s16, 0x33800000, v8
	v_add_f32_e32 v37, 1.0, v37
	s_delay_alu instid0(VALU_DEP_1) | instskip(SKIP_2) | instid1(VALU_DEP_2)
	v_add_f32_e32 v11, v11, v37
	v_subrev_co_ci_u32_e32 v10, vcc_lo, 0, v10, vcc_lo
	v_cmp_eq_f32_e32 vcc_lo, 0x7f800000, v8
	v_sub_nc_u32_e32 v36, 0, v10
	v_cvt_f32_i32_e32 v10, v10
	s_or_b32 vcc_lo, s16, vcc_lo
	s_delay_alu instid0(VALU_DEP_2) | instskip(SKIP_1) | instid1(VALU_DEP_2)
	v_ldexp_f32 v35, v35, v36
	v_ldexp_f32 v11, v11, v36
	v_add_f32_e32 v38, 1.0, v35
	s_delay_alu instid0(VALU_DEP_1) | instskip(NEXT) | instid1(VALU_DEP_1)
	v_dual_add_f32 v36, -1.0, v35 :: v_dual_add_f32 v37, -1.0, v38
	v_add_f32_e32 v39, 1.0, v36
	s_delay_alu instid0(VALU_DEP_2) | instskip(NEXT) | instid1(VALU_DEP_2)
	v_sub_f32_e32 v37, v35, v37
	v_sub_f32_e32 v35, v35, v39
	s_delay_alu instid0(VALU_DEP_2) | instskip(NEXT) | instid1(VALU_DEP_2)
	v_add_f32_e32 v37, v11, v37
	v_add_f32_e32 v11, v11, v35
	s_delay_alu instid0(VALU_DEP_1) | instskip(NEXT) | instid1(VALU_DEP_1)
	v_dual_add_f32 v40, v36, v11 :: v_dual_add_f32 v39, v38, v37
	v_sub_f32_e32 v36, v36, v40
	s_delay_alu instid0(VALU_DEP_2) | instskip(SKIP_1) | instid1(VALU_DEP_1)
	v_rcp_f32_e32 v35, v39
	v_sub_f32_e32 v38, v38, v39
	v_add_f32_e32 v37, v37, v38
	s_waitcnt_depctr 0xfff
	v_mul_f32_e32 v41, v40, v35
	s_delay_alu instid0(VALU_DEP_1) | instskip(NEXT) | instid1(VALU_DEP_1)
	v_mul_f32_e32 v42, v39, v41
	v_fma_f32 v38, v41, v39, -v42
	s_delay_alu instid0(VALU_DEP_1) | instskip(NEXT) | instid1(VALU_DEP_1)
	v_fmac_f32_e32 v38, v41, v37
	v_add_f32_e32 v43, v42, v38
	s_delay_alu instid0(VALU_DEP_1) | instskip(NEXT) | instid1(VALU_DEP_1)
	v_sub_f32_e32 v44, v40, v43
	v_sub_f32_e32 v40, v40, v44
	v_add_f32_e32 v11, v11, v36
	v_sub_f32_e32 v36, v43, v42
	s_delay_alu instid0(VALU_DEP_3) | instskip(NEXT) | instid1(VALU_DEP_1)
	v_sub_f32_e32 v40, v40, v43
	v_dual_sub_f32 v36, v36, v38 :: v_dual_add_f32 v11, v11, v40
	s_delay_alu instid0(VALU_DEP_1) | instskip(NEXT) | instid1(VALU_DEP_1)
	v_add_f32_e32 v11, v36, v11
	v_add_f32_e32 v36, v44, v11
	s_delay_alu instid0(VALU_DEP_1) | instskip(NEXT) | instid1(VALU_DEP_1)
	v_mul_f32_e32 v38, v35, v36
	v_dual_sub_f32 v43, v44, v36 :: v_dual_mul_f32 v40, v39, v38
	s_delay_alu instid0(VALU_DEP_1) | instskip(NEXT) | instid1(VALU_DEP_2)
	v_add_f32_e32 v11, v11, v43
	v_fma_f32 v39, v38, v39, -v40
	s_delay_alu instid0(VALU_DEP_1) | instskip(NEXT) | instid1(VALU_DEP_1)
	v_fmac_f32_e32 v39, v38, v37
	v_add_f32_e32 v37, v40, v39
	s_delay_alu instid0(VALU_DEP_1) | instskip(NEXT) | instid1(VALU_DEP_1)
	v_sub_f32_e32 v42, v36, v37
	v_sub_f32_e32 v36, v36, v42
	s_delay_alu instid0(VALU_DEP_1) | instskip(NEXT) | instid1(VALU_DEP_1)
	v_sub_f32_e32 v36, v36, v37
	v_dual_add_f32 v11, v11, v36 :: v_dual_add_f32 v36, v41, v38
	v_sub_f32_e32 v40, v37, v40
	s_delay_alu instid0(VALU_DEP_1) | instskip(NEXT) | instid1(VALU_DEP_1)
	v_sub_f32_e32 v37, v40, v39
	v_add_f32_e32 v11, v37, v11
	s_delay_alu instid0(VALU_DEP_4) | instskip(NEXT) | instid1(VALU_DEP_2)
	v_sub_f32_e32 v37, v36, v41
	v_add_f32_e32 v11, v42, v11
	s_delay_alu instid0(VALU_DEP_2) | instskip(NEXT) | instid1(VALU_DEP_2)
	v_sub_f32_e32 v37, v38, v37
	v_mul_f32_e32 v11, v35, v11
	s_delay_alu instid0(VALU_DEP_1) | instskip(NEXT) | instid1(VALU_DEP_1)
	v_add_f32_e32 v11, v37, v11
	v_add_f32_e32 v35, v36, v11
	s_delay_alu instid0(VALU_DEP_1) | instskip(NEXT) | instid1(VALU_DEP_1)
	v_mul_f32_e32 v37, v35, v35
	v_fmaak_f32 v38, s64, v37, 0x3ecc95a3
	v_mul_f32_e32 v39, v35, v37
	s_delay_alu instid0(VALU_DEP_2) | instskip(SKIP_2) | instid1(VALU_DEP_3)
	v_fmaak_f32 v37, v37, v38, 0x3f2aaada
	v_ldexp_f32 v38, v35, 1
	v_sub_f32_e32 v35, v35, v36
	v_mul_f32_e32 v37, v39, v37
	v_mul_f32_e32 v39, 0x3f317218, v10
	s_delay_alu instid0(VALU_DEP_2) | instskip(NEXT) | instid1(VALU_DEP_1)
	v_dual_sub_f32 v11, v11, v35 :: v_dual_add_f32 v36, v38, v37
	v_ldexp_f32 v11, v11, 1
	s_delay_alu instid0(VALU_DEP_2) | instskip(NEXT) | instid1(VALU_DEP_4)
	v_sub_f32_e32 v35, v36, v38
	v_fma_f32 v38, 0x3f317218, v10, -v39
	s_delay_alu instid0(VALU_DEP_1) | instskip(NEXT) | instid1(VALU_DEP_1)
	v_dual_sub_f32 v35, v37, v35 :: v_dual_fmac_f32 v38, 0xb102e308, v10
	v_add_f32_e32 v10, v11, v35
	s_delay_alu instid0(VALU_DEP_2) | instskip(NEXT) | instid1(VALU_DEP_2)
	v_add_f32_e32 v11, v39, v38
	v_add_f32_e32 v35, v36, v10
	s_delay_alu instid0(VALU_DEP_2) | instskip(NEXT) | instid1(VALU_DEP_2)
	v_sub_f32_e32 v39, v11, v39
	v_add_f32_e32 v37, v11, v35
	v_sub_f32_e32 v36, v35, v36
	s_delay_alu instid0(VALU_DEP_3) | instskip(NEXT) | instid1(VALU_DEP_3)
	v_sub_f32_e32 v38, v38, v39
	v_sub_f32_e32 v40, v37, v11
	s_delay_alu instid0(VALU_DEP_3) | instskip(NEXT) | instid1(VALU_DEP_2)
	v_sub_f32_e32 v10, v10, v36
	v_sub_f32_e32 v41, v37, v40
	s_delay_alu instid0(VALU_DEP_2) | instskip(NEXT) | instid1(VALU_DEP_2)
	v_dual_sub_f32 v35, v35, v40 :: v_dual_add_f32 v36, v38, v10
	v_sub_f32_e32 v11, v11, v41
	s_delay_alu instid0(VALU_DEP_1) | instskip(NEXT) | instid1(VALU_DEP_3)
	v_add_f32_e32 v11, v35, v11
	v_sub_f32_e32 v35, v36, v38
	s_delay_alu instid0(VALU_DEP_2) | instskip(NEXT) | instid1(VALU_DEP_2)
	v_add_f32_e32 v11, v36, v11
	v_sub_f32_e32 v36, v36, v35
	v_sub_f32_e32 v10, v10, v35
	s_delay_alu instid0(VALU_DEP_2) | instskip(NEXT) | instid1(VALU_DEP_1)
	v_dual_add_f32 v39, v37, v11 :: v_dual_sub_f32 v36, v38, v36
	v_dual_sub_f32 v35, v39, v37 :: v_dual_add_f32 v10, v10, v36
	s_delay_alu instid0(VALU_DEP_1) | instskip(NEXT) | instid1(VALU_DEP_1)
	v_sub_f32_e32 v11, v11, v35
	v_add_f32_e32 v10, v10, v11
	s_delay_alu instid0(VALU_DEP_1) | instskip(NEXT) | instid1(VALU_DEP_1)
	v_add_f32_e32 v10, v39, v10
	v_cndmask_b32_e32 v35, v10, v8, vcc_lo
.LBB135_28:                             ;   in Loop: Header=BB135_12 Depth=1
	s_or_b32 exec_lo, exec_lo, s17
	v_add_f32_e32 v36, s50, v9
	s_delay_alu instid0(VALU_DEP_1) | instskip(SKIP_1) | instid1(SALU_CYCLE_1)
	v_cmp_ge_f32_e32 vcc_lo, 0x41a00000, v36
	s_and_b32 s16, s60, vcc_lo
	s_and_saveexec_b32 s17, s16
	s_cbranch_execz .LBB135_30
; %bb.29:                               ;   in Loop: Header=BB135_12 Depth=1
	v_mul_f32_e32 v8, 0x3fb8aa3b, v36
	v_cmp_ngt_f32_e32 vcc_lo, 0xc2ce8ed0, v36
	s_delay_alu instid0(VALU_DEP_2) | instskip(SKIP_1) | instid1(VALU_DEP_2)
	v_rndne_f32_e32 v9, v8
	v_fma_f32 v10, 0x3fb8aa3b, v36, -v8
	v_sub_f32_e32 v8, v8, v9
	s_delay_alu instid0(VALU_DEP_2) | instskip(SKIP_1) | instid1(VALU_DEP_2)
	v_fmac_f32_e32 v10, 0x32a5705f, v36
	v_cvt_i32_f32_e32 v9, v9
	v_add_f32_e32 v8, v8, v10
	s_delay_alu instid0(VALU_DEP_1) | instskip(SKIP_2) | instid1(VALU_DEP_1)
	v_exp_f32_e32 v8, v8
	s_waitcnt_depctr 0xfff
	v_ldexp_f32 v8, v8, v9
	v_cndmask_b32_e32 v8, 0, v8, vcc_lo
	v_cmp_nlt_f32_e32 vcc_lo, 0x42b17218, v36
	s_delay_alu instid0(VALU_DEP_2) | instskip(NEXT) | instid1(VALU_DEP_1)
	v_cndmask_b32_e32 v10, 0x7f800000, v8, vcc_lo
	v_add_f32_e32 v11, 1.0, v10
	s_delay_alu instid0(VALU_DEP_1) | instskip(NEXT) | instid1(VALU_DEP_1)
	v_cvt_f64_f32_e32 v[8:9], v11
	v_frexp_exp_i32_f64_e32 v8, v[8:9]
	v_frexp_mant_f32_e32 v9, v11
	s_delay_alu instid0(VALU_DEP_1) | instskip(SKIP_1) | instid1(VALU_DEP_1)
	v_cmp_gt_f32_e32 vcc_lo, 0x3f2aaaab, v9
	v_add_f32_e32 v9, -1.0, v11
	v_sub_f32_e32 v37, v9, v11
	v_sub_f32_e32 v9, v10, v9
	s_delay_alu instid0(VALU_DEP_2) | instskip(NEXT) | instid1(VALU_DEP_1)
	v_add_f32_e32 v37, 1.0, v37
	v_add_f32_e32 v9, v9, v37
	v_cmp_gt_f32_e64 s16, 0x33800000, v10
	v_subrev_co_ci_u32_e32 v8, vcc_lo, 0, v8, vcc_lo
	v_cmp_eq_f32_e32 vcc_lo, 0x7f800000, v10
	s_delay_alu instid0(VALU_DEP_2) | instskip(SKIP_2) | instid1(VALU_DEP_2)
	v_sub_nc_u32_e32 v36, 0, v8
	v_cvt_f32_i32_e32 v8, v8
	s_or_b32 vcc_lo, s16, vcc_lo
	v_ldexp_f32 v11, v11, v36
	v_ldexp_f32 v9, v9, v36
	s_delay_alu instid0(VALU_DEP_2) | instskip(NEXT) | instid1(VALU_DEP_1)
	v_add_f32_e32 v38, 1.0, v11
	v_dual_add_f32 v36, -1.0, v11 :: v_dual_add_f32 v37, -1.0, v38
	s_delay_alu instid0(VALU_DEP_1) | instskip(NEXT) | instid1(VALU_DEP_2)
	v_add_f32_e32 v39, 1.0, v36
	v_sub_f32_e32 v37, v11, v37
	s_delay_alu instid0(VALU_DEP_2) | instskip(NEXT) | instid1(VALU_DEP_2)
	v_sub_f32_e32 v11, v11, v39
	v_add_f32_e32 v37, v9, v37
	s_delay_alu instid0(VALU_DEP_2) | instskip(NEXT) | instid1(VALU_DEP_1)
	v_add_f32_e32 v9, v9, v11
	v_add_f32_e32 v40, v36, v9
	s_delay_alu instid0(VALU_DEP_1) | instskip(NEXT) | instid1(VALU_DEP_1)
	v_dual_add_f32 v39, v38, v37 :: v_dual_sub_f32 v36, v36, v40
	v_rcp_f32_e32 v11, v39
	v_sub_f32_e32 v38, v38, v39
	s_delay_alu instid0(VALU_DEP_1) | instskip(SKIP_2) | instid1(VALU_DEP_1)
	v_add_f32_e32 v37, v37, v38
	s_waitcnt_depctr 0xfff
	v_mul_f32_e32 v41, v40, v11
	v_mul_f32_e32 v42, v39, v41
	s_delay_alu instid0(VALU_DEP_1) | instskip(NEXT) | instid1(VALU_DEP_1)
	v_fma_f32 v38, v41, v39, -v42
	v_fmac_f32_e32 v38, v41, v37
	s_delay_alu instid0(VALU_DEP_1) | instskip(NEXT) | instid1(VALU_DEP_1)
	v_add_f32_e32 v43, v42, v38
	v_sub_f32_e32 v44, v40, v43
	s_delay_alu instid0(VALU_DEP_1) | instskip(SKIP_1) | instid1(VALU_DEP_2)
	v_sub_f32_e32 v40, v40, v44
	v_dual_add_f32 v9, v9, v36 :: v_dual_sub_f32 v36, v43, v42
	v_sub_f32_e32 v40, v40, v43
	s_delay_alu instid0(VALU_DEP_1) | instskip(NEXT) | instid1(VALU_DEP_1)
	v_dual_sub_f32 v36, v36, v38 :: v_dual_add_f32 v9, v9, v40
	v_add_f32_e32 v9, v36, v9
	s_delay_alu instid0(VALU_DEP_1) | instskip(NEXT) | instid1(VALU_DEP_1)
	v_add_f32_e32 v36, v44, v9
	v_mul_f32_e32 v38, v11, v36
	s_delay_alu instid0(VALU_DEP_1) | instskip(NEXT) | instid1(VALU_DEP_1)
	v_dual_sub_f32 v43, v44, v36 :: v_dual_mul_f32 v40, v39, v38
	v_add_f32_e32 v9, v9, v43
	s_delay_alu instid0(VALU_DEP_2) | instskip(NEXT) | instid1(VALU_DEP_1)
	v_fma_f32 v39, v38, v39, -v40
	v_fmac_f32_e32 v39, v38, v37
	s_delay_alu instid0(VALU_DEP_1) | instskip(NEXT) | instid1(VALU_DEP_1)
	v_add_f32_e32 v37, v40, v39
	v_sub_f32_e32 v42, v36, v37
	s_delay_alu instid0(VALU_DEP_1) | instskip(NEXT) | instid1(VALU_DEP_1)
	v_sub_f32_e32 v36, v36, v42
	v_sub_f32_e32 v36, v36, v37
	s_delay_alu instid0(VALU_DEP_1) | instskip(SKIP_2) | instid1(VALU_DEP_1)
	v_add_f32_e32 v9, v9, v36
	v_add_f32_e32 v36, v41, v38
	v_sub_f32_e32 v40, v37, v40
	v_sub_f32_e32 v37, v40, v39
	s_delay_alu instid0(VALU_DEP_1) | instskip(NEXT) | instid1(VALU_DEP_4)
	v_add_f32_e32 v9, v37, v9
	v_sub_f32_e32 v37, v36, v41
	s_delay_alu instid0(VALU_DEP_2) | instskip(NEXT) | instid1(VALU_DEP_2)
	v_add_f32_e32 v9, v42, v9
	v_sub_f32_e32 v37, v38, v37
	s_delay_alu instid0(VALU_DEP_2) | instskip(NEXT) | instid1(VALU_DEP_1)
	v_mul_f32_e32 v9, v11, v9
	v_add_f32_e32 v9, v37, v9
	s_delay_alu instid0(VALU_DEP_1) | instskip(NEXT) | instid1(VALU_DEP_1)
	v_add_f32_e32 v11, v36, v9
	v_mul_f32_e32 v37, v11, v11
	s_delay_alu instid0(VALU_DEP_1) | instskip(SKIP_1) | instid1(VALU_DEP_2)
	v_fmaak_f32 v38, s64, v37, 0x3ecc95a3
	v_mul_f32_e32 v39, v11, v37
	v_fmaak_f32 v37, v37, v38, 0x3f2aaada
	v_ldexp_f32 v38, v11, 1
	s_delay_alu instid0(VALU_DEP_2) | instskip(SKIP_1) | instid1(VALU_DEP_2)
	v_mul_f32_e32 v37, v39, v37
	v_sub_f32_e32 v11, v11, v36
	v_dual_mul_f32 v39, 0x3f317218, v8 :: v_dual_add_f32 v36, v38, v37
	s_delay_alu instid0(VALU_DEP_2) | instskip(NEXT) | instid1(VALU_DEP_2)
	v_sub_f32_e32 v9, v9, v11
	v_sub_f32_e32 v11, v36, v38
	s_delay_alu instid0(VALU_DEP_3) | instskip(NEXT) | instid1(VALU_DEP_3)
	v_fma_f32 v38, 0x3f317218, v8, -v39
	v_ldexp_f32 v9, v9, 1
	s_delay_alu instid0(VALU_DEP_2) | instskip(NEXT) | instid1(VALU_DEP_1)
	v_dual_sub_f32 v11, v37, v11 :: v_dual_fmac_f32 v38, 0xb102e308, v8
	v_dual_add_f32 v8, v9, v11 :: v_dual_add_f32 v9, v39, v38
	s_delay_alu instid0(VALU_DEP_1) | instskip(NEXT) | instid1(VALU_DEP_1)
	v_add_f32_e32 v11, v36, v8
	v_dual_add_f32 v37, v9, v11 :: v_dual_sub_f32 v36, v11, v36
	s_delay_alu instid0(VALU_DEP_1) | instskip(NEXT) | instid1(VALU_DEP_2)
	v_sub_f32_e32 v40, v37, v9
	v_dual_sub_f32 v39, v9, v39 :: v_dual_sub_f32 v8, v8, v36
	s_delay_alu instid0(VALU_DEP_1) | instskip(SKIP_1) | instid1(VALU_DEP_2)
	v_dual_sub_f32 v41, v37, v40 :: v_dual_sub_f32 v38, v38, v39
	v_sub_f32_e32 v11, v11, v40
	v_dual_sub_f32 v9, v9, v41 :: v_dual_add_f32 v36, v38, v8
	s_delay_alu instid0(VALU_DEP_1) | instskip(NEXT) | instid1(VALU_DEP_2)
	v_add_f32_e32 v9, v11, v9
	v_sub_f32_e32 v11, v36, v38
	s_delay_alu instid0(VALU_DEP_2) | instskip(NEXT) | instid1(VALU_DEP_2)
	v_add_f32_e32 v9, v36, v9
	v_sub_f32_e32 v36, v36, v11
	s_delay_alu instid0(VALU_DEP_2) | instskip(NEXT) | instid1(VALU_DEP_1)
	v_dual_sub_f32 v8, v8, v11 :: v_dual_add_f32 v39, v37, v9
	v_dual_sub_f32 v36, v38, v36 :: v_dual_sub_f32 v11, v39, v37
	s_delay_alu instid0(VALU_DEP_1) | instskip(NEXT) | instid1(VALU_DEP_1)
	v_dual_add_f32 v8, v8, v36 :: v_dual_sub_f32 v9, v9, v11
	v_add_f32_e32 v8, v8, v9
	s_delay_alu instid0(VALU_DEP_1) | instskip(NEXT) | instid1(VALU_DEP_1)
	v_add_f32_e32 v8, v39, v8
	v_cndmask_b32_e32 v36, v8, v10, vcc_lo
.LBB135_30:                             ;   in Loop: Header=BB135_12 Depth=1
	s_or_b32 exec_lo, exec_lo, s17
	s_waitcnt lgkmcnt(0)
	v_add_f32_e32 v37, s50, v6
	s_delay_alu instid0(VALU_DEP_1) | instskip(SKIP_1) | instid1(SALU_CYCLE_1)
	v_cmp_ge_f32_e32 vcc_lo, 0x41a00000, v37
	s_and_b32 s16, s60, vcc_lo
	s_and_saveexec_b32 s17, s16
	s_cbranch_execz .LBB135_32
; %bb.31:                               ;   in Loop: Header=BB135_12 Depth=1
	v_mul_f32_e32 v6, 0x3fb8aa3b, v37
	v_cmp_ngt_f32_e32 vcc_lo, 0xc2ce8ed0, v37
	s_delay_alu instid0(VALU_DEP_2) | instskip(SKIP_1) | instid1(VALU_DEP_1)
	v_rndne_f32_e32 v8, v6
	v_fma_f32 v9, 0x3fb8aa3b, v37, -v6
	v_dual_sub_f32 v6, v6, v8 :: v_dual_fmac_f32 v9, 0x32a5705f, v37
	v_cvt_i32_f32_e32 v8, v8
	s_delay_alu instid0(VALU_DEP_2) | instskip(NEXT) | instid1(VALU_DEP_1)
	v_add_f32_e32 v6, v6, v9
	v_exp_f32_e32 v6, v6
	s_waitcnt_depctr 0xfff
	v_ldexp_f32 v6, v6, v8
	s_delay_alu instid0(VALU_DEP_1) | instskip(SKIP_1) | instid1(VALU_DEP_2)
	v_cndmask_b32_e32 v6, 0, v6, vcc_lo
	v_cmp_nlt_f32_e32 vcc_lo, 0x42b17218, v37
	v_cndmask_b32_e32 v6, 0x7f800000, v6, vcc_lo
	s_delay_alu instid0(VALU_DEP_1) | instskip(NEXT) | instid1(VALU_DEP_1)
	v_add_f32_e32 v10, 1.0, v6
	v_cvt_f64_f32_e32 v[8:9], v10
	s_delay_alu instid0(VALU_DEP_1) | instskip(SKIP_1) | instid1(VALU_DEP_1)
	v_frexp_exp_i32_f64_e32 v8, v[8:9]
	v_frexp_mant_f32_e32 v9, v10
	v_cmp_gt_f32_e32 vcc_lo, 0x3f2aaaab, v9
	v_add_f32_e32 v9, -1.0, v10
	s_delay_alu instid0(VALU_DEP_1) | instskip(SKIP_1) | instid1(VALU_DEP_2)
	v_sub_f32_e32 v37, v9, v10
	v_sub_f32_e32 v9, v6, v9
	v_add_f32_e32 v37, 1.0, v37
	s_delay_alu instid0(VALU_DEP_1) | instskip(SKIP_3) | instid1(VALU_DEP_2)
	v_add_f32_e32 v9, v9, v37
	v_cmp_gt_f32_e64 s16, 0x33800000, v6
	v_subrev_co_ci_u32_e32 v8, vcc_lo, 0, v8, vcc_lo
	v_cmp_eq_f32_e32 vcc_lo, 0x7f800000, v6
	v_sub_nc_u32_e32 v11, 0, v8
	v_cvt_f32_i32_e32 v8, v8
	s_or_b32 vcc_lo, s16, vcc_lo
	s_delay_alu instid0(VALU_DEP_2) | instskip(SKIP_1) | instid1(VALU_DEP_2)
	v_ldexp_f32 v10, v10, v11
	v_ldexp_f32 v9, v9, v11
	v_add_f32_e32 v38, 1.0, v10
	v_add_f32_e32 v11, -1.0, v10
	s_delay_alu instid0(VALU_DEP_1) | instskip(NEXT) | instid1(VALU_DEP_3)
	v_add_f32_e32 v39, 1.0, v11
	v_add_f32_e32 v37, -1.0, v38
	s_delay_alu instid0(VALU_DEP_1) | instskip(NEXT) | instid1(VALU_DEP_1)
	v_sub_f32_e32 v37, v10, v37
	v_dual_sub_f32 v10, v10, v39 :: v_dual_add_f32 v37, v9, v37
	s_delay_alu instid0(VALU_DEP_1) | instskip(NEXT) | instid1(VALU_DEP_2)
	v_add_f32_e32 v39, v38, v37
	v_add_f32_e32 v9, v9, v10
	s_delay_alu instid0(VALU_DEP_2) | instskip(SKIP_1) | instid1(VALU_DEP_1)
	v_rcp_f32_e32 v10, v39
	v_sub_f32_e32 v38, v38, v39
	v_dual_add_f32 v40, v11, v9 :: v_dual_add_f32 v37, v37, v38
	s_delay_alu instid0(VALU_DEP_1) | instskip(SKIP_2) | instid1(VALU_DEP_1)
	v_sub_f32_e32 v11, v11, v40
	s_waitcnt_depctr 0xfff
	v_mul_f32_e32 v41, v40, v10
	v_mul_f32_e32 v42, v39, v41
	s_delay_alu instid0(VALU_DEP_1) | instskip(NEXT) | instid1(VALU_DEP_1)
	v_fma_f32 v38, v41, v39, -v42
	v_fmac_f32_e32 v38, v41, v37
	s_delay_alu instid0(VALU_DEP_1) | instskip(NEXT) | instid1(VALU_DEP_1)
	v_add_f32_e32 v43, v42, v38
	v_sub_f32_e32 v44, v40, v43
	s_delay_alu instid0(VALU_DEP_1) | instskip(NEXT) | instid1(VALU_DEP_1)
	v_dual_sub_f32 v40, v40, v44 :: v_dual_add_f32 v9, v9, v11
	v_dual_sub_f32 v11, v43, v42 :: v_dual_sub_f32 v40, v40, v43
	s_delay_alu instid0(VALU_DEP_1) | instskip(NEXT) | instid1(VALU_DEP_2)
	v_sub_f32_e32 v11, v11, v38
	v_add_f32_e32 v9, v9, v40
	s_delay_alu instid0(VALU_DEP_1) | instskip(NEXT) | instid1(VALU_DEP_1)
	v_add_f32_e32 v9, v11, v9
	v_add_f32_e32 v11, v44, v9
	s_delay_alu instid0(VALU_DEP_1) | instskip(NEXT) | instid1(VALU_DEP_1)
	v_mul_f32_e32 v38, v10, v11
	v_dual_sub_f32 v43, v44, v11 :: v_dual_mul_f32 v40, v39, v38
	s_delay_alu instid0(VALU_DEP_1) | instskip(NEXT) | instid1(VALU_DEP_2)
	v_add_f32_e32 v9, v9, v43
	v_fma_f32 v39, v38, v39, -v40
	s_delay_alu instid0(VALU_DEP_1) | instskip(NEXT) | instid1(VALU_DEP_1)
	v_fmac_f32_e32 v39, v38, v37
	v_add_f32_e32 v37, v40, v39
	s_delay_alu instid0(VALU_DEP_1) | instskip(NEXT) | instid1(VALU_DEP_1)
	v_sub_f32_e32 v42, v11, v37
	v_dual_sub_f32 v40, v37, v40 :: v_dual_sub_f32 v11, v11, v42
	s_delay_alu instid0(VALU_DEP_1) | instskip(NEXT) | instid1(VALU_DEP_2)
	v_sub_f32_e32 v11, v11, v37
	v_sub_f32_e32 v37, v40, v39
	s_delay_alu instid0(VALU_DEP_2) | instskip(SKIP_1) | instid1(VALU_DEP_2)
	v_add_f32_e32 v9, v9, v11
	v_add_f32_e32 v11, v41, v38
	v_add_f32_e32 v9, v37, v9
	s_delay_alu instid0(VALU_DEP_2) | instskip(NEXT) | instid1(VALU_DEP_2)
	v_sub_f32_e32 v37, v11, v41
	v_add_f32_e32 v9, v42, v9
	s_delay_alu instid0(VALU_DEP_2) | instskip(NEXT) | instid1(VALU_DEP_2)
	v_sub_f32_e32 v37, v38, v37
	v_mul_f32_e32 v9, v10, v9
	s_delay_alu instid0(VALU_DEP_1) | instskip(NEXT) | instid1(VALU_DEP_1)
	v_add_f32_e32 v9, v37, v9
	v_add_f32_e32 v10, v11, v9
	s_delay_alu instid0(VALU_DEP_1) | instskip(NEXT) | instid1(VALU_DEP_1)
	v_mul_f32_e32 v37, v10, v10
	v_fmaak_f32 v38, s64, v37, 0x3ecc95a3
	v_mul_f32_e32 v39, v10, v37
	s_delay_alu instid0(VALU_DEP_2) | instskip(SKIP_1) | instid1(VALU_DEP_2)
	v_fmaak_f32 v37, v37, v38, 0x3f2aaada
	v_ldexp_f32 v38, v10, 1
	v_dual_sub_f32 v10, v10, v11 :: v_dual_mul_f32 v37, v39, v37
	v_mul_f32_e32 v39, 0x3f317218, v8
	s_delay_alu instid0(VALU_DEP_2) | instskip(NEXT) | instid1(VALU_DEP_3)
	v_sub_f32_e32 v9, v9, v10
	v_add_f32_e32 v11, v38, v37
	s_delay_alu instid0(VALU_DEP_2) | instskip(NEXT) | instid1(VALU_DEP_2)
	v_ldexp_f32 v9, v9, 1
	v_sub_f32_e32 v10, v11, v38
	v_fma_f32 v38, 0x3f317218, v8, -v39
	s_delay_alu instid0(VALU_DEP_2) | instskip(NEXT) | instid1(VALU_DEP_2)
	v_sub_f32_e32 v10, v37, v10
	v_fmac_f32_e32 v38, 0xb102e308, v8
	s_delay_alu instid0(VALU_DEP_2) | instskip(NEXT) | instid1(VALU_DEP_2)
	v_add_f32_e32 v8, v9, v10
	v_add_f32_e32 v9, v39, v38
	s_delay_alu instid0(VALU_DEP_1) | instskip(NEXT) | instid1(VALU_DEP_1)
	v_dual_add_f32 v10, v11, v8 :: v_dual_sub_f32 v39, v9, v39
	v_add_f32_e32 v37, v9, v10
	v_sub_f32_e32 v11, v10, v11
	s_delay_alu instid0(VALU_DEP_3) | instskip(NEXT) | instid1(VALU_DEP_3)
	v_sub_f32_e32 v38, v38, v39
	v_sub_f32_e32 v40, v37, v9
	s_delay_alu instid0(VALU_DEP_1) | instskip(SKIP_1) | instid1(VALU_DEP_2)
	v_dual_sub_f32 v8, v8, v11 :: v_dual_sub_f32 v41, v37, v40
	v_sub_f32_e32 v10, v10, v40
	v_add_f32_e32 v11, v38, v8
	s_delay_alu instid0(VALU_DEP_3) | instskip(NEXT) | instid1(VALU_DEP_1)
	v_sub_f32_e32 v9, v9, v41
	v_dual_add_f32 v9, v10, v9 :: v_dual_sub_f32 v10, v11, v38
	s_delay_alu instid0(VALU_DEP_1) | instskip(NEXT) | instid1(VALU_DEP_2)
	v_add_f32_e32 v9, v11, v9
	v_sub_f32_e32 v11, v11, v10
	s_delay_alu instid0(VALU_DEP_2) | instskip(NEXT) | instid1(VALU_DEP_1)
	v_dual_sub_f32 v8, v8, v10 :: v_dual_add_f32 v39, v37, v9
	v_dual_sub_f32 v11, v38, v11 :: v_dual_sub_f32 v10, v39, v37
	s_delay_alu instid0(VALU_DEP_1) | instskip(NEXT) | instid1(VALU_DEP_1)
	v_dual_add_f32 v8, v8, v11 :: v_dual_sub_f32 v9, v9, v10
	v_add_f32_e32 v8, v8, v9
	s_delay_alu instid0(VALU_DEP_1) | instskip(NEXT) | instid1(VALU_DEP_1)
	v_add_f32_e32 v8, v39, v8
	v_cndmask_b32_e32 v37, v8, v6, vcc_lo
.LBB135_32:                             ;   in Loop: Header=BB135_12 Depth=1
	s_or_b32 exec_lo, exec_lo, s17
	v_add_f32_e32 v38, s50, v7
	s_delay_alu instid0(VALU_DEP_1) | instskip(SKIP_1) | instid1(SALU_CYCLE_1)
	v_cmp_ge_f32_e32 vcc_lo, 0x41a00000, v38
	s_and_b32 s16, s60, vcc_lo
	s_and_saveexec_b32 s17, s16
	s_cbranch_execz .LBB135_34
; %bb.33:                               ;   in Loop: Header=BB135_12 Depth=1
	v_mul_f32_e32 v6, 0x3fb8aa3b, v38
	v_cmp_ngt_f32_e32 vcc_lo, 0xc2ce8ed0, v38
	s_delay_alu instid0(VALU_DEP_2) | instskip(SKIP_1) | instid1(VALU_DEP_2)
	v_rndne_f32_e32 v7, v6
	v_fma_f32 v8, 0x3fb8aa3b, v38, -v6
	v_sub_f32_e32 v6, v6, v7
	s_delay_alu instid0(VALU_DEP_2) | instskip(SKIP_1) | instid1(VALU_DEP_2)
	v_fmac_f32_e32 v8, 0x32a5705f, v38
	v_cvt_i32_f32_e32 v7, v7
	v_add_f32_e32 v6, v6, v8
	s_delay_alu instid0(VALU_DEP_1) | instskip(SKIP_2) | instid1(VALU_DEP_1)
	v_exp_f32_e32 v6, v6
	s_waitcnt_depctr 0xfff
	v_ldexp_f32 v6, v6, v7
	v_cndmask_b32_e32 v6, 0, v6, vcc_lo
	v_cmp_nlt_f32_e32 vcc_lo, 0x42b17218, v38
	s_delay_alu instid0(VALU_DEP_2) | instskip(NEXT) | instid1(VALU_DEP_1)
	v_cndmask_b32_e32 v8, 0x7f800000, v6, vcc_lo
	v_add_f32_e32 v9, 1.0, v8
	s_delay_alu instid0(VALU_DEP_1) | instskip(NEXT) | instid1(VALU_DEP_1)
	v_cvt_f64_f32_e32 v[6:7], v9
	v_frexp_exp_i32_f64_e32 v6, v[6:7]
	v_frexp_mant_f32_e32 v7, v9
	s_delay_alu instid0(VALU_DEP_1) | instskip(SKIP_1) | instid1(VALU_DEP_1)
	v_cmp_gt_f32_e32 vcc_lo, 0x3f2aaaab, v7
	v_add_f32_e32 v7, -1.0, v9
	v_sub_f32_e32 v11, v7, v9
	v_sub_f32_e32 v7, v8, v7
	s_delay_alu instid0(VALU_DEP_2) | instskip(NEXT) | instid1(VALU_DEP_1)
	v_add_f32_e32 v11, 1.0, v11
	v_add_f32_e32 v7, v7, v11
	v_cmp_gt_f32_e64 s16, 0x33800000, v8
	v_subrev_co_ci_u32_e32 v6, vcc_lo, 0, v6, vcc_lo
	v_cmp_eq_f32_e32 vcc_lo, 0x7f800000, v8
	s_delay_alu instid0(VALU_DEP_2) | instskip(SKIP_2) | instid1(VALU_DEP_2)
	v_sub_nc_u32_e32 v10, 0, v6
	v_cvt_f32_i32_e32 v6, v6
	s_or_b32 vcc_lo, s16, vcc_lo
	v_ldexp_f32 v9, v9, v10
	v_ldexp_f32 v7, v7, v10
	s_delay_alu instid0(VALU_DEP_2) | instskip(NEXT) | instid1(VALU_DEP_1)
	v_add_f32_e32 v38, 1.0, v9
	v_dual_add_f32 v10, -1.0, v9 :: v_dual_add_f32 v11, -1.0, v38
	s_delay_alu instid0(VALU_DEP_1) | instskip(NEXT) | instid1(VALU_DEP_2)
	v_add_f32_e32 v39, 1.0, v10
	v_sub_f32_e32 v11, v9, v11
	s_delay_alu instid0(VALU_DEP_2) | instskip(NEXT) | instid1(VALU_DEP_2)
	v_sub_f32_e32 v9, v9, v39
	v_add_f32_e32 v11, v7, v11
	s_delay_alu instid0(VALU_DEP_2) | instskip(NEXT) | instid1(VALU_DEP_1)
	v_add_f32_e32 v7, v7, v9
	v_add_f32_e32 v40, v10, v7
	s_delay_alu instid0(VALU_DEP_1) | instskip(NEXT) | instid1(VALU_DEP_4)
	v_sub_f32_e32 v10, v10, v40
	v_add_f32_e32 v39, v38, v11
	s_delay_alu instid0(VALU_DEP_1) | instskip(NEXT) | instid1(VALU_DEP_2)
	v_rcp_f32_e32 v9, v39
	v_dual_sub_f32 v38, v38, v39 :: v_dual_add_f32 v7, v7, v10
	s_delay_alu instid0(VALU_DEP_1) | instskip(SKIP_2) | instid1(VALU_DEP_1)
	v_add_f32_e32 v11, v11, v38
	s_waitcnt_depctr 0xfff
	v_mul_f32_e32 v41, v40, v9
	v_mul_f32_e32 v42, v39, v41
	s_delay_alu instid0(VALU_DEP_1) | instskip(NEXT) | instid1(VALU_DEP_1)
	v_fma_f32 v38, v41, v39, -v42
	v_fmac_f32_e32 v38, v41, v11
	s_delay_alu instid0(VALU_DEP_1) | instskip(NEXT) | instid1(VALU_DEP_1)
	v_add_f32_e32 v43, v42, v38
	v_sub_f32_e32 v44, v40, v43
	v_sub_f32_e32 v10, v43, v42
	s_delay_alu instid0(VALU_DEP_2) | instskip(NEXT) | instid1(VALU_DEP_1)
	v_sub_f32_e32 v40, v40, v44
	v_sub_f32_e32 v40, v40, v43
	s_delay_alu instid0(VALU_DEP_1) | instskip(NEXT) | instid1(VALU_DEP_1)
	v_dual_sub_f32 v10, v10, v38 :: v_dual_add_f32 v7, v7, v40
	v_add_f32_e32 v7, v10, v7
	s_delay_alu instid0(VALU_DEP_1) | instskip(NEXT) | instid1(VALU_DEP_1)
	v_add_f32_e32 v10, v44, v7
	v_mul_f32_e32 v38, v9, v10
	v_sub_f32_e32 v43, v44, v10
	s_delay_alu instid0(VALU_DEP_2) | instskip(NEXT) | instid1(VALU_DEP_2)
	v_mul_f32_e32 v40, v39, v38
	v_add_f32_e32 v7, v7, v43
	s_delay_alu instid0(VALU_DEP_2) | instskip(NEXT) | instid1(VALU_DEP_1)
	v_fma_f32 v39, v38, v39, -v40
	v_fmac_f32_e32 v39, v38, v11
	s_delay_alu instid0(VALU_DEP_1) | instskip(NEXT) | instid1(VALU_DEP_1)
	v_add_f32_e32 v11, v40, v39
	v_sub_f32_e32 v42, v10, v11
	s_delay_alu instid0(VALU_DEP_1) | instskip(NEXT) | instid1(VALU_DEP_1)
	v_sub_f32_e32 v10, v10, v42
	v_sub_f32_e32 v10, v10, v11
	s_delay_alu instid0(VALU_DEP_1) | instskip(SKIP_2) | instid1(VALU_DEP_1)
	v_add_f32_e32 v7, v7, v10
	v_add_f32_e32 v10, v41, v38
	v_sub_f32_e32 v40, v11, v40
	v_sub_f32_e32 v11, v40, v39
	s_delay_alu instid0(VALU_DEP_1) | instskip(NEXT) | instid1(VALU_DEP_4)
	v_add_f32_e32 v7, v11, v7
	v_sub_f32_e32 v11, v10, v41
	s_delay_alu instid0(VALU_DEP_2) | instskip(NEXT) | instid1(VALU_DEP_2)
	v_add_f32_e32 v7, v42, v7
	v_sub_f32_e32 v11, v38, v11
	s_delay_alu instid0(VALU_DEP_2) | instskip(NEXT) | instid1(VALU_DEP_1)
	v_mul_f32_e32 v7, v9, v7
	v_add_f32_e32 v7, v11, v7
	s_delay_alu instid0(VALU_DEP_1) | instskip(NEXT) | instid1(VALU_DEP_1)
	v_add_f32_e32 v9, v10, v7
	v_mul_f32_e32 v11, v9, v9
	s_delay_alu instid0(VALU_DEP_1) | instskip(SKIP_1) | instid1(VALU_DEP_2)
	v_fmaak_f32 v38, s64, v11, 0x3ecc95a3
	v_mul_f32_e32 v39, v9, v11
	v_fmaak_f32 v11, v11, v38, 0x3f2aaada
	v_ldexp_f32 v38, v9, 1
	v_sub_f32_e32 v9, v9, v10
	s_delay_alu instid0(VALU_DEP_3) | instskip(SKIP_1) | instid1(VALU_DEP_2)
	v_mul_f32_e32 v11, v39, v11
	v_mul_f32_e32 v39, 0x3f317218, v6
	v_dual_sub_f32 v7, v7, v9 :: v_dual_add_f32 v10, v38, v11
	s_delay_alu instid0(VALU_DEP_1) | instskip(NEXT) | instid1(VALU_DEP_2)
	v_ldexp_f32 v7, v7, 1
	v_sub_f32_e32 v9, v10, v38
	s_delay_alu instid0(VALU_DEP_4) | instskip(NEXT) | instid1(VALU_DEP_1)
	v_fma_f32 v38, 0x3f317218, v6, -v39
	v_dual_sub_f32 v9, v11, v9 :: v_dual_fmac_f32 v38, 0xb102e308, v6
	s_delay_alu instid0(VALU_DEP_1) | instskip(NEXT) | instid1(VALU_DEP_1)
	v_add_f32_e32 v6, v7, v9
	v_add_f32_e32 v9, v10, v6
	s_delay_alu instid0(VALU_DEP_1) | instskip(NEXT) | instid1(VALU_DEP_1)
	v_sub_f32_e32 v10, v9, v10
	v_sub_f32_e32 v6, v6, v10
	v_add_f32_e32 v7, v39, v38
	s_delay_alu instid0(VALU_DEP_1) | instskip(SKIP_1) | instid1(VALU_DEP_2)
	v_add_f32_e32 v11, v7, v9
	v_sub_f32_e32 v39, v7, v39
	v_sub_f32_e32 v40, v11, v7
	s_delay_alu instid0(VALU_DEP_1) | instskip(NEXT) | instid1(VALU_DEP_1)
	v_dual_sub_f32 v38, v38, v39 :: v_dual_sub_f32 v41, v11, v40
	v_dual_sub_f32 v9, v9, v40 :: v_dual_add_f32 v10, v38, v6
	s_delay_alu instid0(VALU_DEP_2) | instskip(NEXT) | instid1(VALU_DEP_1)
	v_sub_f32_e32 v7, v7, v41
	v_add_f32_e32 v7, v9, v7
	s_delay_alu instid0(VALU_DEP_3) | instskip(NEXT) | instid1(VALU_DEP_2)
	v_sub_f32_e32 v9, v10, v38
	v_add_f32_e32 v7, v10, v7
	s_delay_alu instid0(VALU_DEP_2) | instskip(NEXT) | instid1(VALU_DEP_2)
	v_sub_f32_e32 v10, v10, v9
	v_dual_sub_f32 v6, v6, v9 :: v_dual_add_f32 v39, v11, v7
	s_delay_alu instid0(VALU_DEP_1) | instskip(NEXT) | instid1(VALU_DEP_1)
	v_dual_sub_f32 v10, v38, v10 :: v_dual_sub_f32 v9, v39, v11
	v_dual_add_f32 v6, v6, v10 :: v_dual_sub_f32 v7, v7, v9
	s_delay_alu instid0(VALU_DEP_1) | instskip(NEXT) | instid1(VALU_DEP_1)
	v_add_f32_e32 v6, v6, v7
	v_add_f32_e32 v6, v39, v6
	s_delay_alu instid0(VALU_DEP_1)
	v_cndmask_b32_e32 v38, v6, v8, vcc_lo
.LBB135_34:                             ;   in Loop: Header=BB135_12 Depth=1
	s_or_b32 exec_lo, exec_lo, s17
	v_dual_mul_f32 v39, s51, v4 :: v_dual_mul_f32 v40, s51, v3
	v_dual_mul_f32 v41, s51, v2 :: v_dual_mul_f32 v42, s51, v5
	s_and_b32 vcc_lo, exec_lo, s61
	s_barrier
	buffer_gl0_inv
	s_cbranch_vccz .LBB135_82
; %bb.35:                               ;   in Loop: Header=BB135_12 Depth=1
	v_dual_mul_f32 v43, v5, v38 :: v_dual_mul_f32 v48, v4, v37
	v_add_co_u32 v5, s16, s41, v33
	s_delay_alu instid0(VALU_DEP_1) | instskip(SKIP_1) | instid1(VALU_DEP_1)
	v_add_co_ci_u32_e64 v6, null, s55, 0, s16
	v_add_co_u32 v7, s16, s45, v33
	v_add_co_ci_u32_e64 v8, null, s56, 0, s16
	s_delay_alu instid0(VALU_DEP_4) | instskip(NEXT) | instid1(VALU_DEP_4)
	v_add_co_u32 v44, vcc_lo, v5, v34
	v_add_co_ci_u32_e32 v45, vcc_lo, 0, v6, vcc_lo
	s_delay_alu instid0(VALU_DEP_4) | instskip(NEXT) | instid1(VALU_DEP_4)
	v_add_co_u32 v46, vcc_lo, v7, v34
	v_add_co_ci_u32_e32 v47, vcc_lo, 0, v8, vcc_lo
	v_cmp_gt_u32_e32 vcc_lo, s19, v12
	v_cmp_gt_u32_e64 s17, s19, v30
	v_cmp_gt_u32_e64 s18, s19, v31
	;; [unrolled: 1-line block ×3, first 2 shown]
	s_cmp_lg_u32 s66, 0
	v_dual_mul_f32 v49, v3, v36 :: v_dual_mul_f32 v50, v2, v35
	s_cselect_b32 s25, -1, 0
	s_cmp_eq_u32 s66, s63
	s_mov_b32 s48, s28
	s_cselect_b32 s67, -1, 0
	s_or_b32 s16, s62, vcc_lo
	s_or_b32 s17, s62, s17
	s_or_b32 s18, s62, s18
	;; [unrolled: 1-line block ×3, first 2 shown]
	s_mov_b32 s38, 0
	s_mov_b32 s42, 0
	;; [unrolled: 1-line block ×5, first 2 shown]
	s_branch .LBB135_37
.LBB135_36:                             ;   in Loop: Header=BB135_37 Depth=2
	s_or_b32 exec_lo, exec_lo, s20
	v_cndmask_b32_e64 v6, v60, v11, s11
	v_cndmask_b32_e64 v7, v59, v10, s11
	s_add_i32 s68, s68, -1
	s_add_i32 s69, s69, 8
	s_add_i32 s46, s46, s26
	v_fma_f32 v6, v6, v58, v56
	v_mul_f32_e32 v7, v7, v58
	s_add_i32 s42, s42, s44
	s_add_i32 s38, s38, s40
	;; [unrolled: 1-line block ×3, first 2 shown]
	v_cndmask_b32_e64 v6, v6, v56, s10
	v_cndmask_b32_e64 v7, v7, v58, s10
	s_cmp_eq_u32 s68, 0
	s_waitcnt lgkmcnt(0)
	s_delay_alu instid0(VALU_DEP_1) | instskip(NEXT) | instid1(VALU_DEP_1)
	v_fmac_f32_e32 v6, v8, v7
	v_fmac_f32_e32 v51, v6, v55
	s_delay_alu instid0(VALU_DEP_1) | instskip(NEXT) | instid1(VALU_DEP_1)
	v_fmac_f32_e32 v52, v51, v57
	v_fmac_f32_e32 v39, v2, v52
	;; [unrolled: 1-line block ×4, first 2 shown]
	s_delay_alu instid0(VALU_DEP_1)
	v_fmac_f32_e32 v42, v3, v53
	v_fmac_f32_e32 v40, v5, v51
	s_cbranch_scc1 .LBB135_82
.LBB135_37:                             ;   Parent Loop BB135_12 Depth=1
                                        ; =>  This Inner Loop Header: Depth=2
	s_lshl_b64 s[20:21], s[48:49], 2
	s_mov_b32 s39, s49
	s_add_u32 s20, s54, s20
	s_addc_u32 s21, s27, s21
	s_mov_b32 s29, s28
	global_load_b32 v51, v1, s[20:21]
	s_lshl_b64 s[20:21], s[38:39], 2
	s_mov_b32 s30, s28
	s_mov_b32 s31, s28
	v_add_co_u32 v6, vcc_lo, v44, s20
	v_dual_mov_b32 v2, s28 :: v_dual_mov_b32 v3, s29
	v_add_co_ci_u32_e32 v7, vcc_lo, s21, v45, vcc_lo
	v_dual_mov_b32 v4, s30 :: v_dual_mov_b32 v5, s31
	v_mov_b32_e32 v8, 0
	s_and_saveexec_b32 s20, s12
	s_cbranch_execnz .LBB135_49
; %bb.38:                               ;   in Loop: Header=BB135_37 Depth=2
	s_or_b32 exec_lo, exec_lo, s20
	s_and_saveexec_b32 s20, s13
	s_cbranch_execnz .LBB135_50
.LBB135_39:                             ;   in Loop: Header=BB135_37 Depth=2
	s_or_b32 exec_lo, exec_lo, s20
	s_and_saveexec_b32 s20, s14
	s_cbranch_execnz .LBB135_51
.LBB135_40:                             ;   in Loop: Header=BB135_37 Depth=2
	s_or_b32 exec_lo, exec_lo, s20
	s_and_saveexec_b32 s20, s15
	s_cbranch_execz .LBB135_42
.LBB135_41:                             ;   in Loop: Header=BB135_37 Depth=2
	global_load_b32 v5, v[6:7], off offset:384
.LBB135_42:                             ;   in Loop: Header=BB135_37 Depth=2
	s_or_b32 exec_lo, exec_lo, s20
	s_waitcnt vmcnt(0)
	ds_store_b32 v17, v8
	ds_store_b32 v18, v3 offset:128
	ds_store_b32 v19, v4 offset:256
	;; [unrolled: 1-line block ×3, first 2 shown]
	; wave barrier
	ds_load_2addr_b32 v[10:11], v21 offset1:1
	ds_load_2addr_b32 v[8:9], v21 offset0:2 offset1:3
	s_mov_b32 s43, s49
	s_mov_b32 s72, s49
	s_lshl_b64 s[20:21], s[42:43], 2
	s_mov_b32 s73, s49
	s_mov_b32 s74, s49
	;; [unrolled: 1-line block ×3, first 2 shown]
	v_add_co_u32 v6, vcc_lo, v46, s20
	v_dual_mov_b32 v2, s72 :: v_dual_mov_b32 v3, s73
	v_add_co_ci_u32_e32 v7, vcc_lo, s21, v47, vcc_lo
	v_dual_mov_b32 v4, s74 :: v_dual_mov_b32 v5, s75
	v_mov_b32_e32 v52, 0
	s_and_saveexec_b32 s20, s12
	s_cbranch_execnz .LBB135_52
; %bb.43:                               ;   in Loop: Header=BB135_37 Depth=2
	s_or_b32 exec_lo, exec_lo, s20
	s_and_saveexec_b32 s20, s13
	s_cbranch_execnz .LBB135_53
.LBB135_44:                             ;   in Loop: Header=BB135_37 Depth=2
	s_or_b32 exec_lo, exec_lo, s20
	s_and_saveexec_b32 s20, s14
	s_cbranch_execnz .LBB135_54
.LBB135_45:                             ;   in Loop: Header=BB135_37 Depth=2
	s_or_b32 exec_lo, exec_lo, s20
	s_and_saveexec_b32 s20, s15
	s_cbranch_execz .LBB135_47
.LBB135_46:                             ;   in Loop: Header=BB135_37 Depth=2
	global_load_b32 v5, v[6:7], off offset:384
.LBB135_47:                             ;   in Loop: Header=BB135_37 Depth=2
	s_or_b32 exec_lo, exec_lo, s20
	v_add_nc_u32_e32 v2, 0x420, v21
	s_waitcnt vmcnt(0)
	ds_store_b32 v17, v52 offset:1056
	ds_store_b32 v22, v3 offset:128
	;; [unrolled: 1-line block ×4, first 2 shown]
	; wave barrier
	ds_load_2addr_b32 v[4:5], v2 offset1:1
	ds_load_2addr_b32 v[2:3], v25 offset0:2 offset1:3
	s_and_not1_b32 vcc_lo, exec_lo, s25
	s_cbranch_vccnz .LBB135_55
; %bb.48:                               ;   in Loop: Header=BB135_37 Depth=2
	v_mov_b32_e32 v6, s69
	ds_load_b64 v[6:7], v6
	s_cbranch_execz .LBB135_56
	s_branch .LBB135_59
.LBB135_49:                             ;   in Loop: Header=BB135_37 Depth=2
	global_load_b32 v8, v[6:7], off
	v_mov_b32_e32 v3, v1
	v_mov_b32_e32 v2, v1
	s_delay_alu instid0(VALU_DEP_2) | instskip(NEXT) | instid1(VALU_DEP_2)
	v_mov_b32_e32 v5, v3
	v_dual_mov_b32 v4, v2 :: v_dual_mov_b32 v3, v1
	v_mov_b32_e32 v2, v0
	s_or_b32 exec_lo, exec_lo, s20
	s_and_saveexec_b32 s20, s13
	s_cbranch_execz .LBB135_39
.LBB135_50:                             ;   in Loop: Header=BB135_37 Depth=2
	global_load_b32 v3, v[6:7], off offset:128
	s_or_b32 exec_lo, exec_lo, s20
	s_and_saveexec_b32 s20, s14
	s_cbranch_execz .LBB135_40
.LBB135_51:                             ;   in Loop: Header=BB135_37 Depth=2
	global_load_b32 v4, v[6:7], off offset:256
	s_or_b32 exec_lo, exec_lo, s20
	s_and_saveexec_b32 s20, s15
	s_cbranch_execnz .LBB135_41
	s_branch .LBB135_42
.LBB135_52:                             ;   in Loop: Header=BB135_37 Depth=2
	global_load_b32 v52, v[6:7], off
	v_mov_b32_e32 v3, v1
	v_mov_b32_e32 v2, v1
	s_delay_alu instid0(VALU_DEP_2) | instskip(NEXT) | instid1(VALU_DEP_2)
	v_mov_b32_e32 v5, v3
	v_dual_mov_b32 v4, v2 :: v_dual_mov_b32 v3, v1
	v_mov_b32_e32 v2, v0
	s_or_b32 exec_lo, exec_lo, s20
	s_and_saveexec_b32 s20, s13
	s_cbranch_execz .LBB135_44
.LBB135_53:                             ;   in Loop: Header=BB135_37 Depth=2
	global_load_b32 v3, v[6:7], off offset:128
	s_or_b32 exec_lo, exec_lo, s20
	s_and_saveexec_b32 s20, s14
	s_cbranch_execz .LBB135_45
.LBB135_54:                             ;   in Loop: Header=BB135_37 Depth=2
	global_load_b32 v4, v[6:7], off offset:256
	s_or_b32 exec_lo, exec_lo, s20
	s_and_saveexec_b32 s20, s15
	s_cbranch_execnz .LBB135_46
	s_branch .LBB135_47
.LBB135_55:                             ;   in Loop: Header=BB135_37 Depth=2
                                        ; implicit-def: $vgpr6
.LBB135_56:                             ;   in Loop: Header=BB135_37 Depth=2
	s_waitcnt lgkmcnt(0)
	v_mov_b32_e32 v7, 0
	s_and_not1_b32 vcc_lo, exec_lo, s33
	s_cbranch_vccnz .LBB135_58
; %bb.57:                               ;   in Loop: Header=BB135_37 Depth=2
	s_mov_b32 s47, s49
	s_delay_alu instid0(SALU_CYCLE_1) | instskip(NEXT) | instid1(SALU_CYCLE_1)
	s_lshl_b64 s[20:21], s[46:47], 2
	s_add_u32 s20, s57, s20
	s_addc_u32 s21, s58, s21
	global_load_b32 v7, v1, s[20:21]
.LBB135_58:                             ;   in Loop: Header=BB135_37 Depth=2
	v_mov_b32_e32 v6, 1.0
.LBB135_59:                             ;   in Loop: Header=BB135_37 Depth=2
	s_waitcnt lgkmcnt(7)
	v_dual_mul_f32 v51, 0x3fb8aa3b, v51 :: v_dual_mul_f32 v10, v10, v50
	s_waitcnt lgkmcnt(6)
	v_dual_mul_f32 v11, v11, v49 :: v_dual_mul_f32 v8, v8, v48
	v_mul_f32_e32 v9, v9, v43
	s_delay_alu instid0(VALU_DEP_3) | instskip(SKIP_2) | instid1(VALU_DEP_3)
	v_mul_f32_e32 v53, v51, v36
	v_mul_f32_e32 v54, v51, v37
	;; [unrolled: 1-line block ×3, first 2 shown]
	v_cmp_gt_f32_e64 s20, 0xc2fc0000, v53
	s_delay_alu instid0(VALU_DEP_3) | instskip(NEXT) | instid1(VALU_DEP_3)
	v_cmp_gt_f32_e64 s21, 0xc2fc0000, v54
	v_cmp_gt_f32_e64 s22, 0xc2fc0000, v55
	s_delay_alu instid0(VALU_DEP_3) | instskip(SKIP_1) | instid1(VALU_DEP_4)
	v_cndmask_b32_e64 v53, 0, 0x42800000, s20
	v_cndmask_b32_e64 v56, 1.0, 0x1f800000, s20
	v_cndmask_b32_e64 v54, 0, 0x42800000, s21
	s_delay_alu instid0(VALU_DEP_4) | instskip(SKIP_2) | instid1(VALU_DEP_4)
	v_cndmask_b32_e64 v55, 0, 0x42800000, s22
	v_cndmask_b32_e64 v57, 1.0, 0x1f800000, s21
	v_fmac_f32_e32 v53, v51, v36
	v_fmac_f32_e32 v54, v51, v37
	s_delay_alu instid0(VALU_DEP_4) | instskip(NEXT) | instid1(VALU_DEP_3)
	v_fmac_f32_e32 v55, v51, v38
	v_exp_f32_e32 v53, v53
	v_mul_f32_e32 v52, v51, v35
	s_delay_alu instid0(VALU_DEP_2)
	v_exp_f32_e32 v59, v55
	s_waitcnt_depctr 0xfff
	v_mul_f32_e32 v53, v53, v56
	v_cmp_gt_f32_e32 vcc_lo, 0xc2fc0000, v52
	v_cndmask_b32_e64 v56, 0, v10, s16
	v_cndmask_b32_e64 v10, 1.0, 0x1f800000, s22
	s_delay_alu instid0(VALU_DEP_4) | instskip(SKIP_2) | instid1(VALU_DEP_2)
	v_cndmask_b32_e64 v55, 1.0, v53, s17
	v_cndmask_b32_e64 v52, 0, 0x42800000, vcc_lo
	v_cndmask_b32_e64 v53, 0, v9, s19
	v_fmac_f32_e32 v52, v51, v35
	v_exp_f32_e32 v51, v54
	v_cndmask_b32_e64 v54, 1.0, 0x1f800000, vcc_lo
	s_delay_alu instid0(VALU_DEP_2) | instskip(SKIP_4) | instid1(VALU_DEP_3)
	v_exp_f32_e32 v52, v52
	s_waitcnt_depctr 0xfff
	v_mul_f32_e32 v52, v52, v54
	v_mul_f32_e32 v54, v51, v57
	v_cndmask_b32_e64 v51, 0, v11, s17
	v_cndmask_b32_e64 v58, 1.0, v52, s16
	v_cndmask_b32_e64 v52, 0, v8, s18
	v_mul_f32_e32 v8, v59, v10
	v_cndmask_b32_e64 v57, 1.0, v54, s18
	v_fma_f32 v11, v55, v56, v51
	v_mul_f32_e32 v10, v55, v58
	s_delay_alu instid0(VALU_DEP_4) | instskip(NEXT) | instid1(VALU_DEP_3)
	v_cndmask_b32_e64 v54, 1.0, v8, s19
	v_fma_f32 v9, v11, v57, v52
	s_delay_alu instid0(VALU_DEP_3) | instskip(NEXT) | instid1(VALU_DEP_2)
	v_mul_f32_e32 v8, v10, v57
	v_fma_f32 v9, v9, v54, v53
	s_delay_alu instid0(VALU_DEP_2) | instskip(NEXT) | instid1(VALU_DEP_2)
	v_mul_f32_e32 v8, v8, v54
	v_mov_b32_dpp v10, v9 row_shr:1 row_mask:0xf bank_mask:0xf
	s_delay_alu instid0(VALU_DEP_2)
	v_mov_b32_dpp v11, v8 row_shr:1 row_mask:0xf bank_mask:0xf
	s_and_saveexec_b32 s20, s0
; %bb.60:                               ;   in Loop: Header=BB135_37 Depth=2
	s_delay_alu instid0(VALU_DEP_1) | instskip(NEXT) | instid1(VALU_DEP_1)
	v_mul_f32_e32 v11, v8, v11
	v_dual_fmac_f32 v9, v8, v10 :: v_dual_mov_b32 v8, v11
; %bb.61:                               ;   in Loop: Header=BB135_37 Depth=2
	s_or_b32 exec_lo, exec_lo, s20
	s_delay_alu instid0(VALU_DEP_1) | instskip(NEXT) | instid1(VALU_DEP_2)
	v_mov_b32_dpp v10, v8 row_shr:2 row_mask:0xf bank_mask:0xf
	v_mov_b32_dpp v11, v9 row_shr:2 row_mask:0xf bank_mask:0xf
	s_and_saveexec_b32 s20, s1
; %bb.62:                               ;   in Loop: Header=BB135_37 Depth=2
	s_delay_alu instid0(VALU_DEP_1) | instskip(NEXT) | instid1(VALU_DEP_3)
	v_fmac_f32_e32 v9, v8, v11
	v_mul_f32_e32 v8, v8, v10
; %bb.63:                               ;   in Loop: Header=BB135_37 Depth=2
	s_or_b32 exec_lo, exec_lo, s20
	s_delay_alu instid0(VALU_DEP_1) | instskip(NEXT) | instid1(VALU_DEP_3)
	v_mov_b32_dpp v10, v8 row_shr:4 row_mask:0xf bank_mask:0xf
	v_mov_b32_dpp v11, v9 row_shr:4 row_mask:0xf bank_mask:0xf
	s_and_saveexec_b32 s20, s2
; %bb.64:                               ;   in Loop: Header=BB135_37 Depth=2
	s_delay_alu instid0(VALU_DEP_1) | instskip(NEXT) | instid1(VALU_DEP_3)
	v_fmac_f32_e32 v9, v8, v11
	v_mul_f32_e32 v8, v8, v10
; %bb.65:                               ;   in Loop: Header=BB135_37 Depth=2
	s_or_b32 exec_lo, exec_lo, s20
	s_delay_alu instid0(VALU_DEP_1) | instskip(NEXT) | instid1(VALU_DEP_3)
	v_mov_b32_dpp v10, v8 row_shr:8 row_mask:0xf bank_mask:0xf
	v_mov_b32_dpp v11, v9 row_shr:8 row_mask:0xf bank_mask:0xf
	s_and_saveexec_b32 s20, s3
; %bb.66:                               ;   in Loop: Header=BB135_37 Depth=2
	s_delay_alu instid0(VALU_DEP_1) | instskip(NEXT) | instid1(VALU_DEP_3)
	v_fmac_f32_e32 v9, v8, v11
	v_mul_f32_e32 v8, v8, v10
; %bb.67:                               ;   in Loop: Header=BB135_37 Depth=2
	s_or_b32 exec_lo, exec_lo, s20
	ds_swizzle_b32 v11, v8 offset:swizzle(BROADCAST,32,15)
	ds_swizzle_b32 v10, v9 offset:swizzle(BROADCAST,32,15)
	s_and_saveexec_b32 s20, s4
	s_cbranch_execz .LBB135_69
; %bb.68:                               ;   in Loop: Header=BB135_37 Depth=2
	s_waitcnt lgkmcnt(1)
	v_mul_f32_e32 v11, v8, v11
	s_waitcnt lgkmcnt(0)
	s_delay_alu instid0(VALU_DEP_1)
	v_dual_fmac_f32 v9, v8, v10 :: v_dual_mov_b32 v8, v11
.LBB135_69:                             ;   in Loop: Header=BB135_37 Depth=2
	s_or_b32 exec_lo, exec_lo, s20
	s_and_saveexec_b32 s20, s5
	s_cbranch_execz .LBB135_71
; %bb.70:                               ;   in Loop: Header=BB135_37 Depth=2
	ds_store_b64 v26, v[8:9] offset:2112
.LBB135_71:                             ;   in Loop: Header=BB135_37 Depth=2
	s_or_b32 exec_lo, exec_lo, s20
	s_waitcnt vmcnt(0) lgkmcnt(0)
	s_waitcnt_vscnt null, 0x0
	s_barrier
	buffer_gl0_inv
	s_and_saveexec_b32 s20, s6
	s_cbranch_execz .LBB135_73
; %bb.72:                               ;   in Loop: Header=BB135_37 Depth=2
	ds_load_b64 v[10:11], v27 offset:2112
	s_waitcnt lgkmcnt(0)
	v_mov_b32_dpp v59, v10 row_shr:1 row_mask:0xf bank_mask:0xf
	v_mov_b32_dpp v60, v11 row_shr:1 row_mask:0xf bank_mask:0xf
	s_delay_alu instid0(VALU_DEP_2) | instskip(NEXT) | instid1(VALU_DEP_2)
	v_mul_f32_e32 v59, v10, v59
	v_fma_f32 v60, v10, v60, v11
	s_delay_alu instid0(VALU_DEP_2) | instskip(NEXT) | instid1(VALU_DEP_2)
	v_cndmask_b32_e64 v10, v59, v10, s7
	v_cndmask_b32_e64 v11, v60, v11, s7
	ds_store_b64 v27, v[10:11] offset:2112
.LBB135_73:                             ;   in Loop: Header=BB135_37 Depth=2
	s_or_b32 exec_lo, exec_lo, s20
	s_waitcnt lgkmcnt(0)
	s_barrier
	buffer_gl0_inv
                                        ; implicit-def: $vgpr11
	s_and_saveexec_b32 s20, s9
	s_cbranch_execz .LBB135_75
; %bb.74:                               ;   in Loop: Header=BB135_37 Depth=2
	ds_load_b64 v[10:11], v26 offset:2104
	s_waitcnt lgkmcnt(0)
	v_mul_f32_e32 v59, v8, v10
	s_delay_alu instid0(VALU_DEP_1)
	v_dual_fmac_f32 v9, v8, v11 :: v_dual_mov_b32 v8, v59
.LBB135_75:                             ;   in Loop: Header=BB135_37 Depth=2
	s_or_b32 exec_lo, exec_lo, s20
	ds_bpermute_b32 v59, v28, v8
	ds_bpermute_b32 v60, v28, v9
	s_and_saveexec_b32 s20, s8
	s_cbranch_execz .LBB135_79
; %bb.76:                               ;   in Loop: Header=BB135_37 Depth=2
	ds_load_b64 v[8:9], v1 offset:2120
	s_and_saveexec_b32 s21, s10
	s_cbranch_execz .LBB135_78
; %bb.77:                               ;   in Loop: Header=BB135_37 Depth=2
	ds_store_b64 v1, v[6:7] offset:2120
.LBB135_78:                             ;   in Loop: Header=BB135_37 Depth=2
	s_or_b32 exec_lo, exec_lo, s21
	s_waitcnt lgkmcnt(0)
	v_fmac_f32_e32 v9, v7, v8
	s_delay_alu instid0(VALU_DEP_1)
	v_dual_mul_f32 v6, v6, v8 :: v_dual_mov_b32 v7, v9
.LBB135_79:                             ;   in Loop: Header=BB135_37 Depth=2
	s_or_b32 exec_lo, exec_lo, s20
	s_waitcnt lgkmcnt(0)
	s_barrier
	buffer_gl0_inv
	ds_load_b32 v8, v1 offset:2124
	s_and_saveexec_b32 s20, s10
	s_cbranch_execz .LBB135_36
; %bb.80:                               ;   in Loop: Header=BB135_37 Depth=2
	v_mov_b32_e32 v9, s69
	s_and_not1_b32 vcc_lo, exec_lo, s67
	ds_store_b64 v9, v[6:7]
	s_cbranch_vccnz .LBB135_36
; %bb.81:                               ;   in Loop: Header=BB135_37 Depth=2
	s_mov_b32 s47, s49
	s_delay_alu instid0(SALU_CYCLE_1) | instskip(NEXT) | instid1(SALU_CYCLE_1)
	s_lshl_b64 s[30:31], s[46:47], 2
	s_add_u32 s30, s57, s30
	s_addc_u32 s31, s58, s31
	global_store_b32 v1, v7, s[30:31]
	s_branch .LBB135_36
.LBB135_82:                             ;   in Loop: Header=BB135_12 Depth=1
	s_waitcnt_vscnt null, 0x0
	s_barrier
	buffer_gl0_inv
	ds_store_2addr_b32 v21, v41, v40 offset1:1
	ds_store_2addr_b32 v21, v39, v42 offset0:2 offset1:3
	; wave barrier
	ds_load_b32 v6, v18 offset:128
	ds_load_b32 v5, v19 offset:256
	;; [unrolled: 1-line block ×3, first 2 shown]
	s_mov_b32 s25, s49
	s_delay_alu instid0(SALU_CYCLE_1) | instskip(NEXT) | instid1(SALU_CYCLE_1)
	s_lshl_b64 s[16:17], s[24:25], 2
	v_add_co_u32 v2, vcc_lo, v0, s16
	v_add_co_ci_u32_e32 v3, vcc_lo, s17, v29, vcc_lo
	s_and_saveexec_b32 s16, s12
	s_cbranch_execnz .LBB135_88
; %bb.83:                               ;   in Loop: Header=BB135_12 Depth=1
	s_or_b32 exec_lo, exec_lo, s16
	s_and_saveexec_b32 s12, s13
	s_cbranch_execnz .LBB135_89
.LBB135_84:                             ;   in Loop: Header=BB135_12 Depth=1
	s_or_b32 exec_lo, exec_lo, s12
	s_and_saveexec_b32 s12, s14
	s_cbranch_execnz .LBB135_90
.LBB135_85:                             ;   in Loop: Header=BB135_12 Depth=1
	s_or_b32 exec_lo, exec_lo, s12
	s_and_saveexec_b32 s12, s15
	s_cbranch_execz .LBB135_11
	s_branch .LBB135_91
.LBB135_86:                             ;   in Loop: Header=BB135_12 Depth=1
	global_load_b32 v10, v[6:7], off offset:128
	s_or_b32 exec_lo, exec_lo, s16
	s_and_saveexec_b32 s16, s14
	s_cbranch_execz .LBB135_24
.LBB135_87:                             ;   in Loop: Header=BB135_12 Depth=1
	global_load_b32 v9, v[6:7], off offset:256
	s_or_b32 exec_lo, exec_lo, s16
	v_mov_b32_e32 v11, 0
	s_and_saveexec_b32 s16, s15
	s_cbranch_execnz .LBB135_25
	s_branch .LBB135_26
.LBB135_88:                             ;   in Loop: Header=BB135_12 Depth=1
	ds_load_b32 v7, v17
	s_waitcnt lgkmcnt(0)
	global_store_b32 v[2:3], v7, off
	s_or_b32 exec_lo, exec_lo, s16
	s_and_saveexec_b32 s12, s13
	s_cbranch_execz .LBB135_84
.LBB135_89:                             ;   in Loop: Header=BB135_12 Depth=1
	s_waitcnt lgkmcnt(2)
	global_store_b32 v[2:3], v6, off offset:128
	s_or_b32 exec_lo, exec_lo, s12
	s_and_saveexec_b32 s12, s14
	s_cbranch_execz .LBB135_85
.LBB135_90:                             ;   in Loop: Header=BB135_12 Depth=1
	s_waitcnt lgkmcnt(1)
	global_store_b32 v[2:3], v5, off offset:256
	s_or_b32 exec_lo, exec_lo, s12
	s_and_saveexec_b32 s12, s15
	s_cbranch_execz .LBB135_11
.LBB135_91:                             ;   in Loop: Header=BB135_12 Depth=1
	s_waitcnt lgkmcnt(0)
	global_store_b32 v[2:3], v4, off offset:384
	s_branch .LBB135_11
.LBB135_92:
	s_nop 0
	s_sendmsg sendmsg(MSG_DEALLOC_VGPRS)
	s_endpgm
	.section	.rodata,"a",@progbits
	.p2align	6, 0x0
	.amdhsa_kernel _Z25selective_scan_fwd_kernelI32Selective_Scan_fwd_kernel_traitsILi64ELi4ELi1ELb0ELb1ELb1ELb0ELb0EfffEEv13SSMParamsBase
		.amdhsa_group_segment_fixed_size 0
		.amdhsa_private_segment_fixed_size 0
		.amdhsa_kernarg_size 248
		.amdhsa_user_sgpr_count 14
		.amdhsa_user_sgpr_dispatch_ptr 0
		.amdhsa_user_sgpr_queue_ptr 0
		.amdhsa_user_sgpr_kernarg_segment_ptr 1
		.amdhsa_user_sgpr_dispatch_id 0
		.amdhsa_user_sgpr_private_segment_size 0
		.amdhsa_wavefront_size32 1
		.amdhsa_uses_dynamic_stack 0
		.amdhsa_enable_private_segment 0
		.amdhsa_system_sgpr_workgroup_id_x 1
		.amdhsa_system_sgpr_workgroup_id_y 1
		.amdhsa_system_sgpr_workgroup_id_z 0
		.amdhsa_system_sgpr_workgroup_info 0
		.amdhsa_system_vgpr_workitem_id 0
		.amdhsa_next_free_vgpr 61
		.amdhsa_next_free_sgpr 76
		.amdhsa_reserve_vcc 1
		.amdhsa_float_round_mode_32 0
		.amdhsa_float_round_mode_16_64 0
		.amdhsa_float_denorm_mode_32 3
		.amdhsa_float_denorm_mode_16_64 3
		.amdhsa_dx10_clamp 1
		.amdhsa_ieee_mode 1
		.amdhsa_fp16_overflow 0
		.amdhsa_workgroup_processor_mode 1
		.amdhsa_memory_ordered 1
		.amdhsa_forward_progress 0
		.amdhsa_shared_vgpr_count 0
		.amdhsa_exception_fp_ieee_invalid_op 0
		.amdhsa_exception_fp_denorm_src 0
		.amdhsa_exception_fp_ieee_div_zero 0
		.amdhsa_exception_fp_ieee_overflow 0
		.amdhsa_exception_fp_ieee_underflow 0
		.amdhsa_exception_fp_ieee_inexact 0
		.amdhsa_exception_int_div_zero 0
	.end_amdhsa_kernel
	.section	.text._Z25selective_scan_fwd_kernelI32Selective_Scan_fwd_kernel_traitsILi64ELi4ELi1ELb0ELb1ELb1ELb0ELb0EfffEEv13SSMParamsBase,"axG",@progbits,_Z25selective_scan_fwd_kernelI32Selective_Scan_fwd_kernel_traitsILi64ELi4ELi1ELb0ELb1ELb1ELb0ELb0EfffEEv13SSMParamsBase,comdat
.Lfunc_end135:
	.size	_Z25selective_scan_fwd_kernelI32Selective_Scan_fwd_kernel_traitsILi64ELi4ELi1ELb0ELb1ELb1ELb0ELb0EfffEEv13SSMParamsBase, .Lfunc_end135-_Z25selective_scan_fwd_kernelI32Selective_Scan_fwd_kernel_traitsILi64ELi4ELi1ELb0ELb1ELb1ELb0ELb0EfffEEv13SSMParamsBase
                                        ; -- End function
	.section	.AMDGPU.csdata,"",@progbits
; Kernel info:
; codeLenInByte = 6984
; NumSgprs: 78
; NumVgprs: 61
; ScratchSize: 0
; MemoryBound: 0
; FloatMode: 240
; IeeeMode: 1
; LDSByteSize: 0 bytes/workgroup (compile time only)
; SGPRBlocks: 9
; VGPRBlocks: 7
; NumSGPRsForWavesPerEU: 78
; NumVGPRsForWavesPerEU: 61
; Occupancy: 16
; WaveLimiterHint : 0
; COMPUTE_PGM_RSRC2:SCRATCH_EN: 0
; COMPUTE_PGM_RSRC2:USER_SGPR: 14
; COMPUTE_PGM_RSRC2:TRAP_HANDLER: 0
; COMPUTE_PGM_RSRC2:TGID_X_EN: 1
; COMPUTE_PGM_RSRC2:TGID_Y_EN: 1
; COMPUTE_PGM_RSRC2:TGID_Z_EN: 0
; COMPUTE_PGM_RSRC2:TIDIG_COMP_CNT: 0
	.section	.text._Z25selective_scan_fwd_kernelI32Selective_Scan_fwd_kernel_traitsILi64ELi8ELi1ELb1ELb1ELb1ELb1ELb1EfffEEv13SSMParamsBase,"axG",@progbits,_Z25selective_scan_fwd_kernelI32Selective_Scan_fwd_kernel_traitsILi64ELi8ELi1ELb1ELb1ELb1ELb1ELb1EfffEEv13SSMParamsBase,comdat
	.protected	_Z25selective_scan_fwd_kernelI32Selective_Scan_fwd_kernel_traitsILi64ELi8ELi1ELb1ELb1ELb1ELb1ELb1EfffEEv13SSMParamsBase ; -- Begin function _Z25selective_scan_fwd_kernelI32Selective_Scan_fwd_kernel_traitsILi64ELi8ELi1ELb1ELb1ELb1ELb1ELb1EfffEEv13SSMParamsBase
	.globl	_Z25selective_scan_fwd_kernelI32Selective_Scan_fwd_kernel_traitsILi64ELi8ELi1ELb1ELb1ELb1ELb1ELb1EfffEEv13SSMParamsBase
	.p2align	8
	.type	_Z25selective_scan_fwd_kernelI32Selective_Scan_fwd_kernel_traitsILi64ELi8ELi1ELb1ELb1ELb1ELb1ELb1EfffEEv13SSMParamsBase,@function
_Z25selective_scan_fwd_kernelI32Selective_Scan_fwd_kernel_traitsILi64ELi8ELi1ELb1ELb1ELb1ELb1ELb1EfffEEv13SSMParamsBase: ; @_Z25selective_scan_fwd_kernelI32Selective_Scan_fwd_kernel_traitsILi64ELi8ELi1ELb1ELb1ELb1ELb1ELb1EfffEEv13SSMParamsBase
; %bb.0:
	s_clause 0x2
	s_load_b32 s11, s[0:1], 0x18
	s_load_b256 s[56:63], s[0:1], 0xc8
	s_load_b128 s[4:7], s[0:1], 0xe8
	s_mov_b32 s12, s15
	s_ashr_i32 s15, s14, 31
	s_mov_b32 s33, 0
	s_lshl_b64 s[8:9], s[14:15], 2
	s_waitcnt lgkmcnt(0)
	s_abs_i32 s10, s11
	s_add_u32 s2, s62, s8
	v_cvt_f32_u32_e32 v1, s10
	s_addc_u32 s3, s63, s9
	s_cmp_eq_u64 s[6:7], 0
	s_delay_alu instid0(VALU_DEP_1) | instskip(SKIP_2) | instid1(VALU_DEP_1)
	v_rcp_iflag_f32_e32 v1, v1
	s_waitcnt_depctr 0xfff
	v_mul_f32_e32 v1, 0x4f7ffffe, v1
	v_cvt_u32_f32_e32 v1, v1
	s_delay_alu instid0(VALU_DEP_1)
	v_readfirstlane_b32 s52, v1
	s_cbranch_scc1 .LBB136_2
; %bb.1:
	v_mov_b32_e32 v1, 0
	s_add_u32 s6, s6, s14
	s_addc_u32 s7, s7, s15
	global_load_u8 v1, v1, s[6:7]
	s_waitcnt vmcnt(0)
	v_and_b32_e32 v1, 1, v1
	s_delay_alu instid0(VALU_DEP_1)
	v_cmp_eq_u32_e64 s33, 1, v1
.LBB136_2:
	s_load_b64 s[6:7], s[0:1], 0x20
	s_cmp_eq_u64 s[4:5], 0
	s_cbranch_scc1 .LBB136_4
; %bb.3:
	s_add_u32 s4, s4, s8
	s_addc_u32 s5, s5, s9
	s_load_b32 s14, s[4:5], 0x0
	s_waitcnt lgkmcnt(0)
	s_ashr_i32 s15, s14, 31
.LBB136_4:
	s_waitcnt lgkmcnt(0)
	s_cmp_eq_u64 s[6:7], s[14:15]
	s_cbranch_scc1 .LBB136_172
; %bb.5:
	s_load_b512 s[16:31], s[0:1], 0x88
	s_load_b64 s[34:35], s[2:3], 0x0
	s_mov_b32 s64, 0
	s_mov_b32 s65, 0
	s_waitcnt lgkmcnt(0)
	s_cmp_eq_u64 s[22:23], 0
	s_cbranch_scc1 .LBB136_7
; %bb.6:
	s_ashr_i32 s13, s12, 31
	s_delay_alu instid0(SALU_CYCLE_1) | instskip(NEXT) | instid1(SALU_CYCLE_1)
	s_lshl_b64 s[2:3], s[12:13], 2
	s_add_u32 s2, s22, s2
	s_addc_u32 s3, s23, s3
	s_load_b32 s65, s[2:3], 0x0
.LBB136_7:
	s_cmp_eq_u64 s[28:29], 0
	s_cbranch_scc1 .LBB136_9
; %bb.8:
	s_ashr_i32 s13, s12, 31
	s_delay_alu instid0(SALU_CYCLE_1) | instskip(NEXT) | instid1(SALU_CYCLE_1)
	s_lshl_b64 s[2:3], s[12:13], 2
	s_add_u32 s2, s28, s2
	s_addc_u32 s3, s29, s3
	s_load_b32 s64, s[2:3], 0x0
.LBB136_9:
	s_sub_i32 s66, s35, s34
	s_delay_alu instid0(SALU_CYCLE_1)
	s_cmp_lt_i32 s66, 1
	s_cbranch_scc1 .LBB136_172
; %bb.10:
	s_sub_i32 s2, 0, s10
	s_load_b256 s[36:43], s[0:1], 0x4c
	s_mul_i32 s2, s2, s52
	s_abs_i32 s3, s12
	s_mul_hi_u32 s2, s52, s2
	s_ashr_i32 s5, s11, 31
	s_add_i32 s52, s52, s2
	s_ashr_i32 s2, s12, 31
	s_mul_hi_u32 s4, s3, s52
	s_xor_b32 s5, s2, s5
	s_mul_i32 s6, s4, s10
	s_load_b256 s[44:51], s[0:1], 0x2c
	s_sub_i32 s2, s3, s6
	s_add_i32 s3, s4, 1
	s_sub_i32 s6, s2, s10
	s_cmp_ge_u32 s2, s10
	s_mov_b32 s53, 0
	s_cselect_b32 s3, s3, s4
	s_cselect_b32 s2, s6, s2
	s_add_i32 s4, s3, 1
	s_cmp_ge_u32 s2, s10
	s_waitcnt lgkmcnt(0)
	s_mul_i32 s52, s34, s38
	s_cselect_b32 s4, s4, s3
	s_lshl_b64 s[2:3], s[52:53], 2
	s_xor_b32 s4, s4, s5
	s_mul_i32 s52, s39, s12
	s_sub_i32 s6, s4, s5
	s_add_u32 s4, s24, s2
	s_addc_u32 s5, s25, s3
	s_lshl_b64 s[2:3], s[52:53], 2
	s_mul_i32 s52, s34, s40
	s_add_u32 s47, s4, s2
	s_addc_u32 s51, s5, s3
	s_lshl_b64 s[2:3], s[52:53], 2
	s_mul_i32 s52, s41, s12
	;; [unrolled: 4-line block ×3, first 2 shown]
	s_add_u32 s67, s4, s2
	s_addc_u32 s44, s5, s3
	s_load_b64 s[4:5], s[0:1], 0x7c
	s_lshl_b64 s[2:3], s[52:53], 2
	s_mul_i32 s52, s34, s46
	s_add_u32 s68, s16, s2
	v_dual_mov_b32 v1, 0 :: v_dual_lshlrev_b32 v20, 3, v0
	s_addc_u32 s46, s17, s3
	s_lshl_b64 s[2:3], s[52:53], 2
	s_mul_i32 s52, s6, s49
	s_add_u32 s7, s18, s2
	s_addc_u32 s8, s19, s3
	s_clause 0x3
	s_load_b128 s[16:19], s[0:1], 0x6c
	s_load_b32 s70, s[0:1], 0x84
	s_load_b32 s73, s[0:1], 0xc
	;; [unrolled: 1-line block ×3, first 2 shown]
	v_mbcnt_lo_u32_b32 v2, -1, 0
	v_and_b32_e32 v3, 0x100, v20
	s_lshl_b64 s[2:3], s[52:53], 2
	s_mul_i32 s52, s34, s50
	s_add_u32 s49, s7, s2
	s_addc_u32 s50, s8, s3
	s_lshl_b64 s[2:3], s[52:53], 2
	s_mul_i32 s52, s6, s37
	v_or_b32_e32 v21, v2, v3
	v_lshrrev_b32_e32 v4, 5, v3
	s_add_u32 s7, s20, s2
	s_addc_u32 s6, s21, s3
	s_lshl_b64 s[2:3], s[52:53], 2
	s_waitcnt lgkmcnt(0)
	s_mul_i32 s52, s14, s4
	s_add_u32 s37, s7, s2
	s_addc_u32 s69, s6, s3
	s_lshl_b64 s[2:3], s[52:53], 2
	v_or_b32_e32 v25, 0x80, v21
	v_add_nc_u32_e32 v4, v4, v21
	v_and_b32_e32 v8, 32, v0
	s_mul_i32 s52, s5, s12
	s_add_u32 s4, s56, s2
	s_addc_u32 s5, s57, s3
	s_lshl_b64 s[2:3], s[52:53], 2
	v_or_b32_e32 v22, 32, v21
	s_add_u32 s71, s4, s2
	v_or_b32_e32 v23, 64, v21
	v_or_b32_e32 v24, 0x60, v21
	;; [unrolled: 1-line block ×5, first 2 shown]
	v_lshl_add_u32 v29, v4, 2, 0
	v_lshrrev_b32_e32 v4, 5, v25
	v_or_b32_e32 v11, v2, v8
	s_addc_u32 s72, s5, s3
	s_add_i32 s2, s66, 0x7ff
	v_lshrrev_b32_e32 v5, 5, v22
	s_lshr_b32 s74, s2, 11
	s_bitcmp1_b32 s0, 0
	v_lshrrev_b32_e32 v6, 5, v23
	v_lshrrev_b32_e32 v7, 5, v24
	v_add_lshl_u32 v4, v4, v21, 2
	v_lshrrev_b32_e32 v9, 5, v26
	v_lshrrev_b32_e32 v10, 5, v27
	;; [unrolled: 1-line block ×3, first 2 shown]
	v_lshlrev_b32_e32 v13, 3, v11
	v_bfe_u32 v11, v11, 2, 27
	s_cselect_b32 s75, -1, 0
	s_cmp_gt_i32 s73, 0
	v_add_lshl_u32 v5, v5, v21, 2
	s_cselect_b32 s76, -1, 0
	s_add_i32 s0, 0, 0x840
	v_add_lshl_u32 v6, v6, v21, 2
	v_add_lshl_u32 v7, v7, v21, 2
	v_add_nc_u32_e32 v33, 0, v4
	v_add_lshl_u32 v9, v9, v21, 2
	v_add_lshl_u32 v10, v10, v21, 2
	;; [unrolled: 1-line block ×4, first 2 shown]
	v_add_nc_u32_e32 v41, s0, v4
	v_and_b32_e32 v4, 15, v2
	s_and_b32 s1, s66, 0x1ff
	v_add_nc_u32_e32 v38, s0, v5
	v_add_nc_u32_e32 v39, s0, v6
	;; [unrolled: 1-line block ×6, first 2 shown]
	s_cmp_eq_u32 s1, 0
	v_add_nc_u32_e32 v45, s0, v11
	v_cmp_ne_u32_e64 s0, 0, v4
	v_cmp_lt_u32_e64 s1, 1, v4
	v_cmp_lt_u32_e64 s2, 3, v4
	;; [unrolled: 1-line block ×3, first 2 shown]
	v_add_nc_u32_e32 v4, -1, v2
	v_add_nc_u32_e32 v30, 0, v5
	v_lshrrev_b32_e32 v5, 2, v0
	s_mul_i32 s52, s34, s16
	s_cselect_b32 s77, -1, 0
	v_cmp_gt_i32_e32 vcc_lo, 0, v4
	s_lshl_b64 s[14:15], s[52:53], 2
	v_and_b32_e32 v5, 8, v5
	s_add_i32 s78, s74, -1
	s_mul_i32 s52, s17, s12
	v_cndmask_b32_e32 v4, v4, v2, vcc_lo
	s_add_u32 s13, s30, s14
	s_addc_u32 s16, s31, s15
	s_lshl_b64 s[14:15], s[52:53], 2
	v_add_nc_u32_e32 v32, 0, v7
	v_or_b32_e32 v7, 31, v8
	v_lshlrev_b32_e32 v48, 2, v4
	s_mul_i32 s52, s34, s42
	v_lshlrev_b32_e32 v4, 2, v2
	v_add_nc_u32_e32 v31, 0, v6
	v_and_b32_e32 v6, 16, v2
	s_add_u32 s13, s13, s14
	v_add_nc_u32_e32 v46, 0, v5
	v_and_b32_e32 v5, 1, v2
	s_addc_u32 s16, s16, s15
	s_lshl_b64 s[14:15], s[52:53], 2
	s_mul_i32 s52, s43, s12
	s_add_u32 s17, s58, s14
	v_cmp_eq_u32_e64 s5, v7, v0
	v_cmp_gt_u32_e64 s6, 2, v0
	v_cmp_gt_u32_e64 s8, 32, v0
	v_cmp_lt_u32_e64 s9, 31, v0
	v_cmp_eq_u32_e64 s10, 0, v0
	s_addc_u32 s20, s59, s15
	s_lshl_b64 s[14:15], s[52:53], 2
	v_add_co_u32 v0, s13, s13, v4
	v_cmp_ne_u32_e64 s4, 0, v6
	s_mul_i32 s52, s34, s18
	v_lshlrev_b32_e32 v6, 2, v3
	v_cmp_eq_u32_e64 s7, 0, v5
	v_add_co_ci_u32_e64 v5, null, s16, 0, s13
	s_add_u32 s16, s17, s14
	s_addc_u32 s17, s20, s15
	s_lshl_b64 s[14:15], s[52:53], 2
	s_mul_i32 s52, s19, s12
	s_add_u32 s14, s60, s14
	s_addc_u32 s15, s61, s15
	s_lshl_b64 s[12:13], s[52:53], 2
	v_add_co_u32 v0, vcc_lo, v0, v6
	v_add_co_ci_u32_e32 v49, vcc_lo, 0, v5, vcc_lo
	s_add_u32 s12, s14, s12
	v_add_co_u32 v5, s14, s16, v4
	s_delay_alu instid0(VALU_DEP_1) | instskip(SKIP_2) | instid1(VALU_DEP_1)
	v_add_co_ci_u32_e64 v7, null, s17, 0, s14
	s_addc_u32 s13, s15, s13
	v_add_co_u32 v4, s12, s12, v4
	v_add_co_ci_u32_e64 v8, null, s13, 0, s12
	v_add_co_u32 v50, vcc_lo, v5, v6
	v_add_co_ci_u32_e32 v51, vcc_lo, 0, v7, vcc_lo
	s_delay_alu instid0(VALU_DEP_4)
	v_add_co_u32 v52, vcc_lo, v4, v6
	v_add_nc_u32_e32 v34, 0, v9
	v_add_nc_u32_e32 v35, 0, v10
	v_add_nc_u32_e32 v36, 0, v12
	v_add_nc_u32_e32 v37, 0, v11
	v_add_nc_u32_e32 v47, 0, v20
	v_cmp_eq_u32_e64 s11, 0, v2
	v_add_co_ci_u32_e32 v53, vcc_lo, 0, v8, vcc_lo
	v_or_b32_e32 v54, 1, v20
	v_or_b32_e32 v55, 2, v20
	;; [unrolled: 1-line block ×7, first 2 shown]
	v_lshlrev_b32_e32 v61, 2, v2
	v_lshlrev_b32_e32 v62, 2, v3
	s_mov_b32 s31, 0x3e9b6dac
	s_add_i32 s79, 0, 0x1090
	s_mov_b32 s80, 0
	s_branch .LBB136_12
.LBB136_11:                             ;   in Loop: Header=BB136_12 Depth=1
	s_or_b32 exec_lo, exec_lo, s12
	s_add_u32 s67, s67, 0x800
	s_addc_u32 s44, s44, 0
	s_add_u32 s47, s47, 0x800
	s_addc_u32 s51, s51, 0
	;; [unrolled: 2-line block ×4, first 2 shown]
	s_add_i32 s80, s80, 1
	s_delay_alu instid0(SALU_CYCLE_1)
	s_cmp_lg_u32 s80, s74
	s_cbranch_scc0 .LBB136_172
.LBB136_12:                             ; =>This Loop Header: Depth=1
                                        ;     Child Loop BB136_61 Depth 2
	v_add_co_u32 v2, s12, s47, v61
	s_delay_alu instid0(VALU_DEP_1) | instskip(SKIP_1) | instid1(VALU_DEP_2)
	v_add_co_ci_u32_e64 v3, null, s51, 0, s12
	s_lshl_b32 s34, s80, 9
	v_add_co_u32 v2, vcc_lo, v2, v62
	s_sub_i32 s23, s66, s34
	s_delay_alu instid0(VALU_DEP_2)
	v_add_co_ci_u32_e32 v3, vcc_lo, 0, v3, vcc_lo
	v_cmp_gt_u32_e64 s12, s23, v21
	s_waitcnt lgkmcnt(0)
	v_mov_b32_e32 v4, v1
	s_waitcnt_vscnt null, 0x0
	s_barrier
	buffer_gl0_inv
	s_and_saveexec_b32 s13, s12
	s_cbranch_execz .LBB136_14
; %bb.13:                               ;   in Loop: Header=BB136_12 Depth=1
	global_load_b32 v4, v[2:3], off
.LBB136_14:                             ;   in Loop: Header=BB136_12 Depth=1
	s_or_b32 exec_lo, exec_lo, s13
	v_cmp_gt_u32_e64 s13, s23, v22
	v_dual_mov_b32 v5, 0 :: v_dual_mov_b32 v6, 0
	s_delay_alu instid0(VALU_DEP_2)
	s_and_saveexec_b32 s14, s13
	s_cbranch_execz .LBB136_16
; %bb.15:                               ;   in Loop: Header=BB136_12 Depth=1
	global_load_b32 v6, v[2:3], off offset:128
.LBB136_16:                             ;   in Loop: Header=BB136_12 Depth=1
	s_or_b32 exec_lo, exec_lo, s14
	v_cmp_gt_u32_e64 s14, s23, v23
	s_delay_alu instid0(VALU_DEP_1)
	s_and_saveexec_b32 s15, s14
	s_cbranch_execz .LBB136_18
; %bb.17:                               ;   in Loop: Header=BB136_12 Depth=1
	global_load_b32 v5, v[2:3], off offset:256
.LBB136_18:                             ;   in Loop: Header=BB136_12 Depth=1
	s_or_b32 exec_lo, exec_lo, s15
	v_cmp_gt_u32_e64 s15, s23, v24
	v_dual_mov_b32 v7, 0 :: v_dual_mov_b32 v8, 0
	s_delay_alu instid0(VALU_DEP_2)
	s_and_saveexec_b32 s16, s15
	s_cbranch_execz .LBB136_20
; %bb.19:                               ;   in Loop: Header=BB136_12 Depth=1
	global_load_b32 v8, v[2:3], off offset:384
.LBB136_20:                             ;   in Loop: Header=BB136_12 Depth=1
	s_or_b32 exec_lo, exec_lo, s16
	v_cmp_gt_u32_e64 s16, s23, v25
	s_delay_alu instid0(VALU_DEP_1)
	s_and_saveexec_b32 s17, s16
	s_cbranch_execz .LBB136_22
; %bb.21:                               ;   in Loop: Header=BB136_12 Depth=1
	global_load_b32 v7, v[2:3], off offset:512
.LBB136_22:                             ;   in Loop: Header=BB136_12 Depth=1
	;; [unrolled: 17-line block ×3, first 2 shown]
	s_or_b32 exec_lo, exec_lo, s19
	v_cmp_gt_u32_e64 s19, s23, v28
	v_dual_mov_b32 v12, 0 :: v_dual_mov_b32 v11, 0
	s_delay_alu instid0(VALU_DEP_2)
	s_and_saveexec_b32 s20, s19
	s_cbranch_execz .LBB136_28
; %bb.27:                               ;   in Loop: Header=BB136_12 Depth=1
	global_load_b32 v11, v[2:3], off offset:896
.LBB136_28:                             ;   in Loop: Header=BB136_12 Depth=1
	s_or_b32 exec_lo, exec_lo, s20
	s_waitcnt vmcnt(0)
	ds_store_b32 v29, v4
	ds_store_b32 v30, v6 offset:128
	ds_store_b32 v31, v5 offset:256
	;; [unrolled: 1-line block ×7, first 2 shown]
	; wave barrier
	ds_load_2addr_b32 v[2:3], v37 offset1:1
	ds_load_2addr_b32 v[4:5], v37 offset0:2 offset1:3
	ds_load_2addr_b32 v[6:7], v37 offset0:4 offset1:5
	;; [unrolled: 1-line block ×3, first 2 shown]
	v_add_co_u32 v10, s20, s67, v61
	s_delay_alu instid0(VALU_DEP_1) | instskip(SKIP_1) | instid1(VALU_DEP_2)
	v_add_co_ci_u32_e64 v11, null, s44, 0, s20
	s_waitcnt lgkmcnt(0)
	v_add_co_u32 v10, vcc_lo, v10, v62
	s_delay_alu instid0(VALU_DEP_2)
	v_add_co_ci_u32_e32 v11, vcc_lo, 0, v11, vcc_lo
	s_barrier
	buffer_gl0_inv
	s_and_saveexec_b32 s20, s12
	s_cbranch_execz .LBB136_30
; %bb.29:                               ;   in Loop: Header=BB136_12 Depth=1
	global_load_b32 v12, v[10:11], off
.LBB136_30:                             ;   in Loop: Header=BB136_12 Depth=1
	s_or_b32 exec_lo, exec_lo, s20
	v_dual_mov_b32 v13, 0 :: v_dual_mov_b32 v14, 0
	s_and_saveexec_b32 s20, s13
	s_cbranch_execz .LBB136_32
; %bb.31:                               ;   in Loop: Header=BB136_12 Depth=1
	global_load_b32 v14, v[10:11], off offset:128
.LBB136_32:                             ;   in Loop: Header=BB136_12 Depth=1
	s_or_b32 exec_lo, exec_lo, s20
	s_and_saveexec_b32 s20, s14
	s_cbranch_execz .LBB136_34
; %bb.33:                               ;   in Loop: Header=BB136_12 Depth=1
	global_load_b32 v13, v[10:11], off offset:256
.LBB136_34:                             ;   in Loop: Header=BB136_12 Depth=1
	s_or_b32 exec_lo, exec_lo, s20
	v_dual_mov_b32 v15, 0 :: v_dual_mov_b32 v16, 0
	s_and_saveexec_b32 s20, s15
	s_cbranch_execz .LBB136_36
; %bb.35:                               ;   in Loop: Header=BB136_12 Depth=1
	global_load_b32 v16, v[10:11], off offset:384
.LBB136_36:                             ;   in Loop: Header=BB136_12 Depth=1
	s_or_b32 exec_lo, exec_lo, s20
	s_and_saveexec_b32 s20, s16
	s_cbranch_execz .LBB136_38
; %bb.37:                               ;   in Loop: Header=BB136_12 Depth=1
	global_load_b32 v15, v[10:11], off offset:512
.LBB136_38:                             ;   in Loop: Header=BB136_12 Depth=1
	s_or_b32 exec_lo, exec_lo, s20
	v_dual_mov_b32 v17, 0 :: v_dual_mov_b32 v18, 0
	s_and_saveexec_b32 s20, s17
	s_cbranch_execnz .LBB136_148
; %bb.39:                               ;   in Loop: Header=BB136_12 Depth=1
	s_or_b32 exec_lo, exec_lo, s20
	s_and_saveexec_b32 s20, s18
	s_cbranch_execnz .LBB136_149
.LBB136_40:                             ;   in Loop: Header=BB136_12 Depth=1
	s_or_b32 exec_lo, exec_lo, s20
	v_mov_b32_e32 v19, 0
	s_and_saveexec_b32 s20, s19
	s_cbranch_execz .LBB136_42
.LBB136_41:                             ;   in Loop: Header=BB136_12 Depth=1
	global_load_b32 v19, v[10:11], off offset:896
.LBB136_42:                             ;   in Loop: Header=BB136_12 Depth=1
	s_or_b32 exec_lo, exec_lo, s20
	s_waitcnt vmcnt(0)
	ds_store_b32 v29, v12
	ds_store_b32 v30, v14 offset:128
	ds_store_b32 v31, v13 offset:256
	ds_store_b32 v32, v16 offset:384
	ds_store_b32 v33, v15 offset:512
	ds_store_b32 v34, v18 offset:640
	ds_store_b32 v35, v17 offset:768
	ds_store_b32 v36, v19 offset:896
	; wave barrier
	ds_load_2addr_b32 v[16:17], v37 offset1:1
	ds_load_2addr_b32 v[14:15], v37 offset0:2 offset1:3
	ds_load_2addr_b32 v[12:13], v37 offset0:4 offset1:5
	;; [unrolled: 1-line block ×3, first 2 shown]
	s_waitcnt lgkmcnt(3)
	v_add_f32_e32 v63, s64, v16
	s_delay_alu instid0(VALU_DEP_1) | instskip(SKIP_1) | instid1(SALU_CYCLE_1)
	v_cmp_ge_f32_e32 vcc_lo, 0x41a00000, v63
	s_and_b32 s20, s75, vcc_lo
	s_and_saveexec_b32 s21, s20
	s_cbranch_execz .LBB136_44
; %bb.43:                               ;   in Loop: Header=BB136_12 Depth=1
	v_mul_f32_e32 v16, 0x3fb8aa3b, v63
	v_cmp_ngt_f32_e32 vcc_lo, 0xc2ce8ed0, v63
	s_delay_alu instid0(VALU_DEP_2) | instskip(SKIP_1) | instid1(VALU_DEP_1)
	v_rndne_f32_e32 v18, v16
	v_fma_f32 v19, 0x3fb8aa3b, v63, -v16
	v_dual_sub_f32 v16, v16, v18 :: v_dual_fmac_f32 v19, 0x32a5705f, v63
	v_cvt_i32_f32_e32 v18, v18
	s_delay_alu instid0(VALU_DEP_2) | instskip(NEXT) | instid1(VALU_DEP_1)
	v_add_f32_e32 v16, v16, v19
	v_exp_f32_e32 v16, v16
	s_waitcnt_depctr 0xfff
	v_ldexp_f32 v16, v16, v18
	s_delay_alu instid0(VALU_DEP_1) | instskip(SKIP_1) | instid1(VALU_DEP_2)
	v_cndmask_b32_e32 v16, 0, v16, vcc_lo
	v_cmp_nlt_f32_e32 vcc_lo, 0x42b17218, v63
	v_cndmask_b32_e32 v16, 0x7f800000, v16, vcc_lo
	s_delay_alu instid0(VALU_DEP_1) | instskip(NEXT) | instid1(VALU_DEP_1)
	v_add_f32_e32 v63, 1.0, v16
	v_cvt_f64_f32_e32 v[18:19], v63
	s_delay_alu instid0(VALU_DEP_1) | instskip(SKIP_1) | instid1(VALU_DEP_1)
	v_frexp_exp_i32_f64_e32 v18, v[18:19]
	v_frexp_mant_f32_e32 v19, v63
	v_cmp_gt_f32_e32 vcc_lo, 0x3f2aaaab, v19
	v_add_f32_e32 v19, -1.0, v63
	s_delay_alu instid0(VALU_DEP_1) | instskip(SKIP_2) | instid1(VALU_DEP_3)
	v_sub_f32_e32 v65, v19, v63
	v_sub_f32_e32 v19, v16, v19
	v_cmp_gt_f32_e64 s20, 0x33800000, v16
	v_add_f32_e32 v65, 1.0, v65
	s_delay_alu instid0(VALU_DEP_1) | instskip(SKIP_2) | instid1(VALU_DEP_2)
	v_add_f32_e32 v19, v19, v65
	v_subrev_co_ci_u32_e32 v18, vcc_lo, 0, v18, vcc_lo
	v_cmp_eq_f32_e32 vcc_lo, 0x7f800000, v16
	v_sub_nc_u32_e32 v64, 0, v18
	v_cvt_f32_i32_e32 v18, v18
	s_or_b32 vcc_lo, s20, vcc_lo
	s_delay_alu instid0(VALU_DEP_2) | instskip(SKIP_1) | instid1(VALU_DEP_2)
	v_ldexp_f32 v63, v63, v64
	v_ldexp_f32 v19, v19, v64
	v_add_f32_e32 v66, 1.0, v63
	s_delay_alu instid0(VALU_DEP_1) | instskip(NEXT) | instid1(VALU_DEP_1)
	v_dual_add_f32 v64, -1.0, v63 :: v_dual_add_f32 v65, -1.0, v66
	v_add_f32_e32 v67, 1.0, v64
	s_delay_alu instid0(VALU_DEP_2) | instskip(NEXT) | instid1(VALU_DEP_2)
	v_sub_f32_e32 v65, v63, v65
	v_sub_f32_e32 v63, v63, v67
	s_delay_alu instid0(VALU_DEP_2) | instskip(NEXT) | instid1(VALU_DEP_2)
	v_add_f32_e32 v65, v19, v65
	v_add_f32_e32 v19, v19, v63
	s_delay_alu instid0(VALU_DEP_1) | instskip(NEXT) | instid1(VALU_DEP_1)
	v_dual_add_f32 v68, v64, v19 :: v_dual_add_f32 v67, v66, v65
	v_sub_f32_e32 v64, v64, v68
	s_delay_alu instid0(VALU_DEP_2) | instskip(SKIP_1) | instid1(VALU_DEP_1)
	v_rcp_f32_e32 v63, v67
	v_sub_f32_e32 v66, v66, v67
	v_add_f32_e32 v65, v65, v66
	s_waitcnt_depctr 0xfff
	v_mul_f32_e32 v69, v68, v63
	s_delay_alu instid0(VALU_DEP_1) | instskip(NEXT) | instid1(VALU_DEP_1)
	v_mul_f32_e32 v70, v67, v69
	v_fma_f32 v66, v69, v67, -v70
	s_delay_alu instid0(VALU_DEP_1) | instskip(NEXT) | instid1(VALU_DEP_1)
	v_fmac_f32_e32 v66, v69, v65
	v_add_f32_e32 v71, v70, v66
	s_delay_alu instid0(VALU_DEP_1) | instskip(NEXT) | instid1(VALU_DEP_1)
	v_sub_f32_e32 v72, v68, v71
	v_sub_f32_e32 v68, v68, v72
	v_add_f32_e32 v19, v19, v64
	v_sub_f32_e32 v64, v71, v70
	s_delay_alu instid0(VALU_DEP_3) | instskip(NEXT) | instid1(VALU_DEP_1)
	v_sub_f32_e32 v68, v68, v71
	v_dual_sub_f32 v64, v64, v66 :: v_dual_add_f32 v19, v19, v68
	s_delay_alu instid0(VALU_DEP_1) | instskip(NEXT) | instid1(VALU_DEP_1)
	v_add_f32_e32 v19, v64, v19
	v_add_f32_e32 v64, v72, v19
	s_delay_alu instid0(VALU_DEP_1) | instskip(NEXT) | instid1(VALU_DEP_1)
	v_mul_f32_e32 v66, v63, v64
	v_dual_sub_f32 v71, v72, v64 :: v_dual_mul_f32 v68, v67, v66
	s_delay_alu instid0(VALU_DEP_1) | instskip(NEXT) | instid1(VALU_DEP_2)
	v_add_f32_e32 v19, v19, v71
	v_fma_f32 v67, v66, v67, -v68
	s_delay_alu instid0(VALU_DEP_1) | instskip(NEXT) | instid1(VALU_DEP_1)
	v_fmac_f32_e32 v67, v66, v65
	v_add_f32_e32 v65, v68, v67
	s_delay_alu instid0(VALU_DEP_1) | instskip(NEXT) | instid1(VALU_DEP_1)
	v_sub_f32_e32 v70, v64, v65
	v_sub_f32_e32 v64, v64, v70
	s_delay_alu instid0(VALU_DEP_1) | instskip(NEXT) | instid1(VALU_DEP_1)
	v_sub_f32_e32 v64, v64, v65
	v_dual_add_f32 v19, v19, v64 :: v_dual_add_f32 v64, v69, v66
	v_sub_f32_e32 v68, v65, v68
	s_delay_alu instid0(VALU_DEP_1) | instskip(NEXT) | instid1(VALU_DEP_1)
	v_sub_f32_e32 v65, v68, v67
	v_add_f32_e32 v19, v65, v19
	s_delay_alu instid0(VALU_DEP_4) | instskip(NEXT) | instid1(VALU_DEP_2)
	v_sub_f32_e32 v65, v64, v69
	v_add_f32_e32 v19, v70, v19
	s_delay_alu instid0(VALU_DEP_2) | instskip(NEXT) | instid1(VALU_DEP_2)
	v_sub_f32_e32 v65, v66, v65
	v_mul_f32_e32 v19, v63, v19
	s_delay_alu instid0(VALU_DEP_1) | instskip(NEXT) | instid1(VALU_DEP_1)
	v_add_f32_e32 v19, v65, v19
	v_add_f32_e32 v63, v64, v19
	s_delay_alu instid0(VALU_DEP_1) | instskip(NEXT) | instid1(VALU_DEP_1)
	v_mul_f32_e32 v65, v63, v63
	v_fmaak_f32 v66, s31, v65, 0x3ecc95a3
	v_mul_f32_e32 v67, v63, v65
	s_delay_alu instid0(VALU_DEP_2) | instskip(SKIP_2) | instid1(VALU_DEP_3)
	v_fmaak_f32 v65, v65, v66, 0x3f2aaada
	v_ldexp_f32 v66, v63, 1
	v_sub_f32_e32 v63, v63, v64
	v_mul_f32_e32 v65, v67, v65
	v_mul_f32_e32 v67, 0x3f317218, v18
	s_delay_alu instid0(VALU_DEP_2) | instskip(NEXT) | instid1(VALU_DEP_1)
	v_dual_sub_f32 v19, v19, v63 :: v_dual_add_f32 v64, v66, v65
	v_ldexp_f32 v19, v19, 1
	s_delay_alu instid0(VALU_DEP_2) | instskip(NEXT) | instid1(VALU_DEP_4)
	v_sub_f32_e32 v63, v64, v66
	v_fma_f32 v66, 0x3f317218, v18, -v67
	s_delay_alu instid0(VALU_DEP_1) | instskip(NEXT) | instid1(VALU_DEP_1)
	v_dual_sub_f32 v63, v65, v63 :: v_dual_fmac_f32 v66, 0xb102e308, v18
	v_add_f32_e32 v18, v19, v63
	s_delay_alu instid0(VALU_DEP_2) | instskip(NEXT) | instid1(VALU_DEP_2)
	v_add_f32_e32 v19, v67, v66
	v_add_f32_e32 v63, v64, v18
	s_delay_alu instid0(VALU_DEP_2) | instskip(NEXT) | instid1(VALU_DEP_2)
	v_sub_f32_e32 v67, v19, v67
	v_add_f32_e32 v65, v19, v63
	v_sub_f32_e32 v64, v63, v64
	s_delay_alu instid0(VALU_DEP_3) | instskip(NEXT) | instid1(VALU_DEP_3)
	v_sub_f32_e32 v66, v66, v67
	v_sub_f32_e32 v68, v65, v19
	s_delay_alu instid0(VALU_DEP_3) | instskip(NEXT) | instid1(VALU_DEP_2)
	v_sub_f32_e32 v18, v18, v64
	v_sub_f32_e32 v69, v65, v68
	s_delay_alu instid0(VALU_DEP_2) | instskip(NEXT) | instid1(VALU_DEP_2)
	v_dual_sub_f32 v63, v63, v68 :: v_dual_add_f32 v64, v66, v18
	v_sub_f32_e32 v19, v19, v69
	s_delay_alu instid0(VALU_DEP_1) | instskip(NEXT) | instid1(VALU_DEP_3)
	v_add_f32_e32 v19, v63, v19
	v_sub_f32_e32 v63, v64, v66
	s_delay_alu instid0(VALU_DEP_2) | instskip(NEXT) | instid1(VALU_DEP_2)
	v_add_f32_e32 v19, v64, v19
	v_sub_f32_e32 v64, v64, v63
	v_sub_f32_e32 v18, v18, v63
	s_delay_alu instid0(VALU_DEP_2) | instskip(NEXT) | instid1(VALU_DEP_1)
	v_dual_add_f32 v67, v65, v19 :: v_dual_sub_f32 v64, v66, v64
	v_dual_sub_f32 v63, v67, v65 :: v_dual_add_f32 v18, v18, v64
	s_delay_alu instid0(VALU_DEP_1) | instskip(NEXT) | instid1(VALU_DEP_1)
	v_sub_f32_e32 v19, v19, v63
	v_add_f32_e32 v18, v18, v19
	s_delay_alu instid0(VALU_DEP_1) | instskip(NEXT) | instid1(VALU_DEP_1)
	v_add_f32_e32 v18, v67, v18
	v_cndmask_b32_e32 v63, v18, v16, vcc_lo
.LBB136_44:                             ;   in Loop: Header=BB136_12 Depth=1
	s_or_b32 exec_lo, exec_lo, s21
	v_add_f32_e32 v64, s64, v17
	s_delay_alu instid0(VALU_DEP_1) | instskip(SKIP_1) | instid1(SALU_CYCLE_1)
	v_cmp_ge_f32_e32 vcc_lo, 0x41a00000, v64
	s_and_b32 s20, s75, vcc_lo
	s_and_saveexec_b32 s21, s20
	s_cbranch_execz .LBB136_46
; %bb.45:                               ;   in Loop: Header=BB136_12 Depth=1
	v_mul_f32_e32 v16, 0x3fb8aa3b, v64
	v_cmp_ngt_f32_e32 vcc_lo, 0xc2ce8ed0, v64
	s_delay_alu instid0(VALU_DEP_2) | instskip(SKIP_1) | instid1(VALU_DEP_2)
	v_rndne_f32_e32 v17, v16
	v_fma_f32 v18, 0x3fb8aa3b, v64, -v16
	v_sub_f32_e32 v16, v16, v17
	s_delay_alu instid0(VALU_DEP_2) | instskip(SKIP_1) | instid1(VALU_DEP_2)
	v_fmac_f32_e32 v18, 0x32a5705f, v64
	v_cvt_i32_f32_e32 v17, v17
	v_add_f32_e32 v16, v16, v18
	s_delay_alu instid0(VALU_DEP_1) | instskip(SKIP_2) | instid1(VALU_DEP_1)
	v_exp_f32_e32 v16, v16
	s_waitcnt_depctr 0xfff
	v_ldexp_f32 v16, v16, v17
	v_cndmask_b32_e32 v16, 0, v16, vcc_lo
	v_cmp_nlt_f32_e32 vcc_lo, 0x42b17218, v64
	s_delay_alu instid0(VALU_DEP_2) | instskip(NEXT) | instid1(VALU_DEP_1)
	v_cndmask_b32_e32 v18, 0x7f800000, v16, vcc_lo
	v_add_f32_e32 v19, 1.0, v18
	s_delay_alu instid0(VALU_DEP_1) | instskip(NEXT) | instid1(VALU_DEP_1)
	v_cvt_f64_f32_e32 v[16:17], v19
	v_frexp_exp_i32_f64_e32 v16, v[16:17]
	v_frexp_mant_f32_e32 v17, v19
	s_delay_alu instid0(VALU_DEP_1) | instskip(SKIP_1) | instid1(VALU_DEP_1)
	v_cmp_gt_f32_e32 vcc_lo, 0x3f2aaaab, v17
	v_add_f32_e32 v17, -1.0, v19
	v_sub_f32_e32 v65, v17, v19
	v_sub_f32_e32 v17, v18, v17
	s_delay_alu instid0(VALU_DEP_2) | instskip(NEXT) | instid1(VALU_DEP_1)
	v_add_f32_e32 v65, 1.0, v65
	v_add_f32_e32 v17, v17, v65
	v_cmp_gt_f32_e64 s20, 0x33800000, v18
	v_subrev_co_ci_u32_e32 v16, vcc_lo, 0, v16, vcc_lo
	v_cmp_eq_f32_e32 vcc_lo, 0x7f800000, v18
	s_delay_alu instid0(VALU_DEP_2) | instskip(SKIP_2) | instid1(VALU_DEP_2)
	v_sub_nc_u32_e32 v64, 0, v16
	v_cvt_f32_i32_e32 v16, v16
	s_or_b32 vcc_lo, s20, vcc_lo
	v_ldexp_f32 v19, v19, v64
	v_ldexp_f32 v17, v17, v64
	s_delay_alu instid0(VALU_DEP_2) | instskip(NEXT) | instid1(VALU_DEP_1)
	v_add_f32_e32 v66, 1.0, v19
	v_dual_add_f32 v64, -1.0, v19 :: v_dual_add_f32 v65, -1.0, v66
	s_delay_alu instid0(VALU_DEP_1) | instskip(NEXT) | instid1(VALU_DEP_2)
	v_add_f32_e32 v67, 1.0, v64
	v_sub_f32_e32 v65, v19, v65
	s_delay_alu instid0(VALU_DEP_2) | instskip(NEXT) | instid1(VALU_DEP_2)
	v_sub_f32_e32 v19, v19, v67
	v_add_f32_e32 v65, v17, v65
	s_delay_alu instid0(VALU_DEP_2) | instskip(NEXT) | instid1(VALU_DEP_1)
	v_add_f32_e32 v17, v17, v19
	v_add_f32_e32 v68, v64, v17
	s_delay_alu instid0(VALU_DEP_1) | instskip(NEXT) | instid1(VALU_DEP_1)
	v_dual_add_f32 v67, v66, v65 :: v_dual_sub_f32 v64, v64, v68
	v_rcp_f32_e32 v19, v67
	v_sub_f32_e32 v66, v66, v67
	s_delay_alu instid0(VALU_DEP_1) | instskip(SKIP_2) | instid1(VALU_DEP_1)
	v_add_f32_e32 v65, v65, v66
	s_waitcnt_depctr 0xfff
	v_mul_f32_e32 v69, v68, v19
	v_mul_f32_e32 v70, v67, v69
	s_delay_alu instid0(VALU_DEP_1) | instskip(NEXT) | instid1(VALU_DEP_1)
	v_fma_f32 v66, v69, v67, -v70
	v_fmac_f32_e32 v66, v69, v65
	s_delay_alu instid0(VALU_DEP_1) | instskip(NEXT) | instid1(VALU_DEP_1)
	v_add_f32_e32 v71, v70, v66
	v_sub_f32_e32 v72, v68, v71
	s_delay_alu instid0(VALU_DEP_1) | instskip(SKIP_1) | instid1(VALU_DEP_2)
	v_sub_f32_e32 v68, v68, v72
	v_dual_add_f32 v17, v17, v64 :: v_dual_sub_f32 v64, v71, v70
	v_sub_f32_e32 v68, v68, v71
	s_delay_alu instid0(VALU_DEP_1) | instskip(NEXT) | instid1(VALU_DEP_1)
	v_dual_sub_f32 v64, v64, v66 :: v_dual_add_f32 v17, v17, v68
	v_add_f32_e32 v17, v64, v17
	s_delay_alu instid0(VALU_DEP_1) | instskip(NEXT) | instid1(VALU_DEP_1)
	v_add_f32_e32 v64, v72, v17
	v_mul_f32_e32 v66, v19, v64
	s_delay_alu instid0(VALU_DEP_1) | instskip(NEXT) | instid1(VALU_DEP_1)
	v_dual_sub_f32 v71, v72, v64 :: v_dual_mul_f32 v68, v67, v66
	v_add_f32_e32 v17, v17, v71
	s_delay_alu instid0(VALU_DEP_2) | instskip(NEXT) | instid1(VALU_DEP_1)
	v_fma_f32 v67, v66, v67, -v68
	v_fmac_f32_e32 v67, v66, v65
	s_delay_alu instid0(VALU_DEP_1) | instskip(NEXT) | instid1(VALU_DEP_1)
	v_add_f32_e32 v65, v68, v67
	v_sub_f32_e32 v70, v64, v65
	s_delay_alu instid0(VALU_DEP_1) | instskip(NEXT) | instid1(VALU_DEP_1)
	v_sub_f32_e32 v64, v64, v70
	v_sub_f32_e32 v64, v64, v65
	s_delay_alu instid0(VALU_DEP_1) | instskip(SKIP_2) | instid1(VALU_DEP_1)
	v_add_f32_e32 v17, v17, v64
	v_add_f32_e32 v64, v69, v66
	v_sub_f32_e32 v68, v65, v68
	v_sub_f32_e32 v65, v68, v67
	s_delay_alu instid0(VALU_DEP_1) | instskip(NEXT) | instid1(VALU_DEP_4)
	v_add_f32_e32 v17, v65, v17
	v_sub_f32_e32 v65, v64, v69
	s_delay_alu instid0(VALU_DEP_2) | instskip(NEXT) | instid1(VALU_DEP_2)
	v_add_f32_e32 v17, v70, v17
	v_sub_f32_e32 v65, v66, v65
	s_delay_alu instid0(VALU_DEP_2) | instskip(NEXT) | instid1(VALU_DEP_1)
	v_mul_f32_e32 v17, v19, v17
	v_add_f32_e32 v17, v65, v17
	s_delay_alu instid0(VALU_DEP_1) | instskip(NEXT) | instid1(VALU_DEP_1)
	v_add_f32_e32 v19, v64, v17
	v_mul_f32_e32 v65, v19, v19
	s_delay_alu instid0(VALU_DEP_1) | instskip(SKIP_1) | instid1(VALU_DEP_2)
	v_fmaak_f32 v66, s31, v65, 0x3ecc95a3
	v_mul_f32_e32 v67, v19, v65
	v_fmaak_f32 v65, v65, v66, 0x3f2aaada
	v_ldexp_f32 v66, v19, 1
	s_delay_alu instid0(VALU_DEP_2) | instskip(SKIP_1) | instid1(VALU_DEP_2)
	v_mul_f32_e32 v65, v67, v65
	v_sub_f32_e32 v19, v19, v64
	v_dual_mul_f32 v67, 0x3f317218, v16 :: v_dual_add_f32 v64, v66, v65
	s_delay_alu instid0(VALU_DEP_2) | instskip(NEXT) | instid1(VALU_DEP_2)
	v_sub_f32_e32 v17, v17, v19
	v_sub_f32_e32 v19, v64, v66
	s_delay_alu instid0(VALU_DEP_3) | instskip(NEXT) | instid1(VALU_DEP_3)
	v_fma_f32 v66, 0x3f317218, v16, -v67
	v_ldexp_f32 v17, v17, 1
	s_delay_alu instid0(VALU_DEP_2) | instskip(NEXT) | instid1(VALU_DEP_1)
	v_dual_sub_f32 v19, v65, v19 :: v_dual_fmac_f32 v66, 0xb102e308, v16
	v_dual_add_f32 v16, v17, v19 :: v_dual_add_f32 v17, v67, v66
	s_delay_alu instid0(VALU_DEP_1) | instskip(NEXT) | instid1(VALU_DEP_1)
	v_add_f32_e32 v19, v64, v16
	v_dual_add_f32 v65, v17, v19 :: v_dual_sub_f32 v64, v19, v64
	s_delay_alu instid0(VALU_DEP_1) | instskip(NEXT) | instid1(VALU_DEP_2)
	v_sub_f32_e32 v68, v65, v17
	v_dual_sub_f32 v67, v17, v67 :: v_dual_sub_f32 v16, v16, v64
	s_delay_alu instid0(VALU_DEP_1) | instskip(SKIP_1) | instid1(VALU_DEP_2)
	v_dual_sub_f32 v69, v65, v68 :: v_dual_sub_f32 v66, v66, v67
	v_sub_f32_e32 v19, v19, v68
	v_dual_sub_f32 v17, v17, v69 :: v_dual_add_f32 v64, v66, v16
	s_delay_alu instid0(VALU_DEP_1) | instskip(NEXT) | instid1(VALU_DEP_2)
	v_add_f32_e32 v17, v19, v17
	v_sub_f32_e32 v19, v64, v66
	s_delay_alu instid0(VALU_DEP_2) | instskip(NEXT) | instid1(VALU_DEP_2)
	v_add_f32_e32 v17, v64, v17
	v_sub_f32_e32 v64, v64, v19
	s_delay_alu instid0(VALU_DEP_2) | instskip(NEXT) | instid1(VALU_DEP_1)
	v_dual_sub_f32 v16, v16, v19 :: v_dual_add_f32 v67, v65, v17
	v_dual_sub_f32 v64, v66, v64 :: v_dual_sub_f32 v19, v67, v65
	s_delay_alu instid0(VALU_DEP_1) | instskip(NEXT) | instid1(VALU_DEP_1)
	v_dual_add_f32 v16, v16, v64 :: v_dual_sub_f32 v17, v17, v19
	v_add_f32_e32 v16, v16, v17
	s_delay_alu instid0(VALU_DEP_1) | instskip(NEXT) | instid1(VALU_DEP_1)
	v_add_f32_e32 v16, v67, v16
	v_cndmask_b32_e32 v64, v16, v18, vcc_lo
.LBB136_46:                             ;   in Loop: Header=BB136_12 Depth=1
	s_or_b32 exec_lo, exec_lo, s21
	s_waitcnt lgkmcnt(2)
	v_add_f32_e32 v65, s64, v14
	s_delay_alu instid0(VALU_DEP_1) | instskip(SKIP_1) | instid1(SALU_CYCLE_1)
	v_cmp_ge_f32_e32 vcc_lo, 0x41a00000, v65
	s_and_b32 s20, s75, vcc_lo
	s_and_saveexec_b32 s21, s20
	s_cbranch_execz .LBB136_48
; %bb.47:                               ;   in Loop: Header=BB136_12 Depth=1
	v_mul_f32_e32 v14, 0x3fb8aa3b, v65
	v_cmp_ngt_f32_e32 vcc_lo, 0xc2ce8ed0, v65
	s_delay_alu instid0(VALU_DEP_2) | instskip(SKIP_1) | instid1(VALU_DEP_1)
	v_rndne_f32_e32 v16, v14
	v_fma_f32 v17, 0x3fb8aa3b, v65, -v14
	v_dual_sub_f32 v14, v14, v16 :: v_dual_fmac_f32 v17, 0x32a5705f, v65
	v_cvt_i32_f32_e32 v16, v16
	s_delay_alu instid0(VALU_DEP_2) | instskip(NEXT) | instid1(VALU_DEP_1)
	v_add_f32_e32 v14, v14, v17
	v_exp_f32_e32 v14, v14
	s_waitcnt_depctr 0xfff
	v_ldexp_f32 v14, v14, v16
	s_delay_alu instid0(VALU_DEP_1) | instskip(SKIP_1) | instid1(VALU_DEP_2)
	v_cndmask_b32_e32 v14, 0, v14, vcc_lo
	v_cmp_nlt_f32_e32 vcc_lo, 0x42b17218, v65
	v_cndmask_b32_e32 v14, 0x7f800000, v14, vcc_lo
	s_delay_alu instid0(VALU_DEP_1) | instskip(NEXT) | instid1(VALU_DEP_1)
	v_add_f32_e32 v18, 1.0, v14
	v_cvt_f64_f32_e32 v[16:17], v18
	s_delay_alu instid0(VALU_DEP_1) | instskip(SKIP_1) | instid1(VALU_DEP_1)
	v_frexp_exp_i32_f64_e32 v16, v[16:17]
	v_frexp_mant_f32_e32 v17, v18
	v_cmp_gt_f32_e32 vcc_lo, 0x3f2aaaab, v17
	v_add_f32_e32 v17, -1.0, v18
	s_delay_alu instid0(VALU_DEP_1) | instskip(SKIP_1) | instid1(VALU_DEP_2)
	v_sub_f32_e32 v65, v17, v18
	v_sub_f32_e32 v17, v14, v17
	v_add_f32_e32 v65, 1.0, v65
	s_delay_alu instid0(VALU_DEP_1) | instskip(SKIP_3) | instid1(VALU_DEP_2)
	v_add_f32_e32 v17, v17, v65
	v_cmp_gt_f32_e64 s20, 0x33800000, v14
	v_subrev_co_ci_u32_e32 v16, vcc_lo, 0, v16, vcc_lo
	v_cmp_eq_f32_e32 vcc_lo, 0x7f800000, v14
	v_sub_nc_u32_e32 v19, 0, v16
	v_cvt_f32_i32_e32 v16, v16
	s_or_b32 vcc_lo, s20, vcc_lo
	s_delay_alu instid0(VALU_DEP_2) | instskip(SKIP_1) | instid1(VALU_DEP_2)
	v_ldexp_f32 v18, v18, v19
	v_ldexp_f32 v17, v17, v19
	v_add_f32_e32 v66, 1.0, v18
	v_add_f32_e32 v19, -1.0, v18
	s_delay_alu instid0(VALU_DEP_1) | instskip(NEXT) | instid1(VALU_DEP_3)
	v_add_f32_e32 v67, 1.0, v19
	v_add_f32_e32 v65, -1.0, v66
	s_delay_alu instid0(VALU_DEP_1) | instskip(NEXT) | instid1(VALU_DEP_1)
	v_sub_f32_e32 v65, v18, v65
	v_dual_sub_f32 v18, v18, v67 :: v_dual_add_f32 v65, v17, v65
	s_delay_alu instid0(VALU_DEP_1) | instskip(NEXT) | instid1(VALU_DEP_2)
	v_add_f32_e32 v67, v66, v65
	v_add_f32_e32 v17, v17, v18
	s_delay_alu instid0(VALU_DEP_2) | instskip(SKIP_1) | instid1(VALU_DEP_1)
	v_rcp_f32_e32 v18, v67
	v_sub_f32_e32 v66, v66, v67
	v_dual_add_f32 v68, v19, v17 :: v_dual_add_f32 v65, v65, v66
	s_delay_alu instid0(VALU_DEP_1) | instskip(SKIP_2) | instid1(VALU_DEP_1)
	v_sub_f32_e32 v19, v19, v68
	s_waitcnt_depctr 0xfff
	v_mul_f32_e32 v69, v68, v18
	v_mul_f32_e32 v70, v67, v69
	s_delay_alu instid0(VALU_DEP_1) | instskip(NEXT) | instid1(VALU_DEP_1)
	v_fma_f32 v66, v69, v67, -v70
	v_fmac_f32_e32 v66, v69, v65
	s_delay_alu instid0(VALU_DEP_1) | instskip(NEXT) | instid1(VALU_DEP_1)
	v_add_f32_e32 v71, v70, v66
	v_sub_f32_e32 v72, v68, v71
	s_delay_alu instid0(VALU_DEP_1) | instskip(NEXT) | instid1(VALU_DEP_1)
	v_dual_sub_f32 v68, v68, v72 :: v_dual_add_f32 v17, v17, v19
	v_dual_sub_f32 v19, v71, v70 :: v_dual_sub_f32 v68, v68, v71
	s_delay_alu instid0(VALU_DEP_1) | instskip(NEXT) | instid1(VALU_DEP_2)
	v_sub_f32_e32 v19, v19, v66
	v_add_f32_e32 v17, v17, v68
	s_delay_alu instid0(VALU_DEP_1) | instskip(NEXT) | instid1(VALU_DEP_1)
	v_add_f32_e32 v17, v19, v17
	v_add_f32_e32 v19, v72, v17
	s_delay_alu instid0(VALU_DEP_1) | instskip(NEXT) | instid1(VALU_DEP_1)
	v_mul_f32_e32 v66, v18, v19
	v_dual_sub_f32 v71, v72, v19 :: v_dual_mul_f32 v68, v67, v66
	s_delay_alu instid0(VALU_DEP_1) | instskip(NEXT) | instid1(VALU_DEP_2)
	v_add_f32_e32 v17, v17, v71
	v_fma_f32 v67, v66, v67, -v68
	s_delay_alu instid0(VALU_DEP_1) | instskip(NEXT) | instid1(VALU_DEP_1)
	v_fmac_f32_e32 v67, v66, v65
	v_add_f32_e32 v65, v68, v67
	s_delay_alu instid0(VALU_DEP_1) | instskip(NEXT) | instid1(VALU_DEP_1)
	v_sub_f32_e32 v70, v19, v65
	v_dual_sub_f32 v68, v65, v68 :: v_dual_sub_f32 v19, v19, v70
	s_delay_alu instid0(VALU_DEP_1) | instskip(NEXT) | instid1(VALU_DEP_2)
	v_sub_f32_e32 v19, v19, v65
	v_sub_f32_e32 v65, v68, v67
	s_delay_alu instid0(VALU_DEP_2) | instskip(SKIP_1) | instid1(VALU_DEP_2)
	v_add_f32_e32 v17, v17, v19
	v_add_f32_e32 v19, v69, v66
	;; [unrolled: 1-line block ×3, first 2 shown]
	s_delay_alu instid0(VALU_DEP_2) | instskip(NEXT) | instid1(VALU_DEP_2)
	v_sub_f32_e32 v65, v19, v69
	v_add_f32_e32 v17, v70, v17
	s_delay_alu instid0(VALU_DEP_2) | instskip(NEXT) | instid1(VALU_DEP_2)
	v_sub_f32_e32 v65, v66, v65
	v_mul_f32_e32 v17, v18, v17
	s_delay_alu instid0(VALU_DEP_1) | instskip(NEXT) | instid1(VALU_DEP_1)
	v_add_f32_e32 v17, v65, v17
	v_add_f32_e32 v18, v19, v17
	s_delay_alu instid0(VALU_DEP_1) | instskip(NEXT) | instid1(VALU_DEP_1)
	v_mul_f32_e32 v65, v18, v18
	v_fmaak_f32 v66, s31, v65, 0x3ecc95a3
	v_mul_f32_e32 v67, v18, v65
	s_delay_alu instid0(VALU_DEP_2) | instskip(SKIP_1) | instid1(VALU_DEP_2)
	v_fmaak_f32 v65, v65, v66, 0x3f2aaada
	v_ldexp_f32 v66, v18, 1
	v_dual_sub_f32 v18, v18, v19 :: v_dual_mul_f32 v65, v67, v65
	v_mul_f32_e32 v67, 0x3f317218, v16
	s_delay_alu instid0(VALU_DEP_2) | instskip(NEXT) | instid1(VALU_DEP_3)
	v_sub_f32_e32 v17, v17, v18
	v_add_f32_e32 v19, v66, v65
	s_delay_alu instid0(VALU_DEP_2) | instskip(NEXT) | instid1(VALU_DEP_2)
	v_ldexp_f32 v17, v17, 1
	v_sub_f32_e32 v18, v19, v66
	v_fma_f32 v66, 0x3f317218, v16, -v67
	s_delay_alu instid0(VALU_DEP_2) | instskip(NEXT) | instid1(VALU_DEP_2)
	v_sub_f32_e32 v18, v65, v18
	v_fmac_f32_e32 v66, 0xb102e308, v16
	s_delay_alu instid0(VALU_DEP_2) | instskip(NEXT) | instid1(VALU_DEP_2)
	v_add_f32_e32 v16, v17, v18
	v_add_f32_e32 v17, v67, v66
	s_delay_alu instid0(VALU_DEP_1) | instskip(NEXT) | instid1(VALU_DEP_1)
	v_dual_add_f32 v18, v19, v16 :: v_dual_sub_f32 v67, v17, v67
	v_add_f32_e32 v65, v17, v18
	v_sub_f32_e32 v19, v18, v19
	s_delay_alu instid0(VALU_DEP_3) | instskip(NEXT) | instid1(VALU_DEP_3)
	v_sub_f32_e32 v66, v66, v67
	v_sub_f32_e32 v68, v65, v17
	s_delay_alu instid0(VALU_DEP_1) | instskip(SKIP_1) | instid1(VALU_DEP_2)
	v_dual_sub_f32 v16, v16, v19 :: v_dual_sub_f32 v69, v65, v68
	v_sub_f32_e32 v18, v18, v68
	v_add_f32_e32 v19, v66, v16
	s_delay_alu instid0(VALU_DEP_3) | instskip(NEXT) | instid1(VALU_DEP_1)
	v_sub_f32_e32 v17, v17, v69
	v_dual_add_f32 v17, v18, v17 :: v_dual_sub_f32 v18, v19, v66
	s_delay_alu instid0(VALU_DEP_1) | instskip(NEXT) | instid1(VALU_DEP_2)
	v_add_f32_e32 v17, v19, v17
	v_sub_f32_e32 v19, v19, v18
	s_delay_alu instid0(VALU_DEP_2) | instskip(NEXT) | instid1(VALU_DEP_1)
	v_dual_sub_f32 v16, v16, v18 :: v_dual_add_f32 v67, v65, v17
	v_dual_sub_f32 v19, v66, v19 :: v_dual_sub_f32 v18, v67, v65
	s_delay_alu instid0(VALU_DEP_1) | instskip(NEXT) | instid1(VALU_DEP_1)
	v_dual_add_f32 v16, v16, v19 :: v_dual_sub_f32 v17, v17, v18
	v_add_f32_e32 v16, v16, v17
	s_delay_alu instid0(VALU_DEP_1) | instskip(NEXT) | instid1(VALU_DEP_1)
	v_add_f32_e32 v16, v67, v16
	v_cndmask_b32_e32 v65, v16, v14, vcc_lo
.LBB136_48:                             ;   in Loop: Header=BB136_12 Depth=1
	s_or_b32 exec_lo, exec_lo, s21
	v_add_f32_e32 v66, s64, v15
	s_delay_alu instid0(VALU_DEP_1) | instskip(SKIP_1) | instid1(SALU_CYCLE_1)
	v_cmp_ge_f32_e32 vcc_lo, 0x41a00000, v66
	s_and_b32 s20, s75, vcc_lo
	s_and_saveexec_b32 s21, s20
	s_cbranch_execz .LBB136_50
; %bb.49:                               ;   in Loop: Header=BB136_12 Depth=1
	v_mul_f32_e32 v14, 0x3fb8aa3b, v66
	v_cmp_ngt_f32_e32 vcc_lo, 0xc2ce8ed0, v66
	s_delay_alu instid0(VALU_DEP_2) | instskip(SKIP_1) | instid1(VALU_DEP_2)
	v_rndne_f32_e32 v15, v14
	v_fma_f32 v16, 0x3fb8aa3b, v66, -v14
	v_sub_f32_e32 v14, v14, v15
	s_delay_alu instid0(VALU_DEP_2) | instskip(SKIP_1) | instid1(VALU_DEP_2)
	v_fmac_f32_e32 v16, 0x32a5705f, v66
	v_cvt_i32_f32_e32 v15, v15
	v_add_f32_e32 v14, v14, v16
	s_delay_alu instid0(VALU_DEP_1) | instskip(SKIP_2) | instid1(VALU_DEP_1)
	v_exp_f32_e32 v14, v14
	s_waitcnt_depctr 0xfff
	v_ldexp_f32 v14, v14, v15
	v_cndmask_b32_e32 v14, 0, v14, vcc_lo
	v_cmp_nlt_f32_e32 vcc_lo, 0x42b17218, v66
	s_delay_alu instid0(VALU_DEP_2) | instskip(NEXT) | instid1(VALU_DEP_1)
	v_cndmask_b32_e32 v16, 0x7f800000, v14, vcc_lo
	v_add_f32_e32 v17, 1.0, v16
	s_delay_alu instid0(VALU_DEP_1) | instskip(NEXT) | instid1(VALU_DEP_1)
	v_cvt_f64_f32_e32 v[14:15], v17
	v_frexp_exp_i32_f64_e32 v14, v[14:15]
	v_frexp_mant_f32_e32 v15, v17
	s_delay_alu instid0(VALU_DEP_1) | instskip(SKIP_1) | instid1(VALU_DEP_1)
	v_cmp_gt_f32_e32 vcc_lo, 0x3f2aaaab, v15
	v_add_f32_e32 v15, -1.0, v17
	v_sub_f32_e32 v19, v15, v17
	v_sub_f32_e32 v15, v16, v15
	s_delay_alu instid0(VALU_DEP_2) | instskip(NEXT) | instid1(VALU_DEP_1)
	v_add_f32_e32 v19, 1.0, v19
	v_add_f32_e32 v15, v15, v19
	v_cmp_gt_f32_e64 s20, 0x33800000, v16
	v_subrev_co_ci_u32_e32 v14, vcc_lo, 0, v14, vcc_lo
	v_cmp_eq_f32_e32 vcc_lo, 0x7f800000, v16
	s_delay_alu instid0(VALU_DEP_2) | instskip(SKIP_2) | instid1(VALU_DEP_2)
	v_sub_nc_u32_e32 v18, 0, v14
	v_cvt_f32_i32_e32 v14, v14
	s_or_b32 vcc_lo, s20, vcc_lo
	v_ldexp_f32 v17, v17, v18
	v_ldexp_f32 v15, v15, v18
	s_delay_alu instid0(VALU_DEP_2) | instskip(NEXT) | instid1(VALU_DEP_1)
	v_add_f32_e32 v66, 1.0, v17
	v_dual_add_f32 v18, -1.0, v17 :: v_dual_add_f32 v19, -1.0, v66
	s_delay_alu instid0(VALU_DEP_1) | instskip(NEXT) | instid1(VALU_DEP_2)
	v_add_f32_e32 v67, 1.0, v18
	v_sub_f32_e32 v19, v17, v19
	s_delay_alu instid0(VALU_DEP_2) | instskip(NEXT) | instid1(VALU_DEP_2)
	v_sub_f32_e32 v17, v17, v67
	v_add_f32_e32 v19, v15, v19
	s_delay_alu instid0(VALU_DEP_2) | instskip(NEXT) | instid1(VALU_DEP_1)
	v_add_f32_e32 v15, v15, v17
	v_add_f32_e32 v68, v18, v15
	s_delay_alu instid0(VALU_DEP_1) | instskip(NEXT) | instid1(VALU_DEP_4)
	v_sub_f32_e32 v18, v18, v68
	v_add_f32_e32 v67, v66, v19
	s_delay_alu instid0(VALU_DEP_1) | instskip(NEXT) | instid1(VALU_DEP_2)
	v_rcp_f32_e32 v17, v67
	v_dual_sub_f32 v66, v66, v67 :: v_dual_add_f32 v15, v15, v18
	s_delay_alu instid0(VALU_DEP_1) | instskip(SKIP_2) | instid1(VALU_DEP_1)
	v_add_f32_e32 v19, v19, v66
	s_waitcnt_depctr 0xfff
	v_mul_f32_e32 v69, v68, v17
	v_mul_f32_e32 v70, v67, v69
	s_delay_alu instid0(VALU_DEP_1) | instskip(NEXT) | instid1(VALU_DEP_1)
	v_fma_f32 v66, v69, v67, -v70
	v_fmac_f32_e32 v66, v69, v19
	s_delay_alu instid0(VALU_DEP_1) | instskip(NEXT) | instid1(VALU_DEP_1)
	v_add_f32_e32 v71, v70, v66
	v_sub_f32_e32 v72, v68, v71
	v_sub_f32_e32 v18, v71, v70
	s_delay_alu instid0(VALU_DEP_2) | instskip(NEXT) | instid1(VALU_DEP_1)
	v_sub_f32_e32 v68, v68, v72
	v_sub_f32_e32 v68, v68, v71
	s_delay_alu instid0(VALU_DEP_1) | instskip(NEXT) | instid1(VALU_DEP_1)
	v_dual_sub_f32 v18, v18, v66 :: v_dual_add_f32 v15, v15, v68
	v_add_f32_e32 v15, v18, v15
	s_delay_alu instid0(VALU_DEP_1) | instskip(NEXT) | instid1(VALU_DEP_1)
	v_add_f32_e32 v18, v72, v15
	v_mul_f32_e32 v66, v17, v18
	v_sub_f32_e32 v71, v72, v18
	s_delay_alu instid0(VALU_DEP_2) | instskip(NEXT) | instid1(VALU_DEP_2)
	v_mul_f32_e32 v68, v67, v66
	v_add_f32_e32 v15, v15, v71
	s_delay_alu instid0(VALU_DEP_2) | instskip(NEXT) | instid1(VALU_DEP_1)
	v_fma_f32 v67, v66, v67, -v68
	v_fmac_f32_e32 v67, v66, v19
	s_delay_alu instid0(VALU_DEP_1) | instskip(NEXT) | instid1(VALU_DEP_1)
	v_add_f32_e32 v19, v68, v67
	v_sub_f32_e32 v70, v18, v19
	s_delay_alu instid0(VALU_DEP_1) | instskip(NEXT) | instid1(VALU_DEP_1)
	v_sub_f32_e32 v18, v18, v70
	v_sub_f32_e32 v18, v18, v19
	s_delay_alu instid0(VALU_DEP_1) | instskip(SKIP_2) | instid1(VALU_DEP_1)
	v_add_f32_e32 v15, v15, v18
	v_add_f32_e32 v18, v69, v66
	v_sub_f32_e32 v68, v19, v68
	v_sub_f32_e32 v19, v68, v67
	s_delay_alu instid0(VALU_DEP_1) | instskip(NEXT) | instid1(VALU_DEP_4)
	v_add_f32_e32 v15, v19, v15
	v_sub_f32_e32 v19, v18, v69
	s_delay_alu instid0(VALU_DEP_2) | instskip(NEXT) | instid1(VALU_DEP_2)
	v_add_f32_e32 v15, v70, v15
	v_sub_f32_e32 v19, v66, v19
	s_delay_alu instid0(VALU_DEP_2) | instskip(NEXT) | instid1(VALU_DEP_1)
	v_mul_f32_e32 v15, v17, v15
	v_add_f32_e32 v15, v19, v15
	s_delay_alu instid0(VALU_DEP_1) | instskip(NEXT) | instid1(VALU_DEP_1)
	v_add_f32_e32 v17, v18, v15
	v_mul_f32_e32 v19, v17, v17
	s_delay_alu instid0(VALU_DEP_1) | instskip(SKIP_1) | instid1(VALU_DEP_2)
	v_fmaak_f32 v66, s31, v19, 0x3ecc95a3
	v_mul_f32_e32 v67, v17, v19
	v_fmaak_f32 v19, v19, v66, 0x3f2aaada
	v_ldexp_f32 v66, v17, 1
	v_sub_f32_e32 v17, v17, v18
	s_delay_alu instid0(VALU_DEP_3) | instskip(SKIP_1) | instid1(VALU_DEP_2)
	v_mul_f32_e32 v19, v67, v19
	v_mul_f32_e32 v67, 0x3f317218, v14
	v_dual_sub_f32 v15, v15, v17 :: v_dual_add_f32 v18, v66, v19
	s_delay_alu instid0(VALU_DEP_1) | instskip(NEXT) | instid1(VALU_DEP_2)
	v_ldexp_f32 v15, v15, 1
	v_sub_f32_e32 v17, v18, v66
	s_delay_alu instid0(VALU_DEP_4) | instskip(NEXT) | instid1(VALU_DEP_1)
	v_fma_f32 v66, 0x3f317218, v14, -v67
	v_dual_sub_f32 v17, v19, v17 :: v_dual_fmac_f32 v66, 0xb102e308, v14
	s_delay_alu instid0(VALU_DEP_1) | instskip(NEXT) | instid1(VALU_DEP_1)
	v_add_f32_e32 v14, v15, v17
	v_add_f32_e32 v17, v18, v14
	s_delay_alu instid0(VALU_DEP_1) | instskip(NEXT) | instid1(VALU_DEP_1)
	v_sub_f32_e32 v18, v17, v18
	v_sub_f32_e32 v14, v14, v18
	v_add_f32_e32 v15, v67, v66
	s_delay_alu instid0(VALU_DEP_1) | instskip(SKIP_1) | instid1(VALU_DEP_2)
	v_add_f32_e32 v19, v15, v17
	v_sub_f32_e32 v67, v15, v67
	v_sub_f32_e32 v68, v19, v15
	s_delay_alu instid0(VALU_DEP_1) | instskip(NEXT) | instid1(VALU_DEP_1)
	v_dual_sub_f32 v66, v66, v67 :: v_dual_sub_f32 v69, v19, v68
	v_dual_sub_f32 v17, v17, v68 :: v_dual_add_f32 v18, v66, v14
	s_delay_alu instid0(VALU_DEP_2) | instskip(NEXT) | instid1(VALU_DEP_1)
	v_sub_f32_e32 v15, v15, v69
	v_add_f32_e32 v15, v17, v15
	s_delay_alu instid0(VALU_DEP_3) | instskip(NEXT) | instid1(VALU_DEP_2)
	v_sub_f32_e32 v17, v18, v66
	v_add_f32_e32 v15, v18, v15
	s_delay_alu instid0(VALU_DEP_2) | instskip(NEXT) | instid1(VALU_DEP_2)
	v_sub_f32_e32 v18, v18, v17
	v_dual_sub_f32 v14, v14, v17 :: v_dual_add_f32 v67, v19, v15
	s_delay_alu instid0(VALU_DEP_1) | instskip(NEXT) | instid1(VALU_DEP_1)
	v_dual_sub_f32 v18, v66, v18 :: v_dual_sub_f32 v17, v67, v19
	v_dual_add_f32 v14, v14, v18 :: v_dual_sub_f32 v15, v15, v17
	s_delay_alu instid0(VALU_DEP_1) | instskip(NEXT) | instid1(VALU_DEP_1)
	v_add_f32_e32 v14, v14, v15
	v_add_f32_e32 v14, v67, v14
	s_delay_alu instid0(VALU_DEP_1)
	v_cndmask_b32_e32 v66, v14, v16, vcc_lo
.LBB136_50:                             ;   in Loop: Header=BB136_12 Depth=1
	s_or_b32 exec_lo, exec_lo, s21
	s_waitcnt lgkmcnt(1)
	v_add_f32_e32 v72, s64, v12
	s_delay_alu instid0(VALU_DEP_1) | instskip(SKIP_1) | instid1(SALU_CYCLE_1)
	v_cmp_ge_f32_e32 vcc_lo, 0x41a00000, v72
	s_and_b32 s20, s75, vcc_lo
	s_and_saveexec_b32 s21, s20
	s_cbranch_execz .LBB136_52
; %bb.51:                               ;   in Loop: Header=BB136_12 Depth=1
	v_mul_f32_e32 v12, 0x3fb8aa3b, v72
	v_cmp_ngt_f32_e32 vcc_lo, 0xc2ce8ed0, v72
	s_delay_alu instid0(VALU_DEP_2) | instskip(SKIP_1) | instid1(VALU_DEP_1)
	v_rndne_f32_e32 v14, v12
	v_fma_f32 v15, 0x3fb8aa3b, v72, -v12
	v_dual_sub_f32 v12, v12, v14 :: v_dual_fmac_f32 v15, 0x32a5705f, v72
	v_cvt_i32_f32_e32 v14, v14
	s_delay_alu instid0(VALU_DEP_2) | instskip(NEXT) | instid1(VALU_DEP_1)
	v_add_f32_e32 v12, v12, v15
	v_exp_f32_e32 v12, v12
	s_waitcnt_depctr 0xfff
	v_ldexp_f32 v12, v12, v14
	s_delay_alu instid0(VALU_DEP_1) | instskip(SKIP_1) | instid1(VALU_DEP_2)
	v_cndmask_b32_e32 v12, 0, v12, vcc_lo
	v_cmp_nlt_f32_e32 vcc_lo, 0x42b17218, v72
	v_cndmask_b32_e32 v12, 0x7f800000, v12, vcc_lo
	s_delay_alu instid0(VALU_DEP_1) | instskip(NEXT) | instid1(VALU_DEP_1)
	v_add_f32_e32 v16, 1.0, v12
	v_cvt_f64_f32_e32 v[14:15], v16
	s_delay_alu instid0(VALU_DEP_1) | instskip(SKIP_1) | instid1(VALU_DEP_1)
	v_frexp_exp_i32_f64_e32 v14, v[14:15]
	v_frexp_mant_f32_e32 v15, v16
	v_cmp_gt_f32_e32 vcc_lo, 0x3f2aaaab, v15
	v_add_f32_e32 v15, -1.0, v16
	s_delay_alu instid0(VALU_DEP_1) | instskip(SKIP_1) | instid1(VALU_DEP_1)
	v_dual_sub_f32 v18, v15, v16 :: v_dual_sub_f32 v15, v12, v15
	v_subrev_co_ci_u32_e32 v14, vcc_lo, 0, v14, vcc_lo
	v_sub_nc_u32_e32 v17, 0, v14
	v_cvt_f32_i32_e32 v14, v14
	s_delay_alu instid0(VALU_DEP_2) | instskip(NEXT) | instid1(VALU_DEP_1)
	v_ldexp_f32 v16, v16, v17
	v_dual_add_f32 v18, 1.0, v18 :: v_dual_add_f32 v19, 1.0, v16
	s_delay_alu instid0(VALU_DEP_1) | instskip(NEXT) | instid1(VALU_DEP_1)
	v_dual_add_f32 v15, v15, v18 :: v_dual_add_f32 v18, -1.0, v19
	v_ldexp_f32 v15, v15, v17
	s_delay_alu instid0(VALU_DEP_2) | instskip(NEXT) | instid1(VALU_DEP_1)
	v_dual_add_f32 v17, -1.0, v16 :: v_dual_sub_f32 v18, v16, v18
	v_dual_add_f32 v67, 1.0, v17 :: v_dual_add_f32 v18, v15, v18
	s_delay_alu instid0(VALU_DEP_1) | instskip(SKIP_1) | instid1(VALU_DEP_2)
	v_dual_sub_f32 v16, v16, v67 :: v_dual_add_f32 v67, v19, v18
	v_cmp_eq_f32_e32 vcc_lo, 0x7f800000, v12
	v_add_f32_e32 v15, v15, v16
	v_cmp_gt_f32_e64 s20, 0x33800000, v12
	s_delay_alu instid0(VALU_DEP_4) | instskip(NEXT) | instid1(VALU_DEP_2)
	v_rcp_f32_e32 v16, v67
	v_add_f32_e32 v68, v17, v15
	s_delay_alu instid0(VALU_DEP_2) | instskip(NEXT) | instid1(VALU_DEP_1)
	s_or_b32 vcc_lo, s20, vcc_lo
	v_sub_f32_e32 v17, v17, v68
	s_delay_alu instid0(VALU_DEP_1) | instskip(SKIP_3) | instid1(VALU_DEP_2)
	v_add_f32_e32 v15, v15, v17
	s_waitcnt_depctr 0xfff
	v_mul_f32_e32 v69, v68, v16
	v_sub_f32_e32 v19, v19, v67
	v_mul_f32_e32 v70, v67, v69
	s_delay_alu instid0(VALU_DEP_2) | instskip(NEXT) | instid1(VALU_DEP_2)
	v_add_f32_e32 v18, v18, v19
	v_fma_f32 v19, v69, v67, -v70
	s_delay_alu instid0(VALU_DEP_1) | instskip(NEXT) | instid1(VALU_DEP_1)
	v_fmac_f32_e32 v19, v69, v18
	v_add_f32_e32 v71, v70, v19
	s_delay_alu instid0(VALU_DEP_1) | instskip(NEXT) | instid1(VALU_DEP_1)
	v_dual_sub_f32 v17, v71, v70 :: v_dual_sub_f32 v72, v68, v71
	v_dual_sub_f32 v17, v17, v19 :: v_dual_sub_f32 v68, v68, v72
	s_delay_alu instid0(VALU_DEP_1) | instskip(NEXT) | instid1(VALU_DEP_1)
	v_sub_f32_e32 v68, v68, v71
	v_add_f32_e32 v15, v15, v68
	s_delay_alu instid0(VALU_DEP_1) | instskip(NEXT) | instid1(VALU_DEP_1)
	v_add_f32_e32 v15, v17, v15
	v_add_f32_e32 v17, v72, v15
	s_delay_alu instid0(VALU_DEP_1) | instskip(NEXT) | instid1(VALU_DEP_1)
	v_mul_f32_e32 v19, v16, v17
	v_dual_sub_f32 v71, v72, v17 :: v_dual_mul_f32 v68, v67, v19
	s_delay_alu instid0(VALU_DEP_1) | instskip(NEXT) | instid1(VALU_DEP_1)
	v_fma_f32 v67, v19, v67, -v68
	v_fmac_f32_e32 v67, v19, v18
	s_delay_alu instid0(VALU_DEP_1) | instskip(NEXT) | instid1(VALU_DEP_1)
	v_add_f32_e32 v18, v68, v67
	v_sub_f32_e32 v70, v17, v18
	s_delay_alu instid0(VALU_DEP_1) | instskip(SKIP_1) | instid1(VALU_DEP_2)
	v_dual_sub_f32 v17, v17, v70 :: v_dual_sub_f32 v68, v18, v68
	v_add_f32_e32 v15, v15, v71
	v_dual_sub_f32 v17, v17, v18 :: v_dual_sub_f32 v18, v68, v67
	s_delay_alu instid0(VALU_DEP_1) | instskip(SKIP_1) | instid1(VALU_DEP_1)
	v_add_f32_e32 v15, v15, v17
	v_add_f32_e32 v17, v69, v19
	v_dual_add_f32 v15, v18, v15 :: v_dual_sub_f32 v18, v17, v69
	s_delay_alu instid0(VALU_DEP_1) | instskip(NEXT) | instid1(VALU_DEP_1)
	v_dual_add_f32 v15, v70, v15 :: v_dual_sub_f32 v18, v19, v18
	v_mul_f32_e32 v15, v16, v15
	s_delay_alu instid0(VALU_DEP_1) | instskip(NEXT) | instid1(VALU_DEP_1)
	v_add_f32_e32 v15, v18, v15
	v_add_f32_e32 v16, v17, v15
	s_delay_alu instid0(VALU_DEP_1) | instskip(NEXT) | instid1(VALU_DEP_1)
	v_mul_f32_e32 v18, v16, v16
	v_fmaak_f32 v19, s31, v18, 0x3ecc95a3
	s_delay_alu instid0(VALU_DEP_1) | instskip(SKIP_1) | instid1(VALU_DEP_2)
	v_dual_mul_f32 v67, v16, v18 :: v_dual_fmaak_f32 v18, v18, v19, 0x3f2aaada
	v_ldexp_f32 v19, v16, 1
	v_mul_f32_e32 v18, v67, v18
	s_delay_alu instid0(VALU_DEP_1) | instskip(NEXT) | instid1(VALU_DEP_1)
	v_dual_sub_f32 v16, v16, v17 :: v_dual_add_f32 v17, v19, v18
	v_dual_sub_f32 v15, v15, v16 :: v_dual_sub_f32 v16, v17, v19
	s_delay_alu instid0(VALU_DEP_1) | instskip(NEXT) | instid1(VALU_DEP_2)
	v_ldexp_f32 v15, v15, 1
	v_dual_sub_f32 v16, v18, v16 :: v_dual_mul_f32 v67, 0x3f317218, v14
	s_delay_alu instid0(VALU_DEP_1) | instskip(NEXT) | instid1(VALU_DEP_1)
	v_fma_f32 v19, 0x3f317218, v14, -v67
	v_dual_fmac_f32 v19, 0xb102e308, v14 :: v_dual_add_f32 v14, v15, v16
	s_delay_alu instid0(VALU_DEP_1) | instskip(NEXT) | instid1(VALU_DEP_1)
	v_dual_add_f32 v15, v67, v19 :: v_dual_add_f32 v16, v17, v14
	v_sub_f32_e32 v67, v15, v67
	s_delay_alu instid0(VALU_DEP_2) | instskip(NEXT) | instid1(VALU_DEP_2)
	v_add_f32_e32 v18, v15, v16
	v_sub_f32_e32 v19, v19, v67
	s_delay_alu instid0(VALU_DEP_2) | instskip(NEXT) | instid1(VALU_DEP_1)
	v_dual_sub_f32 v68, v18, v15 :: v_dual_sub_f32 v17, v16, v17
	v_sub_f32_e32 v16, v16, v68
	s_delay_alu instid0(VALU_DEP_2) | instskip(NEXT) | instid1(VALU_DEP_1)
	v_sub_f32_e32 v14, v14, v17
	v_add_f32_e32 v17, v19, v14
	v_sub_f32_e32 v69, v18, v68
	s_delay_alu instid0(VALU_DEP_1) | instskip(NEXT) | instid1(VALU_DEP_1)
	v_sub_f32_e32 v15, v15, v69
	v_add_f32_e32 v15, v16, v15
	s_delay_alu instid0(VALU_DEP_4) | instskip(NEXT) | instid1(VALU_DEP_2)
	v_sub_f32_e32 v16, v17, v19
	v_add_f32_e32 v15, v17, v15
	s_delay_alu instid0(VALU_DEP_2) | instskip(SKIP_1) | instid1(VALU_DEP_3)
	v_sub_f32_e32 v17, v17, v16
	v_sub_f32_e32 v14, v14, v16
	v_add_f32_e32 v67, v18, v15
	s_delay_alu instid0(VALU_DEP_3) | instskip(NEXT) | instid1(VALU_DEP_2)
	v_sub_f32_e32 v17, v19, v17
	v_sub_f32_e32 v16, v67, v18
	s_delay_alu instid0(VALU_DEP_1) | instskip(NEXT) | instid1(VALU_DEP_1)
	v_dual_add_f32 v14, v14, v17 :: v_dual_sub_f32 v15, v15, v16
	v_add_f32_e32 v14, v14, v15
	s_delay_alu instid0(VALU_DEP_1) | instskip(NEXT) | instid1(VALU_DEP_1)
	v_add_f32_e32 v14, v67, v14
	v_cndmask_b32_e32 v72, v14, v12, vcc_lo
.LBB136_52:                             ;   in Loop: Header=BB136_12 Depth=1
	s_or_b32 exec_lo, exec_lo, s21
	v_add_f32_e32 v76, s64, v13
	s_delay_alu instid0(VALU_DEP_1) | instskip(SKIP_1) | instid1(SALU_CYCLE_1)
	v_cmp_ge_f32_e32 vcc_lo, 0x41a00000, v76
	s_and_b32 s20, s75, vcc_lo
	s_and_saveexec_b32 s21, s20
	s_cbranch_execz .LBB136_54
; %bb.53:                               ;   in Loop: Header=BB136_12 Depth=1
	v_mul_f32_e32 v12, 0x3fb8aa3b, v76
	v_cmp_ngt_f32_e32 vcc_lo, 0xc2ce8ed0, v76
	s_delay_alu instid0(VALU_DEP_2) | instskip(SKIP_1) | instid1(VALU_DEP_2)
	v_rndne_f32_e32 v13, v12
	v_fma_f32 v14, 0x3fb8aa3b, v76, -v12
	v_sub_f32_e32 v12, v12, v13
	s_delay_alu instid0(VALU_DEP_2) | instskip(SKIP_1) | instid1(VALU_DEP_2)
	v_fmac_f32_e32 v14, 0x32a5705f, v76
	v_cvt_i32_f32_e32 v13, v13
	v_add_f32_e32 v12, v12, v14
	s_delay_alu instid0(VALU_DEP_1) | instskip(SKIP_2) | instid1(VALU_DEP_1)
	v_exp_f32_e32 v12, v12
	s_waitcnt_depctr 0xfff
	v_ldexp_f32 v12, v12, v13
	v_cndmask_b32_e32 v12, 0, v12, vcc_lo
	v_cmp_nlt_f32_e32 vcc_lo, 0x42b17218, v76
	s_delay_alu instid0(VALU_DEP_2) | instskip(NEXT) | instid1(VALU_DEP_1)
	v_cndmask_b32_e32 v14, 0x7f800000, v12, vcc_lo
	v_add_f32_e32 v15, 1.0, v14
	s_delay_alu instid0(VALU_DEP_1) | instskip(NEXT) | instid1(VALU_DEP_1)
	v_cvt_f64_f32_e32 v[12:13], v15
	v_frexp_exp_i32_f64_e32 v12, v[12:13]
	v_frexp_mant_f32_e32 v13, v15
	s_delay_alu instid0(VALU_DEP_1) | instskip(SKIP_1) | instid1(VALU_DEP_1)
	v_cmp_gt_f32_e32 vcc_lo, 0x3f2aaaab, v13
	v_add_f32_e32 v13, -1.0, v15
	v_sub_f32_e32 v17, v13, v15
	v_sub_f32_e32 v13, v14, v13
	s_delay_alu instid0(VALU_DEP_2) | instskip(NEXT) | instid1(VALU_DEP_1)
	v_add_f32_e32 v17, 1.0, v17
	v_add_f32_e32 v13, v13, v17
	v_cmp_gt_f32_e64 s20, 0x33800000, v14
	v_subrev_co_ci_u32_e32 v12, vcc_lo, 0, v12, vcc_lo
	v_cmp_eq_f32_e32 vcc_lo, 0x7f800000, v14
	s_delay_alu instid0(VALU_DEP_2) | instskip(SKIP_2) | instid1(VALU_DEP_2)
	v_sub_nc_u32_e32 v16, 0, v12
	v_cvt_f32_i32_e32 v12, v12
	s_or_b32 vcc_lo, s20, vcc_lo
	v_ldexp_f32 v15, v15, v16
	v_ldexp_f32 v13, v13, v16
	s_delay_alu instid0(VALU_DEP_2) | instskip(NEXT) | instid1(VALU_DEP_1)
	v_add_f32_e32 v18, 1.0, v15
	v_dual_add_f32 v16, -1.0, v15 :: v_dual_add_f32 v17, -1.0, v18
	s_delay_alu instid0(VALU_DEP_1) | instskip(NEXT) | instid1(VALU_DEP_2)
	v_add_f32_e32 v19, 1.0, v16
	v_sub_f32_e32 v17, v15, v17
	s_delay_alu instid0(VALU_DEP_2) | instskip(NEXT) | instid1(VALU_DEP_2)
	v_sub_f32_e32 v15, v15, v19
	v_add_f32_e32 v17, v13, v17
	s_delay_alu instid0(VALU_DEP_2) | instskip(NEXT) | instid1(VALU_DEP_2)
	v_add_f32_e32 v13, v13, v15
	v_add_f32_e32 v19, v18, v17
	s_delay_alu instid0(VALU_DEP_1) | instskip(NEXT) | instid1(VALU_DEP_2)
	v_rcp_f32_e32 v15, v19
	v_dual_add_f32 v67, v16, v13 :: v_dual_sub_f32 v18, v18, v19
	s_delay_alu instid0(VALU_DEP_1) | instskip(SKIP_2) | instid1(VALU_DEP_1)
	v_dual_sub_f32 v16, v16, v67 :: v_dual_add_f32 v17, v17, v18
	s_waitcnt_depctr 0xfff
	v_dual_mul_f32 v68, v67, v15 :: v_dual_add_f32 v13, v13, v16
	v_mul_f32_e32 v69, v19, v68
	s_delay_alu instid0(VALU_DEP_1) | instskip(NEXT) | instid1(VALU_DEP_1)
	v_fma_f32 v18, v68, v19, -v69
	v_fmac_f32_e32 v18, v68, v17
	s_delay_alu instid0(VALU_DEP_1) | instskip(NEXT) | instid1(VALU_DEP_1)
	v_add_f32_e32 v70, v69, v18
	v_dual_sub_f32 v71, v67, v70 :: v_dual_sub_f32 v16, v70, v69
	s_delay_alu instid0(VALU_DEP_1) | instskip(NEXT) | instid1(VALU_DEP_1)
	v_dual_sub_f32 v67, v67, v71 :: v_dual_sub_f32 v16, v16, v18
	v_sub_f32_e32 v67, v67, v70
	s_delay_alu instid0(VALU_DEP_1) | instskip(NEXT) | instid1(VALU_DEP_1)
	v_add_f32_e32 v13, v13, v67
	v_add_f32_e32 v13, v16, v13
	s_delay_alu instid0(VALU_DEP_1) | instskip(NEXT) | instid1(VALU_DEP_1)
	v_add_f32_e32 v16, v71, v13
	v_mul_f32_e32 v18, v15, v16
	v_sub_f32_e32 v70, v71, v16
	s_delay_alu instid0(VALU_DEP_2) | instskip(NEXT) | instid1(VALU_DEP_2)
	v_mul_f32_e32 v67, v19, v18
	v_add_f32_e32 v13, v13, v70
	s_delay_alu instid0(VALU_DEP_2) | instskip(NEXT) | instid1(VALU_DEP_1)
	v_fma_f32 v19, v18, v19, -v67
	v_fmac_f32_e32 v19, v18, v17
	s_delay_alu instid0(VALU_DEP_1) | instskip(NEXT) | instid1(VALU_DEP_1)
	v_add_f32_e32 v17, v67, v19
	v_sub_f32_e32 v69, v16, v17
	s_delay_alu instid0(VALU_DEP_1) | instskip(NEXT) | instid1(VALU_DEP_1)
	v_dual_sub_f32 v67, v17, v67 :: v_dual_sub_f32 v16, v16, v69
	v_sub_f32_e32 v16, v16, v17
	s_delay_alu instid0(VALU_DEP_1) | instskip(NEXT) | instid1(VALU_DEP_3)
	v_dual_add_f32 v13, v13, v16 :: v_dual_add_f32 v16, v68, v18
	v_sub_f32_e32 v17, v67, v19
	s_delay_alu instid0(VALU_DEP_1) | instskip(NEXT) | instid1(VALU_DEP_3)
	v_add_f32_e32 v13, v17, v13
	v_sub_f32_e32 v17, v16, v68
	s_delay_alu instid0(VALU_DEP_2) | instskip(NEXT) | instid1(VALU_DEP_2)
	v_add_f32_e32 v13, v69, v13
	v_sub_f32_e32 v17, v18, v17
	s_delay_alu instid0(VALU_DEP_2) | instskip(NEXT) | instid1(VALU_DEP_1)
	v_mul_f32_e32 v13, v15, v13
	v_add_f32_e32 v13, v17, v13
	s_delay_alu instid0(VALU_DEP_1) | instskip(NEXT) | instid1(VALU_DEP_1)
	v_add_f32_e32 v15, v16, v13
	v_mul_f32_e32 v17, v15, v15
	s_delay_alu instid0(VALU_DEP_1) | instskip(SKIP_1) | instid1(VALU_DEP_2)
	v_fmaak_f32 v18, s31, v17, 0x3ecc95a3
	v_mul_f32_e32 v19, v15, v17
	v_fmaak_f32 v17, v17, v18, 0x3f2aaada
	v_ldexp_f32 v18, v15, 1
	v_sub_f32_e32 v15, v15, v16
	s_delay_alu instid0(VALU_DEP_3) | instskip(SKIP_1) | instid1(VALU_DEP_2)
	v_mul_f32_e32 v17, v19, v17
	v_mul_f32_e32 v19, 0x3f317218, v12
	v_dual_sub_f32 v13, v13, v15 :: v_dual_add_f32 v16, v18, v17
	s_delay_alu instid0(VALU_DEP_1) | instskip(NEXT) | instid1(VALU_DEP_2)
	v_ldexp_f32 v13, v13, 1
	v_sub_f32_e32 v15, v16, v18
	s_delay_alu instid0(VALU_DEP_4) | instskip(NEXT) | instid1(VALU_DEP_1)
	v_fma_f32 v18, 0x3f317218, v12, -v19
	v_dual_sub_f32 v15, v17, v15 :: v_dual_fmac_f32 v18, 0xb102e308, v12
	s_delay_alu instid0(VALU_DEP_1) | instskip(NEXT) | instid1(VALU_DEP_1)
	v_dual_add_f32 v12, v13, v15 :: v_dual_add_f32 v13, v19, v18
	v_add_f32_e32 v15, v16, v12
	s_delay_alu instid0(VALU_DEP_2) | instskip(NEXT) | instid1(VALU_DEP_2)
	v_sub_f32_e32 v19, v13, v19
	v_dual_add_f32 v17, v13, v15 :: v_dual_sub_f32 v16, v15, v16
	s_delay_alu instid0(VALU_DEP_1) | instskip(NEXT) | instid1(VALU_DEP_2)
	v_dual_sub_f32 v18, v18, v19 :: v_dual_sub_f32 v67, v17, v13
	v_sub_f32_e32 v12, v12, v16
	s_delay_alu instid0(VALU_DEP_2) | instskip(NEXT) | instid1(VALU_DEP_2)
	v_sub_f32_e32 v68, v17, v67
	v_dual_sub_f32 v15, v15, v67 :: v_dual_add_f32 v16, v18, v12
	s_delay_alu instid0(VALU_DEP_2) | instskip(NEXT) | instid1(VALU_DEP_1)
	v_sub_f32_e32 v13, v13, v68
	v_add_f32_e32 v13, v15, v13
	s_delay_alu instid0(VALU_DEP_3) | instskip(NEXT) | instid1(VALU_DEP_2)
	v_sub_f32_e32 v15, v16, v18
	v_add_f32_e32 v13, v16, v13
	s_delay_alu instid0(VALU_DEP_2) | instskip(NEXT) | instid1(VALU_DEP_2)
	v_sub_f32_e32 v16, v16, v15
	v_dual_sub_f32 v12, v12, v15 :: v_dual_add_f32 v19, v17, v13
	s_delay_alu instid0(VALU_DEP_1) | instskip(NEXT) | instid1(VALU_DEP_1)
	v_dual_sub_f32 v16, v18, v16 :: v_dual_sub_f32 v15, v19, v17
	v_dual_add_f32 v12, v12, v16 :: v_dual_sub_f32 v13, v13, v15
	s_delay_alu instid0(VALU_DEP_1) | instskip(NEXT) | instid1(VALU_DEP_1)
	v_add_f32_e32 v12, v12, v13
	v_add_f32_e32 v12, v19, v12
	s_delay_alu instid0(VALU_DEP_1)
	v_cndmask_b32_e32 v76, v12, v14, vcc_lo
.LBB136_54:                             ;   in Loop: Header=BB136_12 Depth=1
	s_or_b32 exec_lo, exec_lo, s21
	s_waitcnt lgkmcnt(0)
	v_add_f32_e32 v77, s64, v10
	s_delay_alu instid0(VALU_DEP_1) | instskip(SKIP_1) | instid1(SALU_CYCLE_1)
	v_cmp_ge_f32_e32 vcc_lo, 0x41a00000, v77
	s_and_b32 s20, s75, vcc_lo
	s_and_saveexec_b32 s21, s20
	s_cbranch_execz .LBB136_56
; %bb.55:                               ;   in Loop: Header=BB136_12 Depth=1
	v_mul_f32_e32 v10, 0x3fb8aa3b, v77
	v_cmp_ngt_f32_e32 vcc_lo, 0xc2ce8ed0, v77
	s_delay_alu instid0(VALU_DEP_2) | instskip(SKIP_1) | instid1(VALU_DEP_1)
	v_rndne_f32_e32 v12, v10
	v_fma_f32 v13, 0x3fb8aa3b, v77, -v10
	v_dual_sub_f32 v10, v10, v12 :: v_dual_fmac_f32 v13, 0x32a5705f, v77
	v_cvt_i32_f32_e32 v12, v12
	s_delay_alu instid0(VALU_DEP_2) | instskip(NEXT) | instid1(VALU_DEP_1)
	v_add_f32_e32 v10, v10, v13
	v_exp_f32_e32 v10, v10
	s_waitcnt_depctr 0xfff
	v_ldexp_f32 v10, v10, v12
	s_delay_alu instid0(VALU_DEP_1) | instskip(SKIP_1) | instid1(VALU_DEP_2)
	v_cndmask_b32_e32 v10, 0, v10, vcc_lo
	v_cmp_nlt_f32_e32 vcc_lo, 0x42b17218, v77
	v_cndmask_b32_e32 v10, 0x7f800000, v10, vcc_lo
	s_delay_alu instid0(VALU_DEP_1) | instskip(NEXT) | instid1(VALU_DEP_1)
	v_add_f32_e32 v14, 1.0, v10
	v_cvt_f64_f32_e32 v[12:13], v14
	s_delay_alu instid0(VALU_DEP_1) | instskip(SKIP_1) | instid1(VALU_DEP_1)
	v_frexp_exp_i32_f64_e32 v12, v[12:13]
	v_frexp_mant_f32_e32 v13, v14
	v_cmp_gt_f32_e32 vcc_lo, 0x3f2aaaab, v13
	v_add_f32_e32 v13, -1.0, v14
	s_delay_alu instid0(VALU_DEP_1) | instskip(SKIP_1) | instid1(VALU_DEP_1)
	v_dual_sub_f32 v16, v13, v14 :: v_dual_sub_f32 v13, v10, v13
	v_subrev_co_ci_u32_e32 v12, vcc_lo, 0, v12, vcc_lo
	v_sub_nc_u32_e32 v15, 0, v12
	v_cvt_f32_i32_e32 v12, v12
	s_delay_alu instid0(VALU_DEP_2) | instskip(NEXT) | instid1(VALU_DEP_1)
	v_ldexp_f32 v14, v14, v15
	v_dual_add_f32 v16, 1.0, v16 :: v_dual_add_f32 v17, 1.0, v14
	s_delay_alu instid0(VALU_DEP_1) | instskip(NEXT) | instid1(VALU_DEP_1)
	v_add_f32_e32 v13, v13, v16
	v_ldexp_f32 v13, v13, v15
	s_delay_alu instid0(VALU_DEP_3) | instskip(NEXT) | instid1(VALU_DEP_1)
	v_dual_add_f32 v15, -1.0, v14 :: v_dual_add_f32 v16, -1.0, v17
	v_add_f32_e32 v18, 1.0, v15
	s_delay_alu instid0(VALU_DEP_2) | instskip(NEXT) | instid1(VALU_DEP_2)
	v_sub_f32_e32 v16, v14, v16
	v_sub_f32_e32 v14, v14, v18
	s_delay_alu instid0(VALU_DEP_2) | instskip(NEXT) | instid1(VALU_DEP_2)
	v_add_f32_e32 v16, v13, v16
	v_add_f32_e32 v13, v13, v14
	s_delay_alu instid0(VALU_DEP_1) | instskip(SKIP_2) | instid1(VALU_DEP_3)
	v_add_f32_e32 v19, v15, v13
	v_cmp_eq_f32_e32 vcc_lo, 0x7f800000, v10
	v_cmp_gt_f32_e64 s20, 0x33800000, v10
	v_dual_sub_f32 v15, v15, v19 :: v_dual_add_f32 v18, v17, v16
	s_delay_alu instid0(VALU_DEP_2) | instskip(NEXT) | instid1(VALU_DEP_1)
	s_or_b32 vcc_lo, s20, vcc_lo
	v_add_f32_e32 v13, v13, v15
	s_delay_alu instid0(VALU_DEP_2) | instskip(SKIP_2) | instid1(VALU_DEP_1)
	v_rcp_f32_e32 v14, v18
	s_waitcnt_depctr 0xfff
	v_mul_f32_e32 v67, v19, v14
	v_dual_sub_f32 v17, v17, v18 :: v_dual_mul_f32 v68, v18, v67
	s_delay_alu instid0(VALU_DEP_1) | instskip(NEXT) | instid1(VALU_DEP_2)
	v_add_f32_e32 v16, v16, v17
	v_fma_f32 v17, v67, v18, -v68
	s_delay_alu instid0(VALU_DEP_1) | instskip(NEXT) | instid1(VALU_DEP_1)
	v_fmac_f32_e32 v17, v67, v16
	v_add_f32_e32 v69, v68, v17
	s_delay_alu instid0(VALU_DEP_1) | instskip(NEXT) | instid1(VALU_DEP_1)
	v_dual_sub_f32 v15, v69, v68 :: v_dual_sub_f32 v70, v19, v69
	v_sub_f32_e32 v15, v15, v17
	s_delay_alu instid0(VALU_DEP_2) | instskip(NEXT) | instid1(VALU_DEP_1)
	v_sub_f32_e32 v19, v19, v70
	v_sub_f32_e32 v19, v19, v69
	s_delay_alu instid0(VALU_DEP_1) | instskip(NEXT) | instid1(VALU_DEP_1)
	v_add_f32_e32 v13, v13, v19
	v_add_f32_e32 v13, v15, v13
	s_delay_alu instid0(VALU_DEP_1) | instskip(NEXT) | instid1(VALU_DEP_1)
	v_add_f32_e32 v15, v70, v13
	v_mul_f32_e32 v17, v14, v15
	s_delay_alu instid0(VALU_DEP_1) | instskip(NEXT) | instid1(VALU_DEP_1)
	v_mul_f32_e32 v19, v18, v17
	v_fma_f32 v18, v17, v18, -v19
	s_delay_alu instid0(VALU_DEP_1) | instskip(NEXT) | instid1(VALU_DEP_1)
	v_fmac_f32_e32 v18, v17, v16
	v_add_f32_e32 v16, v19, v18
	s_delay_alu instid0(VALU_DEP_1) | instskip(SKIP_1) | instid1(VALU_DEP_2)
	v_dual_sub_f32 v68, v15, v16 :: v_dual_sub_f32 v19, v16, v19
	v_sub_f32_e32 v69, v70, v15
	v_sub_f32_e32 v15, v15, v68
	s_delay_alu instid0(VALU_DEP_1) | instskip(NEXT) | instid1(VALU_DEP_3)
	v_sub_f32_e32 v15, v15, v16
	v_dual_sub_f32 v16, v19, v18 :: v_dual_add_f32 v13, v13, v69
	s_delay_alu instid0(VALU_DEP_1) | instskip(SKIP_1) | instid1(VALU_DEP_1)
	v_add_f32_e32 v13, v13, v15
	v_add_f32_e32 v15, v67, v17
	v_dual_add_f32 v13, v16, v13 :: v_dual_sub_f32 v16, v15, v67
	s_delay_alu instid0(VALU_DEP_1) | instskip(NEXT) | instid1(VALU_DEP_1)
	v_dual_add_f32 v13, v68, v13 :: v_dual_sub_f32 v16, v17, v16
	v_mul_f32_e32 v13, v14, v13
	s_delay_alu instid0(VALU_DEP_1) | instskip(NEXT) | instid1(VALU_DEP_1)
	v_add_f32_e32 v13, v16, v13
	v_add_f32_e32 v14, v15, v13
	s_delay_alu instid0(VALU_DEP_1) | instskip(NEXT) | instid1(VALU_DEP_1)
	v_mul_f32_e32 v16, v14, v14
	v_fmaak_f32 v17, s31, v16, 0x3ecc95a3
	v_mul_f32_e32 v18, v14, v16
	s_delay_alu instid0(VALU_DEP_2) | instskip(SKIP_1) | instid1(VALU_DEP_2)
	v_fmaak_f32 v16, v16, v17, 0x3f2aaada
	v_ldexp_f32 v17, v14, 1
	v_mul_f32_e32 v16, v18, v16
	v_mul_f32_e32 v18, 0x3f317218, v12
	s_delay_alu instid0(VALU_DEP_2) | instskip(NEXT) | instid1(VALU_DEP_1)
	v_dual_sub_f32 v14, v14, v15 :: v_dual_add_f32 v15, v17, v16
	v_dual_sub_f32 v13, v13, v14 :: v_dual_sub_f32 v14, v15, v17
	s_delay_alu instid0(VALU_DEP_3) | instskip(NEXT) | instid1(VALU_DEP_2)
	v_fma_f32 v17, 0x3f317218, v12, -v18
	v_ldexp_f32 v13, v13, 1
	s_delay_alu instid0(VALU_DEP_2) | instskip(NEXT) | instid1(VALU_DEP_1)
	v_dual_sub_f32 v14, v16, v14 :: v_dual_fmac_f32 v17, 0xb102e308, v12
	v_add_f32_e32 v12, v13, v14
	s_delay_alu instid0(VALU_DEP_1) | instskip(NEXT) | instid1(VALU_DEP_1)
	v_add_f32_e32 v14, v15, v12
	v_sub_f32_e32 v15, v14, v15
	s_delay_alu instid0(VALU_DEP_1) | instskip(NEXT) | instid1(VALU_DEP_1)
	v_dual_sub_f32 v12, v12, v15 :: v_dual_add_f32 v13, v18, v17
	v_add_f32_e32 v16, v13, v14
	s_delay_alu instid0(VALU_DEP_1) | instskip(NEXT) | instid1(VALU_DEP_1)
	v_dual_sub_f32 v18, v13, v18 :: v_dual_sub_f32 v19, v16, v13
	v_dual_sub_f32 v17, v17, v18 :: v_dual_sub_f32 v14, v14, v19
	s_delay_alu instid0(VALU_DEP_1) | instskip(SKIP_1) | instid1(VALU_DEP_1)
	v_add_f32_e32 v15, v17, v12
	v_sub_f32_e32 v67, v16, v19
	v_sub_f32_e32 v13, v13, v67
	s_delay_alu instid0(VALU_DEP_1) | instskip(NEXT) | instid1(VALU_DEP_4)
	v_add_f32_e32 v13, v14, v13
	v_sub_f32_e32 v14, v15, v17
	s_delay_alu instid0(VALU_DEP_2) | instskip(NEXT) | instid1(VALU_DEP_2)
	v_add_f32_e32 v13, v15, v13
	v_sub_f32_e32 v15, v15, v14
	v_sub_f32_e32 v12, v12, v14
	s_delay_alu instid0(VALU_DEP_3) | instskip(NEXT) | instid1(VALU_DEP_1)
	v_add_f32_e32 v18, v16, v13
	v_dual_sub_f32 v14, v18, v16 :: v_dual_sub_f32 v15, v17, v15
	s_delay_alu instid0(VALU_DEP_1) | instskip(NEXT) | instid1(VALU_DEP_1)
	v_dual_sub_f32 v13, v13, v14 :: v_dual_add_f32 v12, v12, v15
	v_add_f32_e32 v12, v12, v13
	s_delay_alu instid0(VALU_DEP_1) | instskip(NEXT) | instid1(VALU_DEP_1)
	v_add_f32_e32 v12, v18, v12
	v_cndmask_b32_e32 v77, v12, v10, vcc_lo
.LBB136_56:                             ;   in Loop: Header=BB136_12 Depth=1
	s_or_b32 exec_lo, exec_lo, s21
	v_add_f32_e32 v78, s64, v11
	s_delay_alu instid0(VALU_DEP_1) | instskip(SKIP_1) | instid1(SALU_CYCLE_1)
	v_cmp_ge_f32_e32 vcc_lo, 0x41a00000, v78
	s_and_b32 s20, s75, vcc_lo
	s_and_saveexec_b32 s21, s20
	s_cbranch_execz .LBB136_58
; %bb.57:                               ;   in Loop: Header=BB136_12 Depth=1
	v_mul_f32_e32 v10, 0x3fb8aa3b, v78
	v_cmp_ngt_f32_e32 vcc_lo, 0xc2ce8ed0, v78
	s_delay_alu instid0(VALU_DEP_2) | instskip(SKIP_1) | instid1(VALU_DEP_2)
	v_rndne_f32_e32 v11, v10
	v_fma_f32 v12, 0x3fb8aa3b, v78, -v10
	v_sub_f32_e32 v10, v10, v11
	s_delay_alu instid0(VALU_DEP_2) | instskip(SKIP_1) | instid1(VALU_DEP_2)
	v_fmac_f32_e32 v12, 0x32a5705f, v78
	v_cvt_i32_f32_e32 v11, v11
	v_add_f32_e32 v10, v10, v12
	s_delay_alu instid0(VALU_DEP_1) | instskip(SKIP_2) | instid1(VALU_DEP_1)
	v_exp_f32_e32 v10, v10
	s_waitcnt_depctr 0xfff
	v_ldexp_f32 v10, v10, v11
	v_cndmask_b32_e32 v10, 0, v10, vcc_lo
	v_cmp_nlt_f32_e32 vcc_lo, 0x42b17218, v78
	s_delay_alu instid0(VALU_DEP_2) | instskip(NEXT) | instid1(VALU_DEP_1)
	v_cndmask_b32_e32 v12, 0x7f800000, v10, vcc_lo
	v_add_f32_e32 v13, 1.0, v12
	s_delay_alu instid0(VALU_DEP_1) | instskip(NEXT) | instid1(VALU_DEP_1)
	v_cvt_f64_f32_e32 v[10:11], v13
	v_frexp_exp_i32_f64_e32 v10, v[10:11]
	v_frexp_mant_f32_e32 v11, v13
	s_delay_alu instid0(VALU_DEP_1) | instskip(SKIP_1) | instid1(VALU_DEP_1)
	v_cmp_gt_f32_e32 vcc_lo, 0x3f2aaaab, v11
	v_add_f32_e32 v11, -1.0, v13
	v_sub_f32_e32 v15, v11, v13
	v_sub_f32_e32 v11, v12, v11
	s_delay_alu instid0(VALU_DEP_2) | instskip(NEXT) | instid1(VALU_DEP_1)
	v_add_f32_e32 v15, 1.0, v15
	v_add_f32_e32 v11, v11, v15
	v_cmp_gt_f32_e64 s20, 0x33800000, v12
	v_subrev_co_ci_u32_e32 v10, vcc_lo, 0, v10, vcc_lo
	v_cmp_eq_f32_e32 vcc_lo, 0x7f800000, v12
	s_delay_alu instid0(VALU_DEP_2) | instskip(SKIP_2) | instid1(VALU_DEP_2)
	v_sub_nc_u32_e32 v14, 0, v10
	v_cvt_f32_i32_e32 v10, v10
	s_or_b32 vcc_lo, s20, vcc_lo
	v_ldexp_f32 v13, v13, v14
	v_ldexp_f32 v11, v11, v14
	s_delay_alu instid0(VALU_DEP_2) | instskip(NEXT) | instid1(VALU_DEP_1)
	v_add_f32_e32 v16, 1.0, v13
	v_dual_add_f32 v14, -1.0, v13 :: v_dual_add_f32 v15, -1.0, v16
	s_delay_alu instid0(VALU_DEP_1) | instskip(NEXT) | instid1(VALU_DEP_2)
	v_add_f32_e32 v17, 1.0, v14
	v_sub_f32_e32 v15, v13, v15
	s_delay_alu instid0(VALU_DEP_2) | instskip(NEXT) | instid1(VALU_DEP_2)
	v_sub_f32_e32 v13, v13, v17
	v_add_f32_e32 v15, v11, v15
	s_delay_alu instid0(VALU_DEP_2) | instskip(NEXT) | instid1(VALU_DEP_2)
	v_add_f32_e32 v11, v11, v13
	v_add_f32_e32 v17, v16, v15
	s_delay_alu instid0(VALU_DEP_2) | instskip(NEXT) | instid1(VALU_DEP_2)
	v_add_f32_e32 v18, v14, v11
	v_rcp_f32_e32 v13, v17
	v_sub_f32_e32 v16, v16, v17
	s_delay_alu instid0(VALU_DEP_1) | instskip(SKIP_2) | instid1(VALU_DEP_1)
	v_dual_sub_f32 v14, v14, v18 :: v_dual_add_f32 v15, v15, v16
	s_waitcnt_depctr 0xfff
	v_mul_f32_e32 v19, v18, v13
	v_mul_f32_e32 v67, v17, v19
	s_delay_alu instid0(VALU_DEP_1) | instskip(NEXT) | instid1(VALU_DEP_1)
	v_fma_f32 v16, v19, v17, -v67
	v_fmac_f32_e32 v16, v19, v15
	s_delay_alu instid0(VALU_DEP_1) | instskip(NEXT) | instid1(VALU_DEP_1)
	v_add_f32_e32 v68, v67, v16
	v_sub_f32_e32 v69, v18, v68
	s_delay_alu instid0(VALU_DEP_1) | instskip(SKIP_1) | instid1(VALU_DEP_2)
	v_dual_sub_f32 v18, v18, v69 :: v_dual_add_f32 v11, v11, v14
	v_sub_f32_e32 v14, v68, v67
	v_sub_f32_e32 v18, v18, v68
	s_delay_alu instid0(VALU_DEP_1) | instskip(NEXT) | instid1(VALU_DEP_1)
	v_dual_sub_f32 v14, v14, v16 :: v_dual_add_f32 v11, v11, v18
	v_add_f32_e32 v11, v14, v11
	s_delay_alu instid0(VALU_DEP_1) | instskip(NEXT) | instid1(VALU_DEP_1)
	v_add_f32_e32 v14, v69, v11
	v_mul_f32_e32 v16, v13, v14
	v_sub_f32_e32 v68, v69, v14
	s_delay_alu instid0(VALU_DEP_2) | instskip(NEXT) | instid1(VALU_DEP_2)
	v_mul_f32_e32 v18, v17, v16
	v_add_f32_e32 v11, v11, v68
	s_delay_alu instid0(VALU_DEP_2) | instskip(NEXT) | instid1(VALU_DEP_1)
	v_fma_f32 v17, v16, v17, -v18
	v_fmac_f32_e32 v17, v16, v15
	s_delay_alu instid0(VALU_DEP_1) | instskip(NEXT) | instid1(VALU_DEP_1)
	v_add_f32_e32 v15, v18, v17
	v_sub_f32_e32 v67, v14, v15
	s_delay_alu instid0(VALU_DEP_1) | instskip(NEXT) | instid1(VALU_DEP_1)
	v_sub_f32_e32 v14, v14, v67
	v_sub_f32_e32 v14, v14, v15
	s_delay_alu instid0(VALU_DEP_1) | instskip(SKIP_2) | instid1(VALU_DEP_1)
	v_add_f32_e32 v11, v11, v14
	v_add_f32_e32 v14, v19, v16
	v_sub_f32_e32 v18, v15, v18
	v_sub_f32_e32 v15, v18, v17
	s_delay_alu instid0(VALU_DEP_1) | instskip(NEXT) | instid1(VALU_DEP_4)
	v_add_f32_e32 v11, v15, v11
	v_sub_f32_e32 v15, v14, v19
	s_delay_alu instid0(VALU_DEP_2) | instskip(NEXT) | instid1(VALU_DEP_2)
	v_add_f32_e32 v11, v67, v11
	v_sub_f32_e32 v15, v16, v15
	s_delay_alu instid0(VALU_DEP_2) | instskip(NEXT) | instid1(VALU_DEP_1)
	v_mul_f32_e32 v11, v13, v11
	v_add_f32_e32 v11, v15, v11
	s_delay_alu instid0(VALU_DEP_1) | instskip(NEXT) | instid1(VALU_DEP_1)
	v_add_f32_e32 v13, v14, v11
	v_mul_f32_e32 v15, v13, v13
	s_delay_alu instid0(VALU_DEP_1) | instskip(SKIP_1) | instid1(VALU_DEP_2)
	v_fmaak_f32 v16, s31, v15, 0x3ecc95a3
	v_mul_f32_e32 v17, v13, v15
	v_fmaak_f32 v15, v15, v16, 0x3f2aaada
	v_ldexp_f32 v16, v13, 1
	s_delay_alu instid0(VALU_DEP_2) | instskip(SKIP_1) | instid1(VALU_DEP_2)
	v_mul_f32_e32 v15, v17, v15
	v_sub_f32_e32 v13, v13, v14
	v_dual_mul_f32 v17, 0x3f317218, v10 :: v_dual_add_f32 v14, v16, v15
	s_delay_alu instid0(VALU_DEP_2) | instskip(NEXT) | instid1(VALU_DEP_2)
	v_sub_f32_e32 v11, v11, v13
	v_sub_f32_e32 v13, v14, v16
	s_delay_alu instid0(VALU_DEP_3) | instskip(NEXT) | instid1(VALU_DEP_3)
	v_fma_f32 v16, 0x3f317218, v10, -v17
	v_ldexp_f32 v11, v11, 1
	s_delay_alu instid0(VALU_DEP_2) | instskip(NEXT) | instid1(VALU_DEP_1)
	v_dual_sub_f32 v13, v15, v13 :: v_dual_fmac_f32 v16, 0xb102e308, v10
	v_dual_add_f32 v10, v11, v13 :: v_dual_add_f32 v11, v17, v16
	s_delay_alu instid0(VALU_DEP_1) | instskip(NEXT) | instid1(VALU_DEP_1)
	v_add_f32_e32 v13, v14, v10
	v_dual_add_f32 v15, v11, v13 :: v_dual_sub_f32 v14, v13, v14
	s_delay_alu instid0(VALU_DEP_1) | instskip(NEXT) | instid1(VALU_DEP_2)
	v_sub_f32_e32 v18, v15, v11
	v_dual_sub_f32 v17, v11, v17 :: v_dual_sub_f32 v10, v10, v14
	s_delay_alu instid0(VALU_DEP_1) | instskip(SKIP_1) | instid1(VALU_DEP_2)
	v_dual_sub_f32 v19, v15, v18 :: v_dual_sub_f32 v16, v16, v17
	v_sub_f32_e32 v13, v13, v18
	v_dual_sub_f32 v11, v11, v19 :: v_dual_add_f32 v14, v16, v10
	s_delay_alu instid0(VALU_DEP_1) | instskip(NEXT) | instid1(VALU_DEP_2)
	v_add_f32_e32 v11, v13, v11
	v_sub_f32_e32 v13, v14, v16
	s_delay_alu instid0(VALU_DEP_2) | instskip(NEXT) | instid1(VALU_DEP_2)
	v_add_f32_e32 v11, v14, v11
	v_sub_f32_e32 v14, v14, v13
	s_delay_alu instid0(VALU_DEP_2) | instskip(NEXT) | instid1(VALU_DEP_1)
	v_dual_sub_f32 v10, v10, v13 :: v_dual_add_f32 v17, v15, v11
	v_dual_sub_f32 v14, v16, v14 :: v_dual_sub_f32 v13, v17, v15
	s_delay_alu instid0(VALU_DEP_1) | instskip(NEXT) | instid1(VALU_DEP_1)
	v_dual_add_f32 v10, v10, v14 :: v_dual_sub_f32 v11, v11, v13
	v_add_f32_e32 v10, v10, v11
	s_delay_alu instid0(VALU_DEP_1) | instskip(NEXT) | instid1(VALU_DEP_1)
	v_add_f32_e32 v10, v17, v10
	v_cndmask_b32_e32 v78, v10, v12, vcc_lo
.LBB136_58:                             ;   in Loop: Header=BB136_12 Depth=1
	s_or_b32 exec_lo, exec_lo, s21
	v_dual_mul_f32 v67, s65, v8 :: v_dual_mul_f32 v68, s65, v7
	v_dual_mul_f32 v69, s65, v6 :: v_dual_mul_f32 v70, s65, v5
	;; [unrolled: 1-line block ×3, first 2 shown]
	v_mul_f32_e32 v75, s65, v2
	v_mul_f32_e32 v71, s65, v9
	s_and_b32 vcc_lo, exec_lo, s76
	s_barrier
	buffer_gl0_inv
	s_cbranch_vccz .LBB136_122
; %bb.59:                               ;   in Loop: Header=BB136_12 Depth=1
	v_dual_mul_f32 v79, v9, v78 :: v_dual_mul_f32 v84, v8, v77
	v_add_co_u32 v9, s20, s49, v61
	s_delay_alu instid0(VALU_DEP_1) | instskip(SKIP_1) | instid1(VALU_DEP_1)
	v_add_co_ci_u32_e64 v10, null, s50, 0, s20
	v_add_co_u32 v11, s20, s37, v61
	v_add_co_ci_u32_e64 v12, null, s69, 0, s20
	s_delay_alu instid0(VALU_DEP_4) | instskip(NEXT) | instid1(VALU_DEP_4)
	v_add_co_u32 v80, vcc_lo, v9, v62
	v_add_co_ci_u32_e32 v81, vcc_lo, 0, v10, vcc_lo
	s_delay_alu instid0(VALU_DEP_4) | instskip(NEXT) | instid1(VALU_DEP_4)
	v_add_co_u32 v82, vcc_lo, v11, v62
	v_add_co_ci_u32_e32 v83, vcc_lo, 0, v12, vcc_lo
	v_cmp_gt_u32_e32 vcc_lo, s23, v20
	s_cmp_lg_u32 s80, 0
	v_cmp_gt_u32_e64 s21, s23, v54
	s_cselect_b32 s35, -1, 0
	s_cmp_eq_u32 s80, s78
	v_cmp_gt_u32_e64 s22, s23, v55
	s_cselect_b32 s54, -1, 0
	s_or_b32 s20, s77, vcc_lo
	v_cmp_gt_u32_e32 vcc_lo, s23, v56
	v_cmp_gt_u32_e64 s24, s23, v57
	v_cmp_gt_u32_e64 s25, s23, v58
	;; [unrolled: 1-line block ×4, first 2 shown]
	v_dual_mul_f32 v85, v7, v76 :: v_dual_mul_f32 v88, v4, v65
	v_dual_mul_f32 v86, v6, v72 :: v_dual_mul_f32 v87, v5, v66
	;; [unrolled: 1-line block ×3, first 2 shown]
	s_mov_b32 s56, 0
	s_or_b32 s21, s77, s21
	s_or_b32 s22, s77, s22
	s_or_b32 s23, s77, vcc_lo
	s_or_b32 s24, s77, s24
	s_or_b32 s25, s77, s25
	;; [unrolled: 1-line block ×4, first 2 shown]
	s_mov_b32 s52, s56
	s_mov_b32 s38, 0
	;; [unrolled: 1-line block ×6, first 2 shown]
	s_branch .LBB136_61
.LBB136_60:                             ;   in Loop: Header=BB136_61 Depth=2
	s_or_b32 exec_lo, exec_lo, s28
	v_cndmask_b32_e64 v10, v104, v15, s11
	v_cndmask_b32_e64 v11, v103, v14, s11
	s_add_i32 s55, s55, -1
	s_add_i32 s81, s81, 8
	s_add_i32 s42, s42, s70
	v_fma_f32 v10, v10, v93, v18
	v_mul_f32_e32 v11, v11, v93
	s_add_i32 s40, s40, s36
	s_add_i32 s38, s38, s48
	;; [unrolled: 1-line block ×3, first 2 shown]
	v_cndmask_b32_e64 v10, v10, v18, s10
	v_cndmask_b32_e64 v11, v11, v93, s10
	s_cmp_eq_u32 s55, 0
	s_waitcnt lgkmcnt(0)
	s_delay_alu instid0(VALU_DEP_1) | instskip(NEXT) | instid1(VALU_DEP_1)
	v_fmac_f32_e32 v10, v12, v11
	v_fmac_f32_e32 v16, v10, v92
	s_delay_alu instid0(VALU_DEP_1) | instskip(NEXT) | instid1(VALU_DEP_1)
	v_dual_fmac_f32 v19, v16, v95 :: v_dual_fmac_f32 v74, v9, v16
	v_fmac_f32_e32 v17, v19, v96
	v_fmac_f32_e32 v75, v8, v10
	s_delay_alu instid0(VALU_DEP_2) | instskip(NEXT) | instid1(VALU_DEP_1)
	v_dual_fmac_f32 v91, v17, v98 :: v_dual_fmac_f32 v70, v7, v17
	v_dual_fmac_f32 v94, v91, v102 :: v_dual_fmac_f32 v73, v6, v19
	v_fmac_f32_e32 v69, v2, v91
	s_delay_alu instid0(VALU_DEP_2) | instskip(NEXT) | instid1(VALU_DEP_1)
	v_dual_fmac_f32 v97, v94, v100 :: v_dual_fmac_f32 v68, v3, v94
	v_fmac_f32_e32 v99, v97, v101
	v_fmac_f32_e32 v67, v4, v97
	s_delay_alu instid0(VALU_DEP_2)
	v_fmac_f32_e32 v71, v5, v99
	s_cbranch_scc1 .LBB136_122
.LBB136_61:                             ;   Parent Loop BB136_12 Depth=1
                                        ; =>  This Inner Loop Header: Depth=2
	s_lshl_b64 s[28:29], s[52:53], 2
	s_mov_b32 s39, s53
	s_add_u32 s28, s68, s28
	s_addc_u32 s29, s46, s29
	s_mov_b32 s57, s56
	global_load_b32 v91, v1, s[28:29]
	s_lshl_b64 s[28:29], s[38:39], 2
	s_mov_b32 s58, s56
	s_mov_b32 s59, s56
	;; [unrolled: 1-line block ×6, first 2 shown]
	v_add_co_u32 v10, vcc_lo, v80, s28
	v_dual_mov_b32 v2, s56 :: v_dual_mov_b32 v3, s57
	v_add_co_ci_u32_e32 v11, vcc_lo, s29, v81, vcc_lo
	v_dual_mov_b32 v4, s58 :: v_dual_mov_b32 v5, s59
	v_dual_mov_b32 v6, s60 :: v_dual_mov_b32 v7, s61
	;; [unrolled: 1-line block ×3, first 2 shown]
	v_mov_b32_e32 v12, 0
	s_and_saveexec_b32 s28, s12
	s_cbranch_execnz .LBB136_81
; %bb.62:                               ;   in Loop: Header=BB136_61 Depth=2
	s_or_b32 exec_lo, exec_lo, s28
	s_and_saveexec_b32 s28, s13
	s_cbranch_execnz .LBB136_82
.LBB136_63:                             ;   in Loop: Header=BB136_61 Depth=2
	s_or_b32 exec_lo, exec_lo, s28
	s_and_saveexec_b32 s28, s14
	s_cbranch_execnz .LBB136_83
.LBB136_64:                             ;   in Loop: Header=BB136_61 Depth=2
	s_or_b32 exec_lo, exec_lo, s28
	s_and_saveexec_b32 s28, s15
	s_cbranch_execnz .LBB136_84
.LBB136_65:                             ;   in Loop: Header=BB136_61 Depth=2
	s_or_b32 exec_lo, exec_lo, s28
	s_and_saveexec_b32 s28, s16
	s_cbranch_execnz .LBB136_85
.LBB136_66:                             ;   in Loop: Header=BB136_61 Depth=2
	s_or_b32 exec_lo, exec_lo, s28
	s_and_saveexec_b32 s28, s17
	s_cbranch_execnz .LBB136_86
.LBB136_67:                             ;   in Loop: Header=BB136_61 Depth=2
	s_or_b32 exec_lo, exec_lo, s28
	s_and_saveexec_b32 s28, s18
	s_cbranch_execnz .LBB136_87
.LBB136_68:                             ;   in Loop: Header=BB136_61 Depth=2
	s_or_b32 exec_lo, exec_lo, s28
	s_and_saveexec_b32 s28, s19
	s_cbranch_execz .LBB136_70
.LBB136_69:                             ;   in Loop: Header=BB136_61 Depth=2
	global_load_b32 v9, v[10:11], off offset:896
.LBB136_70:                             ;   in Loop: Header=BB136_61 Depth=2
	s_or_b32 exec_lo, exec_lo, s28
	s_waitcnt vmcnt(0)
	ds_store_b32 v29, v12
	ds_store_b32 v30, v3 offset:128
	ds_store_b32 v31, v4 offset:256
	;; [unrolled: 1-line block ×7, first 2 shown]
	; wave barrier
	ds_load_2addr_b32 v[18:19], v37 offset1:1
	ds_load_2addr_b32 v[16:17], v37 offset0:2 offset1:3
	ds_load_2addr_b32 v[14:15], v37 offset0:4 offset1:5
	;; [unrolled: 1-line block ×3, first 2 shown]
	s_mov_b32 s41, s53
	s_mov_b32 s84, s53
	s_lshl_b64 s[28:29], s[40:41], 2
	s_mov_b32 s85, s53
	s_mov_b32 s86, s53
	;; [unrolled: 1-line block ×7, first 2 shown]
	v_add_co_u32 v10, vcc_lo, v82, s28
	v_dual_mov_b32 v2, s84 :: v_dual_mov_b32 v3, s85
	v_add_co_ci_u32_e32 v11, vcc_lo, s29, v83, vcc_lo
	v_dual_mov_b32 v4, s86 :: v_dual_mov_b32 v5, s87
	v_dual_mov_b32 v6, s88 :: v_dual_mov_b32 v7, s89
	;; [unrolled: 1-line block ×3, first 2 shown]
	v_mov_b32_e32 v92, 0
	s_and_saveexec_b32 s28, s12
	s_cbranch_execnz .LBB136_88
; %bb.71:                               ;   in Loop: Header=BB136_61 Depth=2
	s_or_b32 exec_lo, exec_lo, s28
	s_and_saveexec_b32 s28, s13
	s_cbranch_execnz .LBB136_89
.LBB136_72:                             ;   in Loop: Header=BB136_61 Depth=2
	s_or_b32 exec_lo, exec_lo, s28
	s_and_saveexec_b32 s28, s14
	s_cbranch_execnz .LBB136_90
.LBB136_73:                             ;   in Loop: Header=BB136_61 Depth=2
	s_or_b32 exec_lo, exec_lo, s28
	s_and_saveexec_b32 s28, s15
	s_cbranch_execnz .LBB136_91
.LBB136_74:                             ;   in Loop: Header=BB136_61 Depth=2
	s_or_b32 exec_lo, exec_lo, s28
	s_and_saveexec_b32 s28, s16
	s_cbranch_execnz .LBB136_92
.LBB136_75:                             ;   in Loop: Header=BB136_61 Depth=2
	s_or_b32 exec_lo, exec_lo, s28
	s_and_saveexec_b32 s28, s17
	s_cbranch_execnz .LBB136_93
.LBB136_76:                             ;   in Loop: Header=BB136_61 Depth=2
	s_or_b32 exec_lo, exec_lo, s28
	s_and_saveexec_b32 s28, s18
	s_cbranch_execnz .LBB136_94
.LBB136_77:                             ;   in Loop: Header=BB136_61 Depth=2
	s_or_b32 exec_lo, exec_lo, s28
	s_and_saveexec_b32 s28, s19
	s_cbranch_execz .LBB136_79
.LBB136_78:                             ;   in Loop: Header=BB136_61 Depth=2
	global_load_b32 v9, v[10:11], off offset:896
.LBB136_79:                             ;   in Loop: Header=BB136_61 Depth=2
	s_or_b32 exec_lo, exec_lo, s28
	s_waitcnt vmcnt(0)
	ds_store_b32 v29, v92 offset:2112
	ds_store_b32 v38, v3 offset:128
	;; [unrolled: 1-line block ×8, first 2 shown]
	v_add_nc_u32_e32 v4, 0x840, v37
	; wave barrier
	ds_load_2addr_b32 v[6:7], v45 offset0:2 offset1:3
	ds_load_2addr_b32 v[2:3], v45 offset0:4 offset1:5
	ds_load_2addr_b32 v[8:9], v4 offset1:1
	ds_load_2addr_b32 v[4:5], v45 offset0:6 offset1:7
	s_and_not1_b32 vcc_lo, exec_lo, s35
	s_cbranch_vccnz .LBB136_95
; %bb.80:                               ;   in Loop: Header=BB136_61 Depth=2
	v_mov_b32_e32 v10, s81
	ds_load_b64 v[10:11], v10
	s_cbranch_execz .LBB136_96
	s_branch .LBB136_99
.LBB136_81:                             ;   in Loop: Header=BB136_61 Depth=2
	global_load_b32 v12, v[10:11], off
	v_mov_b32_e32 v7, v1
	v_mov_b32_e32 v2, v1
	;; [unrolled: 1-line block ×7, first 2 shown]
	s_delay_alu instid0(VALU_DEP_2)
	v_dual_mov_b32 v8, v6 :: v_dual_mov_b32 v7, v5
	v_mov_b32_e32 v6, v4
	v_mov_b32_e32 v5, v3
	;; [unrolled: 1-line block ×5, first 2 shown]
	s_or_b32 exec_lo, exec_lo, s28
	s_and_saveexec_b32 s28, s13
	s_cbranch_execz .LBB136_63
.LBB136_82:                             ;   in Loop: Header=BB136_61 Depth=2
	global_load_b32 v3, v[10:11], off offset:128
	s_or_b32 exec_lo, exec_lo, s28
	s_and_saveexec_b32 s28, s14
	s_cbranch_execz .LBB136_64
.LBB136_83:                             ;   in Loop: Header=BB136_61 Depth=2
	global_load_b32 v4, v[10:11], off offset:256
	s_or_b32 exec_lo, exec_lo, s28
	s_and_saveexec_b32 s28, s15
	s_cbranch_execz .LBB136_65
.LBB136_84:                             ;   in Loop: Header=BB136_61 Depth=2
	global_load_b32 v5, v[10:11], off offset:384
	s_or_b32 exec_lo, exec_lo, s28
	s_and_saveexec_b32 s28, s16
	s_cbranch_execz .LBB136_66
.LBB136_85:                             ;   in Loop: Header=BB136_61 Depth=2
	global_load_b32 v6, v[10:11], off offset:512
	s_or_b32 exec_lo, exec_lo, s28
	s_and_saveexec_b32 s28, s17
	s_cbranch_execz .LBB136_67
.LBB136_86:                             ;   in Loop: Header=BB136_61 Depth=2
	global_load_b32 v7, v[10:11], off offset:640
	s_or_b32 exec_lo, exec_lo, s28
	s_and_saveexec_b32 s28, s18
	s_cbranch_execz .LBB136_68
.LBB136_87:                             ;   in Loop: Header=BB136_61 Depth=2
	global_load_b32 v8, v[10:11], off offset:768
	s_or_b32 exec_lo, exec_lo, s28
	s_and_saveexec_b32 s28, s19
	s_cbranch_execnz .LBB136_69
	s_branch .LBB136_70
.LBB136_88:                             ;   in Loop: Header=BB136_61 Depth=2
	global_load_b32 v92, v[10:11], off
	v_mov_b32_e32 v7, v1
	v_mov_b32_e32 v2, v1
	;; [unrolled: 1-line block ×7, first 2 shown]
	s_delay_alu instid0(VALU_DEP_2)
	v_dual_mov_b32 v8, v6 :: v_dual_mov_b32 v7, v5
	v_mov_b32_e32 v6, v4
	v_mov_b32_e32 v5, v3
	;; [unrolled: 1-line block ×5, first 2 shown]
	s_or_b32 exec_lo, exec_lo, s28
	s_and_saveexec_b32 s28, s13
	s_cbranch_execz .LBB136_72
.LBB136_89:                             ;   in Loop: Header=BB136_61 Depth=2
	global_load_b32 v3, v[10:11], off offset:128
	s_or_b32 exec_lo, exec_lo, s28
	s_and_saveexec_b32 s28, s14
	s_cbranch_execz .LBB136_73
.LBB136_90:                             ;   in Loop: Header=BB136_61 Depth=2
	global_load_b32 v4, v[10:11], off offset:256
	s_or_b32 exec_lo, exec_lo, s28
	s_and_saveexec_b32 s28, s15
	s_cbranch_execz .LBB136_74
.LBB136_91:                             ;   in Loop: Header=BB136_61 Depth=2
	global_load_b32 v5, v[10:11], off offset:384
	s_or_b32 exec_lo, exec_lo, s28
	s_and_saveexec_b32 s28, s16
	s_cbranch_execz .LBB136_75
.LBB136_92:                             ;   in Loop: Header=BB136_61 Depth=2
	global_load_b32 v6, v[10:11], off offset:512
	s_or_b32 exec_lo, exec_lo, s28
	s_and_saveexec_b32 s28, s17
	s_cbranch_execz .LBB136_76
.LBB136_93:                             ;   in Loop: Header=BB136_61 Depth=2
	global_load_b32 v7, v[10:11], off offset:640
	s_or_b32 exec_lo, exec_lo, s28
	s_and_saveexec_b32 s28, s18
	s_cbranch_execz .LBB136_77
.LBB136_94:                             ;   in Loop: Header=BB136_61 Depth=2
	global_load_b32 v8, v[10:11], off offset:768
	s_or_b32 exec_lo, exec_lo, s28
	s_and_saveexec_b32 s28, s19
	s_cbranch_execnz .LBB136_78
	s_branch .LBB136_79
.LBB136_95:                             ;   in Loop: Header=BB136_61 Depth=2
                                        ; implicit-def: $vgpr10
.LBB136_96:                             ;   in Loop: Header=BB136_61 Depth=2
	s_waitcnt lgkmcnt(0)
	v_mov_b32_e32 v11, 0
	s_and_not1_b32 vcc_lo, exec_lo, s33
	s_cbranch_vccnz .LBB136_98
; %bb.97:                               ;   in Loop: Header=BB136_61 Depth=2
	s_mov_b32 s43, s53
	s_delay_alu instid0(SALU_CYCLE_1) | instskip(NEXT) | instid1(SALU_CYCLE_1)
	s_lshl_b64 s[28:29], s[42:43], 2
	s_add_u32 s28, s71, s28
	s_addc_u32 s29, s72, s29
	global_load_b32 v11, v1, s[28:29]
.LBB136_98:                             ;   in Loop: Header=BB136_61 Depth=2
	v_mov_b32_e32 v10, 1.0
.LBB136_99:                             ;   in Loop: Header=BB136_61 Depth=2
	s_waitcnt lgkmcnt(15)
	v_dual_mul_f32 v97, 0x3fb8aa3b, v91 :: v_dual_mul_f32 v18, v18, v90
	s_waitcnt lgkmcnt(14)
	v_dual_mul_f32 v19, v19, v89 :: v_dual_mul_f32 v94, v16, v88
	s_waitcnt lgkmcnt(13)
	s_delay_alu instid0(VALU_DEP_2)
	v_dual_mul_f32 v15, v15, v85 :: v_dual_mul_f32 v92, v97, v64
	v_mul_f32_e32 v91, v97, v63
	v_mul_f32_e32 v98, v97, v72
	;; [unrolled: 1-line block ×3, first 2 shown]
	v_cndmask_b32_e64 v18, 0, v18, s20
	v_cmp_gt_f32_e64 s28, 0xc2fc0000, v92
	v_cmp_gt_f32_e32 vcc_lo, 0xc2fc0000, v91
	v_cndmask_b32_e64 v16, 0, v19, s21
	v_mul_f32_e32 v14, v14, v86
	s_waitcnt lgkmcnt(12)
	v_mul_f32_e32 v12, v12, v84
	v_cndmask_b32_e64 v92, 0, 0x42800000, s28
	v_cndmask_b32_e64 v95, 1.0, 0x1f800000, vcc_lo
	v_cndmask_b32_e64 v96, 1.0, 0x1f800000, s28
	v_cndmask_b32_e64 v91, 0, 0x42800000, vcc_lo
	v_cmp_gt_f32_e32 vcc_lo, 0xc2fc0000, v98
	v_fmac_f32_e32 v92, v97, v64
	s_delay_alu instid0(VALU_DEP_1) | instskip(SKIP_2) | instid1(VALU_DEP_1)
	v_exp_f32_e32 v92, v92
	s_waitcnt_depctr 0xfff
	v_dual_mul_f32 v93, v97, v65 :: v_dual_mul_f32 v92, v92, v96
	v_cmp_gt_f32_e64 s29, 0xc2fc0000, v93
	s_delay_alu instid0(VALU_DEP_2) | instskip(NEXT) | instid1(VALU_DEP_2)
	v_cndmask_b32_e64 v92, 1.0, v92, s21
	v_cndmask_b32_e64 v93, 0, 0x42800000, s29
	v_cndmask_b32_e64 v96, 1.0, 0x1f800000, s29
	s_delay_alu instid0(VALU_DEP_3) | instskip(NEXT) | instid1(VALU_DEP_3)
	v_fma_f32 v101, v92, v18, v16
	v_fmac_f32_e32 v93, v97, v65
	s_delay_alu instid0(VALU_DEP_1) | instskip(SKIP_2) | instid1(VALU_DEP_1)
	v_exp_f32_e32 v99, v93
	s_waitcnt_depctr 0xfff
	v_dual_fmac_f32 v91, v97, v63 :: v_dual_mul_f32 v96, v99, v96
	v_exp_f32_e32 v91, v91
	s_waitcnt_depctr 0xfff
	v_mul_f32_e32 v91, v91, v95
	v_cndmask_b32_e64 v95, 0, 0x42800000, vcc_lo
	s_delay_alu instid0(VALU_DEP_2) | instskip(SKIP_1) | instid1(VALU_DEP_3)
	v_cndmask_b32_e64 v93, 1.0, v91, s20
	v_mul_f32_e32 v19, v97, v66
	v_fmac_f32_e32 v95, v97, v72
	v_mul_f32_e32 v91, v97, v76
	s_delay_alu instid0(VALU_DEP_3) | instskip(NEXT) | instid1(VALU_DEP_3)
	v_cmp_gt_f32_e64 s30, 0xc2fc0000, v19
	v_exp_f32_e32 v99, v95
	v_cndmask_b32_e64 v95, 1.0, v96, s22
	s_delay_alu instid0(VALU_DEP_3) | instskip(NEXT) | instid1(VALU_DEP_3)
	v_cmp_gt_f32_e64 s28, 0xc2fc0000, v91
	v_cndmask_b32_e64 v19, 0, 0x42800000, s30
	s_delay_alu instid0(VALU_DEP_2) | instskip(NEXT) | instid1(VALU_DEP_2)
	v_cndmask_b32_e64 v91, 0, 0x42800000, s28
	v_fmac_f32_e32 v19, v97, v66
	s_delay_alu instid0(VALU_DEP_1)
	v_exp_f32_e32 v98, v19
	v_cndmask_b32_e64 v19, 0, v94, s22
	v_cndmask_b32_e64 v94, 1.0, 0x1f800000, s30
	s_waitcnt_depctr 0xfff
	v_mul_f32_e32 v94, v98, v94
	v_cndmask_b32_e64 v98, 1.0, 0x1f800000, vcc_lo
	v_cmp_gt_f32_e32 vcc_lo, 0xc2fc0000, v100
	v_mul_f32_e32 v100, v97, v78
	s_delay_alu instid0(VALU_DEP_4) | instskip(NEXT) | instid1(VALU_DEP_4)
	v_cndmask_b32_e64 v96, 1.0, v94, s23
	v_mul_f32_e32 v98, v99, v98
	v_cndmask_b32_e64 v99, 0, 0x42800000, vcc_lo
	s_delay_alu instid0(VALU_DEP_2) | instskip(SKIP_1) | instid1(VALU_DEP_3)
	v_cndmask_b32_e64 v98, 1.0, v98, s24
	v_fmac_f32_e32 v91, v97, v76
	v_fmac_f32_e32 v99, v97, v77
	s_delay_alu instid0(VALU_DEP_2)
	v_exp_f32_e32 v94, v91
	v_cndmask_b32_e64 v91, 0, v14, s24
	v_cndmask_b32_e64 v14, 1.0, 0x1f800000, s28
	v_cmp_gt_f32_e64 s28, 0xc2fc0000, v100
	v_dual_mul_f32 v17, v17, v87 :: v_dual_mul_f32 v100, v92, v93
	v_exp_f32_e32 v99, v99
	s_waitcnt_depctr 0xfff
	v_mul_f32_e32 v14, v94, v14
	v_cndmask_b32_e64 v94, 0, v15, s25
	v_cndmask_b32_e64 v15, 0, 0x42800000, s28
	;; [unrolled: 1-line block ×3, first 2 shown]
	s_delay_alu instid0(VALU_DEP_4) | instskip(NEXT) | instid1(VALU_DEP_3)
	v_cndmask_b32_e64 v102, 1.0, v14, s25
	v_dual_mul_f32 v14, v100, v95 :: v_dual_fmac_f32 v15, v97, v78
	v_fma_f32 v97, v101, v95, v19
	v_cndmask_b32_e64 v100, 1.0, 0x1f800000, vcc_lo
	s_delay_alu instid0(VALU_DEP_3) | instskip(NEXT) | instid1(VALU_DEP_4)
	v_mul_f32_e32 v14, v14, v96
	v_exp_f32_e32 v15, v15
	s_delay_alu instid0(VALU_DEP_3) | instskip(SKIP_3) | instid1(VALU_DEP_4)
	v_fma_f32 v101, v97, v96, v17
	v_cndmask_b32_e64 v97, 0, v12, s26
	v_cndmask_b32_e64 v12, 1.0, 0x1f800000, s28
	v_dual_mul_f32 v14, v14, v98 :: v_dual_mul_f32 v99, v99, v100
	v_fma_f32 v101, v101, v98, v91
	s_delay_alu instid0(VALU_DEP_2)
	v_dual_mul_f32 v13, v13, v79 :: v_dual_mul_f32 v14, v14, v102
	s_delay_alu instid0(TRANS32_DEP_1) | instid1(VALU_DEP_4)
	v_mul_f32_e32 v12, v15, v12
	s_delay_alu instid0(VALU_DEP_4) | instskip(NEXT) | instid1(VALU_DEP_4)
	v_cndmask_b32_e64 v100, 1.0, v99, s26
	v_fma_f32 v15, v101, v102, v94
	s_delay_alu instid0(VALU_DEP_4) | instskip(NEXT) | instid1(VALU_DEP_4)
	v_cndmask_b32_e64 v99, 0, v13, s27
	v_cndmask_b32_e64 v101, 1.0, v12, s27
	s_delay_alu instid0(VALU_DEP_4) | instskip(NEXT) | instid1(VALU_DEP_4)
	v_mul_f32_e32 v12, v14, v100
	v_fma_f32 v13, v15, v100, v97
	s_delay_alu instid0(VALU_DEP_2) | instskip(NEXT) | instid1(VALU_DEP_2)
	v_mul_f32_e32 v12, v12, v101
	v_fma_f32 v13, v13, v101, v99
	s_delay_alu instid0(VALU_DEP_2) | instskip(NEXT) | instid1(VALU_DEP_2)
	v_mov_b32_dpp v15, v12 row_shr:1 row_mask:0xf bank_mask:0xf
	v_mov_b32_dpp v14, v13 row_shr:1 row_mask:0xf bank_mask:0xf
	s_and_saveexec_b32 s28, s0
; %bb.100:                              ;   in Loop: Header=BB136_61 Depth=2
	s_delay_alu instid0(VALU_DEP_2) | instskip(NEXT) | instid1(VALU_DEP_1)
	v_mul_f32_e32 v15, v12, v15
	v_dual_fmac_f32 v13, v12, v14 :: v_dual_mov_b32 v12, v15
; %bb.101:                              ;   in Loop: Header=BB136_61 Depth=2
	s_or_b32 exec_lo, exec_lo, s28
	s_delay_alu instid0(VALU_DEP_1) | instskip(NEXT) | instid1(VALU_DEP_2)
	v_mov_b32_dpp v14, v12 row_shr:2 row_mask:0xf bank_mask:0xf
	v_mov_b32_dpp v15, v13 row_shr:2 row_mask:0xf bank_mask:0xf
	s_and_saveexec_b32 s28, s1
; %bb.102:                              ;   in Loop: Header=BB136_61 Depth=2
	s_delay_alu instid0(VALU_DEP_1) | instskip(NEXT) | instid1(VALU_DEP_3)
	v_fmac_f32_e32 v13, v12, v15
	v_mul_f32_e32 v12, v12, v14
; %bb.103:                              ;   in Loop: Header=BB136_61 Depth=2
	s_or_b32 exec_lo, exec_lo, s28
	s_delay_alu instid0(VALU_DEP_1) | instskip(NEXT) | instid1(VALU_DEP_3)
	v_mov_b32_dpp v14, v12 row_shr:4 row_mask:0xf bank_mask:0xf
	v_mov_b32_dpp v15, v13 row_shr:4 row_mask:0xf bank_mask:0xf
	s_and_saveexec_b32 s28, s2
; %bb.104:                              ;   in Loop: Header=BB136_61 Depth=2
	s_delay_alu instid0(VALU_DEP_1) | instskip(NEXT) | instid1(VALU_DEP_3)
	v_fmac_f32_e32 v13, v12, v15
	v_mul_f32_e32 v12, v12, v14
; %bb.105:                              ;   in Loop: Header=BB136_61 Depth=2
	s_or_b32 exec_lo, exec_lo, s28
	s_delay_alu instid0(VALU_DEP_1) | instskip(NEXT) | instid1(VALU_DEP_3)
	v_mov_b32_dpp v14, v12 row_shr:8 row_mask:0xf bank_mask:0xf
	v_mov_b32_dpp v15, v13 row_shr:8 row_mask:0xf bank_mask:0xf
	s_and_saveexec_b32 s28, s3
; %bb.106:                              ;   in Loop: Header=BB136_61 Depth=2
	s_delay_alu instid0(VALU_DEP_1) | instskip(NEXT) | instid1(VALU_DEP_3)
	v_fmac_f32_e32 v13, v12, v15
	v_mul_f32_e32 v12, v12, v14
; %bb.107:                              ;   in Loop: Header=BB136_61 Depth=2
	s_or_b32 exec_lo, exec_lo, s28
	ds_swizzle_b32 v15, v12 offset:swizzle(BROADCAST,32,15)
	ds_swizzle_b32 v14, v13 offset:swizzle(BROADCAST,32,15)
	s_and_saveexec_b32 s28, s4
	s_cbranch_execz .LBB136_109
; %bb.108:                              ;   in Loop: Header=BB136_61 Depth=2
	s_waitcnt lgkmcnt(1)
	v_mul_f32_e32 v15, v12, v15
	s_waitcnt lgkmcnt(0)
	s_delay_alu instid0(VALU_DEP_1)
	v_dual_fmac_f32 v13, v12, v14 :: v_dual_mov_b32 v12, v15
.LBB136_109:                            ;   in Loop: Header=BB136_61 Depth=2
	s_or_b32 exec_lo, exec_lo, s28
	s_and_saveexec_b32 s28, s5
	s_cbranch_execz .LBB136_111
; %bb.110:                              ;   in Loop: Header=BB136_61 Depth=2
	ds_store_b64 v46, v[12:13] offset:4224
.LBB136_111:                            ;   in Loop: Header=BB136_61 Depth=2
	s_or_b32 exec_lo, exec_lo, s28
	s_waitcnt vmcnt(0) lgkmcnt(0)
	s_waitcnt_vscnt null, 0x0
	s_barrier
	buffer_gl0_inv
	s_and_saveexec_b32 s28, s6
	s_cbranch_execz .LBB136_113
; %bb.112:                              ;   in Loop: Header=BB136_61 Depth=2
	ds_load_b64 v[14:15], v47 offset:4224
	s_waitcnt lgkmcnt(0)
	v_mov_b32_dpp v103, v14 row_shr:1 row_mask:0xf bank_mask:0xf
	v_mov_b32_dpp v104, v15 row_shr:1 row_mask:0xf bank_mask:0xf
	s_delay_alu instid0(VALU_DEP_2) | instskip(NEXT) | instid1(VALU_DEP_2)
	v_mul_f32_e32 v103, v14, v103
	v_fma_f32 v104, v14, v104, v15
	s_delay_alu instid0(VALU_DEP_2) | instskip(NEXT) | instid1(VALU_DEP_2)
	v_cndmask_b32_e64 v14, v103, v14, s7
	v_cndmask_b32_e64 v15, v104, v15, s7
	ds_store_b64 v47, v[14:15] offset:4224
.LBB136_113:                            ;   in Loop: Header=BB136_61 Depth=2
	s_or_b32 exec_lo, exec_lo, s28
	s_waitcnt lgkmcnt(0)
	s_barrier
	buffer_gl0_inv
                                        ; implicit-def: $vgpr15
	s_and_saveexec_b32 s28, s9
	s_cbranch_execz .LBB136_115
; %bb.114:                              ;   in Loop: Header=BB136_61 Depth=2
	ds_load_b64 v[14:15], v46 offset:4216
	s_waitcnt lgkmcnt(0)
	v_mul_f32_e32 v103, v12, v14
	s_delay_alu instid0(VALU_DEP_1)
	v_dual_fmac_f32 v13, v12, v15 :: v_dual_mov_b32 v12, v103
.LBB136_115:                            ;   in Loop: Header=BB136_61 Depth=2
	s_or_b32 exec_lo, exec_lo, s28
	ds_bpermute_b32 v103, v48, v12
	ds_bpermute_b32 v104, v48, v13
	s_and_saveexec_b32 s28, s8
	s_cbranch_execz .LBB136_119
; %bb.116:                              ;   in Loop: Header=BB136_61 Depth=2
	ds_load_b64 v[12:13], v1 offset:4232
	s_and_saveexec_b32 s29, s10
	s_cbranch_execz .LBB136_118
; %bb.117:                              ;   in Loop: Header=BB136_61 Depth=2
	ds_store_b64 v1, v[10:11] offset:4232
.LBB136_118:                            ;   in Loop: Header=BB136_61 Depth=2
	s_or_b32 exec_lo, exec_lo, s29
	s_waitcnt lgkmcnt(0)
	v_fmac_f32_e32 v13, v11, v12
	s_delay_alu instid0(VALU_DEP_1)
	v_dual_mul_f32 v10, v10, v12 :: v_dual_mov_b32 v11, v13
.LBB136_119:                            ;   in Loop: Header=BB136_61 Depth=2
	s_or_b32 exec_lo, exec_lo, s28
	s_waitcnt lgkmcnt(0)
	s_barrier
	buffer_gl0_inv
	ds_load_b32 v12, v1 offset:4236
	s_and_saveexec_b32 s28, s10
	s_cbranch_execz .LBB136_60
; %bb.120:                              ;   in Loop: Header=BB136_61 Depth=2
	v_mov_b32_e32 v13, s81
	s_and_not1_b32 vcc_lo, exec_lo, s54
	ds_store_b64 v13, v[10:11]
	s_cbranch_vccnz .LBB136_60
; %bb.121:                              ;   in Loop: Header=BB136_61 Depth=2
	s_mov_b32 s43, s53
	s_delay_alu instid0(SALU_CYCLE_1) | instskip(NEXT) | instid1(SALU_CYCLE_1)
	s_lshl_b64 s[58:59], s[42:43], 2
	s_add_u32 s58, s71, s58
	s_addc_u32 s59, s72, s59
	global_store_b32 v1, v11, s[58:59]
	s_branch .LBB136_60
.LBB136_122:                            ;   in Loop: Header=BB136_12 Depth=1
	s_waitcnt_vscnt null, 0x0
	s_barrier
	buffer_gl0_inv
	ds_store_2addr_b32 v37, v75, v74 offset1:1
	ds_store_2addr_b32 v37, v73, v70 offset0:2 offset1:3
	ds_store_2addr_b32 v37, v69, v68 offset0:4 offset1:5
	;; [unrolled: 1-line block ×3, first 2 shown]
	; wave barrier
	ds_load_b32 v10, v30 offset:128
	ds_load_b32 v9, v31 offset:256
	;; [unrolled: 1-line block ×7, first 2 shown]
	s_mov_b32 s35, s53
	s_delay_alu instid0(SALU_CYCLE_1) | instskip(NEXT) | instid1(SALU_CYCLE_1)
	s_lshl_b64 s[24:25], s[34:35], 2
	v_add_co_u32 v2, vcc_lo, v0, s24
	v_add_co_ci_u32_e32 v3, vcc_lo, s25, v49, vcc_lo
	s_and_saveexec_b32 s20, s12
	s_cbranch_execnz .LBB136_150
; %bb.123:                              ;   in Loop: Header=BB136_12 Depth=1
	s_or_b32 exec_lo, exec_lo, s20
	s_and_saveexec_b32 s20, s13
	s_cbranch_execnz .LBB136_151
.LBB136_124:                            ;   in Loop: Header=BB136_12 Depth=1
	s_or_b32 exec_lo, exec_lo, s20
	s_and_saveexec_b32 s20, s14
	s_cbranch_execnz .LBB136_152
.LBB136_125:                            ;   in Loop: Header=BB136_12 Depth=1
	s_or_b32 exec_lo, exec_lo, s20
	s_and_saveexec_b32 s20, s15
	s_cbranch_execnz .LBB136_153
.LBB136_126:                            ;   in Loop: Header=BB136_12 Depth=1
	s_or_b32 exec_lo, exec_lo, s20
	s_and_saveexec_b32 s20, s16
	s_cbranch_execnz .LBB136_154
.LBB136_127:                            ;   in Loop: Header=BB136_12 Depth=1
	s_or_b32 exec_lo, exec_lo, s20
	s_and_saveexec_b32 s20, s17
	s_cbranch_execnz .LBB136_155
.LBB136_128:                            ;   in Loop: Header=BB136_12 Depth=1
	s_or_b32 exec_lo, exec_lo, s20
	s_and_saveexec_b32 s20, s18
	s_cbranch_execnz .LBB136_156
.LBB136_129:                            ;   in Loop: Header=BB136_12 Depth=1
	s_or_b32 exec_lo, exec_lo, s20
	s_and_saveexec_b32 s20, s19
	s_cbranch_execz .LBB136_131
.LBB136_130:                            ;   in Loop: Header=BB136_12 Depth=1
	s_waitcnt lgkmcnt(0)
	global_store_b32 v[2:3], v4, off offset:896
.LBB136_131:                            ;   in Loop: Header=BB136_12 Depth=1
	s_or_b32 exec_lo, exec_lo, s20
	s_mov_b32 s52, s53
	s_mov_b32 s54, s53
	;; [unrolled: 1-line block ×7, first 2 shown]
	s_waitcnt lgkmcnt(6)
	v_add_co_u32 v10, vcc_lo, v50, s24
	s_waitcnt lgkmcnt(0)
	v_dual_mov_b32 v2, s52 :: v_dual_mov_b32 v3, s53
	v_add_co_ci_u32_e32 v11, vcc_lo, s25, v51, vcc_lo
	v_dual_mov_b32 v4, s54 :: v_dual_mov_b32 v5, s55
	v_dual_mov_b32 v6, s56 :: v_dual_mov_b32 v7, s57
	;; [unrolled: 1-line block ×3, first 2 shown]
	v_mov_b32_e32 v12, 0
	s_waitcnt_vscnt null, 0x0
	s_barrier
	buffer_gl0_inv
	s_and_saveexec_b32 s20, s12
	s_cbranch_execnz .LBB136_157
; %bb.132:                              ;   in Loop: Header=BB136_12 Depth=1
	s_or_b32 exec_lo, exec_lo, s20
	s_and_saveexec_b32 s20, s13
	s_cbranch_execnz .LBB136_158
.LBB136_133:                            ;   in Loop: Header=BB136_12 Depth=1
	s_or_b32 exec_lo, exec_lo, s20
	s_and_saveexec_b32 s20, s14
	s_cbranch_execnz .LBB136_159
.LBB136_134:                            ;   in Loop: Header=BB136_12 Depth=1
	s_or_b32 exec_lo, exec_lo, s20
	s_and_saveexec_b32 s20, s15
	s_cbranch_execnz .LBB136_160
.LBB136_135:                            ;   in Loop: Header=BB136_12 Depth=1
	s_or_b32 exec_lo, exec_lo, s20
	s_and_saveexec_b32 s20, s16
	s_cbranch_execnz .LBB136_161
.LBB136_136:                            ;   in Loop: Header=BB136_12 Depth=1
	s_or_b32 exec_lo, exec_lo, s20
	s_and_saveexec_b32 s20, s17
	s_cbranch_execnz .LBB136_162
.LBB136_137:                            ;   in Loop: Header=BB136_12 Depth=1
	s_or_b32 exec_lo, exec_lo, s20
	s_and_saveexec_b32 s20, s18
	s_cbranch_execnz .LBB136_163
.LBB136_138:                            ;   in Loop: Header=BB136_12 Depth=1
	s_or_b32 exec_lo, exec_lo, s20
	s_and_saveexec_b32 s20, s19
	s_cbranch_execz .LBB136_140
.LBB136_139:                            ;   in Loop: Header=BB136_12 Depth=1
	global_load_b32 v9, v[10:11], off offset:896
.LBB136_140:                            ;   in Loop: Header=BB136_12 Depth=1
	s_or_b32 exec_lo, exec_lo, s20
	s_waitcnt vmcnt(0)
	ds_store_b32 v29, v12
	ds_store_b32 v30, v3 offset:128
	ds_store_b32 v31, v4 offset:256
	;; [unrolled: 1-line block ×7, first 2 shown]
	; wave barrier
	ds_load_2addr_b32 v[2:3], v37 offset1:1
	ds_load_2addr_b32 v[4:5], v37 offset0:2 offset1:3
	ds_load_2addr_b32 v[6:7], v37 offset0:4 offset1:5
	;; [unrolled: 1-line block ×3, first 2 shown]
	s_waitcnt lgkmcnt(0)
	s_barrier
	buffer_gl0_inv
	v_dual_mul_f32 v10, 0xbfb8aa3b, v2 :: v_dual_mul_f32 v11, 0xbfb8aa3b, v3
	v_cmp_nlt_f32_e32 vcc_lo, 0x42ce8ed0, v2
	v_cmp_ngt_f32_e64 s22, 0xc2b17218, v5
	s_delay_alu instid0(VALU_DEP_3) | instskip(NEXT) | instid1(VALU_DEP_4)
	v_rndne_f32_e32 v13, v10
	v_rndne_f32_e32 v15, v11
	v_fma_f32 v16, 0xbfb8aa3b, v3, -v11
	v_mul_f32_e32 v12, 0xbfb8aa3b, v4
	v_fma_f32 v14, 0xbfb8aa3b, v2, -v10
	s_delay_alu instid0(VALU_DEP_4) | instskip(NEXT) | instid1(VALU_DEP_4)
	v_sub_f32_e32 v11, v11, v15
	v_fmac_f32_e32 v16, 0xb2a5705f, v3
	v_sub_f32_e32 v10, v10, v13
	v_cvt_i32_f32_e32 v13, v13
	v_rndne_f32_e32 v17, v12
	v_fma_f32 v18, 0xbfb8aa3b, v4, -v12
	v_add_f32_e32 v11, v11, v16
	v_mul_f32_e32 v19, 0xbfb8aa3b, v5
	v_cvt_i32_f32_e32 v15, v15
	v_sub_f32_e32 v12, v12, v17
	v_cvt_i32_f32_e32 v17, v17
	v_exp_f32_e32 v11, v11
	v_fma_f32 v16, 0xbfb8aa3b, v5, -v19
	s_delay_alu instid0(VALU_DEP_1)
	v_fmac_f32_e32 v16, 0xb2a5705f, v5
	v_fmac_f32_e32 v14, 0xb2a5705f, v2
	s_waitcnt_depctr 0xfff
	v_ldexp_f32 v11, v11, v15
	v_add_f32_e32 v10, v10, v14
	v_rndne_f32_e32 v14, v19
	s_delay_alu instid0(VALU_DEP_2) | instskip(SKIP_2) | instid1(VALU_DEP_1)
	v_exp_f32_e32 v10, v10
	s_waitcnt_depctr 0xfff
	v_ldexp_f32 v10, v10, v13
	v_cndmask_b32_e32 v10, 0, v10, vcc_lo
	v_cmp_nlt_f32_e32 vcc_lo, 0x42ce8ed0, v3
	v_dual_fmac_f32 v18, 0xb2a5705f, v4 :: v_dual_cndmask_b32 v11, 0, v11
	s_delay_alu instid0(VALU_DEP_1) | instskip(SKIP_1) | instid1(VALU_DEP_2)
	v_add_f32_e32 v12, v12, v18
	v_cmp_nlt_f32_e32 vcc_lo, 0x42ce8ed0, v4
	v_exp_f32_e32 v12, v12
	s_waitcnt_depctr 0xfff
	v_ldexp_f32 v12, v12, v17
	s_delay_alu instid0(VALU_DEP_1)
	v_cndmask_b32_e32 v12, 0, v12, vcc_lo
	v_cmp_ngt_f32_e32 vcc_lo, 0xc2b17218, v2
	v_cndmask_b32_e32 v10, 0x7f800000, v10, vcc_lo
	v_cmp_ngt_f32_e32 vcc_lo, 0xc2b17218, v3
	v_dual_cndmask_b32 v11, 0x7f800000, v11 :: v_dual_sub_f32 v18, v19, v14
	v_mul_f32_e32 v19, 0xbfb8aa3b, v6
	v_cmp_ngt_f32_e32 vcc_lo, 0xc2b17218, v4
	v_cvt_i32_f32_e32 v14, v14
	s_delay_alu instid0(VALU_DEP_4)
	v_add_f32_e32 v11, 1.0, v11
	v_add_f32_e32 v13, v18, v16
	v_rndne_f32_e32 v65, v19
	v_fma_f32 v80, 0xbfb8aa3b, v6, -v19
	v_cndmask_b32_e32 v12, 0x7f800000, v12, vcc_lo
	v_div_scale_f32 v16, null, v11, v11, v3
	s_delay_alu instid0(VALU_DEP_4) | instskip(SKIP_1) | instid1(VALU_DEP_3)
	v_sub_f32_e32 v19, v19, v65
	v_div_scale_f32 v72, s20, v3, v11, v3
	v_rcp_f32_e32 v63, v16
	v_exp_f32_e32 v13, v13
	v_fmac_f32_e32 v80, 0xb2a5705f, v6
	v_cmp_nlt_f32_e32 vcc_lo, 0x42ce8ed0, v5
	v_mul_f32_e32 v18, 0xbfb8aa3b, v7
	s_waitcnt_depctr 0xfff
	v_fma_f32 v77, -v16, v63, 1.0
	v_ldexp_f32 v13, v13, v14
	s_delay_alu instid0(VALU_DEP_2) | instskip(NEXT) | instid1(VALU_DEP_2)
	v_fmac_f32_e32 v63, v77, v63
	v_cndmask_b32_e32 v13, 0, v13, vcc_lo
	s_delay_alu instid0(VALU_DEP_2) | instskip(NEXT) | instid1(VALU_DEP_2)
	v_mul_f32_e32 v77, v72, v63
	v_cndmask_b32_e64 v13, 0x7f800000, v13, s22
	s_delay_alu instid0(VALU_DEP_2) | instskip(NEXT) | instid1(VALU_DEP_2)
	v_fma_f32 v82, -v16, v77, v72
	v_add_f32_e32 v13, 1.0, v13
	s_delay_alu instid0(VALU_DEP_2) | instskip(NEXT) | instid1(VALU_DEP_2)
	v_dual_fmac_f32 v77, v82, v63 :: v_dual_add_f32 v10, 1.0, v10
	v_div_scale_f32 v84, null, v13, v13, v5
	s_delay_alu instid0(VALU_DEP_2) | instskip(NEXT) | instid1(VALU_DEP_3)
	v_fma_f32 v16, -v16, v77, v72
	v_div_scale_f32 v15, null, v10, v10, v2
	v_div_scale_f32 v66, vcc_lo, v2, v10, v2
	v_mul_f32_e32 v72, 0xbfb8aa3b, v8
	s_delay_alu instid0(VALU_DEP_3) | instskip(SKIP_2) | instid1(VALU_DEP_1)
	v_rcp_f32_e32 v14, v15
	s_waitcnt_depctr 0xfff
	v_fma_f32 v76, -v15, v14, 1.0
	v_fmac_f32_e32 v14, v76, v14
	s_delay_alu instid0(VALU_DEP_1) | instskip(NEXT) | instid1(VALU_DEP_1)
	v_mul_f32_e32 v76, v66, v14
	v_fma_f32 v81, -v15, v76, v66
	s_delay_alu instid0(VALU_DEP_1) | instskip(SKIP_1) | instid1(VALU_DEP_1)
	v_fmac_f32_e32 v76, v81, v14
	v_rcp_f32_e32 v81, v84
	v_fma_f32 v15, -v15, v76, v66
	s_delay_alu instid0(VALU_DEP_1) | instskip(SKIP_2) | instid1(VALU_DEP_1)
	v_div_fmas_f32 v14, v15, v14, v76
	s_mov_b32 vcc_lo, s20
	v_div_fmas_f32 v15, v16, v63, v77
	v_div_fixup_f32 v3, v15, v11, v3
	v_add_f32_e32 v12, 1.0, v12
	v_rndne_f32_e32 v15, v72
	s_delay_alu instid0(TRANS32_DEP_1) | instskip(NEXT) | instid1(VALU_DEP_4)
	v_fma_f32 v11, -v84, v81, 1.0
	v_mul_f32_e32 v3, v3, v74
	s_delay_alu instid0(VALU_DEP_4) | instskip(SKIP_1) | instid1(VALU_DEP_1)
	v_div_scale_f32 v17, null, v12, v12, v4
	v_div_scale_f32 v79, s21, v4, v12, v4
	s_mov_b32 vcc_lo, s21
	s_delay_alu instid0(VALU_DEP_2) | instskip(SKIP_4) | instid1(VALU_DEP_1)
	v_rcp_f32_e32 v64, v17
	v_fmac_f32_e32 v81, v11, v81
	v_cvt_i32_f32_e32 v11, v15
	s_waitcnt_depctr 0xfff
	v_fma_f32 v78, -v17, v64, 1.0
	v_fmac_f32_e32 v64, v78, v64
	s_delay_alu instid0(VALU_DEP_1) | instskip(NEXT) | instid1(VALU_DEP_1)
	v_mul_f32_e32 v78, v79, v64
	v_fma_f32 v83, -v17, v78, v79
	s_delay_alu instid0(VALU_DEP_1) | instskip(NEXT) | instid1(VALU_DEP_1)
	v_fmac_f32_e32 v78, v83, v64
	v_fma_f32 v17, -v17, v78, v79
	s_delay_alu instid0(VALU_DEP_1) | instskip(SKIP_3) | instid1(VALU_DEP_4)
	v_div_fmas_f32 v16, v17, v64, v78
	v_add_f32_e32 v17, v19, v80
	v_div_fixup_f32 v2, v14, v10, v2
	v_cmp_nlt_f32_e32 vcc_lo, 0x42ce8ed0, v6
	v_div_fixup_f32 v4, v16, v12, v4
	s_delay_alu instid0(VALU_DEP_4)
	v_exp_f32_e32 v10, v17
	v_mul_f32_e32 v17, 0xbfb8aa3b, v9
	v_rndne_f32_e32 v66, v18
	v_fma_f32 v19, 0xbfb8aa3b, v7, -v18
	v_cvt_i32_f32_e32 v12, v65
	v_fma_f32 v16, 0xbfb8aa3b, v8, -v72
	s_delay_alu instid0(VALU_DEP_3)
	v_dual_sub_f32 v14, v18, v66 :: v_dual_fmac_f32 v19, 0xb2a5705f, v7
	v_rndne_f32_e32 v18, v17
	s_delay_alu instid0(TRANS32_DEP_1) | instid1(VALU_DEP_4)
	v_ldexp_f32 v10, v10, v12
	s_delay_alu instid0(VALU_DEP_4) | instskip(NEXT) | instid1(VALU_DEP_4)
	v_fmac_f32_e32 v16, 0xb2a5705f, v8
	v_add_f32_e32 v12, v14, v19
	v_sub_f32_e32 v14, v72, v15
	v_fma_f32 v19, 0xbfb8aa3b, v9, -v17
	v_cndmask_b32_e32 v10, 0, v10, vcc_lo
	v_cmp_ngt_f32_e32 vcc_lo, 0xc2b17218, v6
	v_exp_f32_e32 v12, v12
	v_add_f32_e32 v14, v14, v16
	v_sub_f32_e32 v16, v17, v18
	v_cvt_i32_f32_e32 v17, v66
	v_fmac_f32_e32 v19, 0xb2a5705f, v9
	v_cndmask_b32_e32 v10, 0x7f800000, v10, vcc_lo
	v_exp_f32_e32 v14, v14
	v_cmp_nlt_f32_e32 vcc_lo, 0x42ce8ed0, v7
	s_delay_alu instid0(VALU_DEP_3) | instskip(NEXT) | instid1(TRANS32_DEP_2)
	v_add_f32_e32 v16, v16, v19
	v_ldexp_f32 v12, v12, v17
	v_add_f32_e32 v10, 1.0, v10
	s_delay_alu instid0(VALU_DEP_3) | instskip(NEXT) | instid1(VALU_DEP_2)
	v_exp_f32_e32 v15, v16
	v_cndmask_b32_e32 v12, 0, v12, vcc_lo
	s_delay_alu instid0(TRANS32_DEP_2) | instskip(SKIP_3) | instid1(VALU_DEP_4)
	v_ldexp_f32 v11, v14, v11
	v_cmp_nlt_f32_e32 vcc_lo, 0x42ce8ed0, v8
	v_cvt_i32_f32_e32 v14, v18
	v_div_scale_f32 v16, null, v10, v10, v6
	v_cndmask_b32_e32 v11, 0, v11, vcc_lo
	v_cmp_ngt_f32_e32 vcc_lo, 0xc2b17218, v7
	s_delay_alu instid0(TRANS32_DEP_1) | instid1(VALU_DEP_4)
	v_ldexp_f32 v14, v15, v14
	s_delay_alu instid0(VALU_DEP_4) | instskip(SKIP_2) | instid1(VALU_DEP_2)
	v_rcp_f32_e32 v15, v16
	v_cndmask_b32_e32 v12, 0x7f800000, v12, vcc_lo
	v_cmp_ngt_f32_e32 vcc_lo, 0xc2b17218, v8
	v_dual_add_f32 v12, 1.0, v12 :: v_dual_cndmask_b32 v11, 0x7f800000, v11
	v_cmp_nlt_f32_e32 vcc_lo, 0x42ce8ed0, v9
	s_waitcnt_depctr 0xfff
	v_fma_f32 v64, -v16, v15, 1.0
	v_div_scale_f32 v17, null, v12, v12, v7
	v_cndmask_b32_e32 v14, 0, v14, vcc_lo
	v_cmp_ngt_f32_e32 vcc_lo, 0xc2b17218, v9
	v_add_f32_e32 v11, 1.0, v11
	s_delay_alu instid0(VALU_DEP_4)
	v_rcp_f32_e32 v63, v17
	v_fmac_f32_e32 v15, v64, v15
	v_div_scale_f32 v64, s20, v6, v10, v6
	v_cndmask_b32_e32 v14, 0x7f800000, v14, vcc_lo
	v_div_scale_f32 v18, null, v11, v11, v8
	v_div_scale_f32 v19, vcc_lo, v5, v13, v5
	s_delay_alu instid0(VALU_DEP_3) | instskip(NEXT) | instid1(VALU_DEP_3)
	v_add_f32_e32 v14, 1.0, v14
	v_rcp_f32_e32 v65, v18
	v_mul_f32_e32 v4, v4, v73
	s_delay_alu instid0(VALU_DEP_3) | instskip(SKIP_3) | instid1(VALU_DEP_3)
	v_mul_f32_e32 v66, v19, v81
	v_fma_f32 v73, -v17, v63, 1.0
	v_div_scale_f32 v72, null, v14, v14, v9
	v_mul_f32_e32 v77, v64, v15
	v_fmac_f32_e32 v63, v73, v63
	s_delay_alu instid0(VALU_DEP_3) | instskip(NEXT) | instid1(TRANS32_DEP_2)
	v_rcp_f32_e32 v74, v72
	v_fma_f32 v76, -v18, v65, 1.0
	v_mul_f32_e32 v2, v2, v75
	v_fma_f32 v75, -v84, v66, v19
	v_div_scale_f32 v73, s21, v7, v12, v7
	s_delay_alu instid0(VALU_DEP_4) | instskip(SKIP_1) | instid1(VALU_DEP_4)
	v_fmac_f32_e32 v65, v76, v65
	v_div_scale_f32 v76, s22, v8, v11, v8
	v_fmac_f32_e32 v66, v75, v81
	s_delay_alu instid0(TRANS32_DEP_1) | instskip(SKIP_1) | instid1(VALU_DEP_4)
	v_fma_f32 v78, -v72, v74, 1.0
	v_fma_f32 v75, -v16, v77, v64
	v_dual_mul_f32 v79, v73, v63 :: v_dual_mul_f32 v80, v76, v65
	s_delay_alu instid0(VALU_DEP_4) | instskip(NEXT) | instid1(VALU_DEP_4)
	v_fma_f32 v19, -v84, v66, v19
	v_fmac_f32_e32 v74, v78, v74
	v_div_scale_f32 v78, s23, v9, v14, v9
	v_fmac_f32_e32 v77, v75, v15
	v_fma_f32 v75, -v17, v79, v73
	v_fma_f32 v82, -v18, v80, v76
	s_delay_alu instid0(VALU_DEP_4) | instskip(SKIP_2) | instid1(VALU_DEP_4)
	v_mul_f32_e32 v83, v78, v74
	v_div_fmas_f32 v19, v19, v81, v66
	v_fma_f32 v16, -v16, v77, v64
	v_dual_fmac_f32 v79, v75, v63 :: v_dual_fmac_f32 v80, v82, v65
	s_delay_alu instid0(VALU_DEP_4)
	v_fma_f32 v64, -v72, v83, v78
	s_mov_b32 vcc_lo, s20
	v_div_fixup_f32 v5, v19, v13, v5
	v_div_fmas_f32 v15, v16, v15, v77
	v_fma_f32 v16, -v17, v79, v73
	v_fmac_f32_e32 v83, v64, v74
	v_fma_f32 v17, -v18, v80, v76
	s_mov_b32 vcc_lo, s21
	v_div_fixup_f32 v6, v15, v10, v6
	v_div_fmas_f32 v16, v16, v63, v79
	v_fma_f32 v18, -v72, v83, v78
	s_mov_b32 vcc_lo, s22
	v_mul_f32_e32 v5, v5, v70
	v_div_fmas_f32 v17, v17, v65, v80
	s_mov_b32 vcc_lo, s23
	v_div_fixup_f32 v7, v16, v12, v7
	v_div_fmas_f32 v18, v18, v74, v83
	v_mul_f32_e32 v6, v6, v69
	v_div_fixup_f32 v8, v17, v11, v8
	s_delay_alu instid0(VALU_DEP_4) | instskip(NEXT) | instid1(VALU_DEP_4)
	v_mul_f32_e32 v7, v7, v68
	v_div_fixup_f32 v9, v18, v14, v9
	s_delay_alu instid0(VALU_DEP_3) | instskip(NEXT) | instid1(VALU_DEP_2)
	v_mul_f32_e32 v8, v8, v67
	v_mul_f32_e32 v9, v9, v71
	ds_store_2addr_b32 v37, v2, v3 offset1:1
	ds_store_2addr_b32 v37, v4, v5 offset0:2 offset1:3
	ds_store_2addr_b32 v37, v6, v7 offset0:4 offset1:5
	;; [unrolled: 1-line block ×3, first 2 shown]
	; wave barrier
	ds_load_b32 v10, v30 offset:128
	ds_load_b32 v9, v31 offset:256
	;; [unrolled: 1-line block ×7, first 2 shown]
	v_add_co_u32 v2, vcc_lo, v52, s24
	v_add_co_ci_u32_e32 v3, vcc_lo, s25, v53, vcc_lo
	s_and_saveexec_b32 s20, s12
	s_cbranch_execnz .LBB136_164
; %bb.141:                              ;   in Loop: Header=BB136_12 Depth=1
	s_or_b32 exec_lo, exec_lo, s20
	s_and_saveexec_b32 s12, s13
	s_cbranch_execnz .LBB136_165
.LBB136_142:                            ;   in Loop: Header=BB136_12 Depth=1
	s_or_b32 exec_lo, exec_lo, s12
	s_and_saveexec_b32 s12, s14
	s_cbranch_execnz .LBB136_166
.LBB136_143:                            ;   in Loop: Header=BB136_12 Depth=1
	s_or_b32 exec_lo, exec_lo, s12
	s_and_saveexec_b32 s12, s15
	s_cbranch_execnz .LBB136_167
.LBB136_144:                            ;   in Loop: Header=BB136_12 Depth=1
	s_or_b32 exec_lo, exec_lo, s12
	s_and_saveexec_b32 s12, s16
	s_cbranch_execnz .LBB136_168
.LBB136_145:                            ;   in Loop: Header=BB136_12 Depth=1
	s_or_b32 exec_lo, exec_lo, s12
	s_and_saveexec_b32 s12, s17
	s_cbranch_execnz .LBB136_169
.LBB136_146:                            ;   in Loop: Header=BB136_12 Depth=1
	s_or_b32 exec_lo, exec_lo, s12
	s_and_saveexec_b32 s12, s18
	s_cbranch_execnz .LBB136_170
.LBB136_147:                            ;   in Loop: Header=BB136_12 Depth=1
	s_or_b32 exec_lo, exec_lo, s12
	s_and_saveexec_b32 s12, s19
	s_cbranch_execz .LBB136_11
	s_branch .LBB136_171
.LBB136_148:                            ;   in Loop: Header=BB136_12 Depth=1
	global_load_b32 v18, v[10:11], off offset:640
	s_or_b32 exec_lo, exec_lo, s20
	s_and_saveexec_b32 s20, s18
	s_cbranch_execz .LBB136_40
.LBB136_149:                            ;   in Loop: Header=BB136_12 Depth=1
	global_load_b32 v17, v[10:11], off offset:768
	s_or_b32 exec_lo, exec_lo, s20
	v_mov_b32_e32 v19, 0
	s_and_saveexec_b32 s20, s19
	s_cbranch_execnz .LBB136_41
	s_branch .LBB136_42
.LBB136_150:                            ;   in Loop: Header=BB136_12 Depth=1
	ds_load_b32 v11, v29
	s_waitcnt lgkmcnt(0)
	global_store_b32 v[2:3], v11, off
	s_or_b32 exec_lo, exec_lo, s20
	s_and_saveexec_b32 s20, s13
	s_cbranch_execz .LBB136_124
.LBB136_151:                            ;   in Loop: Header=BB136_12 Depth=1
	s_waitcnt lgkmcnt(6)
	global_store_b32 v[2:3], v10, off offset:128
	s_or_b32 exec_lo, exec_lo, s20
	s_and_saveexec_b32 s20, s14
	s_cbranch_execz .LBB136_125
.LBB136_152:                            ;   in Loop: Header=BB136_12 Depth=1
	s_waitcnt lgkmcnt(5)
	global_store_b32 v[2:3], v9, off offset:256
	s_or_b32 exec_lo, exec_lo, s20
	s_and_saveexec_b32 s20, s15
	s_cbranch_execz .LBB136_126
.LBB136_153:                            ;   in Loop: Header=BB136_12 Depth=1
	s_waitcnt lgkmcnt(4)
	global_store_b32 v[2:3], v8, off offset:384
	s_or_b32 exec_lo, exec_lo, s20
	s_and_saveexec_b32 s20, s16
	s_cbranch_execz .LBB136_127
.LBB136_154:                            ;   in Loop: Header=BB136_12 Depth=1
	s_waitcnt lgkmcnt(3)
	global_store_b32 v[2:3], v7, off offset:512
	s_or_b32 exec_lo, exec_lo, s20
	s_and_saveexec_b32 s20, s17
	s_cbranch_execz .LBB136_128
.LBB136_155:                            ;   in Loop: Header=BB136_12 Depth=1
	s_waitcnt lgkmcnt(2)
	global_store_b32 v[2:3], v6, off offset:640
	s_or_b32 exec_lo, exec_lo, s20
	s_and_saveexec_b32 s20, s18
	s_cbranch_execz .LBB136_129
.LBB136_156:                            ;   in Loop: Header=BB136_12 Depth=1
	s_waitcnt lgkmcnt(1)
	global_store_b32 v[2:3], v5, off offset:768
	s_or_b32 exec_lo, exec_lo, s20
	s_and_saveexec_b32 s20, s19
	s_cbranch_execnz .LBB136_130
	s_branch .LBB136_131
.LBB136_157:                            ;   in Loop: Header=BB136_12 Depth=1
	global_load_b32 v12, v[10:11], off
	v_mov_b32_e32 v7, v1
	v_mov_b32_e32 v2, v1
	v_mov_b32_e32 v3, v1
	v_mov_b32_e32 v4, v1
	v_mov_b32_e32 v5, v1
	v_mov_b32_e32 v6, v1
	v_mov_b32_e32 v9, v7
	s_delay_alu instid0(VALU_DEP_2)
	v_dual_mov_b32 v8, v6 :: v_dual_mov_b32 v7, v5
	v_mov_b32_e32 v6, v4
	v_mov_b32_e32 v5, v3
	;; [unrolled: 1-line block ×5, first 2 shown]
	s_or_b32 exec_lo, exec_lo, s20
	s_and_saveexec_b32 s20, s13
	s_cbranch_execz .LBB136_133
.LBB136_158:                            ;   in Loop: Header=BB136_12 Depth=1
	global_load_b32 v3, v[10:11], off offset:128
	s_or_b32 exec_lo, exec_lo, s20
	s_and_saveexec_b32 s20, s14
	s_cbranch_execz .LBB136_134
.LBB136_159:                            ;   in Loop: Header=BB136_12 Depth=1
	global_load_b32 v4, v[10:11], off offset:256
	s_or_b32 exec_lo, exec_lo, s20
	s_and_saveexec_b32 s20, s15
	s_cbranch_execz .LBB136_135
.LBB136_160:                            ;   in Loop: Header=BB136_12 Depth=1
	global_load_b32 v5, v[10:11], off offset:384
	s_or_b32 exec_lo, exec_lo, s20
	s_and_saveexec_b32 s20, s16
	s_cbranch_execz .LBB136_136
.LBB136_161:                            ;   in Loop: Header=BB136_12 Depth=1
	global_load_b32 v6, v[10:11], off offset:512
	s_or_b32 exec_lo, exec_lo, s20
	s_and_saveexec_b32 s20, s17
	s_cbranch_execz .LBB136_137
.LBB136_162:                            ;   in Loop: Header=BB136_12 Depth=1
	global_load_b32 v7, v[10:11], off offset:640
	s_or_b32 exec_lo, exec_lo, s20
	s_and_saveexec_b32 s20, s18
	s_cbranch_execz .LBB136_138
.LBB136_163:                            ;   in Loop: Header=BB136_12 Depth=1
	global_load_b32 v8, v[10:11], off offset:768
	s_or_b32 exec_lo, exec_lo, s20
	s_and_saveexec_b32 s20, s19
	s_cbranch_execnz .LBB136_139
	s_branch .LBB136_140
.LBB136_164:                            ;   in Loop: Header=BB136_12 Depth=1
	ds_load_b32 v11, v29
	s_waitcnt lgkmcnt(0)
	global_store_b32 v[2:3], v11, off
	s_or_b32 exec_lo, exec_lo, s20
	s_and_saveexec_b32 s12, s13
	s_cbranch_execz .LBB136_142
.LBB136_165:                            ;   in Loop: Header=BB136_12 Depth=1
	s_waitcnt lgkmcnt(6)
	global_store_b32 v[2:3], v10, off offset:128
	s_or_b32 exec_lo, exec_lo, s12
	s_and_saveexec_b32 s12, s14
	s_cbranch_execz .LBB136_143
.LBB136_166:                            ;   in Loop: Header=BB136_12 Depth=1
	s_waitcnt lgkmcnt(5)
	global_store_b32 v[2:3], v9, off offset:256
	s_or_b32 exec_lo, exec_lo, s12
	s_and_saveexec_b32 s12, s15
	s_cbranch_execz .LBB136_144
.LBB136_167:                            ;   in Loop: Header=BB136_12 Depth=1
	s_waitcnt lgkmcnt(4)
	global_store_b32 v[2:3], v8, off offset:384
	s_or_b32 exec_lo, exec_lo, s12
	s_and_saveexec_b32 s12, s16
	s_cbranch_execz .LBB136_145
.LBB136_168:                            ;   in Loop: Header=BB136_12 Depth=1
	s_waitcnt lgkmcnt(3)
	global_store_b32 v[2:3], v7, off offset:512
	s_or_b32 exec_lo, exec_lo, s12
	s_and_saveexec_b32 s12, s17
	s_cbranch_execz .LBB136_146
.LBB136_169:                            ;   in Loop: Header=BB136_12 Depth=1
	s_waitcnt lgkmcnt(2)
	global_store_b32 v[2:3], v6, off offset:640
	s_or_b32 exec_lo, exec_lo, s12
	s_and_saveexec_b32 s12, s18
	s_cbranch_execz .LBB136_147
.LBB136_170:                            ;   in Loop: Header=BB136_12 Depth=1
	s_waitcnt lgkmcnt(1)
	global_store_b32 v[2:3], v5, off offset:768
	s_or_b32 exec_lo, exec_lo, s12
	s_and_saveexec_b32 s12, s19
	s_cbranch_execz .LBB136_11
.LBB136_171:                            ;   in Loop: Header=BB136_12 Depth=1
	s_waitcnt lgkmcnt(0)
	global_store_b32 v[2:3], v4, off offset:896
	s_branch .LBB136_11
.LBB136_172:
	s_nop 0
	s_sendmsg sendmsg(MSG_DEALLOC_VGPRS)
	s_endpgm
	.section	.rodata,"a",@progbits
	.p2align	6, 0x0
	.amdhsa_kernel _Z25selective_scan_fwd_kernelI32Selective_Scan_fwd_kernel_traitsILi64ELi8ELi1ELb1ELb1ELb1ELb1ELb1EfffEEv13SSMParamsBase
		.amdhsa_group_segment_fixed_size 0
		.amdhsa_private_segment_fixed_size 0
		.amdhsa_kernarg_size 248
		.amdhsa_user_sgpr_count 14
		.amdhsa_user_sgpr_dispatch_ptr 0
		.amdhsa_user_sgpr_queue_ptr 0
		.amdhsa_user_sgpr_kernarg_segment_ptr 1
		.amdhsa_user_sgpr_dispatch_id 0
		.amdhsa_user_sgpr_private_segment_size 0
		.amdhsa_wavefront_size32 1
		.amdhsa_uses_dynamic_stack 0
		.amdhsa_enable_private_segment 0
		.amdhsa_system_sgpr_workgroup_id_x 1
		.amdhsa_system_sgpr_workgroup_id_y 1
		.amdhsa_system_sgpr_workgroup_id_z 0
		.amdhsa_system_sgpr_workgroup_info 0
		.amdhsa_system_vgpr_workitem_id 0
		.amdhsa_next_free_vgpr 105
		.amdhsa_next_free_sgpr 92
		.amdhsa_reserve_vcc 1
		.amdhsa_float_round_mode_32 0
		.amdhsa_float_round_mode_16_64 0
		.amdhsa_float_denorm_mode_32 3
		.amdhsa_float_denorm_mode_16_64 3
		.amdhsa_dx10_clamp 1
		.amdhsa_ieee_mode 1
		.amdhsa_fp16_overflow 0
		.amdhsa_workgroup_processor_mode 1
		.amdhsa_memory_ordered 1
		.amdhsa_forward_progress 0
		.amdhsa_shared_vgpr_count 0
		.amdhsa_exception_fp_ieee_invalid_op 0
		.amdhsa_exception_fp_denorm_src 0
		.amdhsa_exception_fp_ieee_div_zero 0
		.amdhsa_exception_fp_ieee_overflow 0
		.amdhsa_exception_fp_ieee_underflow 0
		.amdhsa_exception_fp_ieee_inexact 0
		.amdhsa_exception_int_div_zero 0
	.end_amdhsa_kernel
	.section	.text._Z25selective_scan_fwd_kernelI32Selective_Scan_fwd_kernel_traitsILi64ELi8ELi1ELb1ELb1ELb1ELb1ELb1EfffEEv13SSMParamsBase,"axG",@progbits,_Z25selective_scan_fwd_kernelI32Selective_Scan_fwd_kernel_traitsILi64ELi8ELi1ELb1ELb1ELb1ELb1ELb1EfffEEv13SSMParamsBase,comdat
.Lfunc_end136:
	.size	_Z25selective_scan_fwd_kernelI32Selective_Scan_fwd_kernel_traitsILi64ELi8ELi1ELb1ELb1ELb1ELb1ELb1EfffEEv13SSMParamsBase, .Lfunc_end136-_Z25selective_scan_fwd_kernelI32Selective_Scan_fwd_kernel_traitsILi64ELi8ELi1ELb1ELb1ELb1ELb1ELb1EfffEEv13SSMParamsBase
                                        ; -- End function
	.section	.AMDGPU.csdata,"",@progbits
; Kernel info:
; codeLenInByte = 14324
; NumSgprs: 94
; NumVgprs: 105
; ScratchSize: 0
; MemoryBound: 0
; FloatMode: 240
; IeeeMode: 1
; LDSByteSize: 0 bytes/workgroup (compile time only)
; SGPRBlocks: 11
; VGPRBlocks: 13
; NumSGPRsForWavesPerEU: 94
; NumVGPRsForWavesPerEU: 105
; Occupancy: 12
; WaveLimiterHint : 1
; COMPUTE_PGM_RSRC2:SCRATCH_EN: 0
; COMPUTE_PGM_RSRC2:USER_SGPR: 14
; COMPUTE_PGM_RSRC2:TRAP_HANDLER: 0
; COMPUTE_PGM_RSRC2:TGID_X_EN: 1
; COMPUTE_PGM_RSRC2:TGID_Y_EN: 1
; COMPUTE_PGM_RSRC2:TGID_Z_EN: 0
; COMPUTE_PGM_RSRC2:TIDIG_COMP_CNT: 0
	.section	.text._Z25selective_scan_fwd_kernelI32Selective_Scan_fwd_kernel_traitsILi64ELi8ELi1ELb1ELb1ELb1ELb1ELb0EfffEEv13SSMParamsBase,"axG",@progbits,_Z25selective_scan_fwd_kernelI32Selective_Scan_fwd_kernel_traitsILi64ELi8ELi1ELb1ELb1ELb1ELb1ELb0EfffEEv13SSMParamsBase,comdat
	.protected	_Z25selective_scan_fwd_kernelI32Selective_Scan_fwd_kernel_traitsILi64ELi8ELi1ELb1ELb1ELb1ELb1ELb0EfffEEv13SSMParamsBase ; -- Begin function _Z25selective_scan_fwd_kernelI32Selective_Scan_fwd_kernel_traitsILi64ELi8ELi1ELb1ELb1ELb1ELb1ELb0EfffEEv13SSMParamsBase
	.globl	_Z25selective_scan_fwd_kernelI32Selective_Scan_fwd_kernel_traitsILi64ELi8ELi1ELb1ELb1ELb1ELb1ELb0EfffEEv13SSMParamsBase
	.p2align	8
	.type	_Z25selective_scan_fwd_kernelI32Selective_Scan_fwd_kernel_traitsILi64ELi8ELi1ELb1ELb1ELb1ELb1ELb0EfffEEv13SSMParamsBase,@function
_Z25selective_scan_fwd_kernelI32Selective_Scan_fwd_kernel_traitsILi64ELi8ELi1ELb1ELb1ELb1ELb1ELb0EfffEEv13SSMParamsBase: ; @_Z25selective_scan_fwd_kernelI32Selective_Scan_fwd_kernel_traitsILi64ELi8ELi1ELb1ELb1ELb1ELb1ELb0EfffEEv13SSMParamsBase
; %bb.0:
	s_clause 0x1
	s_load_b32 s9, s[0:1], 0x18
	s_load_b128 s[4:7], s[0:1], 0xe8
	s_mov_b32 s52, s15
	s_mov_b32 s33, 0
	s_waitcnt lgkmcnt(0)
	s_abs_i32 s8, s9
	s_cmp_eq_u64 s[6:7], 0
	v_cvt_f32_u32_e32 v1, s8
	s_delay_alu instid0(VALU_DEP_1) | instskip(SKIP_2) | instid1(VALU_DEP_1)
	v_rcp_iflag_f32_e32 v1, v1
	s_waitcnt_depctr 0xfff
	v_mul_f32_e32 v1, 0x4f7ffffe, v1
	v_cvt_u32_f32_e32 v1, v1
	s_delay_alu instid0(VALU_DEP_1)
	v_readfirstlane_b32 s10, v1
	s_cbranch_scc1 .LBB137_2
; %bb.1:
	v_mov_b32_e32 v1, 0
	s_ashr_i32 s3, s14, 31
	s_add_u32 s2, s6, s14
	s_addc_u32 s3, s7, s3
	global_load_u8 v1, v1, s[2:3]
	s_waitcnt vmcnt(0)
	v_and_b32_e32 v1, 1, v1
	s_delay_alu instid0(VALU_DEP_1)
	v_cmp_eq_u32_e64 s33, 1, v1
.LBB137_2:
	s_load_b64 s[6:7], s[0:1], 0x20
	s_cmp_eq_u64 s[4:5], 0
	s_cbranch_scc1 .LBB137_4
; %bb.3:
	s_ashr_i32 s15, s14, 31
	s_delay_alu instid0(SALU_CYCLE_1) | instskip(NEXT) | instid1(SALU_CYCLE_1)
	s_lshl_b64 s[2:3], s[14:15], 2
	s_add_u32 s2, s4, s2
	s_addc_u32 s3, s5, s3
	s_load_b32 s2, s[2:3], 0x0
	s_waitcnt lgkmcnt(0)
	s_ashr_i32 s3, s2, 31
	s_delay_alu instid0(SALU_CYCLE_1)
	s_cmp_eq_u64 s[6:7], s[2:3]
	s_cbranch_scc0 .LBB137_5
	s_branch .LBB137_72
.LBB137_4:
	s_mov_b32 s2, s14
	s_delay_alu instid0(SALU_CYCLE_1)
	s_ashr_i32 s3, s2, 31
	s_waitcnt lgkmcnt(0)
	s_cmp_eq_u64 s[6:7], s[2:3]
	s_cbranch_scc1 .LBB137_72
.LBB137_5:
	s_clause 0x1
	s_load_b512 s[16:31], s[0:1], 0x88
	s_load_b64 s[34:35], s[0:1], 0x8
	s_mov_b32 s54, 0
	s_mov_b32 s55, 0
	s_waitcnt lgkmcnt(0)
	s_cmp_eq_u64 s[22:23], 0
	s_cbranch_scc1 .LBB137_7
; %bb.6:
	s_ashr_i32 s53, s52, 31
	s_delay_alu instid0(SALU_CYCLE_1) | instskip(NEXT) | instid1(SALU_CYCLE_1)
	s_lshl_b64 s[4:5], s[52:53], 2
	s_add_u32 s4, s22, s4
	s_addc_u32 s5, s23, s5
	s_load_b32 s55, s[4:5], 0x0
.LBB137_7:
	s_cmp_eq_u64 s[28:29], 0
	s_cbranch_scc1 .LBB137_9
; %bb.8:
	s_ashr_i32 s53, s52, 31
	s_delay_alu instid0(SALU_CYCLE_1) | instskip(NEXT) | instid1(SALU_CYCLE_1)
	s_lshl_b64 s[4:5], s[52:53], 2
	s_add_u32 s4, s28, s4
	s_addc_u32 s5, s29, s5
	s_load_b32 s54, s[4:5], 0x0
.LBB137_9:
	s_cmp_lt_i32 s34, 1
	s_cbranch_scc1 .LBB137_72
; %bb.10:
	s_sub_i32 s3, 0, s8
	s_load_b256 s[36:43], s[0:1], 0x4c
	s_mul_i32 s3, s3, s10
	s_abs_i32 s4, s52
	s_mul_hi_u32 s3, s10, s3
	s_ashr_i32 s6, s9, 31
	s_add_i32 s10, s10, s3
	s_ashr_i32 s3, s52, 31
	s_mul_hi_u32 s5, s4, s10
	s_xor_b32 s3, s3, s6
	s_mul_i32 s7, s5, s8
	s_add_i32 s6, s5, 1
	s_sub_i32 s4, s4, s7
	s_load_b256 s[44:51], s[0:1], 0x2c
	s_sub_i32 s7, s4, s8
	s_cmp_ge_u32 s4, s8
	s_mov_b32 s29, 0
	s_cselect_b32 s5, s6, s5
	s_cselect_b32 s4, s7, s4
	s_add_i32 s6, s5, 1
	s_cmp_ge_u32 s4, s8
	s_waitcnt lgkmcnt(0)
	s_mul_i32 s28, s38, s14
	s_cselect_b32 s6, s6, s5
	s_lshl_b64 s[4:5], s[28:29], 2
	s_xor_b32 s6, s6, s3
	s_mul_i32 s28, s39, s52
	s_sub_i32 s3, s6, s3
	s_add_u32 s6, s24, s4
	s_addc_u32 s7, s25, s5
	s_lshl_b64 s[4:5], s[28:29], 2
	s_mul_i32 s28, s40, s14
	s_add_u32 s47, s6, s4
	s_addc_u32 s51, s7, s5
	s_lshl_b64 s[4:5], s[28:29], 2
	s_mul_i32 s28, s41, s52
	;; [unrolled: 4-line block ×3, first 2 shown]
	s_add_u32 s53, s6, s4
	s_addc_u32 s44, s7, s5
	s_clause 0x1
	s_load_b64 s[6:7], s[0:1], 0x7c
	s_load_b32 s58, s[0:1], 0x84
	s_lshl_b64 s[4:5], s[28:29], 2
	s_mul_i32 s28, s46, s14
	s_add_u32 s56, s16, s4
	s_addc_u32 s46, s17, s5
	s_lshl_b64 s[4:5], s[28:29], 2
	s_mul_i32 s28, s3, s49
	s_load_b128 s[24:27], s[0:1], 0xc8
	s_add_u32 s8, s18, s4
	s_addc_u32 s9, s19, s5
	s_lshl_b64 s[4:5], s[28:29], 2
	s_mul_i32 s28, s50, s14
	s_add_u32 s49, s8, s4
	v_dual_mov_b32 v50, 0 :: v_dual_lshlrev_b32 v1, 1, v0
	s_addc_u32 s50, s9, s5
	s_lshl_b64 s[4:5], s[28:29], 2
	s_mul_i32 s28, s3, s37
	s_add_u32 s8, s20, s4
	s_addc_u32 s3, s21, s5
	s_lshl_b64 s[4:5], s[28:29], 2
	s_load_b128 s[16:19], s[0:1], 0x6c
	s_waitcnt lgkmcnt(0)
	s_mul_i32 s28, s2, s6
	s_load_b32 s6, s[0:1], 0x28
	v_mbcnt_lo_u32_b32 v2, -1, 0
	v_and_b32_e32 v1, 64, v1
	s_add_u32 s37, s8, s4
	s_addc_u32 s57, s3, s5
	s_lshl_b64 s[2:3], s[28:29], 2
	v_and_b32_e32 v4, 32, v0
	v_or_b32_e32 v3, v2, v1
	s_mul_i32 s28, s7, s52
	s_load_b64 s[20:21], s[0:1], 0xd8
	s_add_u32 s4, s24, s2
	s_addc_u32 s5, s25, s3
	v_or_b32_e32 v6, 32, v3
	s_lshl_b64 s[2:3], s[28:29], 2
	v_lshrrev_b32_e32 v5, 5, v1
	s_add_u32 s25, s4, s2
	v_or_b32_e32 v7, v2, v4
	v_lshrrev_b32_e32 v8, 5, v6
	s_addc_u32 s59, s5, s3
	s_add_i32 s2, s34, 0x7ff
	v_cmp_gt_u32_e64 s0, 0x80, v3
	s_lshr_b32 s60, s2, 11
	s_waitcnt lgkmcnt(0)
	s_bitcmp1_b32 s6, 0
	v_add_nc_u32_e32 v5, v5, v3
	v_lshlrev_b32_e32 v9, 1, v7
	v_bfe_u32 v7, v7, 4, 27
	v_add_lshl_u32 v3, v8, v3, 4
	s_cselect_b32 s61, -1, 0
	s_cmp_gt_i32 s35, 0
	v_lshl_add_u32 v51, v5, 4, 0
	s_cselect_b32 s62, -1, 0
	s_add_i32 s2, 0, 0x840
	v_add_lshl_u32 v5, v7, v9, 4
	v_add_nc_u32_e32 v52, 0, v3
	v_add_nc_u32_e32 v54, s2, v3
	v_and_b32_e32 v3, 15, v2
	s_and_b32 s3, s34, 0x1ff
	v_add_nc_u32_e32 v55, s2, v5
	s_cmp_eq_u32 s3, 0
	s_mul_i32 s28, s16, s14
	v_cmp_ne_u32_e64 s2, 0, v3
	v_cmp_lt_u32_e64 s3, 1, v3
	v_cmp_lt_u32_e64 s4, 3, v3
	;; [unrolled: 1-line block ×3, first 2 shown]
	v_add_nc_u32_e32 v3, -1, v2
	s_cselect_b32 s63, -1, 0
	s_lshl_b64 s[22:23], s[28:29], 2
	v_add_nc_u32_e32 v53, 0, v5
	v_lshrrev_b32_e32 v5, 2, v0
	v_cmp_gt_i32_e32 vcc_lo, 0, v3
	s_add_i32 s64, s60, -1
	s_mul_i32 s28, s17, s52
	s_add_u32 s15, s30, s22
	s_addc_u32 s22, s31, s23
	v_cndmask_b32_e32 v3, v3, v2, vcc_lo
	v_or_b32_e32 v4, 31, v4
	s_lshl_b64 s[16:17], s[28:29], 2
	s_mul_i32 s28, s42, s14
	v_lshlrev_b32_e32 v56, 3, v0
	v_cmp_gt_u32_e64 s8, 2, v0
	v_cmp_eq_u32_e64 s7, v4, v0
	v_cmp_gt_u32_e64 s10, 32, v0
	v_cmp_lt_u32_e64 s11, 31, v0
	v_cmp_eq_u32_e64 s12, 0, v0
	s_add_u32 s15, s15, s16
	v_lshlrev_b32_e32 v0, 4, v2
	v_and_b32_e32 v5, 8, v5
	s_addc_u32 s22, s22, s17
	s_lshl_b64 s[16:17], s[28:29], 2
	v_and_b32_e32 v4, 1, v2
	s_mul_i32 s28, s43, s52
	s_add_u32 s23, s26, s16
	s_addc_u32 s24, s27, s17
	s_lshl_b64 s[16:17], s[28:29], 2
	v_lshlrev_b32_e32 v59, 2, v3
	v_add_co_u32 v3, s15, s15, v0
	s_mul_i32 s28, s18, s14
	v_add_nc_u32_e32 v57, 0, v5
	s_add_u32 s16, s23, s16
	v_lshlrev_b32_e32 v5, 4, v1
	v_cmp_eq_u32_e64 s9, 0, v4
	v_add_co_ci_u32_e64 v4, null, s22, 0, s15
	s_addc_u32 s17, s24, s17
	s_lshl_b64 s[14:15], s[28:29], 2
	s_mul_i32 s28, s19, s52
	s_add_u32 s18, s20, s14
	s_addc_u32 s19, s21, s15
	s_lshl_b64 s[14:15], s[28:29], 2
	v_cmp_gt_u32_e64 s1, 0x80, v6
	v_and_b32_e32 v6, 16, v2
	v_add_co_u32 v60, vcc_lo, v3, v5
	v_add_co_u32 v3, s16, s16, v0
	s_add_u32 s14, s18, s14
	v_add_co_ci_u32_e32 v61, vcc_lo, 0, v4, vcc_lo
	v_add_co_ci_u32_e64 v4, null, s17, 0, s16
	s_addc_u32 s15, s19, s15
	v_add_co_u32 v0, s14, s14, v0
	v_cmp_ne_u32_e64 s6, 0, v6
	v_add_co_ci_u32_e64 v6, null, s15, 0, s14
	v_add_co_u32 v62, vcc_lo, v3, v5
	v_add_co_ci_u32_e32 v63, vcc_lo, 0, v4, vcc_lo
	v_add_co_u32 v64, vcc_lo, v0, v5
	v_add_nc_u32_e32 v58, 0, v56
	v_cmp_eq_u32_e64 s13, 0, v2
	v_add_co_ci_u32_e32 v65, vcc_lo, 0, v6, vcc_lo
	v_or_b32_e32 v66, 1, v56
	v_or_b32_e32 v67, 2, v56
	;; [unrolled: 1-line block ×7, first 2 shown]
	v_lshlrev_b32_e32 v73, 4, v2
	v_lshlrev_b32_e32 v74, 4, v1
	s_mov_b32 s42, 0x3e9b6dac
	s_add_i32 s43, 0, 0x1090
	s_mov_b32 s52, 0
                                        ; implicit-def: $vgpr3
                                        ; implicit-def: $vgpr15
                                        ; implicit-def: $vgpr16
                                        ; implicit-def: $vgpr4
                                        ; implicit-def: $vgpr11
                                        ; implicit-def: $vgpr23
	s_branch .LBB137_12
.LBB137_11:                             ;   in Loop: Header=BB137_12 Depth=1
	s_or_b32 exec_lo, exec_lo, s14
	s_waitcnt vmcnt(0)
	ds_store_b128 v51, v[20:23]
	ds_store_b128 v52, v[8:11] offset:512
	; wave barrier
	ds_load_b128 v[20:23], v53
	ds_load_b128 v[8:11], v53 offset:16
	s_waitcnt lgkmcnt(0)
	s_barrier
	buffer_gl0_inv
	s_add_u32 s53, s53, 0x800
	s_addc_u32 s44, s44, 0
	s_add_u32 s47, s47, 0x800
	s_addc_u32 s51, s51, 0
	;; [unrolled: 2-line block ×4, first 2 shown]
	s_add_i32 s52, s52, 1
	s_delay_alu instid0(SALU_CYCLE_1) | instskip(SKIP_3) | instid1(VALU_DEP_3)
	s_cmp_eq_u32 s52, s60
	v_dual_mul_f32 v32, 0xbfb8aa3b, v20 :: v_dual_mul_f32 v33, 0xbfb8aa3b, v21
	v_dual_mul_f32 v34, 0xbfb8aa3b, v22 :: v_dual_mul_f32 v35, 0xbfb8aa3b, v23
	;; [unrolled: 1-line block ×3, first 2 shown]
	v_fma_f32 v40, 0xbfb8aa3b, v20, -v32
	v_rndne_f32_e32 v39, v32
	s_delay_alu instid0(VALU_DEP_4) | instskip(SKIP_3) | instid1(VALU_DEP_4)
	v_rndne_f32_e32 v45, v35
	v_fma_f32 v46, 0xbfb8aa3b, v23, -v35
	v_rndne_f32_e32 v41, v33
	v_fma_f32 v42, 0xbfb8aa3b, v21, -v33
	v_dual_fmac_f32 v40, 0xb2a5705f, v20 :: v_dual_sub_f32 v35, v35, v45
	s_delay_alu instid0(VALU_DEP_4) | instskip(NEXT) | instid1(VALU_DEP_4)
	v_fmac_f32_e32 v46, 0xb2a5705f, v23
	v_dual_mul_f32 v38, 0xbfb8aa3b, v10 :: v_dual_sub_f32 v33, v33, v41
	s_delay_alu instid0(VALU_DEP_4) | instskip(SKIP_1) | instid1(VALU_DEP_4)
	v_fmac_f32_e32 v42, 0xb2a5705f, v21
	v_rndne_f32_e32 v43, v34
	v_dual_add_f32 v35, v35, v46 :: v_dual_sub_f32 v32, v32, v39
	v_cvt_i32_f32_e32 v39, v39
	s_delay_alu instid0(VALU_DEP_4)
	v_add_f32_e32 v33, v33, v42
	v_fma_f32 v44, 0xbfb8aa3b, v22, -v34
	v_cvt_i32_f32_e32 v41, v41
	v_add_f32_e32 v32, v32, v40
	v_cmp_nlt_f32_e32 vcc_lo, 0x42ce8ed0, v20
	v_exp_f32_e32 v33, v33
	v_fmac_f32_e32 v44, 0xb2a5705f, v22
	v_rndne_f32_e32 v47, v36
	v_exp_f32_e32 v32, v32
	v_fma_f32 v48, 0xbfb8aa3b, v8, -v36
	v_exp_f32_e32 v35, v35
	v_rndne_f32_e32 v40, v37
	v_fma_f32 v42, 0xbfb8aa3b, v9, -v37
	v_cmp_ngt_f32_e64 s16, 0xc2b17218, v23
	s_delay_alu instid0(TRANS32_DEP_3) | instskip(NEXT) | instid1(VALU_DEP_4)
	v_ldexp_f32 v33, v33, v41
	v_sub_f32_e32 v37, v37, v40
	v_cvt_i32_f32_e32 v40, v40
	s_delay_alu instid0(TRANS32_DEP_2) | instskip(NEXT) | instid1(VALU_DEP_1)
	v_ldexp_f32 v32, v32, v39
	v_cndmask_b32_e32 v32, 0, v32, vcc_lo
	v_cmp_nlt_f32_e32 vcc_lo, 0x42ce8ed0, v21
	v_sub_f32_e32 v34, v34, v43
	v_cvt_i32_f32_e32 v43, v43
	s_delay_alu instid0(VALU_DEP_2) | instskip(SKIP_2) | instid1(VALU_DEP_3)
	v_dual_cndmask_b32 v33, 0, v33 :: v_dual_add_f32 v34, v34, v44
	v_cmp_nlt_f32_e32 vcc_lo, 0x42ce8ed0, v22
	v_cvt_i32_f32_e32 v44, v45
	v_exp_f32_e32 v34, v34
	s_delay_alu instid0(VALU_DEP_1) | instskip(SKIP_2) | instid1(VALU_DEP_1)
	v_ldexp_f32 v35, v35, v44
	s_waitcnt_depctr 0xfff
	v_ldexp_f32 v34, v34, v43
	v_cndmask_b32_e32 v34, 0, v34, vcc_lo
	v_cmp_ngt_f32_e32 vcc_lo, 0xc2b17218, v20
	v_cndmask_b32_e32 v32, 0x7f800000, v32, vcc_lo
	v_cmp_ngt_f32_e32 vcc_lo, 0xc2b17218, v21
	;; [unrolled: 2-line block ×3, first 2 shown]
	s_delay_alu instid0(VALU_DEP_2) | instskip(SKIP_1) | instid1(VALU_DEP_2)
	v_dual_add_f32 v33, 1.0, v33 :: v_dual_cndmask_b32 v34, 0x7f800000, v34
	v_cmp_nlt_f32_e32 vcc_lo, 0x42ce8ed0, v23
	v_div_scale_f32 v41, null, v33, v33, v21
	v_div_scale_f32 v75, s14, v21, v33, v21
	v_cndmask_b32_e32 v35, 0, v35, vcc_lo
	s_delay_alu instid0(VALU_DEP_3) | instskip(NEXT) | instid1(VALU_DEP_1)
	v_rcp_f32_e32 v45, v41
	v_cndmask_b32_e64 v35, 0x7f800000, v35, s16
	s_delay_alu instid0(VALU_DEP_1) | instskip(SKIP_4) | instid1(VALU_DEP_3)
	v_add_f32_e32 v35, 1.0, v35
	s_waitcnt_depctr 0xfff
	v_fma_f32 v77, -v41, v45, 1.0
	v_sub_f32_e32 v36, v36, v47
	v_div_scale_f32 v82, null, v35, v35, v23
	v_fmac_f32_e32 v45, v77, v45
	s_delay_alu instid0(VALU_DEP_1) | instskip(NEXT) | instid1(VALU_DEP_1)
	v_mul_f32_e32 v77, v75, v45
	v_fma_f32 v80, -v41, v77, v75
	s_delay_alu instid0(VALU_DEP_1) | instskip(NEXT) | instid1(VALU_DEP_1)
	v_dual_fmac_f32 v77, v80, v45 :: v_dual_add_f32 v32, 1.0, v32
	v_fma_f32 v41, -v41, v77, v75
	s_delay_alu instid0(VALU_DEP_2) | instskip(SKIP_2) | instid1(VALU_DEP_3)
	v_div_scale_f32 v39, null, v32, v32, v20
	v_div_scale_f32 v49, vcc_lo, v20, v32, v20
	v_fma_f32 v75, 0xbfb8aa3b, v10, -v38
	v_rcp_f32_e32 v44, v39
	s_delay_alu instid0(VALU_DEP_1) | instskip(NEXT) | instid1(VALU_DEP_1)
	v_dual_fmac_f32 v42, 0xb2a5705f, v9 :: v_dual_fmac_f32 v75, 0xb2a5705f, v10
	v_dual_fmac_f32 v48, 0xb2a5705f, v8 :: v_dual_add_f32 v37, v37, v42
	s_waitcnt_depctr 0xfff
	v_fma_f32 v76, -v39, v44, 1.0
	v_add_f32_e32 v36, v36, v48
	v_exp_f32_e32 v37, v37
	s_delay_alu instid0(VALU_DEP_2) | instskip(NEXT) | instid1(VALU_DEP_2)
	v_fmac_f32_e32 v44, v76, v44
	v_exp_f32_e32 v36, v36
	s_delay_alu instid0(VALU_DEP_1) | instskip(SKIP_3) | instid1(VALU_DEP_1)
	v_mul_f32_e32 v76, v49, v44
	s_waitcnt_depctr 0xfff
	v_ldexp_f32 v37, v37, v40
	v_fma_f32 v48, -v39, v76, v49
	v_fmac_f32_e32 v76, v48, v44
	v_rcp_f32_e32 v48, v82
	s_delay_alu instid0(VALU_DEP_1) | instskip(SKIP_1) | instid1(VALU_DEP_2)
	v_fma_f32 v39, -v39, v76, v49
	v_rndne_f32_e32 v49, v38
	v_div_fmas_f32 v39, v39, v44, v76
	s_mov_b32 vcc_lo, s14
	v_cvt_i32_f32_e32 v44, v47
	v_div_fmas_f32 v41, v41, v45, v77
	s_delay_alu instid0(VALU_DEP_2) | instskip(NEXT) | instid1(VALU_DEP_2)
	v_ldexp_f32 v36, v36, v44
	v_div_fixup_f32 v33, v41, v33, v21
	s_delay_alu instid0(VALU_DEP_1) | instskip(NEXT) | instid1(VALU_DEP_1)
	v_dual_mul_f32 v29, v29, v33 :: v_dual_add_f32 v34, 1.0, v34
	v_div_scale_f32 v43, null, v34, v34, v22
	v_div_scale_f32 v79, s15, v22, v34, v22
	s_delay_alu instid0(VALU_DEP_1) | instskip(NEXT) | instid1(VALU_DEP_2)
	s_mov_b32 vcc_lo, s15
	v_rcp_f32_e32 v46, v43
	s_waitcnt_depctr 0xfff
	v_fma_f32 v78, -v43, v46, 1.0
	s_delay_alu instid0(VALU_DEP_1) | instskip(NEXT) | instid1(VALU_DEP_1)
	v_fmac_f32_e32 v46, v78, v46
	v_mul_f32_e32 v78, v79, v46
	s_delay_alu instid0(VALU_DEP_1) | instskip(NEXT) | instid1(VALU_DEP_1)
	v_fma_f32 v81, -v43, v78, v79
	v_fmac_f32_e32 v78, v81, v46
	s_delay_alu instid0(VALU_DEP_1) | instskip(SKIP_3) | instid1(VALU_DEP_4)
	v_fma_f32 v43, -v43, v78, v79
	v_mul_f32_e32 v79, 0xbfb8aa3b, v11
	v_div_fixup_f32 v32, v39, v32, v20
	v_fma_f32 v39, -v82, v48, 1.0
	v_div_fmas_f32 v43, v43, v46, v78
	v_cmp_nlt_f32_e32 vcc_lo, 0x42ce8ed0, v8
	s_delay_alu instid0(VALU_DEP_4)
	v_mul_f32_e32 v28, v28, v32
	v_sub_f32_e32 v32, v38, v49
	v_rndne_f32_e32 v33, v79
	v_fmac_f32_e32 v48, v39, v48
	v_cndmask_b32_e32 v36, 0, v36, vcc_lo
	v_cmp_ngt_f32_e32 vcc_lo, 0xc2b17218, v8
	v_add_f32_e32 v32, v32, v75
	v_sub_f32_e32 v38, v79, v33
	v_cvt_i32_f32_e32 v33, v33
	v_cndmask_b32_e32 v36, 0x7f800000, v36, vcc_lo
	v_cmp_nlt_f32_e32 vcc_lo, 0x42ce8ed0, v9
	v_exp_f32_e32 v32, v32
	v_cndmask_b32_e32 v37, 0, v37, vcc_lo
	v_div_fixup_f32 v34, v43, v34, v22
	v_cmp_nlt_f32_e32 vcc_lo, 0x42ce8ed0, v10
	s_delay_alu instid0(VALU_DEP_2) | instskip(SKIP_1) | instid1(VALU_DEP_1)
	v_mul_f32_e32 v30, v30, v34
	v_fma_f32 v34, 0xbfb8aa3b, v11, -v79
	v_fmac_f32_e32 v34, 0xb2a5705f, v11
	s_delay_alu instid0(VALU_DEP_1) | instskip(SKIP_1) | instid1(VALU_DEP_2)
	v_add_f32_e32 v34, v38, v34
	v_cvt_i32_f32_e32 v38, v49
	v_exp_f32_e32 v34, v34
	s_delay_alu instid0(VALU_DEP_1) | instskip(NEXT) | instid1(VALU_DEP_1)
	v_ldexp_f32 v32, v32, v38
	v_cndmask_b32_e32 v32, 0, v32, vcc_lo
	v_cmp_ngt_f32_e32 vcc_lo, 0xc2b17218, v9
	s_waitcnt_depctr 0xfff
	v_ldexp_f32 v33, v34, v33
	v_cndmask_b32_e32 v37, 0x7f800000, v37, vcc_lo
	v_cmp_ngt_f32_e32 vcc_lo, 0xc2b17218, v10
	s_delay_alu instid0(VALU_DEP_2) | instskip(SKIP_1) | instid1(VALU_DEP_2)
	v_dual_add_f32 v37, 1.0, v37 :: v_dual_cndmask_b32 v32, 0x7f800000, v32
	v_cmp_nlt_f32_e32 vcc_lo, 0x42ce8ed0, v11
	v_div_scale_f32 v38, null, v37, v37, v9
	v_cndmask_b32_e32 v33, 0, v33, vcc_lo
	v_cmp_ngt_f32_e32 vcc_lo, 0xc2b17218, v11
	v_add_f32_e32 v32, 1.0, v32
	s_delay_alu instid0(VALU_DEP_4) | instskip(NEXT) | instid1(VALU_DEP_3)
	v_rcp_f32_e32 v42, v38
	v_cndmask_b32_e32 v33, 0x7f800000, v33, vcc_lo
	v_div_scale_f32 v41, vcc_lo, v23, v35, v23
	s_delay_alu instid0(VALU_DEP_3) | instskip(NEXT) | instid1(VALU_DEP_3)
	v_div_scale_f32 v40, null, v32, v32, v10
	v_add_f32_e32 v33, 1.0, v33
	s_delay_alu instid0(VALU_DEP_3)
	v_mul_f32_e32 v45, v41, v48
	s_waitcnt_depctr 0xfff
	v_fma_f32 v47, -v38, v42, 1.0
	v_rcp_f32_e32 v44, v40
	v_div_scale_f32 v46, null, v33, v33, v11
	v_fma_f32 v75, -v82, v45, v41
	s_delay_alu instid0(VALU_DEP_3) | instskip(SKIP_1) | instid1(VALU_DEP_4)
	v_fmac_f32_e32 v42, v47, v42
	v_div_scale_f32 v47, s15, v9, v37, v9
	v_rcp_f32_e32 v49, v46
	s_delay_alu instid0(VALU_DEP_3) | instskip(NEXT) | instid1(TRANS32_DEP_2)
	v_fmac_f32_e32 v45, v75, v48
	v_fma_f32 v76, -v40, v44, 1.0
	s_delay_alu instid0(VALU_DEP_3) | instskip(NEXT) | instid1(VALU_DEP_3)
	v_mul_f32_e32 v79, v47, v42
	v_fma_f32 v41, -v82, v45, v41
	s_delay_alu instid0(VALU_DEP_3) | instskip(SKIP_1) | instid1(TRANS32_DEP_1)
	v_fmac_f32_e32 v44, v76, v44
	v_div_scale_f32 v76, s16, v10, v32, v10
	v_fma_f32 v78, -v46, v49, 1.0
	s_delay_alu instid0(VALU_DEP_4) | instskip(NEXT) | instid1(VALU_DEP_2)
	v_div_fmas_f32 v41, v41, v48, v45
	v_dual_mul_f32 v80, v76, v44 :: v_dual_fmac_f32 v49, v78, v49
	s_delay_alu instid0(VALU_DEP_2) | instskip(SKIP_1) | instid1(VALU_DEP_3)
	v_div_fixup_f32 v35, v41, v35, v23
	v_div_scale_f32 v78, s17, v11, v33, v11
	v_fma_f32 v81, -v40, v80, v76
	s_delay_alu instid0(VALU_DEP_3) | instskip(NEXT) | instid1(VALU_DEP_3)
	v_dual_mul_f32 v31, v31, v35 :: v_dual_add_f32 v36, 1.0, v36
	v_mul_f32_e32 v82, v78, v49
	s_delay_alu instid0(VALU_DEP_3) | instskip(NEXT) | instid1(VALU_DEP_3)
	v_fmac_f32_e32 v80, v81, v44
	v_div_scale_f32 v39, null, v36, v36, v8
	s_delay_alu instid0(VALU_DEP_1) | instskip(SKIP_2) | instid1(VALU_DEP_1)
	v_rcp_f32_e32 v34, v39
	s_waitcnt_depctr 0xfff
	v_fma_f32 v43, -v39, v34, 1.0
	v_fmac_f32_e32 v34, v43, v34
	v_div_scale_f32 v43, s14, v8, v36, v8
	s_delay_alu instid0(VALU_DEP_1) | instskip(NEXT) | instid1(VALU_DEP_1)
	s_mov_b32 vcc_lo, s14
	v_mul_f32_e32 v77, v43, v34
	s_delay_alu instid0(VALU_DEP_1) | instskip(NEXT) | instid1(VALU_DEP_1)
	v_fma_f32 v75, -v39, v77, v43
	v_fmac_f32_e32 v77, v75, v34
	v_fma_f32 v75, -v38, v79, v47
	s_delay_alu instid0(VALU_DEP_2) | instskip(SKIP_1) | instid1(VALU_DEP_3)
	v_fma_f32 v39, -v39, v77, v43
	v_fma_f32 v43, -v46, v82, v78
	v_fmac_f32_e32 v79, v75, v42
	s_delay_alu instid0(VALU_DEP_3) | instskip(NEXT) | instid1(VALU_DEP_3)
	v_div_fmas_f32 v34, v39, v34, v77
	v_fmac_f32_e32 v82, v43, v49
	s_delay_alu instid0(VALU_DEP_3)
	v_fma_f32 v38, -v38, v79, v47
	v_fma_f32 v39, -v40, v80, v76
	s_mov_b32 vcc_lo, s15
	v_div_fixup_f32 v34, v34, v36, v8
	v_fma_f32 v40, -v46, v82, v78
	v_div_fmas_f32 v38, v38, v42, v79
	s_mov_b32 vcc_lo, s16
	v_div_fmas_f32 v39, v39, v44, v80
	s_mov_b32 vcc_lo, s17
	s_delay_alu instid0(VALU_DEP_2) | instskip(SKIP_3) | instid1(VALU_DEP_4)
	v_div_fixup_f32 v36, v38, v37, v9
	v_div_fmas_f32 v40, v40, v49, v82
	v_mul_f32_e32 v24, v24, v34
	v_div_fixup_f32 v32, v39, v32, v10
	v_mul_f32_e32 v25, v25, v36
	s_delay_alu instid0(VALU_DEP_4) | instskip(NEXT) | instid1(VALU_DEP_3)
	v_div_fixup_f32 v33, v40, v33, v11
	v_mul_f32_e32 v26, v26, v32
	v_add_co_u32 v32, vcc_lo, v64, s18
	s_delay_alu instid0(VALU_DEP_3)
	v_mul_f32_e32 v27, v27, v33
	ds_store_b128 v53, v[28:31]
	ds_store_b128 v53, v[24:27] offset:16
	; wave barrier
	ds_load_b128 v[24:27], v51
	ds_load_b128 v[28:31], v52 offset:512
	v_add_co_ci_u32_e32 v33, vcc_lo, s19, v65, vcc_lo
	s_waitcnt lgkmcnt(1)
	global_store_b128 v[32:33], v[24:27], off
	s_waitcnt lgkmcnt(0)
	global_store_b128 v[32:33], v[28:31], off offset:512
	s_cbranch_scc1 .LBB137_72
.LBB137_12:                             ; =>This Loop Header: Depth=1
                                        ;     Child Loop BB137_39 Depth 2
	v_add_co_u32 v24, s14, s47, v73
	s_delay_alu instid0(VALU_DEP_1) | instskip(NEXT) | instid1(VALU_DEP_2)
	v_add_co_ci_u32_e64 v25, null, s51, 0, s14
	v_add_co_u32 v24, vcc_lo, v24, v74
	s_delay_alu instid0(VALU_DEP_2)
	v_add_co_ci_u32_e32 v25, vcc_lo, 0, v25, vcc_lo
	s_waitcnt_vscnt null, 0x0
	s_barrier
	buffer_gl0_inv
	s_and_saveexec_b32 s14, s0
	s_cbranch_execz .LBB137_14
; %bb.13:                               ;   in Loop: Header=BB137_12 Depth=1
	global_load_b128 v[16:19], v[24:25], off
.LBB137_14:                             ;   in Loop: Header=BB137_12 Depth=1
	s_or_b32 exec_lo, exec_lo, s14
	s_and_saveexec_b32 s14, s1
	s_cbranch_execz .LBB137_16
; %bb.15:                               ;   in Loop: Header=BB137_12 Depth=1
	global_load_b128 v[4:7], v[24:25], off offset:512
.LBB137_16:                             ;   in Loop: Header=BB137_12 Depth=1
	s_or_b32 exec_lo, exec_lo, s14
	s_waitcnt vmcnt(0)
	ds_store_b128 v51, v[16:19]
	ds_store_b128 v52, v[4:7] offset:512
	; wave barrier
	ds_load_b128 v[16:19], v53
	ds_load_b128 v[4:7], v53 offset:16
	v_add_co_u32 v24, s14, s53, v73
	s_delay_alu instid0(VALU_DEP_1) | instskip(SKIP_1) | instid1(VALU_DEP_2)
	v_add_co_ci_u32_e64 v25, null, s44, 0, s14
	s_waitcnt lgkmcnt(0)
	v_add_co_u32 v24, vcc_lo, v24, v74
	s_delay_alu instid0(VALU_DEP_2)
	v_add_co_ci_u32_e32 v25, vcc_lo, 0, v25, vcc_lo
	s_barrier
	buffer_gl0_inv
	s_and_saveexec_b32 s14, s0
	s_cbranch_execz .LBB137_18
; %bb.17:                               ;   in Loop: Header=BB137_12 Depth=1
	global_load_b128 v[12:15], v[24:25], off
.LBB137_18:                             ;   in Loop: Header=BB137_12 Depth=1
	s_or_b32 exec_lo, exec_lo, s14
	s_and_saveexec_b32 s14, s1
	s_cbranch_execz .LBB137_20
; %bb.19:                               ;   in Loop: Header=BB137_12 Depth=1
	global_load_b128 v[0:3], v[24:25], off offset:512
.LBB137_20:                             ;   in Loop: Header=BB137_12 Depth=1
	s_or_b32 exec_lo, exec_lo, s14
	s_waitcnt vmcnt(0)
	ds_store_b128 v51, v[12:15]
	ds_store_b128 v52, v[0:3] offset:512
	; wave barrier
	ds_load_b128 v[12:15], v53
	ds_load_b128 v[0:3], v53 offset:16
	s_waitcnt lgkmcnt(1)
	v_add_f32_e32 v75, s54, v12
	s_delay_alu instid0(VALU_DEP_1) | instskip(SKIP_1) | instid1(SALU_CYCLE_1)
	v_cmp_ge_f32_e32 vcc_lo, 0x41a00000, v75
	s_and_b32 s14, s61, vcc_lo
	s_and_saveexec_b32 s15, s14
	s_cbranch_execz .LBB137_22
; %bb.21:                               ;   in Loop: Header=BB137_12 Depth=1
	v_mul_f32_e32 v24, 0x3fb8aa3b, v75
	v_cmp_ngt_f32_e32 vcc_lo, 0xc2ce8ed0, v75
	s_delay_alu instid0(VALU_DEP_2) | instskip(SKIP_1) | instid1(VALU_DEP_2)
	v_rndne_f32_e32 v25, v24
	v_fma_f32 v26, 0x3fb8aa3b, v75, -v24
	v_sub_f32_e32 v24, v24, v25
	s_delay_alu instid0(VALU_DEP_2) | instskip(SKIP_1) | instid1(VALU_DEP_2)
	v_fmac_f32_e32 v26, 0x32a5705f, v75
	v_cvt_i32_f32_e32 v25, v25
	v_add_f32_e32 v24, v24, v26
	s_delay_alu instid0(VALU_DEP_1) | instskip(SKIP_2) | instid1(VALU_DEP_1)
	v_exp_f32_e32 v24, v24
	s_waitcnt_depctr 0xfff
	v_ldexp_f32 v24, v24, v25
	v_cndmask_b32_e32 v24, 0, v24, vcc_lo
	v_cmp_nlt_f32_e32 vcc_lo, 0x42b17218, v75
	s_delay_alu instid0(VALU_DEP_2) | instskip(NEXT) | instid1(VALU_DEP_1)
	v_cndmask_b32_e32 v26, 0x7f800000, v24, vcc_lo
	v_add_f32_e32 v27, 1.0, v26
	s_delay_alu instid0(VALU_DEP_1) | instskip(NEXT) | instid1(VALU_DEP_1)
	v_cvt_f64_f32_e32 v[24:25], v27
	v_frexp_exp_i32_f64_e32 v24, v[24:25]
	v_frexp_mant_f32_e32 v25, v27
	s_delay_alu instid0(VALU_DEP_1) | instskip(SKIP_1) | instid1(VALU_DEP_1)
	v_cmp_gt_f32_e32 vcc_lo, 0x3f2aaaab, v25
	v_add_f32_e32 v25, -1.0, v27
	v_sub_f32_e32 v29, v25, v27
	v_sub_f32_e32 v25, v26, v25
	s_delay_alu instid0(VALU_DEP_2) | instskip(NEXT) | instid1(VALU_DEP_1)
	v_add_f32_e32 v29, 1.0, v29
	v_add_f32_e32 v25, v25, v29
	v_cmp_gt_f32_e64 s14, 0x33800000, v26
	v_subrev_co_ci_u32_e32 v24, vcc_lo, 0, v24, vcc_lo
	v_cmp_eq_f32_e32 vcc_lo, 0x7f800000, v26
	s_delay_alu instid0(VALU_DEP_2) | instskip(SKIP_2) | instid1(VALU_DEP_2)
	v_sub_nc_u32_e32 v28, 0, v24
	v_cvt_f32_i32_e32 v24, v24
	s_or_b32 vcc_lo, s14, vcc_lo
	v_ldexp_f32 v27, v27, v28
	v_ldexp_f32 v25, v25, v28
	s_delay_alu instid0(VALU_DEP_2) | instskip(NEXT) | instid1(VALU_DEP_1)
	v_add_f32_e32 v30, 1.0, v27
	v_dual_add_f32 v28, -1.0, v27 :: v_dual_add_f32 v29, -1.0, v30
	s_delay_alu instid0(VALU_DEP_1) | instskip(NEXT) | instid1(VALU_DEP_2)
	v_add_f32_e32 v31, 1.0, v28
	v_sub_f32_e32 v29, v27, v29
	s_delay_alu instid0(VALU_DEP_2) | instskip(NEXT) | instid1(VALU_DEP_2)
	v_sub_f32_e32 v27, v27, v31
	v_add_f32_e32 v29, v25, v29
	s_delay_alu instid0(VALU_DEP_2) | instskip(NEXT) | instid1(VALU_DEP_1)
	v_add_f32_e32 v25, v25, v27
	v_add_f32_e32 v32, v28, v25
	s_delay_alu instid0(VALU_DEP_1) | instskip(NEXT) | instid1(VALU_DEP_1)
	v_dual_add_f32 v31, v30, v29 :: v_dual_sub_f32 v28, v28, v32
	v_rcp_f32_e32 v27, v31
	v_sub_f32_e32 v30, v30, v31
	s_delay_alu instid0(VALU_DEP_1) | instskip(SKIP_2) | instid1(VALU_DEP_1)
	v_add_f32_e32 v29, v29, v30
	s_waitcnt_depctr 0xfff
	v_mul_f32_e32 v33, v32, v27
	v_mul_f32_e32 v34, v31, v33
	s_delay_alu instid0(VALU_DEP_1) | instskip(NEXT) | instid1(VALU_DEP_1)
	v_fma_f32 v30, v33, v31, -v34
	v_fmac_f32_e32 v30, v33, v29
	s_delay_alu instid0(VALU_DEP_1) | instskip(NEXT) | instid1(VALU_DEP_1)
	v_add_f32_e32 v35, v34, v30
	v_sub_f32_e32 v36, v32, v35
	s_delay_alu instid0(VALU_DEP_1) | instskip(SKIP_1) | instid1(VALU_DEP_2)
	v_sub_f32_e32 v32, v32, v36
	v_dual_add_f32 v25, v25, v28 :: v_dual_sub_f32 v28, v35, v34
	v_sub_f32_e32 v32, v32, v35
	s_delay_alu instid0(VALU_DEP_1) | instskip(NEXT) | instid1(VALU_DEP_1)
	v_dual_sub_f32 v28, v28, v30 :: v_dual_add_f32 v25, v25, v32
	v_add_f32_e32 v25, v28, v25
	s_delay_alu instid0(VALU_DEP_1) | instskip(NEXT) | instid1(VALU_DEP_1)
	v_add_f32_e32 v28, v36, v25
	v_mul_f32_e32 v30, v27, v28
	s_delay_alu instid0(VALU_DEP_1) | instskip(NEXT) | instid1(VALU_DEP_1)
	v_dual_sub_f32 v35, v36, v28 :: v_dual_mul_f32 v32, v31, v30
	v_add_f32_e32 v25, v25, v35
	s_delay_alu instid0(VALU_DEP_2) | instskip(NEXT) | instid1(VALU_DEP_1)
	v_fma_f32 v31, v30, v31, -v32
	v_fmac_f32_e32 v31, v30, v29
	s_delay_alu instid0(VALU_DEP_1) | instskip(NEXT) | instid1(VALU_DEP_1)
	v_add_f32_e32 v29, v32, v31
	v_sub_f32_e32 v34, v28, v29
	s_delay_alu instid0(VALU_DEP_1) | instskip(NEXT) | instid1(VALU_DEP_1)
	v_sub_f32_e32 v28, v28, v34
	v_sub_f32_e32 v28, v28, v29
	s_delay_alu instid0(VALU_DEP_1) | instskip(SKIP_2) | instid1(VALU_DEP_1)
	v_add_f32_e32 v25, v25, v28
	v_add_f32_e32 v28, v33, v30
	v_sub_f32_e32 v32, v29, v32
	v_sub_f32_e32 v29, v32, v31
	s_delay_alu instid0(VALU_DEP_1) | instskip(NEXT) | instid1(VALU_DEP_4)
	v_add_f32_e32 v25, v29, v25
	v_sub_f32_e32 v29, v28, v33
	s_delay_alu instid0(VALU_DEP_2) | instskip(NEXT) | instid1(VALU_DEP_2)
	v_add_f32_e32 v25, v34, v25
	v_sub_f32_e32 v29, v30, v29
	s_delay_alu instid0(VALU_DEP_2) | instskip(NEXT) | instid1(VALU_DEP_1)
	v_mul_f32_e32 v25, v27, v25
	v_add_f32_e32 v25, v29, v25
	s_delay_alu instid0(VALU_DEP_1) | instskip(NEXT) | instid1(VALU_DEP_1)
	v_add_f32_e32 v27, v28, v25
	v_mul_f32_e32 v29, v27, v27
	s_delay_alu instid0(VALU_DEP_1) | instskip(SKIP_1) | instid1(VALU_DEP_2)
	v_fmaak_f32 v30, s42, v29, 0x3ecc95a3
	v_mul_f32_e32 v31, v27, v29
	v_fmaak_f32 v29, v29, v30, 0x3f2aaada
	v_ldexp_f32 v30, v27, 1
	s_delay_alu instid0(VALU_DEP_2) | instskip(SKIP_1) | instid1(VALU_DEP_2)
	v_mul_f32_e32 v29, v31, v29
	v_sub_f32_e32 v27, v27, v28
	v_dual_mul_f32 v31, 0x3f317218, v24 :: v_dual_add_f32 v28, v30, v29
	s_delay_alu instid0(VALU_DEP_2) | instskip(NEXT) | instid1(VALU_DEP_2)
	v_sub_f32_e32 v25, v25, v27
	v_sub_f32_e32 v27, v28, v30
	s_delay_alu instid0(VALU_DEP_3) | instskip(NEXT) | instid1(VALU_DEP_3)
	v_fma_f32 v30, 0x3f317218, v24, -v31
	v_ldexp_f32 v25, v25, 1
	s_delay_alu instid0(VALU_DEP_2) | instskip(NEXT) | instid1(VALU_DEP_1)
	v_dual_sub_f32 v27, v29, v27 :: v_dual_fmac_f32 v30, 0xb102e308, v24
	v_dual_add_f32 v24, v25, v27 :: v_dual_add_f32 v25, v31, v30
	s_delay_alu instid0(VALU_DEP_1) | instskip(NEXT) | instid1(VALU_DEP_1)
	v_add_f32_e32 v27, v28, v24
	v_dual_add_f32 v29, v25, v27 :: v_dual_sub_f32 v28, v27, v28
	s_delay_alu instid0(VALU_DEP_1) | instskip(NEXT) | instid1(VALU_DEP_2)
	v_sub_f32_e32 v32, v29, v25
	v_dual_sub_f32 v31, v25, v31 :: v_dual_sub_f32 v24, v24, v28
	s_delay_alu instid0(VALU_DEP_1) | instskip(SKIP_1) | instid1(VALU_DEP_2)
	v_dual_sub_f32 v33, v29, v32 :: v_dual_sub_f32 v30, v30, v31
	v_sub_f32_e32 v27, v27, v32
	v_dual_sub_f32 v25, v25, v33 :: v_dual_add_f32 v28, v30, v24
	s_delay_alu instid0(VALU_DEP_1) | instskip(NEXT) | instid1(VALU_DEP_2)
	v_add_f32_e32 v25, v27, v25
	v_sub_f32_e32 v27, v28, v30
	s_delay_alu instid0(VALU_DEP_2) | instskip(NEXT) | instid1(VALU_DEP_2)
	v_add_f32_e32 v25, v28, v25
	v_sub_f32_e32 v28, v28, v27
	s_delay_alu instid0(VALU_DEP_2) | instskip(NEXT) | instid1(VALU_DEP_1)
	v_dual_sub_f32 v24, v24, v27 :: v_dual_add_f32 v31, v29, v25
	v_dual_sub_f32 v28, v30, v28 :: v_dual_sub_f32 v27, v31, v29
	s_delay_alu instid0(VALU_DEP_1) | instskip(NEXT) | instid1(VALU_DEP_1)
	v_dual_add_f32 v24, v24, v28 :: v_dual_sub_f32 v25, v25, v27
	v_add_f32_e32 v24, v24, v25
	s_delay_alu instid0(VALU_DEP_1) | instskip(NEXT) | instid1(VALU_DEP_1)
	v_add_f32_e32 v24, v31, v24
	v_cndmask_b32_e32 v75, v24, v26, vcc_lo
.LBB137_22:                             ;   in Loop: Header=BB137_12 Depth=1
	s_or_b32 exec_lo, exec_lo, s15
	v_add_f32_e32 v76, s54, v13
	s_delay_alu instid0(VALU_DEP_1) | instskip(SKIP_1) | instid1(SALU_CYCLE_1)
	v_cmp_ge_f32_e32 vcc_lo, 0x41a00000, v76
	s_and_b32 s14, s61, vcc_lo
	s_and_saveexec_b32 s15, s14
	s_cbranch_execz .LBB137_24
; %bb.23:                               ;   in Loop: Header=BB137_12 Depth=1
	v_mul_f32_e32 v24, 0x3fb8aa3b, v76
	v_cmp_ngt_f32_e32 vcc_lo, 0xc2ce8ed0, v76
	s_delay_alu instid0(VALU_DEP_2) | instskip(SKIP_1) | instid1(VALU_DEP_2)
	v_rndne_f32_e32 v25, v24
	v_fma_f32 v26, 0x3fb8aa3b, v76, -v24
	v_sub_f32_e32 v24, v24, v25
	s_delay_alu instid0(VALU_DEP_2) | instskip(SKIP_1) | instid1(VALU_DEP_2)
	v_fmac_f32_e32 v26, 0x32a5705f, v76
	v_cvt_i32_f32_e32 v25, v25
	v_add_f32_e32 v24, v24, v26
	s_delay_alu instid0(VALU_DEP_1) | instskip(SKIP_2) | instid1(VALU_DEP_1)
	v_exp_f32_e32 v24, v24
	s_waitcnt_depctr 0xfff
	v_ldexp_f32 v24, v24, v25
	v_cndmask_b32_e32 v24, 0, v24, vcc_lo
	v_cmp_nlt_f32_e32 vcc_lo, 0x42b17218, v76
	s_delay_alu instid0(VALU_DEP_2) | instskip(NEXT) | instid1(VALU_DEP_1)
	v_cndmask_b32_e32 v26, 0x7f800000, v24, vcc_lo
	v_add_f32_e32 v27, 1.0, v26
	s_delay_alu instid0(VALU_DEP_1) | instskip(NEXT) | instid1(VALU_DEP_1)
	v_cvt_f64_f32_e32 v[24:25], v27
	v_frexp_exp_i32_f64_e32 v24, v[24:25]
	v_frexp_mant_f32_e32 v25, v27
	s_delay_alu instid0(VALU_DEP_1) | instskip(SKIP_1) | instid1(VALU_DEP_1)
	v_cmp_gt_f32_e32 vcc_lo, 0x3f2aaaab, v25
	v_add_f32_e32 v25, -1.0, v27
	v_sub_f32_e32 v29, v25, v27
	v_sub_f32_e32 v25, v26, v25
	s_delay_alu instid0(VALU_DEP_2) | instskip(NEXT) | instid1(VALU_DEP_1)
	v_add_f32_e32 v29, 1.0, v29
	v_add_f32_e32 v25, v25, v29
	v_cmp_gt_f32_e64 s14, 0x33800000, v26
	v_subrev_co_ci_u32_e32 v24, vcc_lo, 0, v24, vcc_lo
	v_cmp_eq_f32_e32 vcc_lo, 0x7f800000, v26
	s_delay_alu instid0(VALU_DEP_2) | instskip(SKIP_2) | instid1(VALU_DEP_2)
	v_sub_nc_u32_e32 v28, 0, v24
	v_cvt_f32_i32_e32 v24, v24
	s_or_b32 vcc_lo, s14, vcc_lo
	v_ldexp_f32 v27, v27, v28
	v_ldexp_f32 v25, v25, v28
	s_delay_alu instid0(VALU_DEP_2) | instskip(NEXT) | instid1(VALU_DEP_1)
	v_add_f32_e32 v30, 1.0, v27
	v_dual_add_f32 v28, -1.0, v27 :: v_dual_add_f32 v29, -1.0, v30
	s_delay_alu instid0(VALU_DEP_1) | instskip(NEXT) | instid1(VALU_DEP_2)
	v_add_f32_e32 v31, 1.0, v28
	v_sub_f32_e32 v29, v27, v29
	s_delay_alu instid0(VALU_DEP_2) | instskip(NEXT) | instid1(VALU_DEP_2)
	v_sub_f32_e32 v27, v27, v31
	v_add_f32_e32 v29, v25, v29
	s_delay_alu instid0(VALU_DEP_2) | instskip(NEXT) | instid1(VALU_DEP_1)
	v_add_f32_e32 v25, v25, v27
	v_add_f32_e32 v32, v28, v25
	s_delay_alu instid0(VALU_DEP_1) | instskip(NEXT) | instid1(VALU_DEP_1)
	v_dual_add_f32 v31, v30, v29 :: v_dual_sub_f32 v28, v28, v32
	v_rcp_f32_e32 v27, v31
	v_sub_f32_e32 v30, v30, v31
	s_delay_alu instid0(VALU_DEP_1) | instskip(SKIP_2) | instid1(VALU_DEP_1)
	v_add_f32_e32 v29, v29, v30
	s_waitcnt_depctr 0xfff
	v_mul_f32_e32 v33, v32, v27
	v_mul_f32_e32 v34, v31, v33
	s_delay_alu instid0(VALU_DEP_1) | instskip(NEXT) | instid1(VALU_DEP_1)
	v_fma_f32 v30, v33, v31, -v34
	v_fmac_f32_e32 v30, v33, v29
	s_delay_alu instid0(VALU_DEP_1) | instskip(NEXT) | instid1(VALU_DEP_1)
	v_add_f32_e32 v35, v34, v30
	v_sub_f32_e32 v36, v32, v35
	s_delay_alu instid0(VALU_DEP_1) | instskip(SKIP_1) | instid1(VALU_DEP_2)
	v_sub_f32_e32 v32, v32, v36
	v_dual_add_f32 v25, v25, v28 :: v_dual_sub_f32 v28, v35, v34
	v_sub_f32_e32 v32, v32, v35
	s_delay_alu instid0(VALU_DEP_1) | instskip(NEXT) | instid1(VALU_DEP_1)
	v_dual_sub_f32 v28, v28, v30 :: v_dual_add_f32 v25, v25, v32
	v_add_f32_e32 v25, v28, v25
	s_delay_alu instid0(VALU_DEP_1) | instskip(NEXT) | instid1(VALU_DEP_1)
	v_add_f32_e32 v28, v36, v25
	v_mul_f32_e32 v30, v27, v28
	s_delay_alu instid0(VALU_DEP_1) | instskip(NEXT) | instid1(VALU_DEP_1)
	v_dual_sub_f32 v35, v36, v28 :: v_dual_mul_f32 v32, v31, v30
	v_add_f32_e32 v25, v25, v35
	s_delay_alu instid0(VALU_DEP_2) | instskip(NEXT) | instid1(VALU_DEP_1)
	v_fma_f32 v31, v30, v31, -v32
	v_fmac_f32_e32 v31, v30, v29
	s_delay_alu instid0(VALU_DEP_1) | instskip(NEXT) | instid1(VALU_DEP_1)
	v_add_f32_e32 v29, v32, v31
	v_sub_f32_e32 v34, v28, v29
	s_delay_alu instid0(VALU_DEP_1) | instskip(NEXT) | instid1(VALU_DEP_1)
	v_sub_f32_e32 v28, v28, v34
	v_sub_f32_e32 v28, v28, v29
	s_delay_alu instid0(VALU_DEP_1) | instskip(SKIP_2) | instid1(VALU_DEP_1)
	v_add_f32_e32 v25, v25, v28
	v_add_f32_e32 v28, v33, v30
	v_sub_f32_e32 v32, v29, v32
	v_sub_f32_e32 v29, v32, v31
	s_delay_alu instid0(VALU_DEP_1) | instskip(NEXT) | instid1(VALU_DEP_4)
	v_add_f32_e32 v25, v29, v25
	v_sub_f32_e32 v29, v28, v33
	s_delay_alu instid0(VALU_DEP_2) | instskip(NEXT) | instid1(VALU_DEP_2)
	v_add_f32_e32 v25, v34, v25
	v_sub_f32_e32 v29, v30, v29
	s_delay_alu instid0(VALU_DEP_2) | instskip(NEXT) | instid1(VALU_DEP_1)
	v_mul_f32_e32 v25, v27, v25
	v_add_f32_e32 v25, v29, v25
	s_delay_alu instid0(VALU_DEP_1) | instskip(NEXT) | instid1(VALU_DEP_1)
	v_add_f32_e32 v27, v28, v25
	v_mul_f32_e32 v29, v27, v27
	s_delay_alu instid0(VALU_DEP_1) | instskip(SKIP_1) | instid1(VALU_DEP_2)
	v_fmaak_f32 v30, s42, v29, 0x3ecc95a3
	v_mul_f32_e32 v31, v27, v29
	v_fmaak_f32 v29, v29, v30, 0x3f2aaada
	v_ldexp_f32 v30, v27, 1
	s_delay_alu instid0(VALU_DEP_2) | instskip(SKIP_1) | instid1(VALU_DEP_2)
	v_mul_f32_e32 v29, v31, v29
	v_sub_f32_e32 v27, v27, v28
	v_dual_mul_f32 v31, 0x3f317218, v24 :: v_dual_add_f32 v28, v30, v29
	s_delay_alu instid0(VALU_DEP_2) | instskip(NEXT) | instid1(VALU_DEP_2)
	v_sub_f32_e32 v25, v25, v27
	v_sub_f32_e32 v27, v28, v30
	s_delay_alu instid0(VALU_DEP_3) | instskip(NEXT) | instid1(VALU_DEP_3)
	v_fma_f32 v30, 0x3f317218, v24, -v31
	v_ldexp_f32 v25, v25, 1
	s_delay_alu instid0(VALU_DEP_2) | instskip(NEXT) | instid1(VALU_DEP_1)
	v_dual_sub_f32 v27, v29, v27 :: v_dual_fmac_f32 v30, 0xb102e308, v24
	v_dual_add_f32 v24, v25, v27 :: v_dual_add_f32 v25, v31, v30
	s_delay_alu instid0(VALU_DEP_1) | instskip(NEXT) | instid1(VALU_DEP_1)
	v_add_f32_e32 v27, v28, v24
	v_dual_add_f32 v29, v25, v27 :: v_dual_sub_f32 v28, v27, v28
	s_delay_alu instid0(VALU_DEP_1) | instskip(NEXT) | instid1(VALU_DEP_2)
	v_sub_f32_e32 v32, v29, v25
	v_dual_sub_f32 v31, v25, v31 :: v_dual_sub_f32 v24, v24, v28
	s_delay_alu instid0(VALU_DEP_1) | instskip(SKIP_1) | instid1(VALU_DEP_2)
	v_dual_sub_f32 v33, v29, v32 :: v_dual_sub_f32 v30, v30, v31
	v_sub_f32_e32 v27, v27, v32
	v_dual_sub_f32 v25, v25, v33 :: v_dual_add_f32 v28, v30, v24
	s_delay_alu instid0(VALU_DEP_1) | instskip(NEXT) | instid1(VALU_DEP_2)
	v_add_f32_e32 v25, v27, v25
	v_sub_f32_e32 v27, v28, v30
	s_delay_alu instid0(VALU_DEP_2) | instskip(NEXT) | instid1(VALU_DEP_2)
	v_add_f32_e32 v25, v28, v25
	v_sub_f32_e32 v28, v28, v27
	s_delay_alu instid0(VALU_DEP_2) | instskip(NEXT) | instid1(VALU_DEP_1)
	v_dual_sub_f32 v24, v24, v27 :: v_dual_add_f32 v31, v29, v25
	v_dual_sub_f32 v28, v30, v28 :: v_dual_sub_f32 v27, v31, v29
	s_delay_alu instid0(VALU_DEP_1) | instskip(NEXT) | instid1(VALU_DEP_1)
	v_dual_add_f32 v24, v24, v28 :: v_dual_sub_f32 v25, v25, v27
	v_add_f32_e32 v24, v24, v25
	s_delay_alu instid0(VALU_DEP_1) | instskip(NEXT) | instid1(VALU_DEP_1)
	v_add_f32_e32 v24, v31, v24
	v_cndmask_b32_e32 v76, v24, v26, vcc_lo
.LBB137_24:                             ;   in Loop: Header=BB137_12 Depth=1
	s_or_b32 exec_lo, exec_lo, s15
	v_add_f32_e32 v77, s54, v14
	s_delay_alu instid0(VALU_DEP_1) | instskip(SKIP_1) | instid1(SALU_CYCLE_1)
	v_cmp_ge_f32_e32 vcc_lo, 0x41a00000, v77
	s_and_b32 s14, s61, vcc_lo
	s_and_saveexec_b32 s15, s14
	s_cbranch_execz .LBB137_26
; %bb.25:                               ;   in Loop: Header=BB137_12 Depth=1
	v_mul_f32_e32 v24, 0x3fb8aa3b, v77
	v_cmp_ngt_f32_e32 vcc_lo, 0xc2ce8ed0, v77
	s_delay_alu instid0(VALU_DEP_2) | instskip(SKIP_1) | instid1(VALU_DEP_2)
	v_rndne_f32_e32 v25, v24
	v_fma_f32 v26, 0x3fb8aa3b, v77, -v24
	v_sub_f32_e32 v24, v24, v25
	s_delay_alu instid0(VALU_DEP_2) | instskip(SKIP_1) | instid1(VALU_DEP_2)
	v_fmac_f32_e32 v26, 0x32a5705f, v77
	v_cvt_i32_f32_e32 v25, v25
	v_add_f32_e32 v24, v24, v26
	s_delay_alu instid0(VALU_DEP_1) | instskip(SKIP_2) | instid1(VALU_DEP_1)
	v_exp_f32_e32 v24, v24
	s_waitcnt_depctr 0xfff
	v_ldexp_f32 v24, v24, v25
	v_cndmask_b32_e32 v24, 0, v24, vcc_lo
	v_cmp_nlt_f32_e32 vcc_lo, 0x42b17218, v77
	s_delay_alu instid0(VALU_DEP_2) | instskip(NEXT) | instid1(VALU_DEP_1)
	v_cndmask_b32_e32 v26, 0x7f800000, v24, vcc_lo
	v_add_f32_e32 v27, 1.0, v26
	s_delay_alu instid0(VALU_DEP_1) | instskip(NEXT) | instid1(VALU_DEP_1)
	v_cvt_f64_f32_e32 v[24:25], v27
	v_frexp_exp_i32_f64_e32 v24, v[24:25]
	v_frexp_mant_f32_e32 v25, v27
	s_delay_alu instid0(VALU_DEP_1) | instskip(SKIP_1) | instid1(VALU_DEP_1)
	v_cmp_gt_f32_e32 vcc_lo, 0x3f2aaaab, v25
	v_add_f32_e32 v25, -1.0, v27
	v_sub_f32_e32 v29, v25, v27
	v_sub_f32_e32 v25, v26, v25
	s_delay_alu instid0(VALU_DEP_2) | instskip(NEXT) | instid1(VALU_DEP_1)
	v_add_f32_e32 v29, 1.0, v29
	v_add_f32_e32 v25, v25, v29
	v_cmp_gt_f32_e64 s14, 0x33800000, v26
	v_subrev_co_ci_u32_e32 v24, vcc_lo, 0, v24, vcc_lo
	v_cmp_eq_f32_e32 vcc_lo, 0x7f800000, v26
	s_delay_alu instid0(VALU_DEP_2) | instskip(SKIP_2) | instid1(VALU_DEP_2)
	v_sub_nc_u32_e32 v28, 0, v24
	v_cvt_f32_i32_e32 v24, v24
	s_or_b32 vcc_lo, s14, vcc_lo
	v_ldexp_f32 v27, v27, v28
	v_ldexp_f32 v25, v25, v28
	s_delay_alu instid0(VALU_DEP_2) | instskip(NEXT) | instid1(VALU_DEP_1)
	v_add_f32_e32 v30, 1.0, v27
	v_dual_add_f32 v28, -1.0, v27 :: v_dual_add_f32 v29, -1.0, v30
	s_delay_alu instid0(VALU_DEP_1) | instskip(NEXT) | instid1(VALU_DEP_2)
	v_add_f32_e32 v31, 1.0, v28
	v_sub_f32_e32 v29, v27, v29
	s_delay_alu instid0(VALU_DEP_2) | instskip(NEXT) | instid1(VALU_DEP_2)
	v_sub_f32_e32 v27, v27, v31
	v_add_f32_e32 v29, v25, v29
	s_delay_alu instid0(VALU_DEP_2) | instskip(NEXT) | instid1(VALU_DEP_1)
	v_add_f32_e32 v25, v25, v27
	v_add_f32_e32 v32, v28, v25
	s_delay_alu instid0(VALU_DEP_1) | instskip(NEXT) | instid1(VALU_DEP_1)
	v_dual_add_f32 v31, v30, v29 :: v_dual_sub_f32 v28, v28, v32
	v_rcp_f32_e32 v27, v31
	v_sub_f32_e32 v30, v30, v31
	s_delay_alu instid0(VALU_DEP_1) | instskip(SKIP_2) | instid1(VALU_DEP_1)
	v_add_f32_e32 v29, v29, v30
	s_waitcnt_depctr 0xfff
	v_mul_f32_e32 v33, v32, v27
	v_mul_f32_e32 v34, v31, v33
	s_delay_alu instid0(VALU_DEP_1) | instskip(NEXT) | instid1(VALU_DEP_1)
	v_fma_f32 v30, v33, v31, -v34
	v_fmac_f32_e32 v30, v33, v29
	s_delay_alu instid0(VALU_DEP_1) | instskip(NEXT) | instid1(VALU_DEP_1)
	v_add_f32_e32 v35, v34, v30
	v_sub_f32_e32 v36, v32, v35
	s_delay_alu instid0(VALU_DEP_1) | instskip(SKIP_1) | instid1(VALU_DEP_2)
	v_sub_f32_e32 v32, v32, v36
	v_dual_add_f32 v25, v25, v28 :: v_dual_sub_f32 v28, v35, v34
	v_sub_f32_e32 v32, v32, v35
	s_delay_alu instid0(VALU_DEP_1) | instskip(NEXT) | instid1(VALU_DEP_1)
	v_dual_sub_f32 v28, v28, v30 :: v_dual_add_f32 v25, v25, v32
	v_add_f32_e32 v25, v28, v25
	s_delay_alu instid0(VALU_DEP_1) | instskip(NEXT) | instid1(VALU_DEP_1)
	v_add_f32_e32 v28, v36, v25
	v_mul_f32_e32 v30, v27, v28
	s_delay_alu instid0(VALU_DEP_1) | instskip(NEXT) | instid1(VALU_DEP_1)
	v_dual_sub_f32 v35, v36, v28 :: v_dual_mul_f32 v32, v31, v30
	v_add_f32_e32 v25, v25, v35
	s_delay_alu instid0(VALU_DEP_2) | instskip(NEXT) | instid1(VALU_DEP_1)
	v_fma_f32 v31, v30, v31, -v32
	v_fmac_f32_e32 v31, v30, v29
	s_delay_alu instid0(VALU_DEP_1) | instskip(NEXT) | instid1(VALU_DEP_1)
	v_add_f32_e32 v29, v32, v31
	v_sub_f32_e32 v34, v28, v29
	s_delay_alu instid0(VALU_DEP_1) | instskip(NEXT) | instid1(VALU_DEP_1)
	v_sub_f32_e32 v28, v28, v34
	v_sub_f32_e32 v28, v28, v29
	s_delay_alu instid0(VALU_DEP_1) | instskip(SKIP_2) | instid1(VALU_DEP_1)
	v_add_f32_e32 v25, v25, v28
	v_add_f32_e32 v28, v33, v30
	v_sub_f32_e32 v32, v29, v32
	v_sub_f32_e32 v29, v32, v31
	s_delay_alu instid0(VALU_DEP_1) | instskip(NEXT) | instid1(VALU_DEP_4)
	v_add_f32_e32 v25, v29, v25
	v_sub_f32_e32 v29, v28, v33
	s_delay_alu instid0(VALU_DEP_2) | instskip(NEXT) | instid1(VALU_DEP_2)
	v_add_f32_e32 v25, v34, v25
	v_sub_f32_e32 v29, v30, v29
	s_delay_alu instid0(VALU_DEP_2) | instskip(NEXT) | instid1(VALU_DEP_1)
	v_mul_f32_e32 v25, v27, v25
	v_add_f32_e32 v25, v29, v25
	s_delay_alu instid0(VALU_DEP_1) | instskip(NEXT) | instid1(VALU_DEP_1)
	v_add_f32_e32 v27, v28, v25
	v_mul_f32_e32 v29, v27, v27
	s_delay_alu instid0(VALU_DEP_1) | instskip(SKIP_1) | instid1(VALU_DEP_2)
	v_fmaak_f32 v30, s42, v29, 0x3ecc95a3
	v_mul_f32_e32 v31, v27, v29
	v_fmaak_f32 v29, v29, v30, 0x3f2aaada
	v_ldexp_f32 v30, v27, 1
	s_delay_alu instid0(VALU_DEP_2) | instskip(SKIP_1) | instid1(VALU_DEP_2)
	v_mul_f32_e32 v29, v31, v29
	v_sub_f32_e32 v27, v27, v28
	v_dual_mul_f32 v31, 0x3f317218, v24 :: v_dual_add_f32 v28, v30, v29
	s_delay_alu instid0(VALU_DEP_2) | instskip(NEXT) | instid1(VALU_DEP_2)
	v_sub_f32_e32 v25, v25, v27
	v_sub_f32_e32 v27, v28, v30
	s_delay_alu instid0(VALU_DEP_3) | instskip(NEXT) | instid1(VALU_DEP_3)
	v_fma_f32 v30, 0x3f317218, v24, -v31
	v_ldexp_f32 v25, v25, 1
	s_delay_alu instid0(VALU_DEP_2) | instskip(NEXT) | instid1(VALU_DEP_1)
	v_dual_sub_f32 v27, v29, v27 :: v_dual_fmac_f32 v30, 0xb102e308, v24
	v_dual_add_f32 v24, v25, v27 :: v_dual_add_f32 v25, v31, v30
	s_delay_alu instid0(VALU_DEP_1) | instskip(NEXT) | instid1(VALU_DEP_1)
	v_add_f32_e32 v27, v28, v24
	v_dual_add_f32 v29, v25, v27 :: v_dual_sub_f32 v28, v27, v28
	s_delay_alu instid0(VALU_DEP_1) | instskip(NEXT) | instid1(VALU_DEP_2)
	v_sub_f32_e32 v32, v29, v25
	v_dual_sub_f32 v31, v25, v31 :: v_dual_sub_f32 v24, v24, v28
	s_delay_alu instid0(VALU_DEP_1) | instskip(SKIP_1) | instid1(VALU_DEP_2)
	v_dual_sub_f32 v33, v29, v32 :: v_dual_sub_f32 v30, v30, v31
	v_sub_f32_e32 v27, v27, v32
	v_dual_sub_f32 v25, v25, v33 :: v_dual_add_f32 v28, v30, v24
	s_delay_alu instid0(VALU_DEP_1) | instskip(NEXT) | instid1(VALU_DEP_2)
	v_add_f32_e32 v25, v27, v25
	v_sub_f32_e32 v27, v28, v30
	s_delay_alu instid0(VALU_DEP_2) | instskip(NEXT) | instid1(VALU_DEP_2)
	v_add_f32_e32 v25, v28, v25
	v_sub_f32_e32 v28, v28, v27
	s_delay_alu instid0(VALU_DEP_2) | instskip(NEXT) | instid1(VALU_DEP_1)
	v_dual_sub_f32 v24, v24, v27 :: v_dual_add_f32 v31, v29, v25
	v_dual_sub_f32 v28, v30, v28 :: v_dual_sub_f32 v27, v31, v29
	s_delay_alu instid0(VALU_DEP_1) | instskip(NEXT) | instid1(VALU_DEP_1)
	v_dual_add_f32 v24, v24, v28 :: v_dual_sub_f32 v25, v25, v27
	v_add_f32_e32 v24, v24, v25
	s_delay_alu instid0(VALU_DEP_1) | instskip(NEXT) | instid1(VALU_DEP_1)
	v_add_f32_e32 v24, v31, v24
	v_cndmask_b32_e32 v77, v24, v26, vcc_lo
.LBB137_26:                             ;   in Loop: Header=BB137_12 Depth=1
	s_or_b32 exec_lo, exec_lo, s15
	v_add_f32_e32 v78, s54, v15
	s_delay_alu instid0(VALU_DEP_1) | instskip(SKIP_1) | instid1(SALU_CYCLE_1)
	v_cmp_ge_f32_e32 vcc_lo, 0x41a00000, v78
	s_and_b32 s14, s61, vcc_lo
	s_and_saveexec_b32 s15, s14
	s_cbranch_execz .LBB137_28
; %bb.27:                               ;   in Loop: Header=BB137_12 Depth=1
	v_mul_f32_e32 v24, 0x3fb8aa3b, v78
	v_cmp_ngt_f32_e32 vcc_lo, 0xc2ce8ed0, v78
	s_delay_alu instid0(VALU_DEP_2) | instskip(SKIP_1) | instid1(VALU_DEP_2)
	v_rndne_f32_e32 v25, v24
	v_fma_f32 v26, 0x3fb8aa3b, v78, -v24
	v_sub_f32_e32 v24, v24, v25
	s_delay_alu instid0(VALU_DEP_2) | instskip(SKIP_1) | instid1(VALU_DEP_2)
	v_fmac_f32_e32 v26, 0x32a5705f, v78
	v_cvt_i32_f32_e32 v25, v25
	v_add_f32_e32 v24, v24, v26
	s_delay_alu instid0(VALU_DEP_1) | instskip(SKIP_2) | instid1(VALU_DEP_1)
	v_exp_f32_e32 v24, v24
	s_waitcnt_depctr 0xfff
	v_ldexp_f32 v24, v24, v25
	v_cndmask_b32_e32 v24, 0, v24, vcc_lo
	v_cmp_nlt_f32_e32 vcc_lo, 0x42b17218, v78
	s_delay_alu instid0(VALU_DEP_2) | instskip(NEXT) | instid1(VALU_DEP_1)
	v_cndmask_b32_e32 v26, 0x7f800000, v24, vcc_lo
	v_add_f32_e32 v27, 1.0, v26
	s_delay_alu instid0(VALU_DEP_1) | instskip(NEXT) | instid1(VALU_DEP_1)
	v_cvt_f64_f32_e32 v[24:25], v27
	v_frexp_exp_i32_f64_e32 v24, v[24:25]
	v_frexp_mant_f32_e32 v25, v27
	s_delay_alu instid0(VALU_DEP_1) | instskip(SKIP_1) | instid1(VALU_DEP_1)
	v_cmp_gt_f32_e32 vcc_lo, 0x3f2aaaab, v25
	v_add_f32_e32 v25, -1.0, v27
	v_sub_f32_e32 v29, v25, v27
	v_sub_f32_e32 v25, v26, v25
	s_delay_alu instid0(VALU_DEP_2) | instskip(NEXT) | instid1(VALU_DEP_1)
	v_add_f32_e32 v29, 1.0, v29
	v_add_f32_e32 v25, v25, v29
	v_cmp_gt_f32_e64 s14, 0x33800000, v26
	v_subrev_co_ci_u32_e32 v24, vcc_lo, 0, v24, vcc_lo
	v_cmp_eq_f32_e32 vcc_lo, 0x7f800000, v26
	s_delay_alu instid0(VALU_DEP_2) | instskip(SKIP_2) | instid1(VALU_DEP_2)
	v_sub_nc_u32_e32 v28, 0, v24
	v_cvt_f32_i32_e32 v24, v24
	s_or_b32 vcc_lo, s14, vcc_lo
	v_ldexp_f32 v27, v27, v28
	v_ldexp_f32 v25, v25, v28
	s_delay_alu instid0(VALU_DEP_2) | instskip(NEXT) | instid1(VALU_DEP_1)
	v_add_f32_e32 v30, 1.0, v27
	v_dual_add_f32 v28, -1.0, v27 :: v_dual_add_f32 v29, -1.0, v30
	s_delay_alu instid0(VALU_DEP_1) | instskip(NEXT) | instid1(VALU_DEP_2)
	v_add_f32_e32 v31, 1.0, v28
	v_sub_f32_e32 v29, v27, v29
	s_delay_alu instid0(VALU_DEP_2) | instskip(NEXT) | instid1(VALU_DEP_2)
	v_sub_f32_e32 v27, v27, v31
	v_add_f32_e32 v29, v25, v29
	s_delay_alu instid0(VALU_DEP_2) | instskip(NEXT) | instid1(VALU_DEP_1)
	v_add_f32_e32 v25, v25, v27
	v_add_f32_e32 v32, v28, v25
	s_delay_alu instid0(VALU_DEP_1) | instskip(NEXT) | instid1(VALU_DEP_1)
	v_dual_add_f32 v31, v30, v29 :: v_dual_sub_f32 v28, v28, v32
	v_rcp_f32_e32 v27, v31
	v_sub_f32_e32 v30, v30, v31
	s_delay_alu instid0(VALU_DEP_1) | instskip(SKIP_2) | instid1(VALU_DEP_1)
	v_add_f32_e32 v29, v29, v30
	s_waitcnt_depctr 0xfff
	v_mul_f32_e32 v33, v32, v27
	v_mul_f32_e32 v34, v31, v33
	s_delay_alu instid0(VALU_DEP_1) | instskip(NEXT) | instid1(VALU_DEP_1)
	v_fma_f32 v30, v33, v31, -v34
	v_fmac_f32_e32 v30, v33, v29
	s_delay_alu instid0(VALU_DEP_1) | instskip(NEXT) | instid1(VALU_DEP_1)
	v_add_f32_e32 v35, v34, v30
	v_sub_f32_e32 v36, v32, v35
	s_delay_alu instid0(VALU_DEP_1) | instskip(SKIP_1) | instid1(VALU_DEP_2)
	v_sub_f32_e32 v32, v32, v36
	v_dual_add_f32 v25, v25, v28 :: v_dual_sub_f32 v28, v35, v34
	v_sub_f32_e32 v32, v32, v35
	s_delay_alu instid0(VALU_DEP_1) | instskip(NEXT) | instid1(VALU_DEP_1)
	v_dual_sub_f32 v28, v28, v30 :: v_dual_add_f32 v25, v25, v32
	v_add_f32_e32 v25, v28, v25
	s_delay_alu instid0(VALU_DEP_1) | instskip(NEXT) | instid1(VALU_DEP_1)
	v_add_f32_e32 v28, v36, v25
	v_mul_f32_e32 v30, v27, v28
	s_delay_alu instid0(VALU_DEP_1) | instskip(NEXT) | instid1(VALU_DEP_1)
	v_dual_sub_f32 v35, v36, v28 :: v_dual_mul_f32 v32, v31, v30
	v_add_f32_e32 v25, v25, v35
	s_delay_alu instid0(VALU_DEP_2) | instskip(NEXT) | instid1(VALU_DEP_1)
	v_fma_f32 v31, v30, v31, -v32
	v_fmac_f32_e32 v31, v30, v29
	s_delay_alu instid0(VALU_DEP_1) | instskip(NEXT) | instid1(VALU_DEP_1)
	v_add_f32_e32 v29, v32, v31
	v_sub_f32_e32 v34, v28, v29
	s_delay_alu instid0(VALU_DEP_1) | instskip(NEXT) | instid1(VALU_DEP_1)
	v_sub_f32_e32 v28, v28, v34
	v_sub_f32_e32 v28, v28, v29
	s_delay_alu instid0(VALU_DEP_1) | instskip(SKIP_2) | instid1(VALU_DEP_1)
	v_add_f32_e32 v25, v25, v28
	v_add_f32_e32 v28, v33, v30
	v_sub_f32_e32 v32, v29, v32
	v_sub_f32_e32 v29, v32, v31
	s_delay_alu instid0(VALU_DEP_1) | instskip(NEXT) | instid1(VALU_DEP_4)
	v_add_f32_e32 v25, v29, v25
	v_sub_f32_e32 v29, v28, v33
	s_delay_alu instid0(VALU_DEP_2) | instskip(NEXT) | instid1(VALU_DEP_2)
	v_add_f32_e32 v25, v34, v25
	v_sub_f32_e32 v29, v30, v29
	s_delay_alu instid0(VALU_DEP_2) | instskip(NEXT) | instid1(VALU_DEP_1)
	v_mul_f32_e32 v25, v27, v25
	v_add_f32_e32 v25, v29, v25
	s_delay_alu instid0(VALU_DEP_1) | instskip(NEXT) | instid1(VALU_DEP_1)
	v_add_f32_e32 v27, v28, v25
	v_mul_f32_e32 v29, v27, v27
	s_delay_alu instid0(VALU_DEP_1) | instskip(SKIP_1) | instid1(VALU_DEP_2)
	v_fmaak_f32 v30, s42, v29, 0x3ecc95a3
	v_mul_f32_e32 v31, v27, v29
	v_fmaak_f32 v29, v29, v30, 0x3f2aaada
	v_ldexp_f32 v30, v27, 1
	s_delay_alu instid0(VALU_DEP_2) | instskip(SKIP_1) | instid1(VALU_DEP_2)
	v_mul_f32_e32 v29, v31, v29
	v_sub_f32_e32 v27, v27, v28
	v_dual_mul_f32 v31, 0x3f317218, v24 :: v_dual_add_f32 v28, v30, v29
	s_delay_alu instid0(VALU_DEP_2) | instskip(NEXT) | instid1(VALU_DEP_2)
	v_sub_f32_e32 v25, v25, v27
	v_sub_f32_e32 v27, v28, v30
	s_delay_alu instid0(VALU_DEP_3) | instskip(NEXT) | instid1(VALU_DEP_3)
	v_fma_f32 v30, 0x3f317218, v24, -v31
	v_ldexp_f32 v25, v25, 1
	s_delay_alu instid0(VALU_DEP_2) | instskip(NEXT) | instid1(VALU_DEP_1)
	v_dual_sub_f32 v27, v29, v27 :: v_dual_fmac_f32 v30, 0xb102e308, v24
	v_dual_add_f32 v24, v25, v27 :: v_dual_add_f32 v25, v31, v30
	s_delay_alu instid0(VALU_DEP_1) | instskip(NEXT) | instid1(VALU_DEP_1)
	v_add_f32_e32 v27, v28, v24
	v_dual_add_f32 v29, v25, v27 :: v_dual_sub_f32 v28, v27, v28
	s_delay_alu instid0(VALU_DEP_1) | instskip(NEXT) | instid1(VALU_DEP_2)
	v_sub_f32_e32 v32, v29, v25
	v_dual_sub_f32 v31, v25, v31 :: v_dual_sub_f32 v24, v24, v28
	s_delay_alu instid0(VALU_DEP_1) | instskip(SKIP_1) | instid1(VALU_DEP_2)
	v_dual_sub_f32 v33, v29, v32 :: v_dual_sub_f32 v30, v30, v31
	v_sub_f32_e32 v27, v27, v32
	v_dual_sub_f32 v25, v25, v33 :: v_dual_add_f32 v28, v30, v24
	s_delay_alu instid0(VALU_DEP_1) | instskip(NEXT) | instid1(VALU_DEP_2)
	v_add_f32_e32 v25, v27, v25
	v_sub_f32_e32 v27, v28, v30
	s_delay_alu instid0(VALU_DEP_2) | instskip(NEXT) | instid1(VALU_DEP_2)
	v_add_f32_e32 v25, v28, v25
	v_sub_f32_e32 v28, v28, v27
	s_delay_alu instid0(VALU_DEP_2) | instskip(NEXT) | instid1(VALU_DEP_1)
	v_dual_sub_f32 v24, v24, v27 :: v_dual_add_f32 v31, v29, v25
	v_dual_sub_f32 v28, v30, v28 :: v_dual_sub_f32 v27, v31, v29
	s_delay_alu instid0(VALU_DEP_1) | instskip(NEXT) | instid1(VALU_DEP_1)
	v_dual_add_f32 v24, v24, v28 :: v_dual_sub_f32 v25, v25, v27
	v_add_f32_e32 v24, v24, v25
	s_delay_alu instid0(VALU_DEP_1) | instskip(NEXT) | instid1(VALU_DEP_1)
	v_add_f32_e32 v24, v31, v24
	v_cndmask_b32_e32 v78, v24, v26, vcc_lo
.LBB137_28:                             ;   in Loop: Header=BB137_12 Depth=1
	s_or_b32 exec_lo, exec_lo, s15
	s_waitcnt lgkmcnt(0)
	v_add_f32_e32 v79, s54, v0
	s_delay_alu instid0(VALU_DEP_1) | instskip(SKIP_1) | instid1(SALU_CYCLE_1)
	v_cmp_ge_f32_e32 vcc_lo, 0x41a00000, v79
	s_and_b32 s14, s61, vcc_lo
	s_and_saveexec_b32 s15, s14
	s_cbranch_execz .LBB137_30
; %bb.29:                               ;   in Loop: Header=BB137_12 Depth=1
	v_mul_f32_e32 v24, 0x3fb8aa3b, v79
	v_cmp_ngt_f32_e32 vcc_lo, 0xc2ce8ed0, v79
	s_delay_alu instid0(VALU_DEP_2) | instskip(SKIP_1) | instid1(VALU_DEP_2)
	v_rndne_f32_e32 v25, v24
	v_fma_f32 v26, 0x3fb8aa3b, v79, -v24
	v_sub_f32_e32 v24, v24, v25
	s_delay_alu instid0(VALU_DEP_2) | instskip(SKIP_1) | instid1(VALU_DEP_2)
	v_fmac_f32_e32 v26, 0x32a5705f, v79
	v_cvt_i32_f32_e32 v25, v25
	v_add_f32_e32 v24, v24, v26
	s_delay_alu instid0(VALU_DEP_1) | instskip(SKIP_2) | instid1(VALU_DEP_1)
	v_exp_f32_e32 v24, v24
	s_waitcnt_depctr 0xfff
	v_ldexp_f32 v24, v24, v25
	v_cndmask_b32_e32 v24, 0, v24, vcc_lo
	v_cmp_nlt_f32_e32 vcc_lo, 0x42b17218, v79
	s_delay_alu instid0(VALU_DEP_2) | instskip(NEXT) | instid1(VALU_DEP_1)
	v_cndmask_b32_e32 v26, 0x7f800000, v24, vcc_lo
	v_add_f32_e32 v27, 1.0, v26
	s_delay_alu instid0(VALU_DEP_1) | instskip(NEXT) | instid1(VALU_DEP_1)
	v_cvt_f64_f32_e32 v[24:25], v27
	v_frexp_exp_i32_f64_e32 v24, v[24:25]
	v_frexp_mant_f32_e32 v25, v27
	s_delay_alu instid0(VALU_DEP_1) | instskip(SKIP_1) | instid1(VALU_DEP_1)
	v_cmp_gt_f32_e32 vcc_lo, 0x3f2aaaab, v25
	v_add_f32_e32 v25, -1.0, v27
	v_sub_f32_e32 v29, v25, v27
	v_sub_f32_e32 v25, v26, v25
	s_delay_alu instid0(VALU_DEP_2) | instskip(NEXT) | instid1(VALU_DEP_1)
	v_add_f32_e32 v29, 1.0, v29
	v_add_f32_e32 v25, v25, v29
	v_cmp_gt_f32_e64 s14, 0x33800000, v26
	v_subrev_co_ci_u32_e32 v24, vcc_lo, 0, v24, vcc_lo
	v_cmp_eq_f32_e32 vcc_lo, 0x7f800000, v26
	s_delay_alu instid0(VALU_DEP_2) | instskip(SKIP_2) | instid1(VALU_DEP_2)
	v_sub_nc_u32_e32 v28, 0, v24
	v_cvt_f32_i32_e32 v24, v24
	s_or_b32 vcc_lo, s14, vcc_lo
	v_ldexp_f32 v27, v27, v28
	v_ldexp_f32 v25, v25, v28
	s_delay_alu instid0(VALU_DEP_2) | instskip(NEXT) | instid1(VALU_DEP_1)
	v_add_f32_e32 v30, 1.0, v27
	v_dual_add_f32 v28, -1.0, v27 :: v_dual_add_f32 v29, -1.0, v30
	s_delay_alu instid0(VALU_DEP_1) | instskip(NEXT) | instid1(VALU_DEP_2)
	v_add_f32_e32 v31, 1.0, v28
	v_sub_f32_e32 v29, v27, v29
	s_delay_alu instid0(VALU_DEP_2) | instskip(NEXT) | instid1(VALU_DEP_2)
	v_sub_f32_e32 v27, v27, v31
	v_add_f32_e32 v29, v25, v29
	s_delay_alu instid0(VALU_DEP_2) | instskip(NEXT) | instid1(VALU_DEP_1)
	v_add_f32_e32 v25, v25, v27
	v_add_f32_e32 v32, v28, v25
	s_delay_alu instid0(VALU_DEP_1) | instskip(NEXT) | instid1(VALU_DEP_1)
	v_dual_add_f32 v31, v30, v29 :: v_dual_sub_f32 v28, v28, v32
	v_rcp_f32_e32 v27, v31
	v_sub_f32_e32 v30, v30, v31
	s_delay_alu instid0(VALU_DEP_1) | instskip(SKIP_2) | instid1(VALU_DEP_1)
	v_add_f32_e32 v29, v29, v30
	s_waitcnt_depctr 0xfff
	v_mul_f32_e32 v33, v32, v27
	v_mul_f32_e32 v34, v31, v33
	s_delay_alu instid0(VALU_DEP_1) | instskip(NEXT) | instid1(VALU_DEP_1)
	v_fma_f32 v30, v33, v31, -v34
	v_fmac_f32_e32 v30, v33, v29
	s_delay_alu instid0(VALU_DEP_1) | instskip(NEXT) | instid1(VALU_DEP_1)
	v_add_f32_e32 v35, v34, v30
	v_sub_f32_e32 v36, v32, v35
	s_delay_alu instid0(VALU_DEP_1) | instskip(SKIP_1) | instid1(VALU_DEP_2)
	v_sub_f32_e32 v32, v32, v36
	v_dual_add_f32 v25, v25, v28 :: v_dual_sub_f32 v28, v35, v34
	v_sub_f32_e32 v32, v32, v35
	s_delay_alu instid0(VALU_DEP_1) | instskip(NEXT) | instid1(VALU_DEP_1)
	v_dual_sub_f32 v28, v28, v30 :: v_dual_add_f32 v25, v25, v32
	v_add_f32_e32 v25, v28, v25
	s_delay_alu instid0(VALU_DEP_1) | instskip(NEXT) | instid1(VALU_DEP_1)
	v_add_f32_e32 v28, v36, v25
	v_mul_f32_e32 v30, v27, v28
	s_delay_alu instid0(VALU_DEP_1) | instskip(NEXT) | instid1(VALU_DEP_1)
	v_dual_sub_f32 v35, v36, v28 :: v_dual_mul_f32 v32, v31, v30
	v_add_f32_e32 v25, v25, v35
	s_delay_alu instid0(VALU_DEP_2) | instskip(NEXT) | instid1(VALU_DEP_1)
	v_fma_f32 v31, v30, v31, -v32
	v_fmac_f32_e32 v31, v30, v29
	s_delay_alu instid0(VALU_DEP_1) | instskip(NEXT) | instid1(VALU_DEP_1)
	v_add_f32_e32 v29, v32, v31
	v_sub_f32_e32 v34, v28, v29
	s_delay_alu instid0(VALU_DEP_1) | instskip(NEXT) | instid1(VALU_DEP_1)
	v_sub_f32_e32 v28, v28, v34
	v_sub_f32_e32 v28, v28, v29
	s_delay_alu instid0(VALU_DEP_1) | instskip(SKIP_2) | instid1(VALU_DEP_1)
	v_add_f32_e32 v25, v25, v28
	v_add_f32_e32 v28, v33, v30
	v_sub_f32_e32 v32, v29, v32
	v_sub_f32_e32 v29, v32, v31
	s_delay_alu instid0(VALU_DEP_1) | instskip(NEXT) | instid1(VALU_DEP_4)
	v_add_f32_e32 v25, v29, v25
	v_sub_f32_e32 v29, v28, v33
	s_delay_alu instid0(VALU_DEP_2) | instskip(NEXT) | instid1(VALU_DEP_2)
	v_add_f32_e32 v25, v34, v25
	v_sub_f32_e32 v29, v30, v29
	s_delay_alu instid0(VALU_DEP_2) | instskip(NEXT) | instid1(VALU_DEP_1)
	v_mul_f32_e32 v25, v27, v25
	v_add_f32_e32 v25, v29, v25
	s_delay_alu instid0(VALU_DEP_1) | instskip(NEXT) | instid1(VALU_DEP_1)
	v_add_f32_e32 v27, v28, v25
	v_mul_f32_e32 v29, v27, v27
	s_delay_alu instid0(VALU_DEP_1) | instskip(SKIP_1) | instid1(VALU_DEP_2)
	v_fmaak_f32 v30, s42, v29, 0x3ecc95a3
	v_mul_f32_e32 v31, v27, v29
	v_fmaak_f32 v29, v29, v30, 0x3f2aaada
	v_ldexp_f32 v30, v27, 1
	s_delay_alu instid0(VALU_DEP_2) | instskip(SKIP_1) | instid1(VALU_DEP_2)
	v_mul_f32_e32 v29, v31, v29
	v_sub_f32_e32 v27, v27, v28
	v_dual_mul_f32 v31, 0x3f317218, v24 :: v_dual_add_f32 v28, v30, v29
	s_delay_alu instid0(VALU_DEP_2) | instskip(NEXT) | instid1(VALU_DEP_2)
	v_sub_f32_e32 v25, v25, v27
	v_sub_f32_e32 v27, v28, v30
	s_delay_alu instid0(VALU_DEP_3) | instskip(NEXT) | instid1(VALU_DEP_3)
	v_fma_f32 v30, 0x3f317218, v24, -v31
	v_ldexp_f32 v25, v25, 1
	s_delay_alu instid0(VALU_DEP_2) | instskip(NEXT) | instid1(VALU_DEP_1)
	v_dual_sub_f32 v27, v29, v27 :: v_dual_fmac_f32 v30, 0xb102e308, v24
	v_dual_add_f32 v24, v25, v27 :: v_dual_add_f32 v25, v31, v30
	s_delay_alu instid0(VALU_DEP_1) | instskip(NEXT) | instid1(VALU_DEP_1)
	v_add_f32_e32 v27, v28, v24
	v_dual_add_f32 v29, v25, v27 :: v_dual_sub_f32 v28, v27, v28
	s_delay_alu instid0(VALU_DEP_1) | instskip(NEXT) | instid1(VALU_DEP_2)
	v_sub_f32_e32 v32, v29, v25
	v_dual_sub_f32 v31, v25, v31 :: v_dual_sub_f32 v24, v24, v28
	s_delay_alu instid0(VALU_DEP_1) | instskip(SKIP_1) | instid1(VALU_DEP_2)
	v_dual_sub_f32 v33, v29, v32 :: v_dual_sub_f32 v30, v30, v31
	v_sub_f32_e32 v27, v27, v32
	v_dual_sub_f32 v25, v25, v33 :: v_dual_add_f32 v28, v30, v24
	s_delay_alu instid0(VALU_DEP_1) | instskip(NEXT) | instid1(VALU_DEP_2)
	v_add_f32_e32 v25, v27, v25
	v_sub_f32_e32 v27, v28, v30
	s_delay_alu instid0(VALU_DEP_2) | instskip(NEXT) | instid1(VALU_DEP_2)
	v_add_f32_e32 v25, v28, v25
	v_sub_f32_e32 v28, v28, v27
	s_delay_alu instid0(VALU_DEP_2) | instskip(NEXT) | instid1(VALU_DEP_1)
	v_dual_sub_f32 v24, v24, v27 :: v_dual_add_f32 v31, v29, v25
	v_dual_sub_f32 v28, v30, v28 :: v_dual_sub_f32 v27, v31, v29
	s_delay_alu instid0(VALU_DEP_1) | instskip(NEXT) | instid1(VALU_DEP_1)
	v_dual_add_f32 v24, v24, v28 :: v_dual_sub_f32 v25, v25, v27
	v_add_f32_e32 v24, v24, v25
	s_delay_alu instid0(VALU_DEP_1) | instskip(NEXT) | instid1(VALU_DEP_1)
	v_add_f32_e32 v24, v31, v24
	v_cndmask_b32_e32 v79, v24, v26, vcc_lo
.LBB137_30:                             ;   in Loop: Header=BB137_12 Depth=1
	s_or_b32 exec_lo, exec_lo, s15
	v_add_f32_e32 v80, s54, v1
	s_delay_alu instid0(VALU_DEP_1) | instskip(SKIP_1) | instid1(SALU_CYCLE_1)
	v_cmp_ge_f32_e32 vcc_lo, 0x41a00000, v80
	s_and_b32 s14, s61, vcc_lo
	s_and_saveexec_b32 s15, s14
	s_cbranch_execz .LBB137_32
; %bb.31:                               ;   in Loop: Header=BB137_12 Depth=1
	v_mul_f32_e32 v24, 0x3fb8aa3b, v80
	v_cmp_ngt_f32_e32 vcc_lo, 0xc2ce8ed0, v80
	s_delay_alu instid0(VALU_DEP_2) | instskip(SKIP_1) | instid1(VALU_DEP_2)
	v_rndne_f32_e32 v25, v24
	v_fma_f32 v26, 0x3fb8aa3b, v80, -v24
	v_sub_f32_e32 v24, v24, v25
	s_delay_alu instid0(VALU_DEP_2) | instskip(SKIP_1) | instid1(VALU_DEP_2)
	v_fmac_f32_e32 v26, 0x32a5705f, v80
	v_cvt_i32_f32_e32 v25, v25
	v_add_f32_e32 v24, v24, v26
	s_delay_alu instid0(VALU_DEP_1) | instskip(SKIP_2) | instid1(VALU_DEP_1)
	v_exp_f32_e32 v24, v24
	s_waitcnt_depctr 0xfff
	v_ldexp_f32 v24, v24, v25
	v_cndmask_b32_e32 v24, 0, v24, vcc_lo
	v_cmp_nlt_f32_e32 vcc_lo, 0x42b17218, v80
	s_delay_alu instid0(VALU_DEP_2) | instskip(NEXT) | instid1(VALU_DEP_1)
	v_cndmask_b32_e32 v26, 0x7f800000, v24, vcc_lo
	v_add_f32_e32 v27, 1.0, v26
	s_delay_alu instid0(VALU_DEP_1) | instskip(NEXT) | instid1(VALU_DEP_1)
	v_cvt_f64_f32_e32 v[24:25], v27
	v_frexp_exp_i32_f64_e32 v24, v[24:25]
	v_frexp_mant_f32_e32 v25, v27
	s_delay_alu instid0(VALU_DEP_1) | instskip(SKIP_1) | instid1(VALU_DEP_1)
	v_cmp_gt_f32_e32 vcc_lo, 0x3f2aaaab, v25
	v_add_f32_e32 v25, -1.0, v27
	v_sub_f32_e32 v29, v25, v27
	v_sub_f32_e32 v25, v26, v25
	s_delay_alu instid0(VALU_DEP_2) | instskip(NEXT) | instid1(VALU_DEP_1)
	v_add_f32_e32 v29, 1.0, v29
	v_add_f32_e32 v25, v25, v29
	v_cmp_gt_f32_e64 s14, 0x33800000, v26
	v_subrev_co_ci_u32_e32 v24, vcc_lo, 0, v24, vcc_lo
	v_cmp_eq_f32_e32 vcc_lo, 0x7f800000, v26
	s_delay_alu instid0(VALU_DEP_2) | instskip(SKIP_2) | instid1(VALU_DEP_2)
	v_sub_nc_u32_e32 v28, 0, v24
	v_cvt_f32_i32_e32 v24, v24
	s_or_b32 vcc_lo, s14, vcc_lo
	v_ldexp_f32 v27, v27, v28
	v_ldexp_f32 v25, v25, v28
	s_delay_alu instid0(VALU_DEP_2) | instskip(NEXT) | instid1(VALU_DEP_1)
	v_add_f32_e32 v30, 1.0, v27
	v_dual_add_f32 v28, -1.0, v27 :: v_dual_add_f32 v29, -1.0, v30
	s_delay_alu instid0(VALU_DEP_1) | instskip(NEXT) | instid1(VALU_DEP_2)
	v_add_f32_e32 v31, 1.0, v28
	v_sub_f32_e32 v29, v27, v29
	s_delay_alu instid0(VALU_DEP_2) | instskip(NEXT) | instid1(VALU_DEP_2)
	v_sub_f32_e32 v27, v27, v31
	v_add_f32_e32 v29, v25, v29
	s_delay_alu instid0(VALU_DEP_2) | instskip(NEXT) | instid1(VALU_DEP_1)
	v_add_f32_e32 v25, v25, v27
	v_add_f32_e32 v32, v28, v25
	s_delay_alu instid0(VALU_DEP_1) | instskip(NEXT) | instid1(VALU_DEP_1)
	v_dual_add_f32 v31, v30, v29 :: v_dual_sub_f32 v28, v28, v32
	v_rcp_f32_e32 v27, v31
	v_sub_f32_e32 v30, v30, v31
	s_delay_alu instid0(VALU_DEP_1) | instskip(SKIP_2) | instid1(VALU_DEP_1)
	v_add_f32_e32 v29, v29, v30
	s_waitcnt_depctr 0xfff
	v_mul_f32_e32 v33, v32, v27
	v_mul_f32_e32 v34, v31, v33
	s_delay_alu instid0(VALU_DEP_1) | instskip(NEXT) | instid1(VALU_DEP_1)
	v_fma_f32 v30, v33, v31, -v34
	v_fmac_f32_e32 v30, v33, v29
	s_delay_alu instid0(VALU_DEP_1) | instskip(NEXT) | instid1(VALU_DEP_1)
	v_add_f32_e32 v35, v34, v30
	v_sub_f32_e32 v36, v32, v35
	s_delay_alu instid0(VALU_DEP_1) | instskip(SKIP_1) | instid1(VALU_DEP_2)
	v_sub_f32_e32 v32, v32, v36
	v_dual_add_f32 v25, v25, v28 :: v_dual_sub_f32 v28, v35, v34
	v_sub_f32_e32 v32, v32, v35
	s_delay_alu instid0(VALU_DEP_1) | instskip(NEXT) | instid1(VALU_DEP_1)
	v_dual_sub_f32 v28, v28, v30 :: v_dual_add_f32 v25, v25, v32
	v_add_f32_e32 v25, v28, v25
	s_delay_alu instid0(VALU_DEP_1) | instskip(NEXT) | instid1(VALU_DEP_1)
	v_add_f32_e32 v28, v36, v25
	v_mul_f32_e32 v30, v27, v28
	s_delay_alu instid0(VALU_DEP_1) | instskip(NEXT) | instid1(VALU_DEP_1)
	v_dual_sub_f32 v35, v36, v28 :: v_dual_mul_f32 v32, v31, v30
	v_add_f32_e32 v25, v25, v35
	s_delay_alu instid0(VALU_DEP_2) | instskip(NEXT) | instid1(VALU_DEP_1)
	v_fma_f32 v31, v30, v31, -v32
	v_fmac_f32_e32 v31, v30, v29
	s_delay_alu instid0(VALU_DEP_1) | instskip(NEXT) | instid1(VALU_DEP_1)
	v_add_f32_e32 v29, v32, v31
	v_sub_f32_e32 v34, v28, v29
	s_delay_alu instid0(VALU_DEP_1) | instskip(NEXT) | instid1(VALU_DEP_1)
	v_sub_f32_e32 v28, v28, v34
	v_sub_f32_e32 v28, v28, v29
	s_delay_alu instid0(VALU_DEP_1) | instskip(SKIP_2) | instid1(VALU_DEP_1)
	v_add_f32_e32 v25, v25, v28
	v_add_f32_e32 v28, v33, v30
	v_sub_f32_e32 v32, v29, v32
	v_sub_f32_e32 v29, v32, v31
	s_delay_alu instid0(VALU_DEP_1) | instskip(NEXT) | instid1(VALU_DEP_4)
	v_add_f32_e32 v25, v29, v25
	v_sub_f32_e32 v29, v28, v33
	s_delay_alu instid0(VALU_DEP_2) | instskip(NEXT) | instid1(VALU_DEP_2)
	v_add_f32_e32 v25, v34, v25
	v_sub_f32_e32 v29, v30, v29
	s_delay_alu instid0(VALU_DEP_2) | instskip(NEXT) | instid1(VALU_DEP_1)
	v_mul_f32_e32 v25, v27, v25
	v_add_f32_e32 v25, v29, v25
	s_delay_alu instid0(VALU_DEP_1) | instskip(NEXT) | instid1(VALU_DEP_1)
	v_add_f32_e32 v27, v28, v25
	v_mul_f32_e32 v29, v27, v27
	s_delay_alu instid0(VALU_DEP_1) | instskip(SKIP_1) | instid1(VALU_DEP_2)
	v_fmaak_f32 v30, s42, v29, 0x3ecc95a3
	v_mul_f32_e32 v31, v27, v29
	v_fmaak_f32 v29, v29, v30, 0x3f2aaada
	v_ldexp_f32 v30, v27, 1
	s_delay_alu instid0(VALU_DEP_2) | instskip(SKIP_1) | instid1(VALU_DEP_2)
	v_mul_f32_e32 v29, v31, v29
	v_sub_f32_e32 v27, v27, v28
	v_dual_mul_f32 v31, 0x3f317218, v24 :: v_dual_add_f32 v28, v30, v29
	s_delay_alu instid0(VALU_DEP_2) | instskip(NEXT) | instid1(VALU_DEP_2)
	v_sub_f32_e32 v25, v25, v27
	v_sub_f32_e32 v27, v28, v30
	s_delay_alu instid0(VALU_DEP_3) | instskip(NEXT) | instid1(VALU_DEP_3)
	v_fma_f32 v30, 0x3f317218, v24, -v31
	v_ldexp_f32 v25, v25, 1
	s_delay_alu instid0(VALU_DEP_2) | instskip(NEXT) | instid1(VALU_DEP_1)
	v_dual_sub_f32 v27, v29, v27 :: v_dual_fmac_f32 v30, 0xb102e308, v24
	v_dual_add_f32 v24, v25, v27 :: v_dual_add_f32 v25, v31, v30
	s_delay_alu instid0(VALU_DEP_1) | instskip(NEXT) | instid1(VALU_DEP_1)
	v_add_f32_e32 v27, v28, v24
	v_dual_add_f32 v29, v25, v27 :: v_dual_sub_f32 v28, v27, v28
	s_delay_alu instid0(VALU_DEP_1) | instskip(NEXT) | instid1(VALU_DEP_2)
	v_sub_f32_e32 v32, v29, v25
	v_dual_sub_f32 v31, v25, v31 :: v_dual_sub_f32 v24, v24, v28
	s_delay_alu instid0(VALU_DEP_1) | instskip(SKIP_1) | instid1(VALU_DEP_2)
	v_dual_sub_f32 v33, v29, v32 :: v_dual_sub_f32 v30, v30, v31
	v_sub_f32_e32 v27, v27, v32
	v_dual_sub_f32 v25, v25, v33 :: v_dual_add_f32 v28, v30, v24
	s_delay_alu instid0(VALU_DEP_1) | instskip(NEXT) | instid1(VALU_DEP_2)
	v_add_f32_e32 v25, v27, v25
	v_sub_f32_e32 v27, v28, v30
	s_delay_alu instid0(VALU_DEP_2) | instskip(NEXT) | instid1(VALU_DEP_2)
	v_add_f32_e32 v25, v28, v25
	v_sub_f32_e32 v28, v28, v27
	s_delay_alu instid0(VALU_DEP_2) | instskip(NEXT) | instid1(VALU_DEP_1)
	v_dual_sub_f32 v24, v24, v27 :: v_dual_add_f32 v31, v29, v25
	v_dual_sub_f32 v28, v30, v28 :: v_dual_sub_f32 v27, v31, v29
	s_delay_alu instid0(VALU_DEP_1) | instskip(NEXT) | instid1(VALU_DEP_1)
	v_dual_add_f32 v24, v24, v28 :: v_dual_sub_f32 v25, v25, v27
	v_add_f32_e32 v24, v24, v25
	s_delay_alu instid0(VALU_DEP_1) | instskip(NEXT) | instid1(VALU_DEP_1)
	v_add_f32_e32 v24, v31, v24
	v_cndmask_b32_e32 v80, v24, v26, vcc_lo
.LBB137_32:                             ;   in Loop: Header=BB137_12 Depth=1
	s_or_b32 exec_lo, exec_lo, s15
	v_add_f32_e32 v81, s54, v2
	s_delay_alu instid0(VALU_DEP_1) | instskip(SKIP_1) | instid1(SALU_CYCLE_1)
	v_cmp_ge_f32_e32 vcc_lo, 0x41a00000, v81
	s_and_b32 s14, s61, vcc_lo
	s_and_saveexec_b32 s15, s14
	s_cbranch_execz .LBB137_34
; %bb.33:                               ;   in Loop: Header=BB137_12 Depth=1
	v_mul_f32_e32 v24, 0x3fb8aa3b, v81
	v_cmp_ngt_f32_e32 vcc_lo, 0xc2ce8ed0, v81
	s_delay_alu instid0(VALU_DEP_2) | instskip(SKIP_1) | instid1(VALU_DEP_2)
	v_rndne_f32_e32 v25, v24
	v_fma_f32 v26, 0x3fb8aa3b, v81, -v24
	v_sub_f32_e32 v24, v24, v25
	s_delay_alu instid0(VALU_DEP_2) | instskip(SKIP_1) | instid1(VALU_DEP_2)
	v_fmac_f32_e32 v26, 0x32a5705f, v81
	v_cvt_i32_f32_e32 v25, v25
	v_add_f32_e32 v24, v24, v26
	s_delay_alu instid0(VALU_DEP_1) | instskip(SKIP_2) | instid1(VALU_DEP_1)
	v_exp_f32_e32 v24, v24
	s_waitcnt_depctr 0xfff
	v_ldexp_f32 v24, v24, v25
	v_cndmask_b32_e32 v24, 0, v24, vcc_lo
	v_cmp_nlt_f32_e32 vcc_lo, 0x42b17218, v81
	s_delay_alu instid0(VALU_DEP_2) | instskip(NEXT) | instid1(VALU_DEP_1)
	v_cndmask_b32_e32 v26, 0x7f800000, v24, vcc_lo
	v_add_f32_e32 v27, 1.0, v26
	s_delay_alu instid0(VALU_DEP_1) | instskip(NEXT) | instid1(VALU_DEP_1)
	v_cvt_f64_f32_e32 v[24:25], v27
	v_frexp_exp_i32_f64_e32 v24, v[24:25]
	v_frexp_mant_f32_e32 v25, v27
	s_delay_alu instid0(VALU_DEP_1) | instskip(SKIP_1) | instid1(VALU_DEP_1)
	v_cmp_gt_f32_e32 vcc_lo, 0x3f2aaaab, v25
	v_add_f32_e32 v25, -1.0, v27
	v_sub_f32_e32 v29, v25, v27
	v_sub_f32_e32 v25, v26, v25
	s_delay_alu instid0(VALU_DEP_2) | instskip(NEXT) | instid1(VALU_DEP_1)
	v_add_f32_e32 v29, 1.0, v29
	v_add_f32_e32 v25, v25, v29
	v_cmp_gt_f32_e64 s14, 0x33800000, v26
	v_subrev_co_ci_u32_e32 v24, vcc_lo, 0, v24, vcc_lo
	v_cmp_eq_f32_e32 vcc_lo, 0x7f800000, v26
	s_delay_alu instid0(VALU_DEP_2) | instskip(SKIP_2) | instid1(VALU_DEP_2)
	v_sub_nc_u32_e32 v28, 0, v24
	v_cvt_f32_i32_e32 v24, v24
	s_or_b32 vcc_lo, s14, vcc_lo
	v_ldexp_f32 v27, v27, v28
	v_ldexp_f32 v25, v25, v28
	s_delay_alu instid0(VALU_DEP_2) | instskip(NEXT) | instid1(VALU_DEP_1)
	v_add_f32_e32 v30, 1.0, v27
	v_dual_add_f32 v28, -1.0, v27 :: v_dual_add_f32 v29, -1.0, v30
	s_delay_alu instid0(VALU_DEP_1) | instskip(NEXT) | instid1(VALU_DEP_2)
	v_add_f32_e32 v31, 1.0, v28
	v_sub_f32_e32 v29, v27, v29
	s_delay_alu instid0(VALU_DEP_2) | instskip(NEXT) | instid1(VALU_DEP_2)
	v_sub_f32_e32 v27, v27, v31
	v_add_f32_e32 v29, v25, v29
	s_delay_alu instid0(VALU_DEP_2) | instskip(NEXT) | instid1(VALU_DEP_1)
	v_add_f32_e32 v25, v25, v27
	v_add_f32_e32 v32, v28, v25
	s_delay_alu instid0(VALU_DEP_1) | instskip(NEXT) | instid1(VALU_DEP_1)
	v_dual_add_f32 v31, v30, v29 :: v_dual_sub_f32 v28, v28, v32
	v_rcp_f32_e32 v27, v31
	v_sub_f32_e32 v30, v30, v31
	s_delay_alu instid0(VALU_DEP_1) | instskip(SKIP_2) | instid1(VALU_DEP_1)
	v_add_f32_e32 v29, v29, v30
	s_waitcnt_depctr 0xfff
	v_mul_f32_e32 v33, v32, v27
	v_mul_f32_e32 v34, v31, v33
	s_delay_alu instid0(VALU_DEP_1) | instskip(NEXT) | instid1(VALU_DEP_1)
	v_fma_f32 v30, v33, v31, -v34
	v_fmac_f32_e32 v30, v33, v29
	s_delay_alu instid0(VALU_DEP_1) | instskip(NEXT) | instid1(VALU_DEP_1)
	v_add_f32_e32 v35, v34, v30
	v_sub_f32_e32 v36, v32, v35
	s_delay_alu instid0(VALU_DEP_1) | instskip(SKIP_1) | instid1(VALU_DEP_2)
	v_sub_f32_e32 v32, v32, v36
	v_dual_add_f32 v25, v25, v28 :: v_dual_sub_f32 v28, v35, v34
	v_sub_f32_e32 v32, v32, v35
	s_delay_alu instid0(VALU_DEP_1) | instskip(NEXT) | instid1(VALU_DEP_1)
	v_dual_sub_f32 v28, v28, v30 :: v_dual_add_f32 v25, v25, v32
	v_add_f32_e32 v25, v28, v25
	s_delay_alu instid0(VALU_DEP_1) | instskip(NEXT) | instid1(VALU_DEP_1)
	v_add_f32_e32 v28, v36, v25
	v_mul_f32_e32 v30, v27, v28
	s_delay_alu instid0(VALU_DEP_1) | instskip(NEXT) | instid1(VALU_DEP_1)
	v_dual_sub_f32 v35, v36, v28 :: v_dual_mul_f32 v32, v31, v30
	v_add_f32_e32 v25, v25, v35
	s_delay_alu instid0(VALU_DEP_2) | instskip(NEXT) | instid1(VALU_DEP_1)
	v_fma_f32 v31, v30, v31, -v32
	v_fmac_f32_e32 v31, v30, v29
	s_delay_alu instid0(VALU_DEP_1) | instskip(NEXT) | instid1(VALU_DEP_1)
	v_add_f32_e32 v29, v32, v31
	v_sub_f32_e32 v34, v28, v29
	s_delay_alu instid0(VALU_DEP_1) | instskip(NEXT) | instid1(VALU_DEP_1)
	v_sub_f32_e32 v28, v28, v34
	v_sub_f32_e32 v28, v28, v29
	s_delay_alu instid0(VALU_DEP_1) | instskip(SKIP_2) | instid1(VALU_DEP_1)
	v_add_f32_e32 v25, v25, v28
	v_add_f32_e32 v28, v33, v30
	v_sub_f32_e32 v32, v29, v32
	v_sub_f32_e32 v29, v32, v31
	s_delay_alu instid0(VALU_DEP_1) | instskip(NEXT) | instid1(VALU_DEP_4)
	v_add_f32_e32 v25, v29, v25
	v_sub_f32_e32 v29, v28, v33
	s_delay_alu instid0(VALU_DEP_2) | instskip(NEXT) | instid1(VALU_DEP_2)
	v_add_f32_e32 v25, v34, v25
	v_sub_f32_e32 v29, v30, v29
	s_delay_alu instid0(VALU_DEP_2) | instskip(NEXT) | instid1(VALU_DEP_1)
	v_mul_f32_e32 v25, v27, v25
	v_add_f32_e32 v25, v29, v25
	s_delay_alu instid0(VALU_DEP_1) | instskip(NEXT) | instid1(VALU_DEP_1)
	v_add_f32_e32 v27, v28, v25
	v_mul_f32_e32 v29, v27, v27
	s_delay_alu instid0(VALU_DEP_1) | instskip(SKIP_1) | instid1(VALU_DEP_2)
	v_fmaak_f32 v30, s42, v29, 0x3ecc95a3
	v_mul_f32_e32 v31, v27, v29
	v_fmaak_f32 v29, v29, v30, 0x3f2aaada
	v_ldexp_f32 v30, v27, 1
	s_delay_alu instid0(VALU_DEP_2) | instskip(SKIP_1) | instid1(VALU_DEP_2)
	v_mul_f32_e32 v29, v31, v29
	v_sub_f32_e32 v27, v27, v28
	v_dual_mul_f32 v31, 0x3f317218, v24 :: v_dual_add_f32 v28, v30, v29
	s_delay_alu instid0(VALU_DEP_2) | instskip(NEXT) | instid1(VALU_DEP_2)
	v_sub_f32_e32 v25, v25, v27
	v_sub_f32_e32 v27, v28, v30
	s_delay_alu instid0(VALU_DEP_3) | instskip(NEXT) | instid1(VALU_DEP_3)
	v_fma_f32 v30, 0x3f317218, v24, -v31
	v_ldexp_f32 v25, v25, 1
	s_delay_alu instid0(VALU_DEP_2) | instskip(NEXT) | instid1(VALU_DEP_1)
	v_dual_sub_f32 v27, v29, v27 :: v_dual_fmac_f32 v30, 0xb102e308, v24
	v_dual_add_f32 v24, v25, v27 :: v_dual_add_f32 v25, v31, v30
	s_delay_alu instid0(VALU_DEP_1) | instskip(NEXT) | instid1(VALU_DEP_1)
	v_add_f32_e32 v27, v28, v24
	v_dual_add_f32 v29, v25, v27 :: v_dual_sub_f32 v28, v27, v28
	s_delay_alu instid0(VALU_DEP_1) | instskip(NEXT) | instid1(VALU_DEP_2)
	v_sub_f32_e32 v32, v29, v25
	v_dual_sub_f32 v31, v25, v31 :: v_dual_sub_f32 v24, v24, v28
	s_delay_alu instid0(VALU_DEP_1) | instskip(SKIP_1) | instid1(VALU_DEP_2)
	v_dual_sub_f32 v33, v29, v32 :: v_dual_sub_f32 v30, v30, v31
	v_sub_f32_e32 v27, v27, v32
	v_dual_sub_f32 v25, v25, v33 :: v_dual_add_f32 v28, v30, v24
	s_delay_alu instid0(VALU_DEP_1) | instskip(NEXT) | instid1(VALU_DEP_2)
	v_add_f32_e32 v25, v27, v25
	v_sub_f32_e32 v27, v28, v30
	s_delay_alu instid0(VALU_DEP_2) | instskip(NEXT) | instid1(VALU_DEP_2)
	v_add_f32_e32 v25, v28, v25
	v_sub_f32_e32 v28, v28, v27
	s_delay_alu instid0(VALU_DEP_2) | instskip(NEXT) | instid1(VALU_DEP_1)
	v_dual_sub_f32 v24, v24, v27 :: v_dual_add_f32 v31, v29, v25
	v_dual_sub_f32 v28, v30, v28 :: v_dual_sub_f32 v27, v31, v29
	s_delay_alu instid0(VALU_DEP_1) | instskip(NEXT) | instid1(VALU_DEP_1)
	v_dual_add_f32 v24, v24, v28 :: v_dual_sub_f32 v25, v25, v27
	v_add_f32_e32 v24, v24, v25
	s_delay_alu instid0(VALU_DEP_1) | instskip(NEXT) | instid1(VALU_DEP_1)
	v_add_f32_e32 v24, v31, v24
	v_cndmask_b32_e32 v81, v24, v26, vcc_lo
.LBB137_34:                             ;   in Loop: Header=BB137_12 Depth=1
	s_or_b32 exec_lo, exec_lo, s15
	v_add_f32_e32 v82, s54, v3
	s_delay_alu instid0(VALU_DEP_1) | instskip(SKIP_1) | instid1(SALU_CYCLE_1)
	v_cmp_ge_f32_e32 vcc_lo, 0x41a00000, v82
	s_and_b32 s14, s61, vcc_lo
	s_and_saveexec_b32 s15, s14
	s_cbranch_execz .LBB137_36
; %bb.35:                               ;   in Loop: Header=BB137_12 Depth=1
	v_mul_f32_e32 v24, 0x3fb8aa3b, v82
	v_cmp_ngt_f32_e32 vcc_lo, 0xc2ce8ed0, v82
	s_delay_alu instid0(VALU_DEP_2) | instskip(SKIP_1) | instid1(VALU_DEP_2)
	v_rndne_f32_e32 v25, v24
	v_fma_f32 v26, 0x3fb8aa3b, v82, -v24
	v_sub_f32_e32 v24, v24, v25
	s_delay_alu instid0(VALU_DEP_2) | instskip(SKIP_1) | instid1(VALU_DEP_2)
	v_fmac_f32_e32 v26, 0x32a5705f, v82
	v_cvt_i32_f32_e32 v25, v25
	v_add_f32_e32 v24, v24, v26
	s_delay_alu instid0(VALU_DEP_1) | instskip(SKIP_2) | instid1(VALU_DEP_1)
	v_exp_f32_e32 v24, v24
	s_waitcnt_depctr 0xfff
	v_ldexp_f32 v24, v24, v25
	v_cndmask_b32_e32 v24, 0, v24, vcc_lo
	v_cmp_nlt_f32_e32 vcc_lo, 0x42b17218, v82
	s_delay_alu instid0(VALU_DEP_2) | instskip(NEXT) | instid1(VALU_DEP_1)
	v_cndmask_b32_e32 v26, 0x7f800000, v24, vcc_lo
	v_add_f32_e32 v27, 1.0, v26
	s_delay_alu instid0(VALU_DEP_1) | instskip(NEXT) | instid1(VALU_DEP_1)
	v_cvt_f64_f32_e32 v[24:25], v27
	v_frexp_exp_i32_f64_e32 v24, v[24:25]
	v_frexp_mant_f32_e32 v25, v27
	s_delay_alu instid0(VALU_DEP_1) | instskip(SKIP_1) | instid1(VALU_DEP_1)
	v_cmp_gt_f32_e32 vcc_lo, 0x3f2aaaab, v25
	v_add_f32_e32 v25, -1.0, v27
	v_sub_f32_e32 v29, v25, v27
	v_sub_f32_e32 v25, v26, v25
	s_delay_alu instid0(VALU_DEP_2) | instskip(NEXT) | instid1(VALU_DEP_1)
	v_add_f32_e32 v29, 1.0, v29
	v_add_f32_e32 v25, v25, v29
	v_cmp_gt_f32_e64 s14, 0x33800000, v26
	v_subrev_co_ci_u32_e32 v24, vcc_lo, 0, v24, vcc_lo
	v_cmp_eq_f32_e32 vcc_lo, 0x7f800000, v26
	s_delay_alu instid0(VALU_DEP_2) | instskip(SKIP_2) | instid1(VALU_DEP_2)
	v_sub_nc_u32_e32 v28, 0, v24
	v_cvt_f32_i32_e32 v24, v24
	s_or_b32 vcc_lo, s14, vcc_lo
	v_ldexp_f32 v27, v27, v28
	v_ldexp_f32 v25, v25, v28
	s_delay_alu instid0(VALU_DEP_2) | instskip(NEXT) | instid1(VALU_DEP_1)
	v_add_f32_e32 v30, 1.0, v27
	v_dual_add_f32 v28, -1.0, v27 :: v_dual_add_f32 v29, -1.0, v30
	s_delay_alu instid0(VALU_DEP_1) | instskip(NEXT) | instid1(VALU_DEP_2)
	v_add_f32_e32 v31, 1.0, v28
	v_sub_f32_e32 v29, v27, v29
	s_delay_alu instid0(VALU_DEP_2) | instskip(NEXT) | instid1(VALU_DEP_2)
	v_sub_f32_e32 v27, v27, v31
	v_add_f32_e32 v29, v25, v29
	s_delay_alu instid0(VALU_DEP_2) | instskip(NEXT) | instid1(VALU_DEP_1)
	v_add_f32_e32 v25, v25, v27
	v_add_f32_e32 v32, v28, v25
	s_delay_alu instid0(VALU_DEP_1) | instskip(NEXT) | instid1(VALU_DEP_1)
	v_dual_add_f32 v31, v30, v29 :: v_dual_sub_f32 v28, v28, v32
	v_rcp_f32_e32 v27, v31
	v_sub_f32_e32 v30, v30, v31
	s_delay_alu instid0(VALU_DEP_1) | instskip(SKIP_2) | instid1(VALU_DEP_1)
	v_add_f32_e32 v29, v29, v30
	s_waitcnt_depctr 0xfff
	v_mul_f32_e32 v33, v32, v27
	v_mul_f32_e32 v34, v31, v33
	s_delay_alu instid0(VALU_DEP_1) | instskip(NEXT) | instid1(VALU_DEP_1)
	v_fma_f32 v30, v33, v31, -v34
	v_fmac_f32_e32 v30, v33, v29
	s_delay_alu instid0(VALU_DEP_1) | instskip(NEXT) | instid1(VALU_DEP_1)
	v_add_f32_e32 v35, v34, v30
	v_sub_f32_e32 v36, v32, v35
	s_delay_alu instid0(VALU_DEP_1) | instskip(SKIP_1) | instid1(VALU_DEP_2)
	v_sub_f32_e32 v32, v32, v36
	v_dual_add_f32 v25, v25, v28 :: v_dual_sub_f32 v28, v35, v34
	v_sub_f32_e32 v32, v32, v35
	s_delay_alu instid0(VALU_DEP_1) | instskip(NEXT) | instid1(VALU_DEP_1)
	v_dual_sub_f32 v28, v28, v30 :: v_dual_add_f32 v25, v25, v32
	v_add_f32_e32 v25, v28, v25
	s_delay_alu instid0(VALU_DEP_1) | instskip(NEXT) | instid1(VALU_DEP_1)
	v_add_f32_e32 v28, v36, v25
	v_mul_f32_e32 v30, v27, v28
	s_delay_alu instid0(VALU_DEP_1) | instskip(NEXT) | instid1(VALU_DEP_1)
	v_dual_sub_f32 v35, v36, v28 :: v_dual_mul_f32 v32, v31, v30
	v_add_f32_e32 v25, v25, v35
	s_delay_alu instid0(VALU_DEP_2) | instskip(NEXT) | instid1(VALU_DEP_1)
	v_fma_f32 v31, v30, v31, -v32
	v_fmac_f32_e32 v31, v30, v29
	s_delay_alu instid0(VALU_DEP_1) | instskip(NEXT) | instid1(VALU_DEP_1)
	v_add_f32_e32 v29, v32, v31
	v_sub_f32_e32 v34, v28, v29
	s_delay_alu instid0(VALU_DEP_1) | instskip(NEXT) | instid1(VALU_DEP_1)
	v_sub_f32_e32 v28, v28, v34
	v_sub_f32_e32 v28, v28, v29
	s_delay_alu instid0(VALU_DEP_1) | instskip(SKIP_2) | instid1(VALU_DEP_1)
	v_add_f32_e32 v25, v25, v28
	v_add_f32_e32 v28, v33, v30
	v_sub_f32_e32 v32, v29, v32
	v_sub_f32_e32 v29, v32, v31
	s_delay_alu instid0(VALU_DEP_1) | instskip(NEXT) | instid1(VALU_DEP_4)
	v_add_f32_e32 v25, v29, v25
	v_sub_f32_e32 v29, v28, v33
	s_delay_alu instid0(VALU_DEP_2) | instskip(NEXT) | instid1(VALU_DEP_2)
	v_add_f32_e32 v25, v34, v25
	v_sub_f32_e32 v29, v30, v29
	s_delay_alu instid0(VALU_DEP_2) | instskip(NEXT) | instid1(VALU_DEP_1)
	v_mul_f32_e32 v25, v27, v25
	v_add_f32_e32 v25, v29, v25
	s_delay_alu instid0(VALU_DEP_1) | instskip(NEXT) | instid1(VALU_DEP_1)
	v_add_f32_e32 v27, v28, v25
	v_mul_f32_e32 v29, v27, v27
	s_delay_alu instid0(VALU_DEP_1) | instskip(SKIP_1) | instid1(VALU_DEP_2)
	v_fmaak_f32 v30, s42, v29, 0x3ecc95a3
	v_mul_f32_e32 v31, v27, v29
	v_fmaak_f32 v29, v29, v30, 0x3f2aaada
	v_ldexp_f32 v30, v27, 1
	s_delay_alu instid0(VALU_DEP_2) | instskip(SKIP_1) | instid1(VALU_DEP_2)
	v_mul_f32_e32 v29, v31, v29
	v_sub_f32_e32 v27, v27, v28
	v_dual_mul_f32 v31, 0x3f317218, v24 :: v_dual_add_f32 v28, v30, v29
	s_delay_alu instid0(VALU_DEP_2) | instskip(NEXT) | instid1(VALU_DEP_2)
	v_sub_f32_e32 v25, v25, v27
	v_sub_f32_e32 v27, v28, v30
	s_delay_alu instid0(VALU_DEP_3) | instskip(NEXT) | instid1(VALU_DEP_3)
	v_fma_f32 v30, 0x3f317218, v24, -v31
	v_ldexp_f32 v25, v25, 1
	s_delay_alu instid0(VALU_DEP_2) | instskip(NEXT) | instid1(VALU_DEP_1)
	v_dual_sub_f32 v27, v29, v27 :: v_dual_fmac_f32 v30, 0xb102e308, v24
	v_dual_add_f32 v24, v25, v27 :: v_dual_add_f32 v25, v31, v30
	s_delay_alu instid0(VALU_DEP_1) | instskip(NEXT) | instid1(VALU_DEP_1)
	v_add_f32_e32 v27, v28, v24
	v_dual_add_f32 v29, v25, v27 :: v_dual_sub_f32 v28, v27, v28
	s_delay_alu instid0(VALU_DEP_1) | instskip(NEXT) | instid1(VALU_DEP_2)
	v_sub_f32_e32 v32, v29, v25
	v_dual_sub_f32 v31, v25, v31 :: v_dual_sub_f32 v24, v24, v28
	s_delay_alu instid0(VALU_DEP_1) | instskip(SKIP_1) | instid1(VALU_DEP_2)
	v_dual_sub_f32 v33, v29, v32 :: v_dual_sub_f32 v30, v30, v31
	v_sub_f32_e32 v27, v27, v32
	v_dual_sub_f32 v25, v25, v33 :: v_dual_add_f32 v28, v30, v24
	s_delay_alu instid0(VALU_DEP_1) | instskip(NEXT) | instid1(VALU_DEP_2)
	v_add_f32_e32 v25, v27, v25
	v_sub_f32_e32 v27, v28, v30
	s_delay_alu instid0(VALU_DEP_2) | instskip(NEXT) | instid1(VALU_DEP_2)
	v_add_f32_e32 v25, v28, v25
	v_sub_f32_e32 v28, v28, v27
	s_delay_alu instid0(VALU_DEP_2) | instskip(NEXT) | instid1(VALU_DEP_1)
	v_dual_sub_f32 v24, v24, v27 :: v_dual_add_f32 v31, v29, v25
	v_dual_sub_f32 v28, v30, v28 :: v_dual_sub_f32 v27, v31, v29
	s_delay_alu instid0(VALU_DEP_1) | instskip(NEXT) | instid1(VALU_DEP_1)
	v_dual_add_f32 v24, v24, v28 :: v_dual_sub_f32 v25, v25, v27
	v_add_f32_e32 v24, v24, v25
	s_delay_alu instid0(VALU_DEP_1) | instskip(NEXT) | instid1(VALU_DEP_1)
	v_add_f32_e32 v24, v31, v24
	v_cndmask_b32_e32 v82, v24, v26, vcc_lo
.LBB137_36:                             ;   in Loop: Header=BB137_12 Depth=1
	s_or_b32 exec_lo, exec_lo, s15
	v_dual_mul_f32 v26, s55, v6 :: v_dual_mul_f32 v25, s55, v5
	v_dual_mul_f32 v24, s55, v4 :: v_dual_mul_f32 v31, s55, v19
	;; [unrolled: 1-line block ×4, first 2 shown]
	s_lshl_b32 s26, s52, 9
	s_and_b32 vcc_lo, exec_lo, s62
	s_barrier
	buffer_gl0_inv
	s_cbranch_vccz .LBB137_68
; %bb.37:                               ;   in Loop: Header=BB137_12 Depth=1
	v_add_co_u32 v32, s14, s49, v73
	s_delay_alu instid0(VALU_DEP_1) | instskip(SKIP_1) | instid1(VALU_DEP_1)
	v_add_co_ci_u32_e64 v33, null, s50, 0, s14
	v_add_co_u32 v34, s14, s37, v73
	v_add_co_ci_u32_e64 v35, null, s57, 0, s14
	s_delay_alu instid0(VALU_DEP_4) | instskip(NEXT) | instid1(VALU_DEP_4)
	v_add_co_u32 v84, vcc_lo, v32, v74
	v_add_co_ci_u32_e32 v85, vcc_lo, 0, v33, vcc_lo
	s_delay_alu instid0(VALU_DEP_4)
	v_add_co_u32 v86, vcc_lo, v34, v74
	s_sub_i32 s17, s34, s26
	v_add_co_ci_u32_e32 v87, vcc_lo, 0, v35, vcc_lo
	v_cmp_gt_u32_e32 vcc_lo, s17, v56
	s_cmp_lg_u32 s52, 0
	v_cmp_gt_u32_e64 s15, s17, v66
	s_cselect_b32 s27, -1, 0
	s_cmp_eq_u32 s52, s64
	v_cmp_gt_u32_e64 s16, s17, v67
	s_cselect_b32 s65, -1, 0
	s_or_b32 s14, s63, vcc_lo
	v_cmp_gt_u32_e32 vcc_lo, s17, v68
	v_cmp_gt_u32_e64 s18, s17, v69
	v_cmp_gt_u32_e64 s19, s17, v70
	;; [unrolled: 1-line block ×4, first 2 shown]
	v_dual_mul_f32 v83, v7, v82 :: v_dual_mul_f32 v88, v6, v81
	v_dual_mul_f32 v89, v5, v80 :: v_dual_mul_f32 v90, v4, v79
	;; [unrolled: 1-line block ×4, first 2 shown]
	s_mov_b32 s28, 0
	s_or_b32 s15, s63, s15
	s_or_b32 s16, s63, s16
	s_or_b32 s17, s63, vcc_lo
	s_or_b32 s18, s63, s18
	s_or_b32 s19, s63, s19
	;; [unrolled: 1-line block ×4, first 2 shown]
	s_mov_b32 s30, s28
	s_mov_b32 s38, s28
	;; [unrolled: 1-line block ×5, first 2 shown]
	s_branch .LBB137_39
.LBB137_38:                             ;   in Loop: Header=BB137_39 Depth=2
	s_or_b32 exec_lo, exec_lo, s22
	v_cndmask_b32_e64 v41, v108, v43, s13
	v_cndmask_b32_e64 v42, v107, v42, s13
	s_add_i32 s66, s66, -1
	s_add_i32 s67, s67, 8
	s_add_i32 s40, s40, s58
	v_fma_f32 v41, v41, v97, v45
	v_mul_f32_e32 v42, v42, v97
	s_add_i32 s38, s38, s36
	s_add_i32 s30, s30, s48
	;; [unrolled: 1-line block ×3, first 2 shown]
	v_cndmask_b32_e64 v41, v41, v45, s12
	v_cndmask_b32_e64 v42, v42, v97, s12
	s_cmp_eq_u32 s66, 0
	s_waitcnt lgkmcnt(0)
	s_delay_alu instid0(VALU_DEP_1) | instskip(NEXT) | instid1(VALU_DEP_1)
	v_fmac_f32_e32 v41, v40, v42
	v_fmac_f32_e32 v44, v41, v96
	s_delay_alu instid0(VALU_DEP_1) | instskip(NEXT) | instid1(VALU_DEP_1)
	v_fmac_f32_e32 v46, v44, v99
	v_fmac_f32_e32 v47, v46, v100
	;; [unrolled: 3-line block ×3, first 2 shown]
	v_fmac_f32_e32 v31, v39, v47
	v_dual_fmac_f32 v24, v32, v95 :: v_dual_fmac_f32 v29, v37, v44
	s_delay_alu instid0(VALU_DEP_3) | instskip(SKIP_1) | instid1(VALU_DEP_1)
	v_fmac_f32_e32 v25, v33, v98
	v_fmac_f32_e32 v101, v98, v104
	v_dual_fmac_f32 v30, v38, v46 :: v_dual_fmac_f32 v103, v101, v105
	v_fmac_f32_e32 v26, v34, v101
	s_delay_alu instid0(VALU_DEP_2)
	v_dual_fmac_f32 v28, v36, v41 :: v_dual_fmac_f32 v27, v35, v103
	s_cbranch_scc1 .LBB137_68
.LBB137_39:                             ;   Parent Loop BB137_12 Depth=1
                                        ; =>  This Inner Loop Header: Depth=2
	s_lshl_b64 s[22:23], s[28:29], 2
	s_mov_b32 s31, s29
	s_add_u32 s22, s56, s22
	s_addc_u32 s23, s46, s23
	s_lshl_b64 s[68:69], s[30:31], 2
	s_mov_b32 s39, s29
	v_add_co_u32 v36, vcc_lo, v84, s68
	v_add_co_ci_u32_e32 v37, vcc_lo, s69, v85, vcc_lo
	s_lshl_b64 s[68:69], s[38:39], 2
	s_clause 0x1
	global_load_b128 v[32:35], v[36:37], off
	global_load_b128 v[36:39], v[36:37], off offset:512
	v_add_co_u32 v40, vcc_lo, v86, s68
	v_add_co_ci_u32_e32 v41, vcc_lo, s69, v87, vcc_lo
	global_load_b32 v95, v50, s[22:23]
	s_and_not1_b32 vcc_lo, exec_lo, s27
	s_waitcnt vmcnt(2)
	ds_store_b128 v51, v[32:35]
	s_waitcnt vmcnt(1)
	ds_store_b128 v52, v[36:39] offset:512
	; wave barrier
	s_clause 0x1
	global_load_b128 v[32:35], v[40:41], off
	global_load_b128 v[36:39], v[40:41], off offset:512
	ds_load_b128 v[44:47], v53
	ds_load_b128 v[40:43], v53 offset:16
	s_waitcnt vmcnt(1)
	ds_store_b128 v51, v[32:35] offset:2112
	s_waitcnt vmcnt(0)
	ds_store_b128 v54, v[36:39] offset:512
	; wave barrier
	ds_load_b128 v[36:39], v53 offset:2112
	ds_load_b128 v[32:35], v55 offset:16
	s_cbranch_vccnz .LBB137_41
; %bb.40:                               ;   in Loop: Header=BB137_39 Depth=2
	v_mov_b32_e32 v48, s67
	ds_load_b64 v[48:49], v48
	s_cbranch_execz .LBB137_42
	s_branch .LBB137_45
.LBB137_41:                             ;   in Loop: Header=BB137_39 Depth=2
                                        ; implicit-def: $vgpr48
.LBB137_42:                             ;   in Loop: Header=BB137_39 Depth=2
	s_waitcnt lgkmcnt(0)
	v_mov_b32_e32 v49, 0
	s_and_not1_b32 vcc_lo, exec_lo, s33
	s_cbranch_vccnz .LBB137_44
; %bb.43:                               ;   in Loop: Header=BB137_39 Depth=2
	s_mov_b32 s41, s29
	s_delay_alu instid0(SALU_CYCLE_1) | instskip(NEXT) | instid1(SALU_CYCLE_1)
	s_lshl_b64 s[22:23], s[40:41], 2
	s_add_u32 s22, s25, s22
	s_addc_u32 s23, s59, s23
	global_load_b32 v49, v50, s[22:23]
.LBB137_44:                             ;   in Loop: Header=BB137_39 Depth=2
	v_mov_b32_e32 v48, 1.0
.LBB137_45:                             ;   in Loop: Header=BB137_39 Depth=2
	s_waitcnt lgkmcnt(5)
	v_dual_mul_f32 v101, 0x3fb8aa3b, v95 :: v_dual_mul_f32 v44, v44, v94
	v_dual_mul_f32 v47, v47, v91 :: v_dual_mul_f32 v46, v46, v92
	s_waitcnt lgkmcnt(4)
	s_delay_alu instid0(VALU_DEP_2)
	v_dual_mul_f32 v43, v43, v83 :: v_dual_mul_f32 v98, v101, v77
	v_mul_f32_e32 v95, v101, v75
	v_mul_f32_e32 v102, v101, v79
	;; [unrolled: 1-line block ×3, first 2 shown]
	v_cndmask_b32_e64 v46, 0, v46, s16
	v_cmp_gt_f32_e64 s23, 0xc2fc0000, v98
	v_cmp_gt_f32_e32 vcc_lo, 0xc2fc0000, v95
	v_cndmask_b32_e64 v47, 0, v47, s17
	v_mul_f32_e32 v40, v40, v90
	v_mul_f32_e32 v42, v42, v88
	v_cndmask_b32_e64 v98, 0, 0x42800000, s23
	v_cndmask_b32_e64 v95, 0, 0x42800000, vcc_lo
	v_cndmask_b32_e64 v99, 1.0, 0x1f800000, vcc_lo
	v_cmp_gt_f32_e32 vcc_lo, 0xc2fc0000, v102
	s_delay_alu instid0(VALU_DEP_4) | instskip(NEXT) | instid1(VALU_DEP_1)
	v_fmac_f32_e32 v98, v101, v77
	v_exp_f32_e32 v98, v98
	v_fmac_f32_e32 v95, v101, v75
	s_delay_alu instid0(VALU_DEP_1) | instskip(SKIP_2) | instid1(VALU_DEP_1)
	v_exp_f32_e32 v95, v95
	s_waitcnt_depctr 0xfff
	v_dual_mul_f32 v96, v101, v76 :: v_dual_mul_f32 v95, v95, v99
	v_cmp_gt_f32_e64 s22, 0xc2fc0000, v96
	v_cndmask_b32_e64 v99, 0, 0x42800000, vcc_lo
	s_delay_alu instid0(VALU_DEP_2) | instskip(SKIP_1) | instid1(VALU_DEP_3)
	v_cndmask_b32_e64 v96, 0, 0x42800000, s22
	v_cndmask_b32_e64 v100, 1.0, 0x1f800000, s22
	v_fmac_f32_e32 v99, v101, v79
	s_delay_alu instid0(VALU_DEP_3) | instskip(NEXT) | instid1(VALU_DEP_2)
	v_fmac_f32_e32 v96, v101, v76
	v_exp_f32_e32 v103, v99
	s_delay_alu instid0(VALU_DEP_1)
	v_exp_f32_e32 v96, v96
	v_mul_f32_e32 v97, v45, v93
	v_cndmask_b32_e64 v45, 0, v44, s14
	s_waitcnt_depctr 0xfff
	v_mul_f32_e32 v96, v96, v100
	v_cndmask_b32_e64 v44, 0, v97, s15
	v_mul_f32_e32 v97, v101, v78
	v_cndmask_b32_e64 v100, 1.0, 0x1f800000, s23
	s_delay_alu instid0(VALU_DEP_4) | instskip(NEXT) | instid1(VALU_DEP_3)
	v_cndmask_b32_e64 v96, 1.0, v96, s15
	v_cmp_gt_f32_e64 s24, 0xc2fc0000, v97
	s_delay_alu instid0(VALU_DEP_3) | instskip(NEXT) | instid1(VALU_DEP_3)
	v_mul_f32_e32 v98, v98, v100
	v_fma_f32 v105, v96, v45, v44
	s_delay_alu instid0(VALU_DEP_3) | instskip(SKIP_1) | instid1(VALU_DEP_4)
	v_cndmask_b32_e64 v97, 0, 0x42800000, s24
	v_cndmask_b32_e64 v100, 1.0, 0x1f800000, s24
	v_cndmask_b32_e64 v99, 1.0, v98, s16
	s_delay_alu instid0(VALU_DEP_3) | instskip(NEXT) | instid1(VALU_DEP_1)
	v_fmac_f32_e32 v97, v101, v78
	v_exp_f32_e32 v102, v97
	v_cndmask_b32_e64 v97, 1.0, v95, s14
	v_mul_f32_e32 v95, v101, v80
	s_delay_alu instid0(VALU_DEP_1)
	v_cmp_gt_f32_e64 s22, 0xc2fc0000, v95
	s_waitcnt_depctr 0xfff
	v_mul_f32_e32 v98, v102, v100
	v_cndmask_b32_e64 v102, 1.0, 0x1f800000, vcc_lo
	v_cndmask_b32_e64 v95, 0, 0x42800000, s22
	v_cmp_gt_f32_e32 vcc_lo, 0xc2fc0000, v104
	v_mul_f32_e32 v104, v101, v82
	v_cndmask_b32_e64 v100, 1.0, v98, s17
	s_delay_alu instid0(VALU_DEP_4) | instskip(SKIP_1) | instid1(VALU_DEP_2)
	v_dual_mul_f32 v102, v103, v102 :: v_dual_fmac_f32 v95, v101, v80
	v_cndmask_b32_e64 v103, 0, 0x42800000, vcc_lo
	v_cndmask_b32_e64 v102, 1.0, v102, s18
	s_delay_alu instid0(VALU_DEP_3)
	v_exp_f32_e32 v98, v95
	v_cndmask_b32_e64 v95, 0, v40, s18
	v_cndmask_b32_e64 v40, 1.0, 0x1f800000, s22
	v_cmp_gt_f32_e64 s22, 0xc2fc0000, v104
	v_mul_f32_e32 v104, v96, v97
	v_mul_f32_e32 v41, v41, v89
	s_waitcnt_depctr 0xfff
	v_dual_fmac_f32 v103, v101, v81 :: v_dual_mul_f32 v40, v98, v40
	s_delay_alu instid0(VALU_DEP_1) | instskip(NEXT) | instid1(VALU_DEP_1)
	v_exp_f32_e32 v103, v103
	v_cndmask_b32_e64 v106, 1.0, v40, s19
	v_mul_f32_e32 v40, v104, v99
	v_cndmask_b32_e64 v98, 0, v41, s19
	v_cndmask_b32_e64 v41, 0, 0x42800000, s22
	v_cndmask_b32_e64 v104, 1.0, 0x1f800000, vcc_lo
	s_delay_alu instid0(VALU_DEP_2)
	v_dual_mul_f32 v40, v40, v100 :: v_dual_fmac_f32 v41, v101, v82
	v_fma_f32 v101, v105, v99, v46
	s_delay_alu instid0(TRANS32_DEP_1) | instid1(VALU_DEP_2)
	v_dual_mul_f32 v103, v103, v104 :: v_dual_mul_f32 v40, v40, v102
	s_delay_alu instid0(VALU_DEP_3) | instskip(NEXT) | instid1(VALU_DEP_2)
	v_exp_f32_e32 v41, v41
	v_fma_f32 v105, v101, v100, v47
	v_cndmask_b32_e64 v101, 0, v42, s20
	v_cndmask_b32_e64 v42, 1.0, 0x1f800000, s22
	v_cndmask_b32_e64 v104, 1.0, v103, s20
	v_mul_f32_e32 v40, v40, v106
	v_fma_f32 v105, v105, v102, v95
	v_cndmask_b32_e64 v103, 0, v43, s21
	s_delay_alu instid0(TRANS32_DEP_1) | instid1(VALU_DEP_3)
	v_dual_mul_f32 v41, v41, v42 :: v_dual_mul_f32 v40, v40, v104
	s_delay_alu instid0(VALU_DEP_3) | instskip(NEXT) | instid1(VALU_DEP_2)
	v_fma_f32 v42, v105, v106, v98
	v_cndmask_b32_e64 v105, 1.0, v41, s21
	s_delay_alu instid0(VALU_DEP_2) | instskip(NEXT) | instid1(VALU_DEP_2)
	v_fma_f32 v41, v42, v104, v101
	v_mul_f32_e32 v40, v40, v105
	s_delay_alu instid0(VALU_DEP_2) | instskip(NEXT) | instid1(VALU_DEP_2)
	v_fma_f32 v41, v41, v105, v103
	v_mov_b32_dpp v43, v40 row_shr:1 row_mask:0xf bank_mask:0xf
	s_delay_alu instid0(VALU_DEP_2)
	v_mov_b32_dpp v42, v41 row_shr:1 row_mask:0xf bank_mask:0xf
	s_and_saveexec_b32 s22, s2
; %bb.46:                               ;   in Loop: Header=BB137_39 Depth=2
	s_delay_alu instid0(VALU_DEP_2) | instskip(NEXT) | instid1(VALU_DEP_1)
	v_mul_f32_e32 v43, v40, v43
	v_dual_fmac_f32 v41, v40, v42 :: v_dual_mov_b32 v40, v43
; %bb.47:                               ;   in Loop: Header=BB137_39 Depth=2
	s_or_b32 exec_lo, exec_lo, s22
	s_delay_alu instid0(VALU_DEP_1) | instskip(NEXT) | instid1(VALU_DEP_2)
	v_mov_b32_dpp v42, v40 row_shr:2 row_mask:0xf bank_mask:0xf
	v_mov_b32_dpp v43, v41 row_shr:2 row_mask:0xf bank_mask:0xf
	s_and_saveexec_b32 s22, s3
; %bb.48:                               ;   in Loop: Header=BB137_39 Depth=2
	s_delay_alu instid0(VALU_DEP_1) | instskip(NEXT) | instid1(VALU_DEP_3)
	v_fmac_f32_e32 v41, v40, v43
	v_mul_f32_e32 v40, v40, v42
; %bb.49:                               ;   in Loop: Header=BB137_39 Depth=2
	s_or_b32 exec_lo, exec_lo, s22
	s_delay_alu instid0(VALU_DEP_1) | instskip(NEXT) | instid1(VALU_DEP_3)
	v_mov_b32_dpp v42, v40 row_shr:4 row_mask:0xf bank_mask:0xf
	v_mov_b32_dpp v43, v41 row_shr:4 row_mask:0xf bank_mask:0xf
	s_and_saveexec_b32 s22, s4
; %bb.50:                               ;   in Loop: Header=BB137_39 Depth=2
	s_delay_alu instid0(VALU_DEP_1) | instskip(NEXT) | instid1(VALU_DEP_3)
	v_fmac_f32_e32 v41, v40, v43
	v_mul_f32_e32 v40, v40, v42
; %bb.51:                               ;   in Loop: Header=BB137_39 Depth=2
	s_or_b32 exec_lo, exec_lo, s22
	s_delay_alu instid0(VALU_DEP_1) | instskip(NEXT) | instid1(VALU_DEP_3)
	v_mov_b32_dpp v42, v40 row_shr:8 row_mask:0xf bank_mask:0xf
	v_mov_b32_dpp v43, v41 row_shr:8 row_mask:0xf bank_mask:0xf
	s_and_saveexec_b32 s22, s5
; %bb.52:                               ;   in Loop: Header=BB137_39 Depth=2
	s_delay_alu instid0(VALU_DEP_1) | instskip(NEXT) | instid1(VALU_DEP_3)
	v_fmac_f32_e32 v41, v40, v43
	v_mul_f32_e32 v40, v40, v42
; %bb.53:                               ;   in Loop: Header=BB137_39 Depth=2
	s_or_b32 exec_lo, exec_lo, s22
	ds_swizzle_b32 v43, v40 offset:swizzle(BROADCAST,32,15)
	ds_swizzle_b32 v42, v41 offset:swizzle(BROADCAST,32,15)
	s_and_saveexec_b32 s22, s6
	s_cbranch_execz .LBB137_55
; %bb.54:                               ;   in Loop: Header=BB137_39 Depth=2
	s_waitcnt lgkmcnt(1)
	v_mul_f32_e32 v43, v40, v43
	s_waitcnt lgkmcnt(0)
	s_delay_alu instid0(VALU_DEP_1)
	v_dual_fmac_f32 v41, v40, v42 :: v_dual_mov_b32 v40, v43
.LBB137_55:                             ;   in Loop: Header=BB137_39 Depth=2
	s_or_b32 exec_lo, exec_lo, s22
	s_and_saveexec_b32 s22, s7
	s_cbranch_execz .LBB137_57
; %bb.56:                               ;   in Loop: Header=BB137_39 Depth=2
	ds_store_b64 v57, v[40:41] offset:4224
.LBB137_57:                             ;   in Loop: Header=BB137_39 Depth=2
	s_or_b32 exec_lo, exec_lo, s22
	s_waitcnt vmcnt(0) lgkmcnt(0)
	s_waitcnt_vscnt null, 0x0
	s_barrier
	buffer_gl0_inv
	s_and_saveexec_b32 s22, s8
	s_cbranch_execz .LBB137_59
; %bb.58:                               ;   in Loop: Header=BB137_39 Depth=2
	ds_load_b64 v[42:43], v58 offset:4224
	s_waitcnt lgkmcnt(0)
	v_mov_b32_dpp v107, v42 row_shr:1 row_mask:0xf bank_mask:0xf
	v_mov_b32_dpp v108, v43 row_shr:1 row_mask:0xf bank_mask:0xf
	s_delay_alu instid0(VALU_DEP_2) | instskip(NEXT) | instid1(VALU_DEP_2)
	v_mul_f32_e32 v107, v42, v107
	v_fma_f32 v108, v42, v108, v43
	s_delay_alu instid0(VALU_DEP_2) | instskip(NEXT) | instid1(VALU_DEP_2)
	v_cndmask_b32_e64 v42, v107, v42, s9
	v_cndmask_b32_e64 v43, v108, v43, s9
	ds_store_b64 v58, v[42:43] offset:4224
.LBB137_59:                             ;   in Loop: Header=BB137_39 Depth=2
	s_or_b32 exec_lo, exec_lo, s22
	s_waitcnt lgkmcnt(0)
	s_barrier
	buffer_gl0_inv
                                        ; implicit-def: $vgpr43
	s_and_saveexec_b32 s22, s11
	s_cbranch_execz .LBB137_61
; %bb.60:                               ;   in Loop: Header=BB137_39 Depth=2
	ds_load_b64 v[42:43], v57 offset:4216
	s_waitcnt lgkmcnt(0)
	v_mul_f32_e32 v107, v40, v42
	s_delay_alu instid0(VALU_DEP_1)
	v_dual_fmac_f32 v41, v40, v43 :: v_dual_mov_b32 v40, v107
.LBB137_61:                             ;   in Loop: Header=BB137_39 Depth=2
	s_or_b32 exec_lo, exec_lo, s22
	ds_bpermute_b32 v107, v59, v40
	ds_bpermute_b32 v108, v59, v41
	s_and_saveexec_b32 s22, s10
	s_cbranch_execz .LBB137_65
; %bb.62:                               ;   in Loop: Header=BB137_39 Depth=2
	ds_load_b64 v[40:41], v50 offset:4232
	s_and_saveexec_b32 s23, s12
	s_cbranch_execz .LBB137_64
; %bb.63:                               ;   in Loop: Header=BB137_39 Depth=2
	ds_store_b64 v50, v[48:49] offset:4232
.LBB137_64:                             ;   in Loop: Header=BB137_39 Depth=2
	s_or_b32 exec_lo, exec_lo, s23
	s_waitcnt lgkmcnt(0)
	v_fmac_f32_e32 v41, v49, v40
	s_delay_alu instid0(VALU_DEP_1)
	v_dual_mul_f32 v48, v48, v40 :: v_dual_mov_b32 v49, v41
.LBB137_65:                             ;   in Loop: Header=BB137_39 Depth=2
	s_or_b32 exec_lo, exec_lo, s22
	s_waitcnt lgkmcnt(0)
	s_barrier
	buffer_gl0_inv
	ds_load_b32 v40, v50 offset:4236
	s_and_saveexec_b32 s22, s12
	s_cbranch_execz .LBB137_38
; %bb.66:                               ;   in Loop: Header=BB137_39 Depth=2
	v_mov_b32_e32 v41, s67
	s_and_not1_b32 vcc_lo, exec_lo, s65
	ds_store_b64 v41, v[48:49]
	s_cbranch_vccnz .LBB137_38
; %bb.67:                               ;   in Loop: Header=BB137_39 Depth=2
	s_mov_b32 s41, s29
	s_delay_alu instid0(SALU_CYCLE_1) | instskip(NEXT) | instid1(SALU_CYCLE_1)
	s_lshl_b64 s[68:69], s[40:41], 2
	s_add_u32 s68, s25, s68
	s_addc_u32 s69, s59, s69
	global_store_b32 v50, v49, s[68:69]
	s_branch .LBB137_38
.LBB137_68:                             ;   in Loop: Header=BB137_12 Depth=1
	s_waitcnt_vscnt null, 0x0
	s_barrier
	buffer_gl0_inv
	ds_store_b128 v53, v[28:31]
	ds_store_b128 v53, v[24:27] offset:16
	; wave barrier
	ds_load_b128 v[34:37], v51
	ds_load_b128 v[38:41], v52 offset:512
	s_mov_b32 s27, s29
	s_delay_alu instid0(SALU_CYCLE_1) | instskip(NEXT) | instid1(SALU_CYCLE_1)
	s_lshl_b64 s[18:19], s[26:27], 2
	v_add_co_u32 v42, vcc_lo, v60, s18
	v_add_co_ci_u32_e32 v43, vcc_lo, s19, v61, vcc_lo
	v_add_co_u32 v32, vcc_lo, v62, s18
	v_add_co_ci_u32_e32 v33, vcc_lo, s19, v63, vcc_lo
	s_waitcnt lgkmcnt(1)
	global_store_b128 v[42:43], v[34:37], off
	s_waitcnt lgkmcnt(0)
	global_store_b128 v[42:43], v[38:41], off offset:512
	s_waitcnt_vscnt null, 0x0
	s_barrier
	buffer_gl0_inv
	s_and_saveexec_b32 s14, s0
	s_cbranch_execz .LBB137_70
; %bb.69:                               ;   in Loop: Header=BB137_12 Depth=1
	global_load_b128 v[20:23], v[32:33], off
.LBB137_70:                             ;   in Loop: Header=BB137_12 Depth=1
	s_or_b32 exec_lo, exec_lo, s14
	s_and_saveexec_b32 s14, s1
	s_cbranch_execz .LBB137_11
; %bb.71:                               ;   in Loop: Header=BB137_12 Depth=1
	global_load_b128 v[8:11], v[32:33], off offset:512
	s_branch .LBB137_11
.LBB137_72:
	s_nop 0
	s_sendmsg sendmsg(MSG_DEALLOC_VGPRS)
	s_endpgm
	.section	.rodata,"a",@progbits
	.p2align	6, 0x0
	.amdhsa_kernel _Z25selective_scan_fwd_kernelI32Selective_Scan_fwd_kernel_traitsILi64ELi8ELi1ELb1ELb1ELb1ELb1ELb0EfffEEv13SSMParamsBase
		.amdhsa_group_segment_fixed_size 0
		.amdhsa_private_segment_fixed_size 0
		.amdhsa_kernarg_size 248
		.amdhsa_user_sgpr_count 14
		.amdhsa_user_sgpr_dispatch_ptr 0
		.amdhsa_user_sgpr_queue_ptr 0
		.amdhsa_user_sgpr_kernarg_segment_ptr 1
		.amdhsa_user_sgpr_dispatch_id 0
		.amdhsa_user_sgpr_private_segment_size 0
		.amdhsa_wavefront_size32 1
		.amdhsa_uses_dynamic_stack 0
		.amdhsa_enable_private_segment 0
		.amdhsa_system_sgpr_workgroup_id_x 1
		.amdhsa_system_sgpr_workgroup_id_y 1
		.amdhsa_system_sgpr_workgroup_id_z 0
		.amdhsa_system_sgpr_workgroup_info 0
		.amdhsa_system_vgpr_workitem_id 0
		.amdhsa_next_free_vgpr 109
		.amdhsa_next_free_sgpr 70
		.amdhsa_reserve_vcc 1
		.amdhsa_float_round_mode_32 0
		.amdhsa_float_round_mode_16_64 0
		.amdhsa_float_denorm_mode_32 3
		.amdhsa_float_denorm_mode_16_64 3
		.amdhsa_dx10_clamp 1
		.amdhsa_ieee_mode 1
		.amdhsa_fp16_overflow 0
		.amdhsa_workgroup_processor_mode 1
		.amdhsa_memory_ordered 1
		.amdhsa_forward_progress 0
		.amdhsa_shared_vgpr_count 0
		.amdhsa_exception_fp_ieee_invalid_op 0
		.amdhsa_exception_fp_denorm_src 0
		.amdhsa_exception_fp_ieee_div_zero 0
		.amdhsa_exception_fp_ieee_overflow 0
		.amdhsa_exception_fp_ieee_underflow 0
		.amdhsa_exception_fp_ieee_inexact 0
		.amdhsa_exception_int_div_zero 0
	.end_amdhsa_kernel
	.section	.text._Z25selective_scan_fwd_kernelI32Selective_Scan_fwd_kernel_traitsILi64ELi8ELi1ELb1ELb1ELb1ELb1ELb0EfffEEv13SSMParamsBase,"axG",@progbits,_Z25selective_scan_fwd_kernelI32Selective_Scan_fwd_kernel_traitsILi64ELi8ELi1ELb1ELb1ELb1ELb1ELb0EfffEEv13SSMParamsBase,comdat
.Lfunc_end137:
	.size	_Z25selective_scan_fwd_kernelI32Selective_Scan_fwd_kernel_traitsILi64ELi8ELi1ELb1ELb1ELb1ELb1ELb0EfffEEv13SSMParamsBase, .Lfunc_end137-_Z25selective_scan_fwd_kernelI32Selective_Scan_fwd_kernel_traitsILi64ELi8ELi1ELb1ELb1ELb1ELb1ELb0EfffEEv13SSMParamsBase
                                        ; -- End function
	.section	.AMDGPU.csdata,"",@progbits
; Kernel info:
; codeLenInByte = 11740
; NumSgprs: 72
; NumVgprs: 109
; ScratchSize: 0
; MemoryBound: 1
; FloatMode: 240
; IeeeMode: 1
; LDSByteSize: 0 bytes/workgroup (compile time only)
; SGPRBlocks: 8
; VGPRBlocks: 13
; NumSGPRsForWavesPerEU: 72
; NumVGPRsForWavesPerEU: 109
; Occupancy: 12
; WaveLimiterHint : 1
; COMPUTE_PGM_RSRC2:SCRATCH_EN: 0
; COMPUTE_PGM_RSRC2:USER_SGPR: 14
; COMPUTE_PGM_RSRC2:TRAP_HANDLER: 0
; COMPUTE_PGM_RSRC2:TGID_X_EN: 1
; COMPUTE_PGM_RSRC2:TGID_Y_EN: 1
; COMPUTE_PGM_RSRC2:TGID_Z_EN: 0
; COMPUTE_PGM_RSRC2:TIDIG_COMP_CNT: 0
	.section	.text._Z25selective_scan_fwd_kernelI32Selective_Scan_fwd_kernel_traitsILi64ELi8ELi1ELb1ELb1ELb1ELb0ELb1EfffEEv13SSMParamsBase,"axG",@progbits,_Z25selective_scan_fwd_kernelI32Selective_Scan_fwd_kernel_traitsILi64ELi8ELi1ELb1ELb1ELb1ELb0ELb1EfffEEv13SSMParamsBase,comdat
	.protected	_Z25selective_scan_fwd_kernelI32Selective_Scan_fwd_kernel_traitsILi64ELi8ELi1ELb1ELb1ELb1ELb0ELb1EfffEEv13SSMParamsBase ; -- Begin function _Z25selective_scan_fwd_kernelI32Selective_Scan_fwd_kernel_traitsILi64ELi8ELi1ELb1ELb1ELb1ELb0ELb1EfffEEv13SSMParamsBase
	.globl	_Z25selective_scan_fwd_kernelI32Selective_Scan_fwd_kernel_traitsILi64ELi8ELi1ELb1ELb1ELb1ELb0ELb1EfffEEv13SSMParamsBase
	.p2align	8
	.type	_Z25selective_scan_fwd_kernelI32Selective_Scan_fwd_kernel_traitsILi64ELi8ELi1ELb1ELb1ELb1ELb0ELb1EfffEEv13SSMParamsBase,@function
_Z25selective_scan_fwd_kernelI32Selective_Scan_fwd_kernel_traitsILi64ELi8ELi1ELb1ELb1ELb1ELb0ELb1EfffEEv13SSMParamsBase: ; @_Z25selective_scan_fwd_kernelI32Selective_Scan_fwd_kernel_traitsILi64ELi8ELi1ELb1ELb1ELb1ELb0ELb1EfffEEv13SSMParamsBase
; %bb.0:
	s_clause 0x2
	s_load_b32 s35, s[0:1], 0x18
	s_load_b128 s[4:7], s[0:1], 0xe0
	s_load_b64 s[10:11], s[0:1], 0xf0
	s_mov_b32 s12, s15
	s_ashr_i32 s15, s14, 31
	s_mov_b32 s33, 0
	s_lshl_b64 s[8:9], s[14:15], 2
	s_waitcnt lgkmcnt(0)
	s_abs_i32 s34, s35
	s_add_u32 s2, s4, s8
	v_cvt_f32_u32_e32 v1, s34
	s_addc_u32 s3, s5, s9
	s_cmp_eq_u64 s[10:11], 0
	s_delay_alu instid0(VALU_DEP_1) | instskip(SKIP_2) | instid1(VALU_DEP_1)
	v_rcp_iflag_f32_e32 v1, v1
	s_waitcnt_depctr 0xfff
	v_mul_f32_e32 v1, 0x4f7ffffe, v1
	v_cvt_u32_f32_e32 v1, v1
	s_delay_alu instid0(VALU_DEP_1)
	v_readfirstlane_b32 s36, v1
	s_cbranch_scc1 .LBB138_2
; %bb.1:
	v_mov_b32_e32 v1, 0
	s_add_u32 s4, s10, s14
	s_addc_u32 s5, s11, s15
	global_load_u8 v1, v1, s[4:5]
	s_waitcnt vmcnt(0)
	v_and_b32_e32 v1, 1, v1
	s_delay_alu instid0(VALU_DEP_1)
	v_cmp_eq_u32_e64 s33, 1, v1
.LBB138_2:
	s_load_b64 s[4:5], s[0:1], 0x20
	s_cmp_eq_u64 s[6:7], 0
	s_cbranch_scc1 .LBB138_4
; %bb.3:
	s_add_u32 s6, s6, s8
	s_addc_u32 s7, s7, s9
	s_load_b32 s14, s[6:7], 0x0
	s_waitcnt lgkmcnt(0)
	s_ashr_i32 s15, s14, 31
.LBB138_4:
	s_waitcnt lgkmcnt(0)
	s_cmp_eq_u64 s[4:5], s[14:15]
	s_cbranch_scc1 .LBB138_140
; %bb.5:
	s_load_b512 s[16:31], s[0:1], 0x88
	s_load_b64 s[10:11], s[2:3], 0x0
	s_mov_b32 s60, 0
	s_mov_b32 s61, 0
	s_waitcnt lgkmcnt(0)
	s_cmp_eq_u64 s[22:23], 0
	s_cbranch_scc1 .LBB138_7
; %bb.6:
	s_ashr_i32 s13, s12, 31
	s_delay_alu instid0(SALU_CYCLE_1) | instskip(NEXT) | instid1(SALU_CYCLE_1)
	s_lshl_b64 s[2:3], s[12:13], 2
	s_add_u32 s2, s22, s2
	s_addc_u32 s3, s23, s3
	s_load_b32 s61, s[2:3], 0x0
.LBB138_7:
	s_cmp_eq_u64 s[28:29], 0
	s_cbranch_scc1 .LBB138_9
; %bb.8:
	s_ashr_i32 s13, s12, 31
	s_delay_alu instid0(SALU_CYCLE_1) | instskip(NEXT) | instid1(SALU_CYCLE_1)
	s_lshl_b64 s[2:3], s[12:13], 2
	s_add_u32 s2, s28, s2
	s_addc_u32 s3, s29, s3
	s_load_b32 s60, s[2:3], 0x0
.LBB138_9:
	s_sub_i32 s62, s11, s10
	s_delay_alu instid0(SALU_CYCLE_1)
	s_cmp_lt_i32 s62, 1
	s_cbranch_scc1 .LBB138_140
; %bb.10:
	s_sub_i32 s2, 0, s34
	s_abs_i32 s5, s12
	s_mul_i32 s4, s2, s36
	s_clause 0x1
	s_load_b64 s[2:3], s[0:1], 0x5c
	s_load_b128 s[52:55], s[0:1], 0x4c
	s_mul_hi_u32 s4, s36, s4
	s_ashr_i32 s7, s35, 31
	s_add_i32 s36, s36, s4
	s_ashr_i32 s4, s12, 31
	s_mul_hi_u32 s6, s5, s36
	s_xor_b32 s7, s4, s7
	s_mul_i32 s8, s6, s34
	s_load_b256 s[36:43], s[0:1], 0x2c
	s_sub_i32 s4, s5, s8
	s_add_i32 s5, s6, 1
	s_sub_i32 s8, s4, s34
	s_cmp_ge_u32 s4, s34
	s_mov_b32 s35, 0
	s_cselect_b32 s5, s5, s6
	s_cselect_b32 s4, s8, s4
	s_add_i32 s6, s5, 1
	s_cmp_ge_u32 s4, s34
	s_load_b128 s[56:59], s[0:1], 0x7c
	s_cselect_b32 s4, s6, s5
	s_waitcnt lgkmcnt(0)
	s_mul_i32 s34, s10, s54
	s_xor_b32 s6, s4, s7
	s_lshl_b64 s[4:5], s[34:35], 2
	s_sub_i32 s6, s6, s7
	s_mul_i32 s34, s55, s12
	s_add_u32 s7, s24, s4
	s_addc_u32 s8, s25, s5
	s_lshl_b64 s[4:5], s[34:35], 2
	s_mul_i32 s34, s10, s2
	s_add_u32 s63, s7, s4
	s_addc_u32 s64, s8, s5
	s_lshl_b64 s[4:5], s[34:35], 2
	;; [unrolled: 4-line block ×3, first 2 shown]
	s_mul_i32 s34, s36, s12
	s_add_u32 s65, s4, s2
	s_addc_u32 s36, s5, s3
	s_load_b64 s[4:5], s[0:1], 0xc8
	s_lshl_b64 s[2:3], s[34:35], 2
	v_dual_mov_b32 v1, 0 :: v_dual_lshlrev_b32 v20, 3, v0
	s_mul_i32 s34, s10, s38
	s_add_u32 s66, s16, s2
	s_addc_u32 s59, s17, s3
	s_lshl_b64 s[2:3], s[34:35], 2
	s_mul_i32 s34, s6, s41
	s_clause 0x2
	s_load_b64 s[16:17], s[0:1], 0x6c
	s_load_b32 s71, s[0:1], 0xc
	s_load_b32 s0, s[0:1], 0x28
	s_add_u32 s7, s18, s2
	v_mbcnt_lo_u32_b32 v2, -1, 0
	v_and_b32_e32 v3, 0x100, v20
	s_addc_u32 s8, s19, s3
	s_lshl_b64 s[2:3], s[34:35], 2
	s_mul_i32 s34, s10, s42
	s_add_u32 s41, s7, s2
	s_addc_u32 s67, s8, s3
	s_lshl_b64 s[2:3], s[34:35], 2
	s_mul_i32 s34, s6, s53
	v_or_b32_e32 v21, v2, v3
	v_lshrrev_b32_e32 v4, 5, v3
	s_add_u32 s7, s20, s2
	s_addc_u32 s6, s21, s3
	s_lshl_b64 s[2:3], s[34:35], 2
	s_mul_i32 s34, s14, s56
	s_add_u32 s53, s7, s2
	s_addc_u32 s68, s6, s3
	s_lshl_b64 s[2:3], s[34:35], 2
	v_or_b32_e32 v25, 0x80, v21
	v_add_nc_u32_e32 v4, v4, v21
	v_and_b32_e32 v8, 32, v0
	s_mul_i32 s34, s57, s12
	s_waitcnt lgkmcnt(0)
	s_add_u32 s4, s4, s2
	s_addc_u32 s5, s5, s3
	s_lshl_b64 s[2:3], s[34:35], 2
	v_or_b32_e32 v22, 32, v21
	s_add_u32 s69, s4, s2
	v_or_b32_e32 v23, 64, v21
	v_or_b32_e32 v24, 0x60, v21
	;; [unrolled: 1-line block ×5, first 2 shown]
	v_lshl_add_u32 v29, v4, 2, 0
	v_lshrrev_b32_e32 v4, 5, v25
	v_or_b32_e32 v11, v2, v8
	s_addc_u32 s70, s5, s3
	s_add_i32 s2, s62, 0x7ff
	v_lshrrev_b32_e32 v5, 5, v22
	s_lshr_b32 s72, s2, 11
	s_bitcmp1_b32 s0, 0
	v_lshrrev_b32_e32 v6, 5, v23
	v_lshrrev_b32_e32 v7, 5, v24
	v_add_lshl_u32 v4, v4, v21, 2
	v_lshrrev_b32_e32 v9, 5, v26
	v_lshrrev_b32_e32 v10, 5, v27
	v_lshrrev_b32_e32 v12, 5, v28
	v_lshlrev_b32_e32 v13, 3, v11
	v_bfe_u32 v11, v11, 2, 27
	s_cselect_b32 s73, -1, 0
	s_cmp_gt_i32 s71, 0
	v_add_lshl_u32 v5, v5, v21, 2
	s_cselect_b32 s74, -1, 0
	s_add_i32 s0, 0, 0x840
	v_add_lshl_u32 v6, v6, v21, 2
	v_add_lshl_u32 v7, v7, v21, 2
	v_add_nc_u32_e32 v33, 0, v4
	v_add_lshl_u32 v9, v9, v21, 2
	v_add_lshl_u32 v10, v10, v21, 2
	;; [unrolled: 1-line block ×4, first 2 shown]
	v_add_nc_u32_e32 v41, s0, v4
	v_and_b32_e32 v4, 15, v2
	s_and_b32 s1, s62, 0x1ff
	v_add_nc_u32_e32 v38, s0, v5
	v_add_nc_u32_e32 v39, s0, v6
	;; [unrolled: 1-line block ×6, first 2 shown]
	s_cmp_eq_u32 s1, 0
	v_add_nc_u32_e32 v45, s0, v11
	v_cmp_ne_u32_e64 s0, 0, v4
	v_cmp_lt_u32_e64 s1, 1, v4
	v_cmp_lt_u32_e64 s2, 3, v4
	;; [unrolled: 1-line block ×3, first 2 shown]
	v_add_nc_u32_e32 v4, -1, v2
	v_add_nc_u32_e32 v30, 0, v5
	v_lshrrev_b32_e32 v5, 2, v0
	v_add_nc_u32_e32 v32, 0, v7
	v_or_b32_e32 v7, 31, v8
	v_cmp_gt_i32_e32 vcc_lo, 0, v4
	s_mul_i32 s34, s10, s16
	v_and_b32_e32 v5, 8, v5
	s_cselect_b32 s75, -1, 0
	s_lshl_b64 s[14:15], s[34:35], 2
	v_cndmask_b32_e32 v4, v4, v2, vcc_lo
	s_add_i32 s76, s72, -1
	s_mul_i32 s34, s17, s12
	v_cmp_eq_u32_e64 s5, v7, v0
	v_cmp_gt_u32_e64 s6, 2, v0
	v_cmp_gt_u32_e64 s8, 32, v0
	v_cmp_lt_u32_e64 s9, 31, v0
	v_cmp_eq_u32_e64 s10, 0, v0
	s_add_u32 s11, s30, s14
	v_lshlrev_b32_e32 v0, 2, v2
	s_addc_u32 s14, s31, s15
	s_lshl_b64 s[12:13], s[34:35], 2
	v_add_nc_u32_e32 v46, 0, v5
	v_and_b32_e32 v5, 1, v2
	s_add_u32 s11, s11, s12
	v_lshlrev_b32_e32 v48, 2, v4
	s_addc_u32 s12, s14, s13
	v_lshlrev_b32_e32 v4, 2, v3
	v_add_co_u32 v0, s11, s11, v0
	v_add_nc_u32_e32 v31, 0, v6
	v_and_b32_e32 v6, 16, v2
	v_cmp_eq_u32_e64 s7, 0, v5
	v_add_co_ci_u32_e64 v5, null, s12, 0, s11
	v_add_co_u32 v0, vcc_lo, v0, v4
	v_add_nc_u32_e32 v34, 0, v9
	v_add_nc_u32_e32 v35, 0, v10
	;; [unrolled: 1-line block ×4, first 2 shown]
	v_cmp_ne_u32_e64 s4, 0, v6
	v_add_nc_u32_e32 v47, 0, v20
	v_cmp_eq_u32_e64 s11, 0, v2
	v_add_co_ci_u32_e32 v49, vcc_lo, 0, v5, vcc_lo
	v_or_b32_e32 v50, 1, v20
	v_or_b32_e32 v51, 2, v20
	;; [unrolled: 1-line block ×7, first 2 shown]
	v_lshlrev_b32_e32 v57, 2, v2
	v_lshlrev_b32_e32 v58, 2, v3
	s_mov_b32 s31, 0x3e9b6dac
	s_add_i32 s77, 0, 0x1090
	s_mov_b32 s78, 0
	s_mov_b32 s44, 0
	s_branch .LBB138_12
.LBB138_11:                             ;   in Loop: Header=BB138_12 Depth=1
	s_or_b32 exec_lo, exec_lo, s12
	s_add_u32 s65, s65, 0x800
	s_addc_u32 s36, s36, 0
	s_add_u32 s63, s63, 0x800
	s_addc_u32 s64, s64, 0
	;; [unrolled: 2-line block ×4, first 2 shown]
	s_add_i32 s78, s78, 1
	s_delay_alu instid0(SALU_CYCLE_1)
	s_cmp_eq_u32 s78, s72
	s_cbranch_scc1 .LBB138_140
.LBB138_12:                             ; =>This Loop Header: Depth=1
                                        ;     Child Loop BB138_61 Depth 2
	v_add_co_u32 v2, s12, s63, v57
	s_delay_alu instid0(VALU_DEP_1) | instskip(SKIP_1) | instid1(VALU_DEP_2)
	v_add_co_ci_u32_e64 v3, null, s64, 0, s12
	s_lshl_b32 s38, s78, 9
	v_add_co_u32 v2, vcc_lo, v2, v58
	s_sub_i32 s23, s62, s38
	s_delay_alu instid0(VALU_DEP_2)
	v_add_co_ci_u32_e32 v3, vcc_lo, 0, v3, vcc_lo
	v_cmp_gt_u32_e64 s12, s23, v21
	s_waitcnt lgkmcnt(0)
	v_mov_b32_e32 v4, v1
	s_waitcnt_vscnt null, 0x0
	s_barrier
	buffer_gl0_inv
	s_and_saveexec_b32 s13, s12
	s_cbranch_execz .LBB138_14
; %bb.13:                               ;   in Loop: Header=BB138_12 Depth=1
	global_load_b32 v4, v[2:3], off
.LBB138_14:                             ;   in Loop: Header=BB138_12 Depth=1
	s_or_b32 exec_lo, exec_lo, s13
	v_cmp_gt_u32_e64 s13, s23, v22
	v_dual_mov_b32 v5, 0 :: v_dual_mov_b32 v6, 0
	s_delay_alu instid0(VALU_DEP_2)
	s_and_saveexec_b32 s14, s13
	s_cbranch_execz .LBB138_16
; %bb.15:                               ;   in Loop: Header=BB138_12 Depth=1
	global_load_b32 v6, v[2:3], off offset:128
.LBB138_16:                             ;   in Loop: Header=BB138_12 Depth=1
	s_or_b32 exec_lo, exec_lo, s14
	v_cmp_gt_u32_e64 s14, s23, v23
	s_delay_alu instid0(VALU_DEP_1)
	s_and_saveexec_b32 s15, s14
	s_cbranch_execz .LBB138_18
; %bb.17:                               ;   in Loop: Header=BB138_12 Depth=1
	global_load_b32 v5, v[2:3], off offset:256
.LBB138_18:                             ;   in Loop: Header=BB138_12 Depth=1
	s_or_b32 exec_lo, exec_lo, s15
	v_cmp_gt_u32_e64 s15, s23, v24
	v_dual_mov_b32 v7, 0 :: v_dual_mov_b32 v8, 0
	s_delay_alu instid0(VALU_DEP_2)
	s_and_saveexec_b32 s16, s15
	s_cbranch_execz .LBB138_20
; %bb.19:                               ;   in Loop: Header=BB138_12 Depth=1
	global_load_b32 v8, v[2:3], off offset:384
.LBB138_20:                             ;   in Loop: Header=BB138_12 Depth=1
	s_or_b32 exec_lo, exec_lo, s16
	v_cmp_gt_u32_e64 s16, s23, v25
	s_delay_alu instid0(VALU_DEP_1)
	s_and_saveexec_b32 s17, s16
	s_cbranch_execz .LBB138_22
; %bb.21:                               ;   in Loop: Header=BB138_12 Depth=1
	global_load_b32 v7, v[2:3], off offset:512
.LBB138_22:                             ;   in Loop: Header=BB138_12 Depth=1
	;; [unrolled: 17-line block ×3, first 2 shown]
	s_or_b32 exec_lo, exec_lo, s19
	v_cmp_gt_u32_e64 s19, s23, v28
	v_dual_mov_b32 v12, 0 :: v_dual_mov_b32 v11, 0
	s_delay_alu instid0(VALU_DEP_2)
	s_and_saveexec_b32 s20, s19
	s_cbranch_execz .LBB138_28
; %bb.27:                               ;   in Loop: Header=BB138_12 Depth=1
	global_load_b32 v11, v[2:3], off offset:896
.LBB138_28:                             ;   in Loop: Header=BB138_12 Depth=1
	s_or_b32 exec_lo, exec_lo, s20
	s_waitcnt vmcnt(0)
	ds_store_b32 v29, v4
	ds_store_b32 v30, v6 offset:128
	ds_store_b32 v31, v5 offset:256
	;; [unrolled: 1-line block ×7, first 2 shown]
	; wave barrier
	ds_load_2addr_b32 v[2:3], v37 offset1:1
	ds_load_2addr_b32 v[4:5], v37 offset0:2 offset1:3
	ds_load_2addr_b32 v[6:7], v37 offset0:4 offset1:5
	;; [unrolled: 1-line block ×3, first 2 shown]
	v_add_co_u32 v10, s20, s65, v57
	s_delay_alu instid0(VALU_DEP_1) | instskip(SKIP_1) | instid1(VALU_DEP_2)
	v_add_co_ci_u32_e64 v11, null, s36, 0, s20
	s_waitcnt lgkmcnt(0)
	v_add_co_u32 v10, vcc_lo, v10, v58
	s_delay_alu instid0(VALU_DEP_2)
	v_add_co_ci_u32_e32 v11, vcc_lo, 0, v11, vcc_lo
	s_barrier
	buffer_gl0_inv
	s_and_saveexec_b32 s20, s12
	s_cbranch_execz .LBB138_30
; %bb.29:                               ;   in Loop: Header=BB138_12 Depth=1
	global_load_b32 v12, v[10:11], off
.LBB138_30:                             ;   in Loop: Header=BB138_12 Depth=1
	s_or_b32 exec_lo, exec_lo, s20
	v_dual_mov_b32 v13, 0 :: v_dual_mov_b32 v14, 0
	s_and_saveexec_b32 s20, s13
	s_cbranch_execz .LBB138_32
; %bb.31:                               ;   in Loop: Header=BB138_12 Depth=1
	global_load_b32 v14, v[10:11], off offset:128
.LBB138_32:                             ;   in Loop: Header=BB138_12 Depth=1
	s_or_b32 exec_lo, exec_lo, s20
	s_and_saveexec_b32 s20, s14
	s_cbranch_execz .LBB138_34
; %bb.33:                               ;   in Loop: Header=BB138_12 Depth=1
	global_load_b32 v13, v[10:11], off offset:256
.LBB138_34:                             ;   in Loop: Header=BB138_12 Depth=1
	s_or_b32 exec_lo, exec_lo, s20
	v_dual_mov_b32 v15, 0 :: v_dual_mov_b32 v16, 0
	s_and_saveexec_b32 s20, s15
	s_cbranch_execz .LBB138_36
; %bb.35:                               ;   in Loop: Header=BB138_12 Depth=1
	global_load_b32 v16, v[10:11], off offset:384
.LBB138_36:                             ;   in Loop: Header=BB138_12 Depth=1
	s_or_b32 exec_lo, exec_lo, s20
	s_and_saveexec_b32 s20, s16
	s_cbranch_execz .LBB138_38
; %bb.37:                               ;   in Loop: Header=BB138_12 Depth=1
	global_load_b32 v15, v[10:11], off offset:512
.LBB138_38:                             ;   in Loop: Header=BB138_12 Depth=1
	s_or_b32 exec_lo, exec_lo, s20
	v_dual_mov_b32 v17, 0 :: v_dual_mov_b32 v18, 0
	s_and_saveexec_b32 s20, s17
	s_cbranch_execnz .LBB138_130
; %bb.39:                               ;   in Loop: Header=BB138_12 Depth=1
	s_or_b32 exec_lo, exec_lo, s20
	s_and_saveexec_b32 s20, s18
	s_cbranch_execnz .LBB138_131
.LBB138_40:                             ;   in Loop: Header=BB138_12 Depth=1
	s_or_b32 exec_lo, exec_lo, s20
	v_mov_b32_e32 v19, 0
	s_and_saveexec_b32 s20, s19
	s_cbranch_execz .LBB138_42
.LBB138_41:                             ;   in Loop: Header=BB138_12 Depth=1
	global_load_b32 v19, v[10:11], off offset:896
.LBB138_42:                             ;   in Loop: Header=BB138_12 Depth=1
	s_or_b32 exec_lo, exec_lo, s20
	s_waitcnt vmcnt(0)
	ds_store_b32 v29, v12
	ds_store_b32 v30, v14 offset:128
	ds_store_b32 v31, v13 offset:256
	;; [unrolled: 1-line block ×7, first 2 shown]
	; wave barrier
	ds_load_2addr_b32 v[16:17], v37 offset1:1
	ds_load_2addr_b32 v[14:15], v37 offset0:2 offset1:3
	ds_load_2addr_b32 v[12:13], v37 offset0:4 offset1:5
	ds_load_2addr_b32 v[10:11], v37 offset0:6 offset1:7
	s_waitcnt lgkmcnt(3)
	v_add_f32_e32 v59, s60, v16
	s_delay_alu instid0(VALU_DEP_1) | instskip(SKIP_1) | instid1(SALU_CYCLE_1)
	v_cmp_ge_f32_e32 vcc_lo, 0x41a00000, v59
	s_and_b32 s20, s73, vcc_lo
	s_and_saveexec_b32 s21, s20
	s_cbranch_execz .LBB138_44
; %bb.43:                               ;   in Loop: Header=BB138_12 Depth=1
	v_mul_f32_e32 v16, 0x3fb8aa3b, v59
	v_cmp_ngt_f32_e32 vcc_lo, 0xc2ce8ed0, v59
	s_delay_alu instid0(VALU_DEP_2) | instskip(SKIP_1) | instid1(VALU_DEP_1)
	v_rndne_f32_e32 v18, v16
	v_fma_f32 v19, 0x3fb8aa3b, v59, -v16
	v_dual_sub_f32 v16, v16, v18 :: v_dual_fmac_f32 v19, 0x32a5705f, v59
	v_cvt_i32_f32_e32 v18, v18
	s_delay_alu instid0(VALU_DEP_2) | instskip(NEXT) | instid1(VALU_DEP_1)
	v_add_f32_e32 v16, v16, v19
	v_exp_f32_e32 v16, v16
	s_waitcnt_depctr 0xfff
	v_ldexp_f32 v16, v16, v18
	s_delay_alu instid0(VALU_DEP_1) | instskip(SKIP_1) | instid1(VALU_DEP_2)
	v_cndmask_b32_e32 v16, 0, v16, vcc_lo
	v_cmp_nlt_f32_e32 vcc_lo, 0x42b17218, v59
	v_cndmask_b32_e32 v16, 0x7f800000, v16, vcc_lo
	s_delay_alu instid0(VALU_DEP_1) | instskip(NEXT) | instid1(VALU_DEP_1)
	v_add_f32_e32 v59, 1.0, v16
	v_cvt_f64_f32_e32 v[18:19], v59
	s_delay_alu instid0(VALU_DEP_1) | instskip(SKIP_1) | instid1(VALU_DEP_1)
	v_frexp_exp_i32_f64_e32 v18, v[18:19]
	v_frexp_mant_f32_e32 v19, v59
	v_cmp_gt_f32_e32 vcc_lo, 0x3f2aaaab, v19
	v_add_f32_e32 v19, -1.0, v59
	s_delay_alu instid0(VALU_DEP_1) | instskip(SKIP_2) | instid1(VALU_DEP_3)
	v_sub_f32_e32 v61, v19, v59
	v_sub_f32_e32 v19, v16, v19
	v_cmp_gt_f32_e64 s20, 0x33800000, v16
	v_add_f32_e32 v61, 1.0, v61
	s_delay_alu instid0(VALU_DEP_1) | instskip(SKIP_2) | instid1(VALU_DEP_2)
	v_add_f32_e32 v19, v19, v61
	v_subrev_co_ci_u32_e32 v18, vcc_lo, 0, v18, vcc_lo
	v_cmp_eq_f32_e32 vcc_lo, 0x7f800000, v16
	v_sub_nc_u32_e32 v60, 0, v18
	v_cvt_f32_i32_e32 v18, v18
	s_or_b32 vcc_lo, s20, vcc_lo
	s_delay_alu instid0(VALU_DEP_2) | instskip(SKIP_1) | instid1(VALU_DEP_2)
	v_ldexp_f32 v59, v59, v60
	v_ldexp_f32 v19, v19, v60
	v_add_f32_e32 v62, 1.0, v59
	s_delay_alu instid0(VALU_DEP_1) | instskip(NEXT) | instid1(VALU_DEP_1)
	v_dual_add_f32 v60, -1.0, v59 :: v_dual_add_f32 v61, -1.0, v62
	v_add_f32_e32 v63, 1.0, v60
	s_delay_alu instid0(VALU_DEP_2) | instskip(NEXT) | instid1(VALU_DEP_2)
	v_sub_f32_e32 v61, v59, v61
	v_sub_f32_e32 v59, v59, v63
	s_delay_alu instid0(VALU_DEP_2) | instskip(NEXT) | instid1(VALU_DEP_2)
	v_add_f32_e32 v61, v19, v61
	v_add_f32_e32 v19, v19, v59
	s_delay_alu instid0(VALU_DEP_1) | instskip(NEXT) | instid1(VALU_DEP_1)
	v_dual_add_f32 v64, v60, v19 :: v_dual_add_f32 v63, v62, v61
	v_sub_f32_e32 v60, v60, v64
	s_delay_alu instid0(VALU_DEP_2) | instskip(SKIP_1) | instid1(VALU_DEP_1)
	v_rcp_f32_e32 v59, v63
	v_sub_f32_e32 v62, v62, v63
	v_add_f32_e32 v61, v61, v62
	s_waitcnt_depctr 0xfff
	v_mul_f32_e32 v65, v64, v59
	s_delay_alu instid0(VALU_DEP_1) | instskip(NEXT) | instid1(VALU_DEP_1)
	v_mul_f32_e32 v66, v63, v65
	v_fma_f32 v62, v65, v63, -v66
	s_delay_alu instid0(VALU_DEP_1) | instskip(NEXT) | instid1(VALU_DEP_1)
	v_fmac_f32_e32 v62, v65, v61
	v_add_f32_e32 v67, v66, v62
	s_delay_alu instid0(VALU_DEP_1) | instskip(NEXT) | instid1(VALU_DEP_1)
	v_sub_f32_e32 v68, v64, v67
	v_sub_f32_e32 v64, v64, v68
	v_add_f32_e32 v19, v19, v60
	v_sub_f32_e32 v60, v67, v66
	s_delay_alu instid0(VALU_DEP_3) | instskip(NEXT) | instid1(VALU_DEP_1)
	v_sub_f32_e32 v64, v64, v67
	v_dual_sub_f32 v60, v60, v62 :: v_dual_add_f32 v19, v19, v64
	s_delay_alu instid0(VALU_DEP_1) | instskip(NEXT) | instid1(VALU_DEP_1)
	v_add_f32_e32 v19, v60, v19
	v_add_f32_e32 v60, v68, v19
	s_delay_alu instid0(VALU_DEP_1) | instskip(NEXT) | instid1(VALU_DEP_1)
	v_mul_f32_e32 v62, v59, v60
	v_dual_sub_f32 v67, v68, v60 :: v_dual_mul_f32 v64, v63, v62
	s_delay_alu instid0(VALU_DEP_1) | instskip(NEXT) | instid1(VALU_DEP_2)
	v_add_f32_e32 v19, v19, v67
	v_fma_f32 v63, v62, v63, -v64
	s_delay_alu instid0(VALU_DEP_1) | instskip(NEXT) | instid1(VALU_DEP_1)
	v_fmac_f32_e32 v63, v62, v61
	v_add_f32_e32 v61, v64, v63
	s_delay_alu instid0(VALU_DEP_1) | instskip(NEXT) | instid1(VALU_DEP_1)
	v_sub_f32_e32 v66, v60, v61
	v_sub_f32_e32 v60, v60, v66
	s_delay_alu instid0(VALU_DEP_1) | instskip(NEXT) | instid1(VALU_DEP_1)
	v_sub_f32_e32 v60, v60, v61
	v_dual_add_f32 v19, v19, v60 :: v_dual_add_f32 v60, v65, v62
	v_sub_f32_e32 v64, v61, v64
	s_delay_alu instid0(VALU_DEP_1) | instskip(NEXT) | instid1(VALU_DEP_1)
	v_sub_f32_e32 v61, v64, v63
	v_add_f32_e32 v19, v61, v19
	s_delay_alu instid0(VALU_DEP_4) | instskip(NEXT) | instid1(VALU_DEP_2)
	v_sub_f32_e32 v61, v60, v65
	v_add_f32_e32 v19, v66, v19
	s_delay_alu instid0(VALU_DEP_2) | instskip(NEXT) | instid1(VALU_DEP_2)
	v_sub_f32_e32 v61, v62, v61
	v_mul_f32_e32 v19, v59, v19
	s_delay_alu instid0(VALU_DEP_1) | instskip(NEXT) | instid1(VALU_DEP_1)
	v_add_f32_e32 v19, v61, v19
	v_add_f32_e32 v59, v60, v19
	s_delay_alu instid0(VALU_DEP_1) | instskip(NEXT) | instid1(VALU_DEP_1)
	v_mul_f32_e32 v61, v59, v59
	v_fmaak_f32 v62, s31, v61, 0x3ecc95a3
	v_mul_f32_e32 v63, v59, v61
	s_delay_alu instid0(VALU_DEP_2) | instskip(SKIP_2) | instid1(VALU_DEP_3)
	v_fmaak_f32 v61, v61, v62, 0x3f2aaada
	v_ldexp_f32 v62, v59, 1
	v_sub_f32_e32 v59, v59, v60
	v_mul_f32_e32 v61, v63, v61
	v_mul_f32_e32 v63, 0x3f317218, v18
	s_delay_alu instid0(VALU_DEP_2) | instskip(NEXT) | instid1(VALU_DEP_1)
	v_dual_sub_f32 v19, v19, v59 :: v_dual_add_f32 v60, v62, v61
	v_ldexp_f32 v19, v19, 1
	s_delay_alu instid0(VALU_DEP_2) | instskip(NEXT) | instid1(VALU_DEP_4)
	v_sub_f32_e32 v59, v60, v62
	v_fma_f32 v62, 0x3f317218, v18, -v63
	s_delay_alu instid0(VALU_DEP_1) | instskip(NEXT) | instid1(VALU_DEP_1)
	v_dual_sub_f32 v59, v61, v59 :: v_dual_fmac_f32 v62, 0xb102e308, v18
	v_add_f32_e32 v18, v19, v59
	s_delay_alu instid0(VALU_DEP_2) | instskip(NEXT) | instid1(VALU_DEP_2)
	v_add_f32_e32 v19, v63, v62
	v_add_f32_e32 v59, v60, v18
	s_delay_alu instid0(VALU_DEP_2) | instskip(NEXT) | instid1(VALU_DEP_2)
	v_sub_f32_e32 v63, v19, v63
	v_add_f32_e32 v61, v19, v59
	v_sub_f32_e32 v60, v59, v60
	s_delay_alu instid0(VALU_DEP_3) | instskip(NEXT) | instid1(VALU_DEP_3)
	v_sub_f32_e32 v62, v62, v63
	v_sub_f32_e32 v64, v61, v19
	s_delay_alu instid0(VALU_DEP_3) | instskip(NEXT) | instid1(VALU_DEP_2)
	v_sub_f32_e32 v18, v18, v60
	v_sub_f32_e32 v65, v61, v64
	s_delay_alu instid0(VALU_DEP_2) | instskip(NEXT) | instid1(VALU_DEP_2)
	v_dual_sub_f32 v59, v59, v64 :: v_dual_add_f32 v60, v62, v18
	v_sub_f32_e32 v19, v19, v65
	s_delay_alu instid0(VALU_DEP_1) | instskip(NEXT) | instid1(VALU_DEP_3)
	v_add_f32_e32 v19, v59, v19
	v_sub_f32_e32 v59, v60, v62
	s_delay_alu instid0(VALU_DEP_2) | instskip(NEXT) | instid1(VALU_DEP_2)
	v_add_f32_e32 v19, v60, v19
	v_sub_f32_e32 v60, v60, v59
	v_sub_f32_e32 v18, v18, v59
	s_delay_alu instid0(VALU_DEP_2) | instskip(NEXT) | instid1(VALU_DEP_1)
	v_dual_add_f32 v63, v61, v19 :: v_dual_sub_f32 v60, v62, v60
	v_dual_sub_f32 v59, v63, v61 :: v_dual_add_f32 v18, v18, v60
	s_delay_alu instid0(VALU_DEP_1) | instskip(NEXT) | instid1(VALU_DEP_1)
	v_sub_f32_e32 v19, v19, v59
	v_add_f32_e32 v18, v18, v19
	s_delay_alu instid0(VALU_DEP_1) | instskip(NEXT) | instid1(VALU_DEP_1)
	v_add_f32_e32 v18, v63, v18
	v_cndmask_b32_e32 v59, v18, v16, vcc_lo
.LBB138_44:                             ;   in Loop: Header=BB138_12 Depth=1
	s_or_b32 exec_lo, exec_lo, s21
	v_add_f32_e32 v60, s60, v17
	s_delay_alu instid0(VALU_DEP_1) | instskip(SKIP_1) | instid1(SALU_CYCLE_1)
	v_cmp_ge_f32_e32 vcc_lo, 0x41a00000, v60
	s_and_b32 s20, s73, vcc_lo
	s_and_saveexec_b32 s21, s20
	s_cbranch_execz .LBB138_46
; %bb.45:                               ;   in Loop: Header=BB138_12 Depth=1
	v_mul_f32_e32 v16, 0x3fb8aa3b, v60
	v_cmp_ngt_f32_e32 vcc_lo, 0xc2ce8ed0, v60
	s_delay_alu instid0(VALU_DEP_2) | instskip(SKIP_1) | instid1(VALU_DEP_2)
	v_rndne_f32_e32 v17, v16
	v_fma_f32 v18, 0x3fb8aa3b, v60, -v16
	v_sub_f32_e32 v16, v16, v17
	s_delay_alu instid0(VALU_DEP_2) | instskip(SKIP_1) | instid1(VALU_DEP_2)
	v_fmac_f32_e32 v18, 0x32a5705f, v60
	v_cvt_i32_f32_e32 v17, v17
	v_add_f32_e32 v16, v16, v18
	s_delay_alu instid0(VALU_DEP_1) | instskip(SKIP_2) | instid1(VALU_DEP_1)
	v_exp_f32_e32 v16, v16
	s_waitcnt_depctr 0xfff
	v_ldexp_f32 v16, v16, v17
	v_cndmask_b32_e32 v16, 0, v16, vcc_lo
	v_cmp_nlt_f32_e32 vcc_lo, 0x42b17218, v60
	s_delay_alu instid0(VALU_DEP_2) | instskip(NEXT) | instid1(VALU_DEP_1)
	v_cndmask_b32_e32 v18, 0x7f800000, v16, vcc_lo
	v_add_f32_e32 v19, 1.0, v18
	s_delay_alu instid0(VALU_DEP_1) | instskip(NEXT) | instid1(VALU_DEP_1)
	v_cvt_f64_f32_e32 v[16:17], v19
	v_frexp_exp_i32_f64_e32 v16, v[16:17]
	v_frexp_mant_f32_e32 v17, v19
	s_delay_alu instid0(VALU_DEP_1) | instskip(SKIP_1) | instid1(VALU_DEP_1)
	v_cmp_gt_f32_e32 vcc_lo, 0x3f2aaaab, v17
	v_add_f32_e32 v17, -1.0, v19
	v_sub_f32_e32 v61, v17, v19
	v_sub_f32_e32 v17, v18, v17
	s_delay_alu instid0(VALU_DEP_2) | instskip(NEXT) | instid1(VALU_DEP_1)
	v_add_f32_e32 v61, 1.0, v61
	v_add_f32_e32 v17, v17, v61
	v_cmp_gt_f32_e64 s20, 0x33800000, v18
	v_subrev_co_ci_u32_e32 v16, vcc_lo, 0, v16, vcc_lo
	v_cmp_eq_f32_e32 vcc_lo, 0x7f800000, v18
	s_delay_alu instid0(VALU_DEP_2) | instskip(SKIP_2) | instid1(VALU_DEP_2)
	v_sub_nc_u32_e32 v60, 0, v16
	v_cvt_f32_i32_e32 v16, v16
	s_or_b32 vcc_lo, s20, vcc_lo
	v_ldexp_f32 v19, v19, v60
	v_ldexp_f32 v17, v17, v60
	s_delay_alu instid0(VALU_DEP_2) | instskip(NEXT) | instid1(VALU_DEP_1)
	v_add_f32_e32 v62, 1.0, v19
	v_dual_add_f32 v60, -1.0, v19 :: v_dual_add_f32 v61, -1.0, v62
	s_delay_alu instid0(VALU_DEP_1) | instskip(NEXT) | instid1(VALU_DEP_2)
	v_add_f32_e32 v63, 1.0, v60
	v_sub_f32_e32 v61, v19, v61
	s_delay_alu instid0(VALU_DEP_2) | instskip(NEXT) | instid1(VALU_DEP_2)
	v_sub_f32_e32 v19, v19, v63
	v_add_f32_e32 v61, v17, v61
	s_delay_alu instid0(VALU_DEP_2) | instskip(NEXT) | instid1(VALU_DEP_1)
	v_add_f32_e32 v17, v17, v19
	v_add_f32_e32 v64, v60, v17
	s_delay_alu instid0(VALU_DEP_1) | instskip(NEXT) | instid1(VALU_DEP_1)
	v_dual_add_f32 v63, v62, v61 :: v_dual_sub_f32 v60, v60, v64
	v_rcp_f32_e32 v19, v63
	v_sub_f32_e32 v62, v62, v63
	s_delay_alu instid0(VALU_DEP_1) | instskip(SKIP_2) | instid1(VALU_DEP_1)
	v_add_f32_e32 v61, v61, v62
	s_waitcnt_depctr 0xfff
	v_mul_f32_e32 v65, v64, v19
	v_mul_f32_e32 v66, v63, v65
	s_delay_alu instid0(VALU_DEP_1) | instskip(NEXT) | instid1(VALU_DEP_1)
	v_fma_f32 v62, v65, v63, -v66
	v_fmac_f32_e32 v62, v65, v61
	s_delay_alu instid0(VALU_DEP_1) | instskip(NEXT) | instid1(VALU_DEP_1)
	v_add_f32_e32 v67, v66, v62
	v_sub_f32_e32 v68, v64, v67
	s_delay_alu instid0(VALU_DEP_1) | instskip(SKIP_1) | instid1(VALU_DEP_2)
	v_sub_f32_e32 v64, v64, v68
	v_dual_add_f32 v17, v17, v60 :: v_dual_sub_f32 v60, v67, v66
	v_sub_f32_e32 v64, v64, v67
	s_delay_alu instid0(VALU_DEP_1) | instskip(NEXT) | instid1(VALU_DEP_1)
	v_dual_sub_f32 v60, v60, v62 :: v_dual_add_f32 v17, v17, v64
	v_add_f32_e32 v17, v60, v17
	s_delay_alu instid0(VALU_DEP_1) | instskip(NEXT) | instid1(VALU_DEP_1)
	v_add_f32_e32 v60, v68, v17
	v_mul_f32_e32 v62, v19, v60
	s_delay_alu instid0(VALU_DEP_1) | instskip(NEXT) | instid1(VALU_DEP_1)
	v_dual_sub_f32 v67, v68, v60 :: v_dual_mul_f32 v64, v63, v62
	v_add_f32_e32 v17, v17, v67
	s_delay_alu instid0(VALU_DEP_2) | instskip(NEXT) | instid1(VALU_DEP_1)
	v_fma_f32 v63, v62, v63, -v64
	v_fmac_f32_e32 v63, v62, v61
	s_delay_alu instid0(VALU_DEP_1) | instskip(NEXT) | instid1(VALU_DEP_1)
	v_add_f32_e32 v61, v64, v63
	v_sub_f32_e32 v66, v60, v61
	s_delay_alu instid0(VALU_DEP_1) | instskip(NEXT) | instid1(VALU_DEP_1)
	v_sub_f32_e32 v60, v60, v66
	v_sub_f32_e32 v60, v60, v61
	s_delay_alu instid0(VALU_DEP_1) | instskip(SKIP_2) | instid1(VALU_DEP_1)
	v_add_f32_e32 v17, v17, v60
	v_add_f32_e32 v60, v65, v62
	v_sub_f32_e32 v64, v61, v64
	v_sub_f32_e32 v61, v64, v63
	s_delay_alu instid0(VALU_DEP_1) | instskip(NEXT) | instid1(VALU_DEP_4)
	v_add_f32_e32 v17, v61, v17
	v_sub_f32_e32 v61, v60, v65
	s_delay_alu instid0(VALU_DEP_2) | instskip(NEXT) | instid1(VALU_DEP_2)
	v_add_f32_e32 v17, v66, v17
	v_sub_f32_e32 v61, v62, v61
	s_delay_alu instid0(VALU_DEP_2) | instskip(NEXT) | instid1(VALU_DEP_1)
	v_mul_f32_e32 v17, v19, v17
	v_add_f32_e32 v17, v61, v17
	s_delay_alu instid0(VALU_DEP_1) | instskip(NEXT) | instid1(VALU_DEP_1)
	v_add_f32_e32 v19, v60, v17
	v_mul_f32_e32 v61, v19, v19
	s_delay_alu instid0(VALU_DEP_1) | instskip(SKIP_1) | instid1(VALU_DEP_2)
	v_fmaak_f32 v62, s31, v61, 0x3ecc95a3
	v_mul_f32_e32 v63, v19, v61
	v_fmaak_f32 v61, v61, v62, 0x3f2aaada
	v_ldexp_f32 v62, v19, 1
	s_delay_alu instid0(VALU_DEP_2) | instskip(SKIP_1) | instid1(VALU_DEP_2)
	v_mul_f32_e32 v61, v63, v61
	v_sub_f32_e32 v19, v19, v60
	v_dual_mul_f32 v63, 0x3f317218, v16 :: v_dual_add_f32 v60, v62, v61
	s_delay_alu instid0(VALU_DEP_2) | instskip(NEXT) | instid1(VALU_DEP_2)
	v_sub_f32_e32 v17, v17, v19
	v_sub_f32_e32 v19, v60, v62
	s_delay_alu instid0(VALU_DEP_3) | instskip(NEXT) | instid1(VALU_DEP_3)
	v_fma_f32 v62, 0x3f317218, v16, -v63
	v_ldexp_f32 v17, v17, 1
	s_delay_alu instid0(VALU_DEP_2) | instskip(NEXT) | instid1(VALU_DEP_1)
	v_dual_sub_f32 v19, v61, v19 :: v_dual_fmac_f32 v62, 0xb102e308, v16
	v_dual_add_f32 v16, v17, v19 :: v_dual_add_f32 v17, v63, v62
	s_delay_alu instid0(VALU_DEP_1) | instskip(NEXT) | instid1(VALU_DEP_1)
	v_add_f32_e32 v19, v60, v16
	v_dual_add_f32 v61, v17, v19 :: v_dual_sub_f32 v60, v19, v60
	s_delay_alu instid0(VALU_DEP_1) | instskip(NEXT) | instid1(VALU_DEP_2)
	v_sub_f32_e32 v64, v61, v17
	v_dual_sub_f32 v63, v17, v63 :: v_dual_sub_f32 v16, v16, v60
	s_delay_alu instid0(VALU_DEP_1) | instskip(SKIP_1) | instid1(VALU_DEP_2)
	v_dual_sub_f32 v65, v61, v64 :: v_dual_sub_f32 v62, v62, v63
	v_sub_f32_e32 v19, v19, v64
	v_dual_sub_f32 v17, v17, v65 :: v_dual_add_f32 v60, v62, v16
	s_delay_alu instid0(VALU_DEP_1) | instskip(NEXT) | instid1(VALU_DEP_2)
	v_add_f32_e32 v17, v19, v17
	v_sub_f32_e32 v19, v60, v62
	s_delay_alu instid0(VALU_DEP_2) | instskip(NEXT) | instid1(VALU_DEP_2)
	v_add_f32_e32 v17, v60, v17
	v_sub_f32_e32 v60, v60, v19
	s_delay_alu instid0(VALU_DEP_2) | instskip(NEXT) | instid1(VALU_DEP_1)
	v_dual_sub_f32 v16, v16, v19 :: v_dual_add_f32 v63, v61, v17
	v_dual_sub_f32 v60, v62, v60 :: v_dual_sub_f32 v19, v63, v61
	s_delay_alu instid0(VALU_DEP_1) | instskip(NEXT) | instid1(VALU_DEP_1)
	v_dual_add_f32 v16, v16, v60 :: v_dual_sub_f32 v17, v17, v19
	v_add_f32_e32 v16, v16, v17
	s_delay_alu instid0(VALU_DEP_1) | instskip(NEXT) | instid1(VALU_DEP_1)
	v_add_f32_e32 v16, v63, v16
	v_cndmask_b32_e32 v60, v16, v18, vcc_lo
.LBB138_46:                             ;   in Loop: Header=BB138_12 Depth=1
	s_or_b32 exec_lo, exec_lo, s21
	s_waitcnt lgkmcnt(2)
	v_add_f32_e32 v61, s60, v14
	s_delay_alu instid0(VALU_DEP_1) | instskip(SKIP_1) | instid1(SALU_CYCLE_1)
	v_cmp_ge_f32_e32 vcc_lo, 0x41a00000, v61
	s_and_b32 s20, s73, vcc_lo
	s_and_saveexec_b32 s21, s20
	s_cbranch_execz .LBB138_48
; %bb.47:                               ;   in Loop: Header=BB138_12 Depth=1
	v_mul_f32_e32 v14, 0x3fb8aa3b, v61
	v_cmp_ngt_f32_e32 vcc_lo, 0xc2ce8ed0, v61
	s_delay_alu instid0(VALU_DEP_2) | instskip(SKIP_1) | instid1(VALU_DEP_1)
	v_rndne_f32_e32 v16, v14
	v_fma_f32 v17, 0x3fb8aa3b, v61, -v14
	v_dual_sub_f32 v14, v14, v16 :: v_dual_fmac_f32 v17, 0x32a5705f, v61
	v_cvt_i32_f32_e32 v16, v16
	s_delay_alu instid0(VALU_DEP_2) | instskip(NEXT) | instid1(VALU_DEP_1)
	v_add_f32_e32 v14, v14, v17
	v_exp_f32_e32 v14, v14
	s_waitcnt_depctr 0xfff
	v_ldexp_f32 v14, v14, v16
	s_delay_alu instid0(VALU_DEP_1) | instskip(SKIP_1) | instid1(VALU_DEP_2)
	v_cndmask_b32_e32 v14, 0, v14, vcc_lo
	v_cmp_nlt_f32_e32 vcc_lo, 0x42b17218, v61
	v_cndmask_b32_e32 v14, 0x7f800000, v14, vcc_lo
	s_delay_alu instid0(VALU_DEP_1) | instskip(NEXT) | instid1(VALU_DEP_1)
	v_add_f32_e32 v18, 1.0, v14
	v_cvt_f64_f32_e32 v[16:17], v18
	s_delay_alu instid0(VALU_DEP_1) | instskip(SKIP_1) | instid1(VALU_DEP_1)
	v_frexp_exp_i32_f64_e32 v16, v[16:17]
	v_frexp_mant_f32_e32 v17, v18
	v_cmp_gt_f32_e32 vcc_lo, 0x3f2aaaab, v17
	v_add_f32_e32 v17, -1.0, v18
	s_delay_alu instid0(VALU_DEP_1) | instskip(SKIP_1) | instid1(VALU_DEP_2)
	v_sub_f32_e32 v61, v17, v18
	v_sub_f32_e32 v17, v14, v17
	v_add_f32_e32 v61, 1.0, v61
	s_delay_alu instid0(VALU_DEP_1) | instskip(SKIP_3) | instid1(VALU_DEP_2)
	v_add_f32_e32 v17, v17, v61
	v_cmp_gt_f32_e64 s20, 0x33800000, v14
	v_subrev_co_ci_u32_e32 v16, vcc_lo, 0, v16, vcc_lo
	v_cmp_eq_f32_e32 vcc_lo, 0x7f800000, v14
	v_sub_nc_u32_e32 v19, 0, v16
	v_cvt_f32_i32_e32 v16, v16
	s_or_b32 vcc_lo, s20, vcc_lo
	s_delay_alu instid0(VALU_DEP_2) | instskip(SKIP_1) | instid1(VALU_DEP_2)
	v_ldexp_f32 v18, v18, v19
	v_ldexp_f32 v17, v17, v19
	v_add_f32_e32 v62, 1.0, v18
	v_add_f32_e32 v19, -1.0, v18
	s_delay_alu instid0(VALU_DEP_1) | instskip(NEXT) | instid1(VALU_DEP_3)
	v_add_f32_e32 v63, 1.0, v19
	v_add_f32_e32 v61, -1.0, v62
	s_delay_alu instid0(VALU_DEP_1) | instskip(NEXT) | instid1(VALU_DEP_1)
	v_sub_f32_e32 v61, v18, v61
	v_dual_sub_f32 v18, v18, v63 :: v_dual_add_f32 v61, v17, v61
	s_delay_alu instid0(VALU_DEP_1) | instskip(NEXT) | instid1(VALU_DEP_2)
	v_add_f32_e32 v63, v62, v61
	v_add_f32_e32 v17, v17, v18
	s_delay_alu instid0(VALU_DEP_2) | instskip(SKIP_1) | instid1(VALU_DEP_1)
	v_rcp_f32_e32 v18, v63
	v_sub_f32_e32 v62, v62, v63
	v_dual_add_f32 v64, v19, v17 :: v_dual_add_f32 v61, v61, v62
	s_delay_alu instid0(VALU_DEP_1) | instskip(SKIP_2) | instid1(VALU_DEP_1)
	v_sub_f32_e32 v19, v19, v64
	s_waitcnt_depctr 0xfff
	v_mul_f32_e32 v65, v64, v18
	v_mul_f32_e32 v66, v63, v65
	s_delay_alu instid0(VALU_DEP_1) | instskip(NEXT) | instid1(VALU_DEP_1)
	v_fma_f32 v62, v65, v63, -v66
	v_fmac_f32_e32 v62, v65, v61
	s_delay_alu instid0(VALU_DEP_1) | instskip(NEXT) | instid1(VALU_DEP_1)
	v_add_f32_e32 v67, v66, v62
	v_sub_f32_e32 v68, v64, v67
	s_delay_alu instid0(VALU_DEP_1) | instskip(NEXT) | instid1(VALU_DEP_1)
	v_dual_sub_f32 v64, v64, v68 :: v_dual_add_f32 v17, v17, v19
	v_dual_sub_f32 v19, v67, v66 :: v_dual_sub_f32 v64, v64, v67
	s_delay_alu instid0(VALU_DEP_1) | instskip(NEXT) | instid1(VALU_DEP_2)
	v_sub_f32_e32 v19, v19, v62
	v_add_f32_e32 v17, v17, v64
	s_delay_alu instid0(VALU_DEP_1) | instskip(NEXT) | instid1(VALU_DEP_1)
	v_add_f32_e32 v17, v19, v17
	v_add_f32_e32 v19, v68, v17
	s_delay_alu instid0(VALU_DEP_1) | instskip(NEXT) | instid1(VALU_DEP_1)
	v_mul_f32_e32 v62, v18, v19
	v_dual_sub_f32 v67, v68, v19 :: v_dual_mul_f32 v64, v63, v62
	s_delay_alu instid0(VALU_DEP_1) | instskip(NEXT) | instid1(VALU_DEP_2)
	v_add_f32_e32 v17, v17, v67
	v_fma_f32 v63, v62, v63, -v64
	s_delay_alu instid0(VALU_DEP_1) | instskip(NEXT) | instid1(VALU_DEP_1)
	v_fmac_f32_e32 v63, v62, v61
	v_add_f32_e32 v61, v64, v63
	s_delay_alu instid0(VALU_DEP_1) | instskip(NEXT) | instid1(VALU_DEP_1)
	v_sub_f32_e32 v66, v19, v61
	v_dual_sub_f32 v64, v61, v64 :: v_dual_sub_f32 v19, v19, v66
	s_delay_alu instid0(VALU_DEP_1) | instskip(NEXT) | instid1(VALU_DEP_2)
	v_sub_f32_e32 v19, v19, v61
	v_sub_f32_e32 v61, v64, v63
	s_delay_alu instid0(VALU_DEP_2) | instskip(SKIP_1) | instid1(VALU_DEP_2)
	v_add_f32_e32 v17, v17, v19
	v_add_f32_e32 v19, v65, v62
	;; [unrolled: 1-line block ×3, first 2 shown]
	s_delay_alu instid0(VALU_DEP_2) | instskip(NEXT) | instid1(VALU_DEP_2)
	v_sub_f32_e32 v61, v19, v65
	v_add_f32_e32 v17, v66, v17
	s_delay_alu instid0(VALU_DEP_2) | instskip(NEXT) | instid1(VALU_DEP_2)
	v_sub_f32_e32 v61, v62, v61
	v_mul_f32_e32 v17, v18, v17
	s_delay_alu instid0(VALU_DEP_1) | instskip(NEXT) | instid1(VALU_DEP_1)
	v_add_f32_e32 v17, v61, v17
	v_add_f32_e32 v18, v19, v17
	s_delay_alu instid0(VALU_DEP_1) | instskip(NEXT) | instid1(VALU_DEP_1)
	v_mul_f32_e32 v61, v18, v18
	v_fmaak_f32 v62, s31, v61, 0x3ecc95a3
	v_mul_f32_e32 v63, v18, v61
	s_delay_alu instid0(VALU_DEP_2) | instskip(SKIP_1) | instid1(VALU_DEP_2)
	v_fmaak_f32 v61, v61, v62, 0x3f2aaada
	v_ldexp_f32 v62, v18, 1
	v_dual_sub_f32 v18, v18, v19 :: v_dual_mul_f32 v61, v63, v61
	v_mul_f32_e32 v63, 0x3f317218, v16
	s_delay_alu instid0(VALU_DEP_2) | instskip(NEXT) | instid1(VALU_DEP_3)
	v_sub_f32_e32 v17, v17, v18
	v_add_f32_e32 v19, v62, v61
	s_delay_alu instid0(VALU_DEP_2) | instskip(NEXT) | instid1(VALU_DEP_2)
	v_ldexp_f32 v17, v17, 1
	v_sub_f32_e32 v18, v19, v62
	v_fma_f32 v62, 0x3f317218, v16, -v63
	s_delay_alu instid0(VALU_DEP_2) | instskip(NEXT) | instid1(VALU_DEP_2)
	v_sub_f32_e32 v18, v61, v18
	v_fmac_f32_e32 v62, 0xb102e308, v16
	s_delay_alu instid0(VALU_DEP_2) | instskip(NEXT) | instid1(VALU_DEP_2)
	v_add_f32_e32 v16, v17, v18
	v_add_f32_e32 v17, v63, v62
	s_delay_alu instid0(VALU_DEP_1) | instskip(NEXT) | instid1(VALU_DEP_1)
	v_dual_add_f32 v18, v19, v16 :: v_dual_sub_f32 v63, v17, v63
	v_add_f32_e32 v61, v17, v18
	v_sub_f32_e32 v19, v18, v19
	s_delay_alu instid0(VALU_DEP_3) | instskip(NEXT) | instid1(VALU_DEP_3)
	v_sub_f32_e32 v62, v62, v63
	v_sub_f32_e32 v64, v61, v17
	s_delay_alu instid0(VALU_DEP_1) | instskip(SKIP_1) | instid1(VALU_DEP_2)
	v_dual_sub_f32 v16, v16, v19 :: v_dual_sub_f32 v65, v61, v64
	v_sub_f32_e32 v18, v18, v64
	v_add_f32_e32 v19, v62, v16
	s_delay_alu instid0(VALU_DEP_3) | instskip(NEXT) | instid1(VALU_DEP_1)
	v_sub_f32_e32 v17, v17, v65
	v_dual_add_f32 v17, v18, v17 :: v_dual_sub_f32 v18, v19, v62
	s_delay_alu instid0(VALU_DEP_1) | instskip(NEXT) | instid1(VALU_DEP_2)
	v_add_f32_e32 v17, v19, v17
	v_sub_f32_e32 v19, v19, v18
	s_delay_alu instid0(VALU_DEP_2) | instskip(NEXT) | instid1(VALU_DEP_1)
	v_dual_sub_f32 v16, v16, v18 :: v_dual_add_f32 v63, v61, v17
	v_dual_sub_f32 v19, v62, v19 :: v_dual_sub_f32 v18, v63, v61
	s_delay_alu instid0(VALU_DEP_1) | instskip(NEXT) | instid1(VALU_DEP_1)
	v_dual_add_f32 v16, v16, v19 :: v_dual_sub_f32 v17, v17, v18
	v_add_f32_e32 v16, v16, v17
	s_delay_alu instid0(VALU_DEP_1) | instskip(NEXT) | instid1(VALU_DEP_1)
	v_add_f32_e32 v16, v63, v16
	v_cndmask_b32_e32 v61, v16, v14, vcc_lo
.LBB138_48:                             ;   in Loop: Header=BB138_12 Depth=1
	s_or_b32 exec_lo, exec_lo, s21
	v_add_f32_e32 v62, s60, v15
	s_delay_alu instid0(VALU_DEP_1) | instskip(SKIP_1) | instid1(SALU_CYCLE_1)
	v_cmp_ge_f32_e32 vcc_lo, 0x41a00000, v62
	s_and_b32 s20, s73, vcc_lo
	s_and_saveexec_b32 s21, s20
	s_cbranch_execz .LBB138_50
; %bb.49:                               ;   in Loop: Header=BB138_12 Depth=1
	v_mul_f32_e32 v14, 0x3fb8aa3b, v62
	v_cmp_ngt_f32_e32 vcc_lo, 0xc2ce8ed0, v62
	s_delay_alu instid0(VALU_DEP_2) | instskip(SKIP_1) | instid1(VALU_DEP_2)
	v_rndne_f32_e32 v15, v14
	v_fma_f32 v16, 0x3fb8aa3b, v62, -v14
	v_sub_f32_e32 v14, v14, v15
	s_delay_alu instid0(VALU_DEP_2) | instskip(SKIP_1) | instid1(VALU_DEP_2)
	v_fmac_f32_e32 v16, 0x32a5705f, v62
	v_cvt_i32_f32_e32 v15, v15
	v_add_f32_e32 v14, v14, v16
	s_delay_alu instid0(VALU_DEP_1) | instskip(SKIP_2) | instid1(VALU_DEP_1)
	v_exp_f32_e32 v14, v14
	s_waitcnt_depctr 0xfff
	v_ldexp_f32 v14, v14, v15
	v_cndmask_b32_e32 v14, 0, v14, vcc_lo
	v_cmp_nlt_f32_e32 vcc_lo, 0x42b17218, v62
	s_delay_alu instid0(VALU_DEP_2) | instskip(NEXT) | instid1(VALU_DEP_1)
	v_cndmask_b32_e32 v16, 0x7f800000, v14, vcc_lo
	v_add_f32_e32 v17, 1.0, v16
	s_delay_alu instid0(VALU_DEP_1) | instskip(NEXT) | instid1(VALU_DEP_1)
	v_cvt_f64_f32_e32 v[14:15], v17
	v_frexp_exp_i32_f64_e32 v14, v[14:15]
	v_frexp_mant_f32_e32 v15, v17
	s_delay_alu instid0(VALU_DEP_1) | instskip(SKIP_1) | instid1(VALU_DEP_1)
	v_cmp_gt_f32_e32 vcc_lo, 0x3f2aaaab, v15
	v_add_f32_e32 v15, -1.0, v17
	v_sub_f32_e32 v19, v15, v17
	v_sub_f32_e32 v15, v16, v15
	s_delay_alu instid0(VALU_DEP_2) | instskip(NEXT) | instid1(VALU_DEP_1)
	v_add_f32_e32 v19, 1.0, v19
	v_add_f32_e32 v15, v15, v19
	v_cmp_gt_f32_e64 s20, 0x33800000, v16
	v_subrev_co_ci_u32_e32 v14, vcc_lo, 0, v14, vcc_lo
	v_cmp_eq_f32_e32 vcc_lo, 0x7f800000, v16
	s_delay_alu instid0(VALU_DEP_2) | instskip(SKIP_2) | instid1(VALU_DEP_2)
	v_sub_nc_u32_e32 v18, 0, v14
	v_cvt_f32_i32_e32 v14, v14
	s_or_b32 vcc_lo, s20, vcc_lo
	v_ldexp_f32 v17, v17, v18
	v_ldexp_f32 v15, v15, v18
	s_delay_alu instid0(VALU_DEP_2) | instskip(NEXT) | instid1(VALU_DEP_1)
	v_add_f32_e32 v62, 1.0, v17
	v_dual_add_f32 v18, -1.0, v17 :: v_dual_add_f32 v19, -1.0, v62
	s_delay_alu instid0(VALU_DEP_1) | instskip(NEXT) | instid1(VALU_DEP_2)
	v_add_f32_e32 v63, 1.0, v18
	v_sub_f32_e32 v19, v17, v19
	s_delay_alu instid0(VALU_DEP_2) | instskip(NEXT) | instid1(VALU_DEP_2)
	v_sub_f32_e32 v17, v17, v63
	v_add_f32_e32 v19, v15, v19
	s_delay_alu instid0(VALU_DEP_2) | instskip(NEXT) | instid1(VALU_DEP_1)
	v_add_f32_e32 v15, v15, v17
	v_add_f32_e32 v64, v18, v15
	s_delay_alu instid0(VALU_DEP_1) | instskip(NEXT) | instid1(VALU_DEP_4)
	v_sub_f32_e32 v18, v18, v64
	v_add_f32_e32 v63, v62, v19
	s_delay_alu instid0(VALU_DEP_1) | instskip(NEXT) | instid1(VALU_DEP_2)
	v_rcp_f32_e32 v17, v63
	v_dual_sub_f32 v62, v62, v63 :: v_dual_add_f32 v15, v15, v18
	s_delay_alu instid0(VALU_DEP_1) | instskip(SKIP_2) | instid1(VALU_DEP_1)
	v_add_f32_e32 v19, v19, v62
	s_waitcnt_depctr 0xfff
	v_mul_f32_e32 v65, v64, v17
	v_mul_f32_e32 v66, v63, v65
	s_delay_alu instid0(VALU_DEP_1) | instskip(NEXT) | instid1(VALU_DEP_1)
	v_fma_f32 v62, v65, v63, -v66
	v_fmac_f32_e32 v62, v65, v19
	s_delay_alu instid0(VALU_DEP_1) | instskip(NEXT) | instid1(VALU_DEP_1)
	v_add_f32_e32 v67, v66, v62
	v_sub_f32_e32 v68, v64, v67
	v_sub_f32_e32 v18, v67, v66
	s_delay_alu instid0(VALU_DEP_2) | instskip(NEXT) | instid1(VALU_DEP_1)
	v_sub_f32_e32 v64, v64, v68
	v_sub_f32_e32 v64, v64, v67
	s_delay_alu instid0(VALU_DEP_1) | instskip(NEXT) | instid1(VALU_DEP_1)
	v_dual_sub_f32 v18, v18, v62 :: v_dual_add_f32 v15, v15, v64
	v_add_f32_e32 v15, v18, v15
	s_delay_alu instid0(VALU_DEP_1) | instskip(NEXT) | instid1(VALU_DEP_1)
	v_add_f32_e32 v18, v68, v15
	v_mul_f32_e32 v62, v17, v18
	v_sub_f32_e32 v67, v68, v18
	s_delay_alu instid0(VALU_DEP_2) | instskip(NEXT) | instid1(VALU_DEP_2)
	v_mul_f32_e32 v64, v63, v62
	v_add_f32_e32 v15, v15, v67
	s_delay_alu instid0(VALU_DEP_2) | instskip(NEXT) | instid1(VALU_DEP_1)
	v_fma_f32 v63, v62, v63, -v64
	v_fmac_f32_e32 v63, v62, v19
	s_delay_alu instid0(VALU_DEP_1) | instskip(NEXT) | instid1(VALU_DEP_1)
	v_add_f32_e32 v19, v64, v63
	v_sub_f32_e32 v66, v18, v19
	s_delay_alu instid0(VALU_DEP_1) | instskip(NEXT) | instid1(VALU_DEP_1)
	v_sub_f32_e32 v18, v18, v66
	v_sub_f32_e32 v18, v18, v19
	s_delay_alu instid0(VALU_DEP_1) | instskip(SKIP_2) | instid1(VALU_DEP_1)
	v_add_f32_e32 v15, v15, v18
	v_add_f32_e32 v18, v65, v62
	v_sub_f32_e32 v64, v19, v64
	v_sub_f32_e32 v19, v64, v63
	s_delay_alu instid0(VALU_DEP_1) | instskip(NEXT) | instid1(VALU_DEP_4)
	v_add_f32_e32 v15, v19, v15
	v_sub_f32_e32 v19, v18, v65
	s_delay_alu instid0(VALU_DEP_2) | instskip(NEXT) | instid1(VALU_DEP_2)
	v_add_f32_e32 v15, v66, v15
	v_sub_f32_e32 v19, v62, v19
	s_delay_alu instid0(VALU_DEP_2) | instskip(NEXT) | instid1(VALU_DEP_1)
	v_mul_f32_e32 v15, v17, v15
	v_add_f32_e32 v15, v19, v15
	s_delay_alu instid0(VALU_DEP_1) | instskip(NEXT) | instid1(VALU_DEP_1)
	v_add_f32_e32 v17, v18, v15
	v_mul_f32_e32 v19, v17, v17
	s_delay_alu instid0(VALU_DEP_1) | instskip(SKIP_1) | instid1(VALU_DEP_2)
	v_fmaak_f32 v62, s31, v19, 0x3ecc95a3
	v_mul_f32_e32 v63, v17, v19
	v_fmaak_f32 v19, v19, v62, 0x3f2aaada
	v_ldexp_f32 v62, v17, 1
	v_sub_f32_e32 v17, v17, v18
	s_delay_alu instid0(VALU_DEP_3) | instskip(SKIP_1) | instid1(VALU_DEP_2)
	v_mul_f32_e32 v19, v63, v19
	v_mul_f32_e32 v63, 0x3f317218, v14
	v_dual_sub_f32 v15, v15, v17 :: v_dual_add_f32 v18, v62, v19
	s_delay_alu instid0(VALU_DEP_1) | instskip(NEXT) | instid1(VALU_DEP_2)
	v_ldexp_f32 v15, v15, 1
	v_sub_f32_e32 v17, v18, v62
	s_delay_alu instid0(VALU_DEP_4) | instskip(NEXT) | instid1(VALU_DEP_1)
	v_fma_f32 v62, 0x3f317218, v14, -v63
	v_dual_sub_f32 v17, v19, v17 :: v_dual_fmac_f32 v62, 0xb102e308, v14
	s_delay_alu instid0(VALU_DEP_1) | instskip(NEXT) | instid1(VALU_DEP_1)
	v_add_f32_e32 v14, v15, v17
	v_add_f32_e32 v17, v18, v14
	s_delay_alu instid0(VALU_DEP_1) | instskip(NEXT) | instid1(VALU_DEP_1)
	v_sub_f32_e32 v18, v17, v18
	v_sub_f32_e32 v14, v14, v18
	v_add_f32_e32 v15, v63, v62
	s_delay_alu instid0(VALU_DEP_1) | instskip(SKIP_1) | instid1(VALU_DEP_2)
	v_add_f32_e32 v19, v15, v17
	v_sub_f32_e32 v63, v15, v63
	v_sub_f32_e32 v64, v19, v15
	s_delay_alu instid0(VALU_DEP_1) | instskip(NEXT) | instid1(VALU_DEP_1)
	v_dual_sub_f32 v62, v62, v63 :: v_dual_sub_f32 v65, v19, v64
	v_dual_sub_f32 v17, v17, v64 :: v_dual_add_f32 v18, v62, v14
	s_delay_alu instid0(VALU_DEP_2) | instskip(NEXT) | instid1(VALU_DEP_1)
	v_sub_f32_e32 v15, v15, v65
	v_add_f32_e32 v15, v17, v15
	s_delay_alu instid0(VALU_DEP_3) | instskip(NEXT) | instid1(VALU_DEP_2)
	v_sub_f32_e32 v17, v18, v62
	v_add_f32_e32 v15, v18, v15
	s_delay_alu instid0(VALU_DEP_2) | instskip(NEXT) | instid1(VALU_DEP_2)
	v_sub_f32_e32 v18, v18, v17
	v_dual_sub_f32 v14, v14, v17 :: v_dual_add_f32 v63, v19, v15
	s_delay_alu instid0(VALU_DEP_1) | instskip(NEXT) | instid1(VALU_DEP_1)
	v_dual_sub_f32 v18, v62, v18 :: v_dual_sub_f32 v17, v63, v19
	v_dual_add_f32 v14, v14, v18 :: v_dual_sub_f32 v15, v15, v17
	s_delay_alu instid0(VALU_DEP_1) | instskip(NEXT) | instid1(VALU_DEP_1)
	v_add_f32_e32 v14, v14, v15
	v_add_f32_e32 v14, v63, v14
	s_delay_alu instid0(VALU_DEP_1)
	v_cndmask_b32_e32 v62, v14, v16, vcc_lo
.LBB138_50:                             ;   in Loop: Header=BB138_12 Depth=1
	s_or_b32 exec_lo, exec_lo, s21
	s_waitcnt lgkmcnt(1)
	v_add_f32_e32 v63, s60, v12
	s_delay_alu instid0(VALU_DEP_1) | instskip(SKIP_1) | instid1(SALU_CYCLE_1)
	v_cmp_ge_f32_e32 vcc_lo, 0x41a00000, v63
	s_and_b32 s20, s73, vcc_lo
	s_and_saveexec_b32 s21, s20
	s_cbranch_execz .LBB138_52
; %bb.51:                               ;   in Loop: Header=BB138_12 Depth=1
	v_mul_f32_e32 v12, 0x3fb8aa3b, v63
	v_cmp_ngt_f32_e32 vcc_lo, 0xc2ce8ed0, v63
	s_delay_alu instid0(VALU_DEP_2) | instskip(SKIP_1) | instid1(VALU_DEP_1)
	v_rndne_f32_e32 v14, v12
	v_fma_f32 v15, 0x3fb8aa3b, v63, -v12
	v_dual_sub_f32 v12, v12, v14 :: v_dual_fmac_f32 v15, 0x32a5705f, v63
	v_cvt_i32_f32_e32 v14, v14
	s_delay_alu instid0(VALU_DEP_2) | instskip(NEXT) | instid1(VALU_DEP_1)
	v_add_f32_e32 v12, v12, v15
	v_exp_f32_e32 v12, v12
	s_waitcnt_depctr 0xfff
	v_ldexp_f32 v12, v12, v14
	s_delay_alu instid0(VALU_DEP_1) | instskip(SKIP_1) | instid1(VALU_DEP_2)
	v_cndmask_b32_e32 v12, 0, v12, vcc_lo
	v_cmp_nlt_f32_e32 vcc_lo, 0x42b17218, v63
	v_cndmask_b32_e32 v12, 0x7f800000, v12, vcc_lo
	s_delay_alu instid0(VALU_DEP_1) | instskip(NEXT) | instid1(VALU_DEP_1)
	v_add_f32_e32 v16, 1.0, v12
	v_cvt_f64_f32_e32 v[14:15], v16
	s_delay_alu instid0(VALU_DEP_1) | instskip(SKIP_1) | instid1(VALU_DEP_1)
	v_frexp_exp_i32_f64_e32 v14, v[14:15]
	v_frexp_mant_f32_e32 v15, v16
	v_cmp_gt_f32_e32 vcc_lo, 0x3f2aaaab, v15
	v_add_f32_e32 v15, -1.0, v16
	s_delay_alu instid0(VALU_DEP_1) | instskip(SKIP_1) | instid1(VALU_DEP_1)
	v_dual_sub_f32 v18, v15, v16 :: v_dual_sub_f32 v15, v12, v15
	v_subrev_co_ci_u32_e32 v14, vcc_lo, 0, v14, vcc_lo
	v_sub_nc_u32_e32 v17, 0, v14
	v_cvt_f32_i32_e32 v14, v14
	s_delay_alu instid0(VALU_DEP_2) | instskip(NEXT) | instid1(VALU_DEP_1)
	v_ldexp_f32 v16, v16, v17
	v_dual_add_f32 v18, 1.0, v18 :: v_dual_add_f32 v19, 1.0, v16
	s_delay_alu instid0(VALU_DEP_1) | instskip(NEXT) | instid1(VALU_DEP_1)
	v_add_f32_e32 v15, v15, v18
	v_ldexp_f32 v15, v15, v17
	s_delay_alu instid0(VALU_DEP_3) | instskip(NEXT) | instid1(VALU_DEP_1)
	v_dual_add_f32 v17, -1.0, v16 :: v_dual_add_f32 v18, -1.0, v19
	v_dual_add_f32 v63, 1.0, v17 :: v_dual_sub_f32 v18, v16, v18
	v_cmp_eq_f32_e32 vcc_lo, 0x7f800000, v12
	v_cmp_gt_f32_e64 s20, 0x33800000, v12
	s_delay_alu instid0(VALU_DEP_3) | instskip(NEXT) | instid1(VALU_DEP_4)
	v_add_f32_e32 v18, v15, v18
	v_sub_f32_e32 v16, v16, v63
	s_delay_alu instid0(VALU_DEP_3) | instskip(NEXT) | instid1(VALU_DEP_2)
	s_or_b32 vcc_lo, s20, vcc_lo
	v_add_f32_e32 v63, v19, v18
	s_delay_alu instid0(VALU_DEP_2) | instskip(NEXT) | instid1(VALU_DEP_2)
	v_add_f32_e32 v15, v15, v16
	v_rcp_f32_e32 v16, v63
	s_delay_alu instid0(VALU_DEP_1) | instskip(SKIP_1) | instid1(VALU_DEP_2)
	v_add_f32_e32 v64, v17, v15
	v_sub_f32_e32 v19, v19, v63
	v_sub_f32_e32 v17, v17, v64
	s_delay_alu instid0(VALU_DEP_1) | instskip(SKIP_2) | instid1(VALU_DEP_1)
	v_add_f32_e32 v15, v15, v17
	s_waitcnt_depctr 0xfff
	v_dual_mul_f32 v65, v64, v16 :: v_dual_add_f32 v18, v18, v19
	v_mul_f32_e32 v66, v63, v65
	s_delay_alu instid0(VALU_DEP_1) | instskip(NEXT) | instid1(VALU_DEP_1)
	v_fma_f32 v19, v65, v63, -v66
	v_fmac_f32_e32 v19, v65, v18
	s_delay_alu instid0(VALU_DEP_1) | instskip(NEXT) | instid1(VALU_DEP_1)
	v_add_f32_e32 v67, v66, v19
	v_dual_sub_f32 v68, v64, v67 :: v_dual_sub_f32 v17, v67, v66
	s_delay_alu instid0(VALU_DEP_1) | instskip(NEXT) | instid1(VALU_DEP_1)
	v_dual_sub_f32 v64, v64, v68 :: v_dual_sub_f32 v17, v17, v19
	v_sub_f32_e32 v64, v64, v67
	s_delay_alu instid0(VALU_DEP_1) | instskip(NEXT) | instid1(VALU_DEP_1)
	v_add_f32_e32 v15, v15, v64
	v_add_f32_e32 v15, v17, v15
	s_delay_alu instid0(VALU_DEP_1) | instskip(NEXT) | instid1(VALU_DEP_1)
	v_add_f32_e32 v17, v68, v15
	v_mul_f32_e32 v19, v16, v17
	s_delay_alu instid0(VALU_DEP_1) | instskip(NEXT) | instid1(VALU_DEP_1)
	v_dual_sub_f32 v67, v68, v17 :: v_dual_mul_f32 v64, v63, v19
	v_fma_f32 v63, v19, v63, -v64
	s_delay_alu instid0(VALU_DEP_1) | instskip(NEXT) | instid1(VALU_DEP_1)
	v_fmac_f32_e32 v63, v19, v18
	v_add_f32_e32 v18, v64, v63
	s_delay_alu instid0(VALU_DEP_1) | instskip(NEXT) | instid1(VALU_DEP_1)
	v_sub_f32_e32 v66, v17, v18
	v_dual_sub_f32 v17, v17, v66 :: v_dual_sub_f32 v64, v18, v64
	v_add_f32_e32 v15, v15, v67
	s_delay_alu instid0(VALU_DEP_2) | instskip(NEXT) | instid1(VALU_DEP_1)
	v_dual_sub_f32 v17, v17, v18 :: v_dual_sub_f32 v18, v64, v63
	v_add_f32_e32 v15, v15, v17
	v_add_f32_e32 v17, v65, v19
	s_delay_alu instid0(VALU_DEP_1) | instskip(NEXT) | instid1(VALU_DEP_1)
	v_dual_add_f32 v15, v18, v15 :: v_dual_sub_f32 v18, v17, v65
	v_dual_add_f32 v15, v66, v15 :: v_dual_sub_f32 v18, v19, v18
	s_delay_alu instid0(VALU_DEP_1) | instskip(NEXT) | instid1(VALU_DEP_1)
	v_mul_f32_e32 v15, v16, v15
	v_add_f32_e32 v15, v18, v15
	s_delay_alu instid0(VALU_DEP_1) | instskip(NEXT) | instid1(VALU_DEP_1)
	v_add_f32_e32 v16, v17, v15
	v_mul_f32_e32 v18, v16, v16
	s_delay_alu instid0(VALU_DEP_1) | instskip(NEXT) | instid1(VALU_DEP_1)
	v_fmaak_f32 v19, s31, v18, 0x3ecc95a3
	v_dual_mul_f32 v63, v16, v18 :: v_dual_fmaak_f32 v18, v18, v19, 0x3f2aaada
	v_ldexp_f32 v19, v16, 1
	s_delay_alu instid0(VALU_DEP_2) | instskip(NEXT) | instid1(VALU_DEP_1)
	v_mul_f32_e32 v18, v63, v18
	v_dual_sub_f32 v16, v16, v17 :: v_dual_add_f32 v17, v19, v18
	s_delay_alu instid0(VALU_DEP_1) | instskip(NEXT) | instid1(VALU_DEP_1)
	v_dual_sub_f32 v15, v15, v16 :: v_dual_sub_f32 v16, v17, v19
	v_ldexp_f32 v15, v15, 1
	s_delay_alu instid0(VALU_DEP_2) | instskip(NEXT) | instid1(VALU_DEP_1)
	v_dual_sub_f32 v16, v18, v16 :: v_dual_mul_f32 v63, 0x3f317218, v14
	v_fma_f32 v19, 0x3f317218, v14, -v63
	s_delay_alu instid0(VALU_DEP_1) | instskip(NEXT) | instid1(VALU_DEP_1)
	v_dual_fmac_f32 v19, 0xb102e308, v14 :: v_dual_add_f32 v14, v15, v16
	v_dual_add_f32 v15, v63, v19 :: v_dual_add_f32 v16, v17, v14
	s_delay_alu instid0(VALU_DEP_1) | instskip(NEXT) | instid1(VALU_DEP_2)
	v_sub_f32_e32 v63, v15, v63
	v_add_f32_e32 v18, v15, v16
	s_delay_alu instid0(VALU_DEP_2) | instskip(NEXT) | instid1(VALU_DEP_2)
	v_sub_f32_e32 v19, v19, v63
	v_dual_sub_f32 v64, v18, v15 :: v_dual_sub_f32 v17, v16, v17
	s_delay_alu instid0(VALU_DEP_1) | instskip(NEXT) | instid1(VALU_DEP_2)
	v_sub_f32_e32 v16, v16, v64
	v_sub_f32_e32 v14, v14, v17
	s_delay_alu instid0(VALU_DEP_1) | instskip(SKIP_1) | instid1(VALU_DEP_1)
	v_add_f32_e32 v17, v19, v14
	v_sub_f32_e32 v65, v18, v64
	v_sub_f32_e32 v15, v15, v65
	s_delay_alu instid0(VALU_DEP_1) | instskip(NEXT) | instid1(VALU_DEP_4)
	v_add_f32_e32 v15, v16, v15
	v_sub_f32_e32 v16, v17, v19
	s_delay_alu instid0(VALU_DEP_2) | instskip(NEXT) | instid1(VALU_DEP_2)
	v_add_f32_e32 v15, v17, v15
	v_sub_f32_e32 v17, v17, v16
	v_sub_f32_e32 v14, v14, v16
	s_delay_alu instid0(VALU_DEP_3) | instskip(NEXT) | instid1(VALU_DEP_3)
	v_add_f32_e32 v63, v18, v15
	v_sub_f32_e32 v17, v19, v17
	s_delay_alu instid0(VALU_DEP_2) | instskip(NEXT) | instid1(VALU_DEP_1)
	v_sub_f32_e32 v16, v63, v18
	v_dual_add_f32 v14, v14, v17 :: v_dual_sub_f32 v15, v15, v16
	s_delay_alu instid0(VALU_DEP_1) | instskip(NEXT) | instid1(VALU_DEP_1)
	v_add_f32_e32 v14, v14, v15
	v_add_f32_e32 v14, v63, v14
	s_delay_alu instid0(VALU_DEP_1)
	v_cndmask_b32_e32 v63, v14, v12, vcc_lo
.LBB138_52:                             ;   in Loop: Header=BB138_12 Depth=1
	s_or_b32 exec_lo, exec_lo, s21
	v_add_f32_e32 v64, s60, v13
	s_delay_alu instid0(VALU_DEP_1) | instskip(SKIP_1) | instid1(SALU_CYCLE_1)
	v_cmp_ge_f32_e32 vcc_lo, 0x41a00000, v64
	s_and_b32 s20, s73, vcc_lo
	s_and_saveexec_b32 s21, s20
	s_cbranch_execz .LBB138_54
; %bb.53:                               ;   in Loop: Header=BB138_12 Depth=1
	v_mul_f32_e32 v12, 0x3fb8aa3b, v64
	v_cmp_ngt_f32_e32 vcc_lo, 0xc2ce8ed0, v64
	s_delay_alu instid0(VALU_DEP_2) | instskip(SKIP_1) | instid1(VALU_DEP_2)
	v_rndne_f32_e32 v13, v12
	v_fma_f32 v14, 0x3fb8aa3b, v64, -v12
	v_sub_f32_e32 v12, v12, v13
	s_delay_alu instid0(VALU_DEP_2) | instskip(SKIP_1) | instid1(VALU_DEP_2)
	v_fmac_f32_e32 v14, 0x32a5705f, v64
	v_cvt_i32_f32_e32 v13, v13
	v_add_f32_e32 v12, v12, v14
	s_delay_alu instid0(VALU_DEP_1) | instskip(SKIP_2) | instid1(VALU_DEP_1)
	v_exp_f32_e32 v12, v12
	s_waitcnt_depctr 0xfff
	v_ldexp_f32 v12, v12, v13
	v_cndmask_b32_e32 v12, 0, v12, vcc_lo
	v_cmp_nlt_f32_e32 vcc_lo, 0x42b17218, v64
	s_delay_alu instid0(VALU_DEP_2) | instskip(NEXT) | instid1(VALU_DEP_1)
	v_cndmask_b32_e32 v14, 0x7f800000, v12, vcc_lo
	v_add_f32_e32 v15, 1.0, v14
	s_delay_alu instid0(VALU_DEP_1) | instskip(NEXT) | instid1(VALU_DEP_1)
	v_cvt_f64_f32_e32 v[12:13], v15
	v_frexp_exp_i32_f64_e32 v12, v[12:13]
	v_frexp_mant_f32_e32 v13, v15
	s_delay_alu instid0(VALU_DEP_1) | instskip(SKIP_1) | instid1(VALU_DEP_1)
	v_cmp_gt_f32_e32 vcc_lo, 0x3f2aaaab, v13
	v_add_f32_e32 v13, -1.0, v15
	v_sub_f32_e32 v17, v13, v15
	v_sub_f32_e32 v13, v14, v13
	s_delay_alu instid0(VALU_DEP_2) | instskip(NEXT) | instid1(VALU_DEP_1)
	v_add_f32_e32 v17, 1.0, v17
	v_add_f32_e32 v13, v13, v17
	v_cmp_gt_f32_e64 s20, 0x33800000, v14
	v_subrev_co_ci_u32_e32 v12, vcc_lo, 0, v12, vcc_lo
	v_cmp_eq_f32_e32 vcc_lo, 0x7f800000, v14
	s_delay_alu instid0(VALU_DEP_2) | instskip(SKIP_2) | instid1(VALU_DEP_2)
	v_sub_nc_u32_e32 v16, 0, v12
	v_cvt_f32_i32_e32 v12, v12
	s_or_b32 vcc_lo, s20, vcc_lo
	v_ldexp_f32 v15, v15, v16
	v_ldexp_f32 v13, v13, v16
	s_delay_alu instid0(VALU_DEP_2) | instskip(NEXT) | instid1(VALU_DEP_1)
	v_add_f32_e32 v18, 1.0, v15
	v_dual_add_f32 v16, -1.0, v15 :: v_dual_add_f32 v17, -1.0, v18
	s_delay_alu instid0(VALU_DEP_1) | instskip(NEXT) | instid1(VALU_DEP_2)
	v_add_f32_e32 v19, 1.0, v16
	v_sub_f32_e32 v17, v15, v17
	s_delay_alu instid0(VALU_DEP_2) | instskip(NEXT) | instid1(VALU_DEP_2)
	v_sub_f32_e32 v15, v15, v19
	v_add_f32_e32 v17, v13, v17
	s_delay_alu instid0(VALU_DEP_2) | instskip(NEXT) | instid1(VALU_DEP_1)
	v_add_f32_e32 v13, v13, v15
	v_add_f32_e32 v64, v16, v13
	s_delay_alu instid0(VALU_DEP_1) | instskip(NEXT) | instid1(VALU_DEP_1)
	v_dual_add_f32 v19, v18, v17 :: v_dual_sub_f32 v16, v16, v64
	v_rcp_f32_e32 v15, v19
	v_sub_f32_e32 v18, v18, v19
	s_delay_alu instid0(VALU_DEP_1) | instskip(SKIP_2) | instid1(VALU_DEP_1)
	v_add_f32_e32 v17, v17, v18
	s_waitcnt_depctr 0xfff
	v_mul_f32_e32 v65, v64, v15
	v_mul_f32_e32 v66, v19, v65
	s_delay_alu instid0(VALU_DEP_1) | instskip(NEXT) | instid1(VALU_DEP_1)
	v_fma_f32 v18, v65, v19, -v66
	v_fmac_f32_e32 v18, v65, v17
	s_delay_alu instid0(VALU_DEP_1) | instskip(NEXT) | instid1(VALU_DEP_1)
	v_add_f32_e32 v67, v66, v18
	v_sub_f32_e32 v68, v64, v67
	s_delay_alu instid0(VALU_DEP_1) | instskip(SKIP_1) | instid1(VALU_DEP_2)
	v_sub_f32_e32 v64, v64, v68
	v_dual_add_f32 v13, v13, v16 :: v_dual_sub_f32 v16, v67, v66
	v_sub_f32_e32 v64, v64, v67
	s_delay_alu instid0(VALU_DEP_1) | instskip(NEXT) | instid1(VALU_DEP_1)
	v_dual_sub_f32 v16, v16, v18 :: v_dual_add_f32 v13, v13, v64
	v_add_f32_e32 v13, v16, v13
	s_delay_alu instid0(VALU_DEP_1) | instskip(NEXT) | instid1(VALU_DEP_1)
	v_add_f32_e32 v16, v68, v13
	v_mul_f32_e32 v18, v15, v16
	s_delay_alu instid0(VALU_DEP_1) | instskip(NEXT) | instid1(VALU_DEP_1)
	v_dual_sub_f32 v67, v68, v16 :: v_dual_mul_f32 v64, v19, v18
	v_add_f32_e32 v13, v13, v67
	s_delay_alu instid0(VALU_DEP_2) | instskip(NEXT) | instid1(VALU_DEP_1)
	v_fma_f32 v19, v18, v19, -v64
	v_fmac_f32_e32 v19, v18, v17
	s_delay_alu instid0(VALU_DEP_1) | instskip(NEXT) | instid1(VALU_DEP_1)
	v_add_f32_e32 v17, v64, v19
	v_sub_f32_e32 v66, v16, v17
	s_delay_alu instid0(VALU_DEP_1) | instskip(NEXT) | instid1(VALU_DEP_1)
	v_sub_f32_e32 v16, v16, v66
	v_sub_f32_e32 v16, v16, v17
	s_delay_alu instid0(VALU_DEP_1) | instskip(SKIP_2) | instid1(VALU_DEP_1)
	v_add_f32_e32 v13, v13, v16
	v_add_f32_e32 v16, v65, v18
	v_sub_f32_e32 v64, v17, v64
	v_sub_f32_e32 v17, v64, v19
	s_delay_alu instid0(VALU_DEP_1) | instskip(NEXT) | instid1(VALU_DEP_4)
	v_add_f32_e32 v13, v17, v13
	v_sub_f32_e32 v17, v16, v65
	s_delay_alu instid0(VALU_DEP_2) | instskip(NEXT) | instid1(VALU_DEP_2)
	v_add_f32_e32 v13, v66, v13
	v_sub_f32_e32 v17, v18, v17
	s_delay_alu instid0(VALU_DEP_2) | instskip(NEXT) | instid1(VALU_DEP_1)
	v_mul_f32_e32 v13, v15, v13
	v_add_f32_e32 v13, v17, v13
	s_delay_alu instid0(VALU_DEP_1) | instskip(NEXT) | instid1(VALU_DEP_1)
	v_add_f32_e32 v15, v16, v13
	v_mul_f32_e32 v17, v15, v15
	s_delay_alu instid0(VALU_DEP_1) | instskip(SKIP_1) | instid1(VALU_DEP_2)
	v_fmaak_f32 v18, s31, v17, 0x3ecc95a3
	v_mul_f32_e32 v19, v15, v17
	v_fmaak_f32 v17, v17, v18, 0x3f2aaada
	v_ldexp_f32 v18, v15, 1
	s_delay_alu instid0(VALU_DEP_2) | instskip(SKIP_1) | instid1(VALU_DEP_2)
	v_mul_f32_e32 v17, v19, v17
	v_sub_f32_e32 v15, v15, v16
	v_dual_mul_f32 v19, 0x3f317218, v12 :: v_dual_add_f32 v16, v18, v17
	s_delay_alu instid0(VALU_DEP_2) | instskip(NEXT) | instid1(VALU_DEP_2)
	v_sub_f32_e32 v13, v13, v15
	v_sub_f32_e32 v15, v16, v18
	s_delay_alu instid0(VALU_DEP_3) | instskip(NEXT) | instid1(VALU_DEP_3)
	v_fma_f32 v18, 0x3f317218, v12, -v19
	v_ldexp_f32 v13, v13, 1
	s_delay_alu instid0(VALU_DEP_2) | instskip(NEXT) | instid1(VALU_DEP_1)
	v_dual_sub_f32 v15, v17, v15 :: v_dual_fmac_f32 v18, 0xb102e308, v12
	v_dual_add_f32 v12, v13, v15 :: v_dual_add_f32 v13, v19, v18
	s_delay_alu instid0(VALU_DEP_1) | instskip(NEXT) | instid1(VALU_DEP_1)
	v_add_f32_e32 v15, v16, v12
	v_dual_add_f32 v17, v13, v15 :: v_dual_sub_f32 v16, v15, v16
	s_delay_alu instid0(VALU_DEP_1) | instskip(NEXT) | instid1(VALU_DEP_2)
	v_sub_f32_e32 v64, v17, v13
	v_dual_sub_f32 v19, v13, v19 :: v_dual_sub_f32 v12, v12, v16
	s_delay_alu instid0(VALU_DEP_1) | instskip(SKIP_1) | instid1(VALU_DEP_2)
	v_dual_sub_f32 v65, v17, v64 :: v_dual_sub_f32 v18, v18, v19
	v_sub_f32_e32 v15, v15, v64
	v_dual_sub_f32 v13, v13, v65 :: v_dual_add_f32 v16, v18, v12
	s_delay_alu instid0(VALU_DEP_1) | instskip(NEXT) | instid1(VALU_DEP_2)
	v_add_f32_e32 v13, v15, v13
	v_sub_f32_e32 v15, v16, v18
	s_delay_alu instid0(VALU_DEP_2) | instskip(NEXT) | instid1(VALU_DEP_2)
	v_add_f32_e32 v13, v16, v13
	v_sub_f32_e32 v16, v16, v15
	s_delay_alu instid0(VALU_DEP_2) | instskip(NEXT) | instid1(VALU_DEP_1)
	v_dual_sub_f32 v12, v12, v15 :: v_dual_add_f32 v19, v17, v13
	v_dual_sub_f32 v16, v18, v16 :: v_dual_sub_f32 v15, v19, v17
	s_delay_alu instid0(VALU_DEP_1) | instskip(NEXT) | instid1(VALU_DEP_1)
	v_dual_add_f32 v12, v12, v16 :: v_dual_sub_f32 v13, v13, v15
	v_add_f32_e32 v12, v12, v13
	s_delay_alu instid0(VALU_DEP_1) | instskip(NEXT) | instid1(VALU_DEP_1)
	v_add_f32_e32 v12, v19, v12
	v_cndmask_b32_e32 v64, v12, v14, vcc_lo
.LBB138_54:                             ;   in Loop: Header=BB138_12 Depth=1
	s_or_b32 exec_lo, exec_lo, s21
	s_waitcnt lgkmcnt(0)
	v_add_f32_e32 v65, s60, v10
	s_delay_alu instid0(VALU_DEP_1) | instskip(SKIP_1) | instid1(SALU_CYCLE_1)
	v_cmp_ge_f32_e32 vcc_lo, 0x41a00000, v65
	s_and_b32 s20, s73, vcc_lo
	s_and_saveexec_b32 s21, s20
	s_cbranch_execz .LBB138_56
; %bb.55:                               ;   in Loop: Header=BB138_12 Depth=1
	v_mul_f32_e32 v10, 0x3fb8aa3b, v65
	v_cmp_ngt_f32_e32 vcc_lo, 0xc2ce8ed0, v65
	s_delay_alu instid0(VALU_DEP_2) | instskip(SKIP_1) | instid1(VALU_DEP_1)
	v_rndne_f32_e32 v12, v10
	v_fma_f32 v13, 0x3fb8aa3b, v65, -v10
	v_dual_sub_f32 v10, v10, v12 :: v_dual_fmac_f32 v13, 0x32a5705f, v65
	v_cvt_i32_f32_e32 v12, v12
	s_delay_alu instid0(VALU_DEP_2) | instskip(NEXT) | instid1(VALU_DEP_1)
	v_add_f32_e32 v10, v10, v13
	v_exp_f32_e32 v10, v10
	s_waitcnt_depctr 0xfff
	v_ldexp_f32 v10, v10, v12
	s_delay_alu instid0(VALU_DEP_1) | instskip(SKIP_1) | instid1(VALU_DEP_2)
	v_cndmask_b32_e32 v10, 0, v10, vcc_lo
	v_cmp_nlt_f32_e32 vcc_lo, 0x42b17218, v65
	v_cndmask_b32_e32 v10, 0x7f800000, v10, vcc_lo
	s_delay_alu instid0(VALU_DEP_1) | instskip(NEXT) | instid1(VALU_DEP_1)
	v_add_f32_e32 v14, 1.0, v10
	v_cvt_f64_f32_e32 v[12:13], v14
	s_delay_alu instid0(VALU_DEP_1) | instskip(SKIP_1) | instid1(VALU_DEP_1)
	v_frexp_exp_i32_f64_e32 v12, v[12:13]
	v_frexp_mant_f32_e32 v13, v14
	v_cmp_gt_f32_e32 vcc_lo, 0x3f2aaaab, v13
	v_add_f32_e32 v13, -1.0, v14
	s_delay_alu instid0(VALU_DEP_1) | instskip(SKIP_1) | instid1(VALU_DEP_1)
	v_dual_sub_f32 v16, v13, v14 :: v_dual_sub_f32 v13, v10, v13
	v_subrev_co_ci_u32_e32 v12, vcc_lo, 0, v12, vcc_lo
	v_sub_nc_u32_e32 v15, 0, v12
	v_cvt_f32_i32_e32 v12, v12
	s_delay_alu instid0(VALU_DEP_2) | instskip(NEXT) | instid1(VALU_DEP_1)
	v_ldexp_f32 v14, v14, v15
	v_dual_add_f32 v16, 1.0, v16 :: v_dual_add_f32 v17, 1.0, v14
	s_delay_alu instid0(VALU_DEP_1) | instskip(NEXT) | instid1(VALU_DEP_1)
	v_add_f32_e32 v13, v13, v16
	v_ldexp_f32 v13, v13, v15
	s_delay_alu instid0(VALU_DEP_3) | instskip(NEXT) | instid1(VALU_DEP_1)
	v_dual_add_f32 v15, -1.0, v14 :: v_dual_add_f32 v16, -1.0, v17
	v_add_f32_e32 v18, 1.0, v15
	s_delay_alu instid0(VALU_DEP_2) | instskip(NEXT) | instid1(VALU_DEP_2)
	v_sub_f32_e32 v16, v14, v16
	v_sub_f32_e32 v14, v14, v18
	s_delay_alu instid0(VALU_DEP_2) | instskip(NEXT) | instid1(VALU_DEP_2)
	v_add_f32_e32 v16, v13, v16
	v_add_f32_e32 v13, v13, v14
	s_delay_alu instid0(VALU_DEP_1) | instskip(SKIP_2) | instid1(VALU_DEP_3)
	v_add_f32_e32 v19, v15, v13
	v_cmp_eq_f32_e32 vcc_lo, 0x7f800000, v10
	v_cmp_gt_f32_e64 s20, 0x33800000, v10
	v_dual_sub_f32 v15, v15, v19 :: v_dual_add_f32 v18, v17, v16
	s_delay_alu instid0(VALU_DEP_2) | instskip(NEXT) | instid1(VALU_DEP_1)
	s_or_b32 vcc_lo, s20, vcc_lo
	v_add_f32_e32 v13, v13, v15
	s_delay_alu instid0(VALU_DEP_2) | instskip(SKIP_2) | instid1(VALU_DEP_1)
	v_rcp_f32_e32 v14, v18
	s_waitcnt_depctr 0xfff
	v_mul_f32_e32 v65, v19, v14
	v_dual_sub_f32 v17, v17, v18 :: v_dual_mul_f32 v66, v18, v65
	s_delay_alu instid0(VALU_DEP_1) | instskip(NEXT) | instid1(VALU_DEP_2)
	v_add_f32_e32 v16, v16, v17
	v_fma_f32 v17, v65, v18, -v66
	s_delay_alu instid0(VALU_DEP_1) | instskip(NEXT) | instid1(VALU_DEP_1)
	v_fmac_f32_e32 v17, v65, v16
	v_add_f32_e32 v67, v66, v17
	s_delay_alu instid0(VALU_DEP_1) | instskip(SKIP_1) | instid1(VALU_DEP_2)
	v_sub_f32_e32 v15, v67, v66
	v_sub_f32_e32 v68, v19, v67
	v_sub_f32_e32 v15, v15, v17
	s_delay_alu instid0(VALU_DEP_2) | instskip(NEXT) | instid1(VALU_DEP_1)
	v_sub_f32_e32 v19, v19, v68
	v_sub_f32_e32 v19, v19, v67
	s_delay_alu instid0(VALU_DEP_1) | instskip(NEXT) | instid1(VALU_DEP_1)
	v_add_f32_e32 v13, v13, v19
	v_add_f32_e32 v13, v15, v13
	s_delay_alu instid0(VALU_DEP_1) | instskip(NEXT) | instid1(VALU_DEP_1)
	v_add_f32_e32 v15, v68, v13
	v_mul_f32_e32 v17, v14, v15
	s_delay_alu instid0(VALU_DEP_1) | instskip(SKIP_1) | instid1(VALU_DEP_2)
	v_mul_f32_e32 v19, v18, v17
	v_sub_f32_e32 v67, v68, v15
	v_fma_f32 v18, v17, v18, -v19
	s_delay_alu instid0(VALU_DEP_2) | instskip(NEXT) | instid1(VALU_DEP_2)
	v_add_f32_e32 v13, v13, v67
	v_fmac_f32_e32 v18, v17, v16
	s_delay_alu instid0(VALU_DEP_1) | instskip(NEXT) | instid1(VALU_DEP_1)
	v_add_f32_e32 v16, v19, v18
	v_sub_f32_e32 v66, v15, v16
	s_delay_alu instid0(VALU_DEP_1) | instskip(NEXT) | instid1(VALU_DEP_1)
	v_sub_f32_e32 v15, v15, v66
	v_sub_f32_e32 v15, v15, v16
	s_delay_alu instid0(VALU_DEP_1) | instskip(SKIP_2) | instid1(VALU_DEP_1)
	v_add_f32_e32 v13, v13, v15
	v_add_f32_e32 v15, v65, v17
	v_sub_f32_e32 v19, v16, v19
	v_sub_f32_e32 v16, v19, v18
	s_delay_alu instid0(VALU_DEP_1) | instskip(NEXT) | instid1(VALU_DEP_4)
	v_add_f32_e32 v13, v16, v13
	v_sub_f32_e32 v16, v15, v65
	s_delay_alu instid0(VALU_DEP_1) | instskip(NEXT) | instid1(VALU_DEP_1)
	v_dual_add_f32 v13, v66, v13 :: v_dual_sub_f32 v16, v17, v16
	v_mul_f32_e32 v13, v14, v13
	s_delay_alu instid0(VALU_DEP_1) | instskip(NEXT) | instid1(VALU_DEP_1)
	v_add_f32_e32 v13, v16, v13
	v_add_f32_e32 v14, v15, v13
	s_delay_alu instid0(VALU_DEP_1) | instskip(NEXT) | instid1(VALU_DEP_1)
	v_mul_f32_e32 v16, v14, v14
	v_fmaak_f32 v17, s31, v16, 0x3ecc95a3
	v_mul_f32_e32 v18, v14, v16
	s_delay_alu instid0(VALU_DEP_2) | instskip(SKIP_1) | instid1(VALU_DEP_2)
	v_fmaak_f32 v16, v16, v17, 0x3f2aaada
	v_ldexp_f32 v17, v14, 1
	v_mul_f32_e32 v16, v18, v16
	v_mul_f32_e32 v18, 0x3f317218, v12
	s_delay_alu instid0(VALU_DEP_2) | instskip(NEXT) | instid1(VALU_DEP_1)
	v_dual_sub_f32 v14, v14, v15 :: v_dual_add_f32 v15, v17, v16
	v_dual_sub_f32 v13, v13, v14 :: v_dual_sub_f32 v14, v15, v17
	s_delay_alu instid0(VALU_DEP_3) | instskip(NEXT) | instid1(VALU_DEP_2)
	v_fma_f32 v17, 0x3f317218, v12, -v18
	v_ldexp_f32 v13, v13, 1
	s_delay_alu instid0(VALU_DEP_2) | instskip(NEXT) | instid1(VALU_DEP_1)
	v_dual_sub_f32 v14, v16, v14 :: v_dual_fmac_f32 v17, 0xb102e308, v12
	v_add_f32_e32 v12, v13, v14
	s_delay_alu instid0(VALU_DEP_1) | instskip(NEXT) | instid1(VALU_DEP_1)
	v_add_f32_e32 v14, v15, v12
	v_sub_f32_e32 v15, v14, v15
	s_delay_alu instid0(VALU_DEP_1) | instskip(NEXT) | instid1(VALU_DEP_1)
	v_dual_sub_f32 v12, v12, v15 :: v_dual_add_f32 v13, v18, v17
	v_add_f32_e32 v16, v13, v14
	s_delay_alu instid0(VALU_DEP_1) | instskip(NEXT) | instid1(VALU_DEP_1)
	v_dual_sub_f32 v18, v13, v18 :: v_dual_sub_f32 v19, v16, v13
	v_dual_sub_f32 v17, v17, v18 :: v_dual_sub_f32 v14, v14, v19
	s_delay_alu instid0(VALU_DEP_1) | instskip(SKIP_1) | instid1(VALU_DEP_1)
	v_add_f32_e32 v15, v17, v12
	v_sub_f32_e32 v65, v16, v19
	v_sub_f32_e32 v13, v13, v65
	s_delay_alu instid0(VALU_DEP_1) | instskip(NEXT) | instid1(VALU_DEP_4)
	v_add_f32_e32 v13, v14, v13
	v_sub_f32_e32 v14, v15, v17
	s_delay_alu instid0(VALU_DEP_2) | instskip(NEXT) | instid1(VALU_DEP_2)
	v_add_f32_e32 v13, v15, v13
	v_sub_f32_e32 v15, v15, v14
	v_sub_f32_e32 v12, v12, v14
	s_delay_alu instid0(VALU_DEP_3) | instskip(NEXT) | instid1(VALU_DEP_1)
	v_add_f32_e32 v18, v16, v13
	v_dual_sub_f32 v14, v18, v16 :: v_dual_sub_f32 v15, v17, v15
	s_delay_alu instid0(VALU_DEP_1) | instskip(NEXT) | instid1(VALU_DEP_1)
	v_dual_sub_f32 v13, v13, v14 :: v_dual_add_f32 v12, v12, v15
	v_add_f32_e32 v12, v12, v13
	s_delay_alu instid0(VALU_DEP_1) | instskip(NEXT) | instid1(VALU_DEP_1)
	v_add_f32_e32 v12, v18, v12
	v_cndmask_b32_e32 v65, v12, v10, vcc_lo
.LBB138_56:                             ;   in Loop: Header=BB138_12 Depth=1
	s_or_b32 exec_lo, exec_lo, s21
	v_add_f32_e32 v74, s60, v11
	s_delay_alu instid0(VALU_DEP_1) | instskip(SKIP_1) | instid1(SALU_CYCLE_1)
	v_cmp_ge_f32_e32 vcc_lo, 0x41a00000, v74
	s_and_b32 s20, s73, vcc_lo
	s_and_saveexec_b32 s21, s20
	s_cbranch_execz .LBB138_58
; %bb.57:                               ;   in Loop: Header=BB138_12 Depth=1
	v_mul_f32_e32 v10, 0x3fb8aa3b, v74
	v_cmp_ngt_f32_e32 vcc_lo, 0xc2ce8ed0, v74
	s_delay_alu instid0(VALU_DEP_2) | instskip(SKIP_1) | instid1(VALU_DEP_2)
	v_rndne_f32_e32 v11, v10
	v_fma_f32 v12, 0x3fb8aa3b, v74, -v10
	v_sub_f32_e32 v10, v10, v11
	s_delay_alu instid0(VALU_DEP_2) | instskip(SKIP_1) | instid1(VALU_DEP_2)
	v_fmac_f32_e32 v12, 0x32a5705f, v74
	v_cvt_i32_f32_e32 v11, v11
	v_add_f32_e32 v10, v10, v12
	s_delay_alu instid0(VALU_DEP_1) | instskip(SKIP_2) | instid1(VALU_DEP_1)
	v_exp_f32_e32 v10, v10
	s_waitcnt_depctr 0xfff
	v_ldexp_f32 v10, v10, v11
	v_cndmask_b32_e32 v10, 0, v10, vcc_lo
	v_cmp_nlt_f32_e32 vcc_lo, 0x42b17218, v74
	s_delay_alu instid0(VALU_DEP_2) | instskip(NEXT) | instid1(VALU_DEP_1)
	v_cndmask_b32_e32 v12, 0x7f800000, v10, vcc_lo
	v_add_f32_e32 v13, 1.0, v12
	s_delay_alu instid0(VALU_DEP_1) | instskip(NEXT) | instid1(VALU_DEP_1)
	v_cvt_f64_f32_e32 v[10:11], v13
	v_frexp_exp_i32_f64_e32 v10, v[10:11]
	v_frexp_mant_f32_e32 v11, v13
	s_delay_alu instid0(VALU_DEP_1) | instskip(SKIP_1) | instid1(VALU_DEP_1)
	v_cmp_gt_f32_e32 vcc_lo, 0x3f2aaaab, v11
	v_add_f32_e32 v11, -1.0, v13
	v_sub_f32_e32 v15, v11, v13
	v_sub_f32_e32 v11, v12, v11
	s_delay_alu instid0(VALU_DEP_2) | instskip(NEXT) | instid1(VALU_DEP_1)
	v_add_f32_e32 v15, 1.0, v15
	v_add_f32_e32 v11, v11, v15
	v_cmp_gt_f32_e64 s20, 0x33800000, v12
	v_subrev_co_ci_u32_e32 v10, vcc_lo, 0, v10, vcc_lo
	v_cmp_eq_f32_e32 vcc_lo, 0x7f800000, v12
	s_delay_alu instid0(VALU_DEP_2) | instskip(SKIP_2) | instid1(VALU_DEP_2)
	v_sub_nc_u32_e32 v14, 0, v10
	v_cvt_f32_i32_e32 v10, v10
	s_or_b32 vcc_lo, s20, vcc_lo
	v_ldexp_f32 v13, v13, v14
	v_ldexp_f32 v11, v11, v14
	s_delay_alu instid0(VALU_DEP_2) | instskip(NEXT) | instid1(VALU_DEP_1)
	v_add_f32_e32 v16, 1.0, v13
	v_dual_add_f32 v14, -1.0, v13 :: v_dual_add_f32 v15, -1.0, v16
	s_delay_alu instid0(VALU_DEP_1) | instskip(NEXT) | instid1(VALU_DEP_2)
	v_add_f32_e32 v17, 1.0, v14
	v_sub_f32_e32 v15, v13, v15
	s_delay_alu instid0(VALU_DEP_2) | instskip(NEXT) | instid1(VALU_DEP_2)
	v_sub_f32_e32 v13, v13, v17
	v_add_f32_e32 v15, v11, v15
	s_delay_alu instid0(VALU_DEP_2) | instskip(NEXT) | instid1(VALU_DEP_1)
	v_add_f32_e32 v11, v11, v13
	v_add_f32_e32 v18, v14, v11
	s_delay_alu instid0(VALU_DEP_1) | instskip(NEXT) | instid1(VALU_DEP_1)
	v_dual_add_f32 v17, v16, v15 :: v_dual_sub_f32 v14, v14, v18
	v_rcp_f32_e32 v13, v17
	v_sub_f32_e32 v16, v16, v17
	s_delay_alu instid0(VALU_DEP_1) | instskip(SKIP_2) | instid1(VALU_DEP_1)
	v_add_f32_e32 v15, v15, v16
	s_waitcnt_depctr 0xfff
	v_mul_f32_e32 v19, v18, v13
	v_dual_mul_f32 v66, v17, v19 :: v_dual_add_f32 v11, v11, v14
	s_delay_alu instid0(VALU_DEP_1) | instskip(NEXT) | instid1(VALU_DEP_1)
	v_fma_f32 v16, v19, v17, -v66
	v_fmac_f32_e32 v16, v19, v15
	s_delay_alu instid0(VALU_DEP_1) | instskip(NEXT) | instid1(VALU_DEP_1)
	v_add_f32_e32 v67, v66, v16
	v_sub_f32_e32 v68, v18, v67
	v_sub_f32_e32 v14, v67, v66
	s_delay_alu instid0(VALU_DEP_2) | instskip(NEXT) | instid1(VALU_DEP_1)
	v_sub_f32_e32 v18, v18, v68
	v_sub_f32_e32 v18, v18, v67
	s_delay_alu instid0(VALU_DEP_1) | instskip(NEXT) | instid1(VALU_DEP_1)
	v_dual_sub_f32 v14, v14, v16 :: v_dual_add_f32 v11, v11, v18
	v_add_f32_e32 v11, v14, v11
	s_delay_alu instid0(VALU_DEP_1) | instskip(NEXT) | instid1(VALU_DEP_1)
	v_add_f32_e32 v14, v68, v11
	v_mul_f32_e32 v16, v13, v14
	s_delay_alu instid0(VALU_DEP_1) | instskip(NEXT) | instid1(VALU_DEP_1)
	v_dual_sub_f32 v67, v68, v14 :: v_dual_mul_f32 v18, v17, v16
	v_add_f32_e32 v11, v11, v67
	s_delay_alu instid0(VALU_DEP_2) | instskip(NEXT) | instid1(VALU_DEP_1)
	v_fma_f32 v17, v16, v17, -v18
	v_fmac_f32_e32 v17, v16, v15
	s_delay_alu instid0(VALU_DEP_1) | instskip(NEXT) | instid1(VALU_DEP_1)
	v_add_f32_e32 v15, v18, v17
	v_sub_f32_e32 v66, v14, v15
	s_delay_alu instid0(VALU_DEP_1) | instskip(NEXT) | instid1(VALU_DEP_1)
	v_sub_f32_e32 v14, v14, v66
	v_sub_f32_e32 v14, v14, v15
	s_delay_alu instid0(VALU_DEP_1) | instskip(SKIP_2) | instid1(VALU_DEP_1)
	v_add_f32_e32 v11, v11, v14
	v_add_f32_e32 v14, v19, v16
	v_sub_f32_e32 v18, v15, v18
	v_sub_f32_e32 v15, v18, v17
	s_delay_alu instid0(VALU_DEP_1) | instskip(NEXT) | instid1(VALU_DEP_4)
	v_add_f32_e32 v11, v15, v11
	v_sub_f32_e32 v15, v14, v19
	s_delay_alu instid0(VALU_DEP_2) | instskip(NEXT) | instid1(VALU_DEP_2)
	v_add_f32_e32 v11, v66, v11
	v_sub_f32_e32 v15, v16, v15
	s_delay_alu instid0(VALU_DEP_2) | instskip(NEXT) | instid1(VALU_DEP_1)
	v_mul_f32_e32 v11, v13, v11
	v_add_f32_e32 v11, v15, v11
	s_delay_alu instid0(VALU_DEP_1) | instskip(NEXT) | instid1(VALU_DEP_1)
	v_add_f32_e32 v13, v14, v11
	v_mul_f32_e32 v15, v13, v13
	s_delay_alu instid0(VALU_DEP_1) | instskip(SKIP_1) | instid1(VALU_DEP_2)
	v_fmaak_f32 v16, s31, v15, 0x3ecc95a3
	v_mul_f32_e32 v17, v13, v15
	v_fmaak_f32 v15, v15, v16, 0x3f2aaada
	v_ldexp_f32 v16, v13, 1
	v_sub_f32_e32 v13, v13, v14
	s_delay_alu instid0(VALU_DEP_3) | instskip(SKIP_1) | instid1(VALU_DEP_2)
	v_mul_f32_e32 v15, v17, v15
	v_mul_f32_e32 v17, 0x3f317218, v10
	v_dual_sub_f32 v11, v11, v13 :: v_dual_add_f32 v14, v16, v15
	s_delay_alu instid0(VALU_DEP_1) | instskip(NEXT) | instid1(VALU_DEP_2)
	v_ldexp_f32 v11, v11, 1
	v_sub_f32_e32 v13, v14, v16
	s_delay_alu instid0(VALU_DEP_4) | instskip(NEXT) | instid1(VALU_DEP_1)
	v_fma_f32 v16, 0x3f317218, v10, -v17
	v_dual_sub_f32 v13, v15, v13 :: v_dual_fmac_f32 v16, 0xb102e308, v10
	s_delay_alu instid0(VALU_DEP_1) | instskip(NEXT) | instid1(VALU_DEP_1)
	v_dual_add_f32 v10, v11, v13 :: v_dual_add_f32 v11, v17, v16
	v_add_f32_e32 v13, v14, v10
	s_delay_alu instid0(VALU_DEP_2) | instskip(NEXT) | instid1(VALU_DEP_2)
	v_sub_f32_e32 v17, v11, v17
	v_dual_add_f32 v15, v11, v13 :: v_dual_sub_f32 v14, v13, v14
	s_delay_alu instid0(VALU_DEP_2) | instskip(NEXT) | instid1(VALU_DEP_2)
	v_sub_f32_e32 v16, v16, v17
	v_sub_f32_e32 v18, v15, v11
	s_delay_alu instid0(VALU_DEP_3) | instskip(NEXT) | instid1(VALU_DEP_2)
	v_sub_f32_e32 v10, v10, v14
	v_sub_f32_e32 v19, v15, v18
	;; [unrolled: 1-line block ×3, first 2 shown]
	s_delay_alu instid0(VALU_DEP_2) | instskip(NEXT) | instid1(VALU_DEP_1)
	v_dual_add_f32 v14, v16, v10 :: v_dual_sub_f32 v11, v11, v19
	v_add_f32_e32 v11, v13, v11
	s_delay_alu instid0(VALU_DEP_2) | instskip(NEXT) | instid1(VALU_DEP_2)
	v_sub_f32_e32 v13, v14, v16
	v_add_f32_e32 v11, v14, v11
	s_delay_alu instid0(VALU_DEP_2) | instskip(NEXT) | instid1(VALU_DEP_2)
	v_sub_f32_e32 v14, v14, v13
	v_dual_sub_f32 v10, v10, v13 :: v_dual_add_f32 v17, v15, v11
	s_delay_alu instid0(VALU_DEP_1) | instskip(NEXT) | instid1(VALU_DEP_1)
	v_dual_sub_f32 v14, v16, v14 :: v_dual_sub_f32 v13, v17, v15
	v_dual_add_f32 v10, v10, v14 :: v_dual_sub_f32 v11, v11, v13
	s_delay_alu instid0(VALU_DEP_1) | instskip(NEXT) | instid1(VALU_DEP_1)
	v_add_f32_e32 v10, v10, v11
	v_add_f32_e32 v10, v17, v10
	s_delay_alu instid0(VALU_DEP_1)
	v_cndmask_b32_e32 v74, v10, v12, vcc_lo
.LBB138_58:                             ;   in Loop: Header=BB138_12 Depth=1
	s_or_b32 exec_lo, exec_lo, s21
	v_dual_mul_f32 v66, s61, v8 :: v_dual_mul_f32 v67, s61, v7
	v_dual_mul_f32 v68, s61, v6 :: v_dual_mul_f32 v69, s61, v5
	;; [unrolled: 1-line block ×4, first 2 shown]
	s_and_b32 vcc_lo, exec_lo, s74
	s_barrier
	buffer_gl0_inv
	s_cbranch_vccz .LBB138_122
; %bb.59:                               ;   in Loop: Header=BB138_12 Depth=1
	v_dual_mul_f32 v75, v9, v74 :: v_dual_mul_f32 v80, v8, v65
	v_add_co_u32 v9, s20, s41, v57
	s_delay_alu instid0(VALU_DEP_1) | instskip(SKIP_1) | instid1(VALU_DEP_1)
	v_add_co_ci_u32_e64 v10, null, s67, 0, s20
	v_add_co_u32 v11, s20, s53, v57
	v_add_co_ci_u32_e64 v12, null, s68, 0, s20
	s_delay_alu instid0(VALU_DEP_4) | instskip(NEXT) | instid1(VALU_DEP_4)
	v_add_co_u32 v76, vcc_lo, v9, v58
	v_add_co_ci_u32_e32 v77, vcc_lo, 0, v10, vcc_lo
	s_delay_alu instid0(VALU_DEP_4) | instskip(NEXT) | instid1(VALU_DEP_4)
	v_add_co_u32 v78, vcc_lo, v11, v58
	v_add_co_ci_u32_e32 v79, vcc_lo, 0, v12, vcc_lo
	v_cmp_gt_u32_e32 vcc_lo, s23, v20
	s_cmp_lg_u32 s78, 0
	v_cmp_gt_u32_e64 s21, s23, v50
	s_cselect_b32 s39, -1, 0
	s_cmp_eq_u32 s78, s76
	v_cmp_gt_u32_e64 s22, s23, v51
	s_cselect_b32 s79, -1, 0
	s_or_b32 s20, s75, vcc_lo
	v_cmp_gt_u32_e32 vcc_lo, s23, v52
	v_cmp_gt_u32_e64 s24, s23, v53
	v_cmp_gt_u32_e64 s25, s23, v54
	;; [unrolled: 1-line block ×4, first 2 shown]
	v_dual_mul_f32 v81, v7, v64 :: v_dual_mul_f32 v82, v6, v63
	v_dual_mul_f32 v83, v5, v62 :: v_dual_mul_f32 v84, v4, v61
	;; [unrolled: 1-line block ×3, first 2 shown]
	s_or_b32 s21, s75, s21
	s_or_b32 s22, s75, s22
	s_or_b32 s23, s75, vcc_lo
	s_or_b32 s24, s75, s24
	s_or_b32 s25, s75, s25
	;; [unrolled: 1-line block ×4, first 2 shown]
	s_mov_b32 s34, s44
	s_mov_b32 s42, 0
	;; [unrolled: 1-line block ×6, first 2 shown]
	s_branch .LBB138_61
.LBB138_60:                             ;   in Loop: Header=BB138_61 Depth=2
	s_or_b32 exec_lo, exec_lo, s28
	v_cndmask_b32_e64 v10, v100, v15, s11
	v_cndmask_b32_e64 v11, v99, v14, s11
	s_add_i32 s80, s80, -1
	s_add_i32 s81, s81, 8
	s_add_i32 s56, s56, s58
	v_fma_f32 v10, v10, v89, v18
	v_mul_f32_e32 v11, v11, v89
	s_add_i32 s54, s54, s52
	s_add_i32 s42, s42, s40
	;; [unrolled: 1-line block ×3, first 2 shown]
	v_cndmask_b32_e64 v10, v10, v18, s10
	v_cndmask_b32_e64 v11, v11, v89, s10
	s_cmp_eq_u32 s80, 0
	s_waitcnt lgkmcnt(0)
	s_delay_alu instid0(VALU_DEP_1) | instskip(NEXT) | instid1(VALU_DEP_1)
	v_fmac_f32_e32 v10, v12, v11
	v_fmac_f32_e32 v16, v10, v88
	s_delay_alu instid0(VALU_DEP_1) | instskip(NEXT) | instid1(VALU_DEP_1)
	v_dual_fmac_f32 v19, v16, v91 :: v_dual_fmac_f32 v72, v9, v16
	v_fmac_f32_e32 v17, v19, v92
	v_fmac_f32_e32 v73, v8, v10
	s_delay_alu instid0(VALU_DEP_2) | instskip(SKIP_1) | instid1(VALU_DEP_2)
	v_fmac_f32_e32 v87, v17, v94
	v_fmac_f32_e32 v69, v7, v17
	;; [unrolled: 1-line block ×5, first 2 shown]
	s_delay_alu instid0(VALU_DEP_3) | instskip(NEXT) | instid1(VALU_DEP_1)
	v_fmac_f32_e32 v93, v90, v96
	v_dual_fmac_f32 v67, v3, v90 :: v_dual_fmac_f32 v66, v4, v93
	v_fmac_f32_e32 v95, v93, v97
	s_delay_alu instid0(VALU_DEP_1)
	v_fmac_f32_e32 v71, v5, v95
	s_cbranch_scc1 .LBB138_122
.LBB138_61:                             ;   Parent Loop BB138_12 Depth=1
                                        ; =>  This Inner Loop Header: Depth=2
	s_lshl_b64 s[28:29], s[34:35], 2
	s_mov_b32 s43, s35
	s_add_u32 s28, s66, s28
	s_addc_u32 s29, s59, s29
	s_mov_b32 s45, s44
	global_load_b32 v87, v1, s[28:29]
	s_lshl_b64 s[28:29], s[42:43], 2
	s_mov_b32 s46, s44
	s_mov_b32 s47, s44
	;; [unrolled: 1-line block ×6, first 2 shown]
	v_add_co_u32 v10, vcc_lo, v76, s28
	v_dual_mov_b32 v2, s44 :: v_dual_mov_b32 v3, s45
	v_add_co_ci_u32_e32 v11, vcc_lo, s29, v77, vcc_lo
	v_dual_mov_b32 v4, s46 :: v_dual_mov_b32 v5, s47
	v_dual_mov_b32 v6, s48 :: v_dual_mov_b32 v7, s49
	;; [unrolled: 1-line block ×3, first 2 shown]
	v_mov_b32_e32 v12, 0
	s_and_saveexec_b32 s28, s12
	s_cbranch_execnz .LBB138_81
; %bb.62:                               ;   in Loop: Header=BB138_61 Depth=2
	s_or_b32 exec_lo, exec_lo, s28
	s_and_saveexec_b32 s28, s13
	s_cbranch_execnz .LBB138_82
.LBB138_63:                             ;   in Loop: Header=BB138_61 Depth=2
	s_or_b32 exec_lo, exec_lo, s28
	s_and_saveexec_b32 s28, s14
	s_cbranch_execnz .LBB138_83
.LBB138_64:                             ;   in Loop: Header=BB138_61 Depth=2
	s_or_b32 exec_lo, exec_lo, s28
	s_and_saveexec_b32 s28, s15
	s_cbranch_execnz .LBB138_84
.LBB138_65:                             ;   in Loop: Header=BB138_61 Depth=2
	s_or_b32 exec_lo, exec_lo, s28
	s_and_saveexec_b32 s28, s16
	s_cbranch_execnz .LBB138_85
.LBB138_66:                             ;   in Loop: Header=BB138_61 Depth=2
	s_or_b32 exec_lo, exec_lo, s28
	s_and_saveexec_b32 s28, s17
	s_cbranch_execnz .LBB138_86
.LBB138_67:                             ;   in Loop: Header=BB138_61 Depth=2
	s_or_b32 exec_lo, exec_lo, s28
	s_and_saveexec_b32 s28, s18
	s_cbranch_execnz .LBB138_87
.LBB138_68:                             ;   in Loop: Header=BB138_61 Depth=2
	s_or_b32 exec_lo, exec_lo, s28
	s_and_saveexec_b32 s28, s19
	s_cbranch_execz .LBB138_70
.LBB138_69:                             ;   in Loop: Header=BB138_61 Depth=2
	global_load_b32 v9, v[10:11], off offset:896
.LBB138_70:                             ;   in Loop: Header=BB138_61 Depth=2
	s_or_b32 exec_lo, exec_lo, s28
	s_waitcnt vmcnt(0)
	ds_store_b32 v29, v12
	ds_store_b32 v30, v3 offset:128
	ds_store_b32 v31, v4 offset:256
	ds_store_b32 v32, v5 offset:384
	ds_store_b32 v33, v6 offset:512
	ds_store_b32 v34, v7 offset:640
	ds_store_b32 v35, v8 offset:768
	ds_store_b32 v36, v9 offset:896
	; wave barrier
	ds_load_2addr_b32 v[18:19], v37 offset1:1
	ds_load_2addr_b32 v[16:17], v37 offset0:2 offset1:3
	ds_load_2addr_b32 v[14:15], v37 offset0:4 offset1:5
	;; [unrolled: 1-line block ×3, first 2 shown]
	s_mov_b32 s55, s35
	s_mov_b32 s84, s35
	s_lshl_b64 s[28:29], s[54:55], 2
	s_mov_b32 s85, s35
	s_mov_b32 s86, s35
	;; [unrolled: 1-line block ×7, first 2 shown]
	v_add_co_u32 v10, vcc_lo, v78, s28
	v_dual_mov_b32 v2, s84 :: v_dual_mov_b32 v3, s85
	v_add_co_ci_u32_e32 v11, vcc_lo, s29, v79, vcc_lo
	v_dual_mov_b32 v4, s86 :: v_dual_mov_b32 v5, s87
	v_dual_mov_b32 v6, s88 :: v_dual_mov_b32 v7, s89
	v_dual_mov_b32 v8, s90 :: v_dual_mov_b32 v9, s91
	v_mov_b32_e32 v88, 0
	s_and_saveexec_b32 s28, s12
	s_cbranch_execnz .LBB138_88
; %bb.71:                               ;   in Loop: Header=BB138_61 Depth=2
	s_or_b32 exec_lo, exec_lo, s28
	s_and_saveexec_b32 s28, s13
	s_cbranch_execnz .LBB138_89
.LBB138_72:                             ;   in Loop: Header=BB138_61 Depth=2
	s_or_b32 exec_lo, exec_lo, s28
	s_and_saveexec_b32 s28, s14
	s_cbranch_execnz .LBB138_90
.LBB138_73:                             ;   in Loop: Header=BB138_61 Depth=2
	s_or_b32 exec_lo, exec_lo, s28
	s_and_saveexec_b32 s28, s15
	s_cbranch_execnz .LBB138_91
.LBB138_74:                             ;   in Loop: Header=BB138_61 Depth=2
	s_or_b32 exec_lo, exec_lo, s28
	s_and_saveexec_b32 s28, s16
	s_cbranch_execnz .LBB138_92
.LBB138_75:                             ;   in Loop: Header=BB138_61 Depth=2
	s_or_b32 exec_lo, exec_lo, s28
	s_and_saveexec_b32 s28, s17
	s_cbranch_execnz .LBB138_93
.LBB138_76:                             ;   in Loop: Header=BB138_61 Depth=2
	s_or_b32 exec_lo, exec_lo, s28
	s_and_saveexec_b32 s28, s18
	s_cbranch_execnz .LBB138_94
.LBB138_77:                             ;   in Loop: Header=BB138_61 Depth=2
	s_or_b32 exec_lo, exec_lo, s28
	s_and_saveexec_b32 s28, s19
	s_cbranch_execz .LBB138_79
.LBB138_78:                             ;   in Loop: Header=BB138_61 Depth=2
	global_load_b32 v9, v[10:11], off offset:896
.LBB138_79:                             ;   in Loop: Header=BB138_61 Depth=2
	s_or_b32 exec_lo, exec_lo, s28
	s_waitcnt vmcnt(0)
	ds_store_b32 v29, v88 offset:2112
	ds_store_b32 v38, v3 offset:128
	;; [unrolled: 1-line block ×8, first 2 shown]
	v_add_nc_u32_e32 v4, 0x840, v37
	; wave barrier
	ds_load_2addr_b32 v[6:7], v45 offset0:2 offset1:3
	ds_load_2addr_b32 v[2:3], v45 offset0:4 offset1:5
	ds_load_2addr_b32 v[8:9], v4 offset1:1
	ds_load_2addr_b32 v[4:5], v45 offset0:6 offset1:7
	s_and_not1_b32 vcc_lo, exec_lo, s39
	s_cbranch_vccnz .LBB138_95
; %bb.80:                               ;   in Loop: Header=BB138_61 Depth=2
	v_mov_b32_e32 v10, s81
	ds_load_b64 v[10:11], v10
	s_cbranch_execz .LBB138_96
	s_branch .LBB138_99
.LBB138_81:                             ;   in Loop: Header=BB138_61 Depth=2
	global_load_b32 v12, v[10:11], off
	v_mov_b32_e32 v7, v1
	v_mov_b32_e32 v2, v1
	;; [unrolled: 1-line block ×7, first 2 shown]
	s_delay_alu instid0(VALU_DEP_2)
	v_dual_mov_b32 v8, v6 :: v_dual_mov_b32 v7, v5
	v_mov_b32_e32 v6, v4
	v_mov_b32_e32 v5, v3
	;; [unrolled: 1-line block ×5, first 2 shown]
	s_or_b32 exec_lo, exec_lo, s28
	s_and_saveexec_b32 s28, s13
	s_cbranch_execz .LBB138_63
.LBB138_82:                             ;   in Loop: Header=BB138_61 Depth=2
	global_load_b32 v3, v[10:11], off offset:128
	s_or_b32 exec_lo, exec_lo, s28
	s_and_saveexec_b32 s28, s14
	s_cbranch_execz .LBB138_64
.LBB138_83:                             ;   in Loop: Header=BB138_61 Depth=2
	global_load_b32 v4, v[10:11], off offset:256
	s_or_b32 exec_lo, exec_lo, s28
	s_and_saveexec_b32 s28, s15
	s_cbranch_execz .LBB138_65
.LBB138_84:                             ;   in Loop: Header=BB138_61 Depth=2
	global_load_b32 v5, v[10:11], off offset:384
	s_or_b32 exec_lo, exec_lo, s28
	s_and_saveexec_b32 s28, s16
	s_cbranch_execz .LBB138_66
.LBB138_85:                             ;   in Loop: Header=BB138_61 Depth=2
	global_load_b32 v6, v[10:11], off offset:512
	s_or_b32 exec_lo, exec_lo, s28
	s_and_saveexec_b32 s28, s17
	s_cbranch_execz .LBB138_67
.LBB138_86:                             ;   in Loop: Header=BB138_61 Depth=2
	global_load_b32 v7, v[10:11], off offset:640
	s_or_b32 exec_lo, exec_lo, s28
	s_and_saveexec_b32 s28, s18
	s_cbranch_execz .LBB138_68
.LBB138_87:                             ;   in Loop: Header=BB138_61 Depth=2
	global_load_b32 v8, v[10:11], off offset:768
	s_or_b32 exec_lo, exec_lo, s28
	s_and_saveexec_b32 s28, s19
	s_cbranch_execnz .LBB138_69
	s_branch .LBB138_70
.LBB138_88:                             ;   in Loop: Header=BB138_61 Depth=2
	global_load_b32 v88, v[10:11], off
	v_mov_b32_e32 v7, v1
	v_mov_b32_e32 v2, v1
	;; [unrolled: 1-line block ×7, first 2 shown]
	s_delay_alu instid0(VALU_DEP_2)
	v_dual_mov_b32 v8, v6 :: v_dual_mov_b32 v7, v5
	v_mov_b32_e32 v6, v4
	v_mov_b32_e32 v5, v3
	;; [unrolled: 1-line block ×5, first 2 shown]
	s_or_b32 exec_lo, exec_lo, s28
	s_and_saveexec_b32 s28, s13
	s_cbranch_execz .LBB138_72
.LBB138_89:                             ;   in Loop: Header=BB138_61 Depth=2
	global_load_b32 v3, v[10:11], off offset:128
	s_or_b32 exec_lo, exec_lo, s28
	s_and_saveexec_b32 s28, s14
	s_cbranch_execz .LBB138_73
.LBB138_90:                             ;   in Loop: Header=BB138_61 Depth=2
	global_load_b32 v4, v[10:11], off offset:256
	s_or_b32 exec_lo, exec_lo, s28
	s_and_saveexec_b32 s28, s15
	s_cbranch_execz .LBB138_74
.LBB138_91:                             ;   in Loop: Header=BB138_61 Depth=2
	global_load_b32 v5, v[10:11], off offset:384
	s_or_b32 exec_lo, exec_lo, s28
	s_and_saveexec_b32 s28, s16
	s_cbranch_execz .LBB138_75
.LBB138_92:                             ;   in Loop: Header=BB138_61 Depth=2
	global_load_b32 v6, v[10:11], off offset:512
	s_or_b32 exec_lo, exec_lo, s28
	s_and_saveexec_b32 s28, s17
	s_cbranch_execz .LBB138_76
.LBB138_93:                             ;   in Loop: Header=BB138_61 Depth=2
	global_load_b32 v7, v[10:11], off offset:640
	s_or_b32 exec_lo, exec_lo, s28
	s_and_saveexec_b32 s28, s18
	s_cbranch_execz .LBB138_77
.LBB138_94:                             ;   in Loop: Header=BB138_61 Depth=2
	global_load_b32 v8, v[10:11], off offset:768
	s_or_b32 exec_lo, exec_lo, s28
	s_and_saveexec_b32 s28, s19
	s_cbranch_execnz .LBB138_78
	s_branch .LBB138_79
.LBB138_95:                             ;   in Loop: Header=BB138_61 Depth=2
                                        ; implicit-def: $vgpr10
.LBB138_96:                             ;   in Loop: Header=BB138_61 Depth=2
	s_waitcnt lgkmcnt(0)
	v_mov_b32_e32 v11, 0
	s_and_not1_b32 vcc_lo, exec_lo, s33
	s_cbranch_vccnz .LBB138_98
; %bb.97:                               ;   in Loop: Header=BB138_61 Depth=2
	s_mov_b32 s57, s35
	s_delay_alu instid0(SALU_CYCLE_1) | instskip(NEXT) | instid1(SALU_CYCLE_1)
	s_lshl_b64 s[28:29], s[56:57], 2
	s_add_u32 s28, s69, s28
	s_addc_u32 s29, s70, s29
	global_load_b32 v11, v1, s[28:29]
.LBB138_98:                             ;   in Loop: Header=BB138_61 Depth=2
	v_mov_b32_e32 v10, 1.0
.LBB138_99:                             ;   in Loop: Header=BB138_61 Depth=2
	s_waitcnt lgkmcnt(15)
	v_dual_mul_f32 v93, 0x3fb8aa3b, v87 :: v_dual_mul_f32 v18, v18, v86
	s_waitcnt lgkmcnt(14)
	v_dual_mul_f32 v19, v19, v85 :: v_dual_mul_f32 v90, v16, v84
	s_waitcnt lgkmcnt(13)
	s_delay_alu instid0(VALU_DEP_2)
	v_dual_mul_f32 v15, v15, v81 :: v_dual_mul_f32 v88, v93, v60
	v_mul_f32_e32 v87, v93, v59
	v_mul_f32_e32 v94, v93, v63
	;; [unrolled: 1-line block ×3, first 2 shown]
	v_cndmask_b32_e64 v18, 0, v18, s20
	v_cmp_gt_f32_e64 s28, 0xc2fc0000, v88
	v_cmp_gt_f32_e32 vcc_lo, 0xc2fc0000, v87
	v_cndmask_b32_e64 v16, 0, v19, s21
	v_mul_f32_e32 v14, v14, v82
	s_waitcnt lgkmcnt(12)
	v_mul_f32_e32 v12, v12, v80
	v_cndmask_b32_e64 v88, 0, 0x42800000, s28
	v_cndmask_b32_e64 v91, 1.0, 0x1f800000, vcc_lo
	v_cndmask_b32_e64 v92, 1.0, 0x1f800000, s28
	v_cndmask_b32_e64 v87, 0, 0x42800000, vcc_lo
	v_cmp_gt_f32_e32 vcc_lo, 0xc2fc0000, v94
	v_fmac_f32_e32 v88, v93, v60
	s_delay_alu instid0(VALU_DEP_1) | instskip(SKIP_2) | instid1(VALU_DEP_1)
	v_exp_f32_e32 v88, v88
	s_waitcnt_depctr 0xfff
	v_dual_mul_f32 v89, v93, v61 :: v_dual_mul_f32 v88, v88, v92
	v_cmp_gt_f32_e64 s29, 0xc2fc0000, v89
	s_delay_alu instid0(VALU_DEP_2) | instskip(NEXT) | instid1(VALU_DEP_2)
	v_cndmask_b32_e64 v88, 1.0, v88, s21
	v_cndmask_b32_e64 v89, 0, 0x42800000, s29
	v_cndmask_b32_e64 v92, 1.0, 0x1f800000, s29
	s_delay_alu instid0(VALU_DEP_3) | instskip(NEXT) | instid1(VALU_DEP_3)
	v_fma_f32 v97, v88, v18, v16
	v_fmac_f32_e32 v89, v93, v61
	s_delay_alu instid0(VALU_DEP_1) | instskip(SKIP_2) | instid1(VALU_DEP_1)
	v_exp_f32_e32 v95, v89
	s_waitcnt_depctr 0xfff
	v_dual_fmac_f32 v87, v93, v59 :: v_dual_mul_f32 v92, v95, v92
	v_exp_f32_e32 v87, v87
	s_waitcnt_depctr 0xfff
	v_mul_f32_e32 v87, v87, v91
	v_cndmask_b32_e64 v91, 0, 0x42800000, vcc_lo
	s_delay_alu instid0(VALU_DEP_2) | instskip(SKIP_1) | instid1(VALU_DEP_3)
	v_cndmask_b32_e64 v89, 1.0, v87, s20
	v_mul_f32_e32 v19, v93, v62
	v_fmac_f32_e32 v91, v93, v63
	v_mul_f32_e32 v87, v93, v64
	s_delay_alu instid0(VALU_DEP_3) | instskip(NEXT) | instid1(VALU_DEP_3)
	v_cmp_gt_f32_e64 s30, 0xc2fc0000, v19
	v_exp_f32_e32 v95, v91
	v_cndmask_b32_e64 v91, 1.0, v92, s22
	s_delay_alu instid0(VALU_DEP_3) | instskip(NEXT) | instid1(VALU_DEP_3)
	v_cmp_gt_f32_e64 s28, 0xc2fc0000, v87
	v_cndmask_b32_e64 v19, 0, 0x42800000, s30
	s_delay_alu instid0(VALU_DEP_2) | instskip(NEXT) | instid1(VALU_DEP_2)
	v_cndmask_b32_e64 v87, 0, 0x42800000, s28
	v_fmac_f32_e32 v19, v93, v62
	s_delay_alu instid0(VALU_DEP_1)
	v_exp_f32_e32 v94, v19
	v_cndmask_b32_e64 v19, 0, v90, s22
	v_cndmask_b32_e64 v90, 1.0, 0x1f800000, s30
	s_waitcnt_depctr 0xfff
	v_mul_f32_e32 v90, v94, v90
	v_cndmask_b32_e64 v94, 1.0, 0x1f800000, vcc_lo
	v_cmp_gt_f32_e32 vcc_lo, 0xc2fc0000, v96
	v_mul_f32_e32 v96, v93, v74
	s_delay_alu instid0(VALU_DEP_4) | instskip(NEXT) | instid1(VALU_DEP_4)
	v_cndmask_b32_e64 v92, 1.0, v90, s23
	v_mul_f32_e32 v94, v95, v94
	v_cndmask_b32_e64 v95, 0, 0x42800000, vcc_lo
	s_delay_alu instid0(VALU_DEP_2) | instskip(SKIP_1) | instid1(VALU_DEP_3)
	v_cndmask_b32_e64 v94, 1.0, v94, s24
	v_fmac_f32_e32 v87, v93, v64
	v_fmac_f32_e32 v95, v93, v65
	s_delay_alu instid0(VALU_DEP_2)
	v_exp_f32_e32 v90, v87
	v_cndmask_b32_e64 v87, 0, v14, s24
	v_cndmask_b32_e64 v14, 1.0, 0x1f800000, s28
	v_cmp_gt_f32_e64 s28, 0xc2fc0000, v96
	v_dual_mul_f32 v17, v17, v83 :: v_dual_mul_f32 v96, v88, v89
	v_exp_f32_e32 v95, v95
	s_waitcnt_depctr 0xfff
	v_mul_f32_e32 v14, v90, v14
	v_cndmask_b32_e64 v90, 0, v15, s25
	v_cndmask_b32_e64 v15, 0, 0x42800000, s28
	;; [unrolled: 1-line block ×3, first 2 shown]
	s_delay_alu instid0(VALU_DEP_4) | instskip(NEXT) | instid1(VALU_DEP_3)
	v_cndmask_b32_e64 v98, 1.0, v14, s25
	v_dual_mul_f32 v14, v96, v91 :: v_dual_fmac_f32 v15, v93, v74
	v_fma_f32 v93, v97, v91, v19
	v_cndmask_b32_e64 v96, 1.0, 0x1f800000, vcc_lo
	s_delay_alu instid0(VALU_DEP_3) | instskip(NEXT) | instid1(VALU_DEP_4)
	v_mul_f32_e32 v14, v14, v92
	v_exp_f32_e32 v15, v15
	s_delay_alu instid0(VALU_DEP_3) | instskip(SKIP_3) | instid1(VALU_DEP_4)
	v_fma_f32 v97, v93, v92, v17
	v_cndmask_b32_e64 v93, 0, v12, s26
	v_cndmask_b32_e64 v12, 1.0, 0x1f800000, s28
	v_dual_mul_f32 v14, v14, v94 :: v_dual_mul_f32 v95, v95, v96
	v_fma_f32 v97, v97, v94, v87
	s_delay_alu instid0(VALU_DEP_2)
	v_dual_mul_f32 v13, v13, v75 :: v_dual_mul_f32 v14, v14, v98
	s_delay_alu instid0(TRANS32_DEP_1) | instid1(VALU_DEP_4)
	v_mul_f32_e32 v12, v15, v12
	s_delay_alu instid0(VALU_DEP_4) | instskip(NEXT) | instid1(VALU_DEP_4)
	v_cndmask_b32_e64 v96, 1.0, v95, s26
	v_fma_f32 v15, v97, v98, v90
	s_delay_alu instid0(VALU_DEP_4) | instskip(NEXT) | instid1(VALU_DEP_4)
	v_cndmask_b32_e64 v95, 0, v13, s27
	v_cndmask_b32_e64 v97, 1.0, v12, s27
	s_delay_alu instid0(VALU_DEP_4) | instskip(NEXT) | instid1(VALU_DEP_4)
	v_mul_f32_e32 v12, v14, v96
	v_fma_f32 v13, v15, v96, v93
	s_delay_alu instid0(VALU_DEP_2) | instskip(NEXT) | instid1(VALU_DEP_2)
	v_mul_f32_e32 v12, v12, v97
	v_fma_f32 v13, v13, v97, v95
	s_delay_alu instid0(VALU_DEP_2) | instskip(NEXT) | instid1(VALU_DEP_2)
	v_mov_b32_dpp v15, v12 row_shr:1 row_mask:0xf bank_mask:0xf
	v_mov_b32_dpp v14, v13 row_shr:1 row_mask:0xf bank_mask:0xf
	s_and_saveexec_b32 s28, s0
; %bb.100:                              ;   in Loop: Header=BB138_61 Depth=2
	s_delay_alu instid0(VALU_DEP_2) | instskip(NEXT) | instid1(VALU_DEP_1)
	v_mul_f32_e32 v15, v12, v15
	v_dual_fmac_f32 v13, v12, v14 :: v_dual_mov_b32 v12, v15
; %bb.101:                              ;   in Loop: Header=BB138_61 Depth=2
	s_or_b32 exec_lo, exec_lo, s28
	s_delay_alu instid0(VALU_DEP_1) | instskip(NEXT) | instid1(VALU_DEP_2)
	v_mov_b32_dpp v14, v12 row_shr:2 row_mask:0xf bank_mask:0xf
	v_mov_b32_dpp v15, v13 row_shr:2 row_mask:0xf bank_mask:0xf
	s_and_saveexec_b32 s28, s1
; %bb.102:                              ;   in Loop: Header=BB138_61 Depth=2
	s_delay_alu instid0(VALU_DEP_1) | instskip(NEXT) | instid1(VALU_DEP_3)
	v_fmac_f32_e32 v13, v12, v15
	v_mul_f32_e32 v12, v12, v14
; %bb.103:                              ;   in Loop: Header=BB138_61 Depth=2
	s_or_b32 exec_lo, exec_lo, s28
	s_delay_alu instid0(VALU_DEP_1) | instskip(NEXT) | instid1(VALU_DEP_3)
	v_mov_b32_dpp v14, v12 row_shr:4 row_mask:0xf bank_mask:0xf
	v_mov_b32_dpp v15, v13 row_shr:4 row_mask:0xf bank_mask:0xf
	s_and_saveexec_b32 s28, s2
; %bb.104:                              ;   in Loop: Header=BB138_61 Depth=2
	s_delay_alu instid0(VALU_DEP_1) | instskip(NEXT) | instid1(VALU_DEP_3)
	v_fmac_f32_e32 v13, v12, v15
	v_mul_f32_e32 v12, v12, v14
; %bb.105:                              ;   in Loop: Header=BB138_61 Depth=2
	s_or_b32 exec_lo, exec_lo, s28
	s_delay_alu instid0(VALU_DEP_1) | instskip(NEXT) | instid1(VALU_DEP_3)
	v_mov_b32_dpp v14, v12 row_shr:8 row_mask:0xf bank_mask:0xf
	v_mov_b32_dpp v15, v13 row_shr:8 row_mask:0xf bank_mask:0xf
	s_and_saveexec_b32 s28, s3
; %bb.106:                              ;   in Loop: Header=BB138_61 Depth=2
	s_delay_alu instid0(VALU_DEP_1) | instskip(NEXT) | instid1(VALU_DEP_3)
	v_fmac_f32_e32 v13, v12, v15
	v_mul_f32_e32 v12, v12, v14
; %bb.107:                              ;   in Loop: Header=BB138_61 Depth=2
	s_or_b32 exec_lo, exec_lo, s28
	ds_swizzle_b32 v15, v12 offset:swizzle(BROADCAST,32,15)
	ds_swizzle_b32 v14, v13 offset:swizzle(BROADCAST,32,15)
	s_and_saveexec_b32 s28, s4
	s_cbranch_execz .LBB138_109
; %bb.108:                              ;   in Loop: Header=BB138_61 Depth=2
	s_waitcnt lgkmcnt(1)
	v_mul_f32_e32 v15, v12, v15
	s_waitcnt lgkmcnt(0)
	s_delay_alu instid0(VALU_DEP_1)
	v_dual_fmac_f32 v13, v12, v14 :: v_dual_mov_b32 v12, v15
.LBB138_109:                            ;   in Loop: Header=BB138_61 Depth=2
	s_or_b32 exec_lo, exec_lo, s28
	s_and_saveexec_b32 s28, s5
	s_cbranch_execz .LBB138_111
; %bb.110:                              ;   in Loop: Header=BB138_61 Depth=2
	ds_store_b64 v46, v[12:13] offset:4224
.LBB138_111:                            ;   in Loop: Header=BB138_61 Depth=2
	s_or_b32 exec_lo, exec_lo, s28
	s_waitcnt vmcnt(0) lgkmcnt(0)
	s_waitcnt_vscnt null, 0x0
	s_barrier
	buffer_gl0_inv
	s_and_saveexec_b32 s28, s6
	s_cbranch_execz .LBB138_113
; %bb.112:                              ;   in Loop: Header=BB138_61 Depth=2
	ds_load_b64 v[14:15], v47 offset:4224
	s_waitcnt lgkmcnt(0)
	v_mov_b32_dpp v99, v14 row_shr:1 row_mask:0xf bank_mask:0xf
	v_mov_b32_dpp v100, v15 row_shr:1 row_mask:0xf bank_mask:0xf
	s_delay_alu instid0(VALU_DEP_2) | instskip(NEXT) | instid1(VALU_DEP_2)
	v_mul_f32_e32 v99, v14, v99
	v_fma_f32 v100, v14, v100, v15
	s_delay_alu instid0(VALU_DEP_2) | instskip(NEXT) | instid1(VALU_DEP_2)
	v_cndmask_b32_e64 v14, v99, v14, s7
	v_cndmask_b32_e64 v15, v100, v15, s7
	ds_store_b64 v47, v[14:15] offset:4224
.LBB138_113:                            ;   in Loop: Header=BB138_61 Depth=2
	s_or_b32 exec_lo, exec_lo, s28
	s_waitcnt lgkmcnt(0)
	s_barrier
	buffer_gl0_inv
                                        ; implicit-def: $vgpr15
	s_and_saveexec_b32 s28, s9
	s_cbranch_execz .LBB138_115
; %bb.114:                              ;   in Loop: Header=BB138_61 Depth=2
	ds_load_b64 v[14:15], v46 offset:4216
	s_waitcnt lgkmcnt(0)
	v_mul_f32_e32 v99, v12, v14
	s_delay_alu instid0(VALU_DEP_1)
	v_dual_fmac_f32 v13, v12, v15 :: v_dual_mov_b32 v12, v99
.LBB138_115:                            ;   in Loop: Header=BB138_61 Depth=2
	s_or_b32 exec_lo, exec_lo, s28
	ds_bpermute_b32 v99, v48, v12
	ds_bpermute_b32 v100, v48, v13
	s_and_saveexec_b32 s28, s8
	s_cbranch_execz .LBB138_119
; %bb.116:                              ;   in Loop: Header=BB138_61 Depth=2
	ds_load_b64 v[12:13], v1 offset:4232
	s_and_saveexec_b32 s29, s10
	s_cbranch_execz .LBB138_118
; %bb.117:                              ;   in Loop: Header=BB138_61 Depth=2
	ds_store_b64 v1, v[10:11] offset:4232
.LBB138_118:                            ;   in Loop: Header=BB138_61 Depth=2
	s_or_b32 exec_lo, exec_lo, s29
	s_waitcnt lgkmcnt(0)
	v_fmac_f32_e32 v13, v11, v12
	s_delay_alu instid0(VALU_DEP_1)
	v_dual_mul_f32 v10, v10, v12 :: v_dual_mov_b32 v11, v13
.LBB138_119:                            ;   in Loop: Header=BB138_61 Depth=2
	s_or_b32 exec_lo, exec_lo, s28
	s_waitcnt lgkmcnt(0)
	s_barrier
	buffer_gl0_inv
	ds_load_b32 v12, v1 offset:4236
	s_and_saveexec_b32 s28, s10
	s_cbranch_execz .LBB138_60
; %bb.120:                              ;   in Loop: Header=BB138_61 Depth=2
	v_mov_b32_e32 v13, s81
	s_and_not1_b32 vcc_lo, exec_lo, s79
	ds_store_b64 v13, v[10:11]
	s_cbranch_vccnz .LBB138_60
; %bb.121:                              ;   in Loop: Header=BB138_61 Depth=2
	s_mov_b32 s57, s35
	s_delay_alu instid0(SALU_CYCLE_1) | instskip(NEXT) | instid1(SALU_CYCLE_1)
	s_lshl_b64 s[46:47], s[56:57], 2
	s_add_u32 s46, s69, s46
	s_addc_u32 s47, s70, s47
	global_store_b32 v1, v11, s[46:47]
	s_branch .LBB138_60
.LBB138_122:                            ;   in Loop: Header=BB138_12 Depth=1
	s_waitcnt_vscnt null, 0x0
	s_barrier
	buffer_gl0_inv
	ds_store_2addr_b32 v37, v73, v72 offset1:1
	ds_store_2addr_b32 v37, v70, v69 offset0:2 offset1:3
	ds_store_2addr_b32 v37, v68, v67 offset0:4 offset1:5
	;; [unrolled: 1-line block ×3, first 2 shown]
	; wave barrier
	ds_load_b32 v10, v30 offset:128
	ds_load_b32 v9, v31 offset:256
	;; [unrolled: 1-line block ×7, first 2 shown]
	s_mov_b32 s39, s35
	s_delay_alu instid0(SALU_CYCLE_1) | instskip(NEXT) | instid1(SALU_CYCLE_1)
	s_lshl_b64 s[20:21], s[38:39], 2
	v_add_co_u32 v2, vcc_lo, v0, s20
	v_add_co_ci_u32_e32 v3, vcc_lo, s21, v49, vcc_lo
	s_and_saveexec_b32 s20, s12
	s_cbranch_execnz .LBB138_132
; %bb.123:                              ;   in Loop: Header=BB138_12 Depth=1
	s_or_b32 exec_lo, exec_lo, s20
	s_and_saveexec_b32 s12, s13
	s_cbranch_execnz .LBB138_133
.LBB138_124:                            ;   in Loop: Header=BB138_12 Depth=1
	s_or_b32 exec_lo, exec_lo, s12
	s_and_saveexec_b32 s12, s14
	s_cbranch_execnz .LBB138_134
.LBB138_125:                            ;   in Loop: Header=BB138_12 Depth=1
	s_or_b32 exec_lo, exec_lo, s12
	s_and_saveexec_b32 s12, s15
	s_cbranch_execnz .LBB138_135
.LBB138_126:                            ;   in Loop: Header=BB138_12 Depth=1
	s_or_b32 exec_lo, exec_lo, s12
	s_and_saveexec_b32 s12, s16
	s_cbranch_execnz .LBB138_136
.LBB138_127:                            ;   in Loop: Header=BB138_12 Depth=1
	s_or_b32 exec_lo, exec_lo, s12
	s_and_saveexec_b32 s12, s17
	s_cbranch_execnz .LBB138_137
.LBB138_128:                            ;   in Loop: Header=BB138_12 Depth=1
	s_or_b32 exec_lo, exec_lo, s12
	s_and_saveexec_b32 s12, s18
	s_cbranch_execnz .LBB138_138
.LBB138_129:                            ;   in Loop: Header=BB138_12 Depth=1
	s_or_b32 exec_lo, exec_lo, s12
	s_and_saveexec_b32 s12, s19
	s_cbranch_execz .LBB138_11
	s_branch .LBB138_139
.LBB138_130:                            ;   in Loop: Header=BB138_12 Depth=1
	global_load_b32 v18, v[10:11], off offset:640
	s_or_b32 exec_lo, exec_lo, s20
	s_and_saveexec_b32 s20, s18
	s_cbranch_execz .LBB138_40
.LBB138_131:                            ;   in Loop: Header=BB138_12 Depth=1
	global_load_b32 v17, v[10:11], off offset:768
	s_or_b32 exec_lo, exec_lo, s20
	v_mov_b32_e32 v19, 0
	s_and_saveexec_b32 s20, s19
	s_cbranch_execnz .LBB138_41
	s_branch .LBB138_42
.LBB138_132:                            ;   in Loop: Header=BB138_12 Depth=1
	ds_load_b32 v11, v29
	s_waitcnt lgkmcnt(0)
	global_store_b32 v[2:3], v11, off
	s_or_b32 exec_lo, exec_lo, s20
	s_and_saveexec_b32 s12, s13
	s_cbranch_execz .LBB138_124
.LBB138_133:                            ;   in Loop: Header=BB138_12 Depth=1
	s_waitcnt lgkmcnt(6)
	global_store_b32 v[2:3], v10, off offset:128
	s_or_b32 exec_lo, exec_lo, s12
	s_and_saveexec_b32 s12, s14
	s_cbranch_execz .LBB138_125
.LBB138_134:                            ;   in Loop: Header=BB138_12 Depth=1
	s_waitcnt lgkmcnt(5)
	global_store_b32 v[2:3], v9, off offset:256
	s_or_b32 exec_lo, exec_lo, s12
	s_and_saveexec_b32 s12, s15
	s_cbranch_execz .LBB138_126
.LBB138_135:                            ;   in Loop: Header=BB138_12 Depth=1
	s_waitcnt lgkmcnt(4)
	global_store_b32 v[2:3], v8, off offset:384
	s_or_b32 exec_lo, exec_lo, s12
	s_and_saveexec_b32 s12, s16
	s_cbranch_execz .LBB138_127
.LBB138_136:                            ;   in Loop: Header=BB138_12 Depth=1
	s_waitcnt lgkmcnt(3)
	global_store_b32 v[2:3], v7, off offset:512
	s_or_b32 exec_lo, exec_lo, s12
	s_and_saveexec_b32 s12, s17
	s_cbranch_execz .LBB138_128
.LBB138_137:                            ;   in Loop: Header=BB138_12 Depth=1
	s_waitcnt lgkmcnt(2)
	global_store_b32 v[2:3], v6, off offset:640
	s_or_b32 exec_lo, exec_lo, s12
	s_and_saveexec_b32 s12, s18
	s_cbranch_execz .LBB138_129
.LBB138_138:                            ;   in Loop: Header=BB138_12 Depth=1
	s_waitcnt lgkmcnt(1)
	global_store_b32 v[2:3], v5, off offset:768
	s_or_b32 exec_lo, exec_lo, s12
	s_and_saveexec_b32 s12, s19
	s_cbranch_execz .LBB138_11
.LBB138_139:                            ;   in Loop: Header=BB138_12 Depth=1
	s_waitcnt lgkmcnt(0)
	global_store_b32 v[2:3], v4, off offset:896
	s_branch .LBB138_11
.LBB138_140:
	s_nop 0
	s_sendmsg sendmsg(MSG_DEALLOC_VGPRS)
	s_endpgm
	.section	.rodata,"a",@progbits
	.p2align	6, 0x0
	.amdhsa_kernel _Z25selective_scan_fwd_kernelI32Selective_Scan_fwd_kernel_traitsILi64ELi8ELi1ELb1ELb1ELb1ELb0ELb1EfffEEv13SSMParamsBase
		.amdhsa_group_segment_fixed_size 0
		.amdhsa_private_segment_fixed_size 0
		.amdhsa_kernarg_size 248
		.amdhsa_user_sgpr_count 14
		.amdhsa_user_sgpr_dispatch_ptr 0
		.amdhsa_user_sgpr_queue_ptr 0
		.amdhsa_user_sgpr_kernarg_segment_ptr 1
		.amdhsa_user_sgpr_dispatch_id 0
		.amdhsa_user_sgpr_private_segment_size 0
		.amdhsa_wavefront_size32 1
		.amdhsa_uses_dynamic_stack 0
		.amdhsa_enable_private_segment 0
		.amdhsa_system_sgpr_workgroup_id_x 1
		.amdhsa_system_sgpr_workgroup_id_y 1
		.amdhsa_system_sgpr_workgroup_id_z 0
		.amdhsa_system_sgpr_workgroup_info 0
		.amdhsa_system_vgpr_workitem_id 0
		.amdhsa_next_free_vgpr 101
		.amdhsa_next_free_sgpr 92
		.amdhsa_reserve_vcc 1
		.amdhsa_float_round_mode_32 0
		.amdhsa_float_round_mode_16_64 0
		.amdhsa_float_denorm_mode_32 3
		.amdhsa_float_denorm_mode_16_64 3
		.amdhsa_dx10_clamp 1
		.amdhsa_ieee_mode 1
		.amdhsa_fp16_overflow 0
		.amdhsa_workgroup_processor_mode 1
		.amdhsa_memory_ordered 1
		.amdhsa_forward_progress 0
		.amdhsa_shared_vgpr_count 0
		.amdhsa_exception_fp_ieee_invalid_op 0
		.amdhsa_exception_fp_denorm_src 0
		.amdhsa_exception_fp_ieee_div_zero 0
		.amdhsa_exception_fp_ieee_overflow 0
		.amdhsa_exception_fp_ieee_underflow 0
		.amdhsa_exception_fp_ieee_inexact 0
		.amdhsa_exception_int_div_zero 0
	.end_amdhsa_kernel
	.section	.text._Z25selective_scan_fwd_kernelI32Selective_Scan_fwd_kernel_traitsILi64ELi8ELi1ELb1ELb1ELb1ELb0ELb1EfffEEv13SSMParamsBase,"axG",@progbits,_Z25selective_scan_fwd_kernelI32Selective_Scan_fwd_kernel_traitsILi64ELi8ELi1ELb1ELb1ELb1ELb0ELb1EfffEEv13SSMParamsBase,comdat
.Lfunc_end138:
	.size	_Z25selective_scan_fwd_kernelI32Selective_Scan_fwd_kernel_traitsILi64ELi8ELi1ELb1ELb1ELb1ELb0ELb1EfffEEv13SSMParamsBase, .Lfunc_end138-_Z25selective_scan_fwd_kernelI32Selective_Scan_fwd_kernel_traitsILi64ELi8ELi1ELb1ELb1ELb1ELb0ELb1EfffEEv13SSMParamsBase
                                        ; -- End function
	.section	.AMDGPU.csdata,"",@progbits
; Kernel info:
; codeLenInByte = 11764
; NumSgprs: 94
; NumVgprs: 101
; ScratchSize: 0
; MemoryBound: 0
; FloatMode: 240
; IeeeMode: 1
; LDSByteSize: 0 bytes/workgroup (compile time only)
; SGPRBlocks: 11
; VGPRBlocks: 12
; NumSGPRsForWavesPerEU: 94
; NumVGPRsForWavesPerEU: 101
; Occupancy: 12
; WaveLimiterHint : 1
; COMPUTE_PGM_RSRC2:SCRATCH_EN: 0
; COMPUTE_PGM_RSRC2:USER_SGPR: 14
; COMPUTE_PGM_RSRC2:TRAP_HANDLER: 0
; COMPUTE_PGM_RSRC2:TGID_X_EN: 1
; COMPUTE_PGM_RSRC2:TGID_Y_EN: 1
; COMPUTE_PGM_RSRC2:TGID_Z_EN: 0
; COMPUTE_PGM_RSRC2:TIDIG_COMP_CNT: 0
	.section	.text._Z25selective_scan_fwd_kernelI32Selective_Scan_fwd_kernel_traitsILi64ELi8ELi1ELb1ELb1ELb1ELb0ELb0EfffEEv13SSMParamsBase,"axG",@progbits,_Z25selective_scan_fwd_kernelI32Selective_Scan_fwd_kernel_traitsILi64ELi8ELi1ELb1ELb1ELb1ELb0ELb0EfffEEv13SSMParamsBase,comdat
	.protected	_Z25selective_scan_fwd_kernelI32Selective_Scan_fwd_kernel_traitsILi64ELi8ELi1ELb1ELb1ELb1ELb0ELb0EfffEEv13SSMParamsBase ; -- Begin function _Z25selective_scan_fwd_kernelI32Selective_Scan_fwd_kernel_traitsILi64ELi8ELi1ELb1ELb1ELb1ELb0ELb0EfffEEv13SSMParamsBase
	.globl	_Z25selective_scan_fwd_kernelI32Selective_Scan_fwd_kernel_traitsILi64ELi8ELi1ELb1ELb1ELb1ELb0ELb0EfffEEv13SSMParamsBase
	.p2align	8
	.type	_Z25selective_scan_fwd_kernelI32Selective_Scan_fwd_kernel_traitsILi64ELi8ELi1ELb1ELb1ELb1ELb0ELb0EfffEEv13SSMParamsBase,@function
_Z25selective_scan_fwd_kernelI32Selective_Scan_fwd_kernel_traitsILi64ELi8ELi1ELb1ELb1ELb1ELb0ELb0EfffEEv13SSMParamsBase: ; @_Z25selective_scan_fwd_kernelI32Selective_Scan_fwd_kernel_traitsILi64ELi8ELi1ELb1ELb1ELb1ELb0ELb0EfffEEv13SSMParamsBase
; %bb.0:
	s_clause 0x1
	s_load_b32 s9, s[0:1], 0x18
	s_load_b128 s[4:7], s[0:1], 0xe8
	s_mov_b32 s48, s15
	s_mov_b32 s33, 0
	s_waitcnt lgkmcnt(0)
	s_abs_i32 s8, s9
	s_cmp_eq_u64 s[6:7], 0
	v_cvt_f32_u32_e32 v1, s8
	s_delay_alu instid0(VALU_DEP_1) | instskip(SKIP_2) | instid1(VALU_DEP_1)
	v_rcp_iflag_f32_e32 v1, v1
	s_waitcnt_depctr 0xfff
	v_mul_f32_e32 v1, 0x4f7ffffe, v1
	v_cvt_u32_f32_e32 v1, v1
	s_delay_alu instid0(VALU_DEP_1)
	v_readfirstlane_b32 s10, v1
	s_cbranch_scc1 .LBB139_2
; %bb.1:
	v_mov_b32_e32 v1, 0
	s_ashr_i32 s3, s14, 31
	s_add_u32 s2, s6, s14
	s_addc_u32 s3, s7, s3
	global_load_u8 v1, v1, s[2:3]
	s_waitcnt vmcnt(0)
	v_and_b32_e32 v1, 1, v1
	s_delay_alu instid0(VALU_DEP_1)
	v_cmp_eq_u32_e64 s33, 1, v1
.LBB139_2:
	s_load_b64 s[6:7], s[0:1], 0x20
	s_cmp_eq_u64 s[4:5], 0
	s_cbranch_scc1 .LBB139_4
; %bb.3:
	s_ashr_i32 s15, s14, 31
	s_delay_alu instid0(SALU_CYCLE_1) | instskip(NEXT) | instid1(SALU_CYCLE_1)
	s_lshl_b64 s[2:3], s[14:15], 2
	s_add_u32 s2, s4, s2
	s_addc_u32 s3, s5, s3
	s_load_b32 s2, s[2:3], 0x0
	s_waitcnt lgkmcnt(0)
	s_ashr_i32 s3, s2, 31
	s_delay_alu instid0(SALU_CYCLE_1)
	s_cmp_eq_u64 s[6:7], s[2:3]
	s_cbranch_scc0 .LBB139_5
	s_branch .LBB139_68
.LBB139_4:
	s_mov_b32 s2, s14
	s_delay_alu instid0(SALU_CYCLE_1)
	s_ashr_i32 s3, s2, 31
	s_waitcnt lgkmcnt(0)
	s_cmp_eq_u64 s[6:7], s[2:3]
	s_cbranch_scc1 .LBB139_68
.LBB139_5:
	s_clause 0x1
	s_load_b512 s[16:31], s[0:1], 0x88
	s_load_b64 s[34:35], s[0:1], 0x8
	s_mov_b32 s50, 0
	s_mov_b32 s51, 0
	s_waitcnt lgkmcnt(0)
	s_cmp_eq_u64 s[22:23], 0
	s_cbranch_scc1 .LBB139_7
; %bb.6:
	s_ashr_i32 s49, s48, 31
	s_delay_alu instid0(SALU_CYCLE_1) | instskip(NEXT) | instid1(SALU_CYCLE_1)
	s_lshl_b64 s[4:5], s[48:49], 2
	s_add_u32 s4, s22, s4
	s_addc_u32 s5, s23, s5
	s_load_b32 s51, s[4:5], 0x0
.LBB139_7:
	s_cmp_eq_u64 s[28:29], 0
	s_cbranch_scc1 .LBB139_9
; %bb.8:
	s_ashr_i32 s49, s48, 31
	s_delay_alu instid0(SALU_CYCLE_1) | instskip(NEXT) | instid1(SALU_CYCLE_1)
	s_lshl_b64 s[4:5], s[48:49], 2
	s_add_u32 s4, s28, s4
	s_addc_u32 s5, s29, s5
	s_load_b32 s50, s[4:5], 0x0
.LBB139_9:
	s_cmp_lt_i32 s34, 1
	s_cbranch_scc1 .LBB139_68
; %bb.10:
	s_sub_i32 s3, 0, s8
	s_clause 0x1
	s_load_b64 s[4:5], s[0:1], 0x5c
	s_load_b128 s[44:47], s[0:1], 0x4c
	s_mul_i32 s3, s3, s10
	s_abs_i32 s6, s48
	s_mul_hi_u32 s3, s10, s3
	s_ashr_i32 s9, s9, 31
	s_add_i32 s10, s10, s3
	s_ashr_i32 s3, s48, 31
	s_mul_hi_u32 s7, s6, s10
	s_xor_b32 s3, s3, s9
	s_mul_i32 s10, s7, s8
	s_add_i32 s9, s7, 1
	s_sub_i32 s6, s6, s10
	s_load_b256 s[36:43], s[0:1], 0x2c
	s_sub_i32 s10, s6, s8
	s_cmp_ge_u32 s6, s8
	s_mov_b32 s29, 0
	s_cselect_b32 s7, s9, s7
	s_cselect_b32 s6, s10, s6
	s_add_i32 s9, s7, 1
	s_cmp_ge_u32 s6, s8
	s_waitcnt lgkmcnt(0)
	s_mul_i32 s28, s46, s14
	s_cselect_b32 s6, s9, s7
	v_dual_mov_b32 v42, 0 :: v_dual_lshlrev_b32 v1, 1, v0
	s_xor_b32 s8, s6, s3
	s_lshl_b64 s[6:7], s[28:29], 2
	s_sub_i32 s3, s8, s3
	s_mul_i32 s28, s47, s48
	s_add_u32 s8, s24, s6
	s_addc_u32 s9, s25, s7
	s_lshl_b64 s[6:7], s[28:29], 2
	s_mul_i32 s28, s4, s14
	s_add_u32 s49, s8, s6
	s_addc_u32 s52, s9, s7
	s_lshl_b64 s[6:7], s[28:29], 2
	s_mul_i32 s28, s5, s48
	s_add_u32 s6, s26, s6
	s_addc_u32 s7, s27, s7
	s_load_b128 s[24:27], s[0:1], 0x7c
	s_lshl_b64 s[4:5], s[28:29], 2
	s_mul_i32 s28, s36, s48
	s_add_u32 s53, s6, s4
	s_addc_u32 s36, s7, s5
	s_load_b64 s[6:7], s[0:1], 0xc8
	s_lshl_b64 s[4:5], s[28:29], 2
	s_mul_i32 s28, s38, s14
	s_add_u32 s54, s16, s4
	s_waitcnt lgkmcnt(0)
	s_addc_u32 s27, s17, s5
	s_lshl_b64 s[4:5], s[28:29], 2
	s_mul_i32 s28, s3, s41
	s_add_u32 s8, s18, s4
	s_addc_u32 s9, s19, s5
	s_lshl_b64 s[4:5], s[28:29], 2
	s_mul_i32 s28, s42, s14
	s_add_u32 s41, s8, s4
	;; [unrolled: 4-line block ×4, first 2 shown]
	s_addc_u32 s56, s3, s5
	s_lshl_b64 s[2:3], s[28:29], 2
	s_load_b64 s[12:13], s[0:1], 0x6c
	s_add_u32 s4, s6, s2
	s_load_b32 s6, s[0:1], 0x28
	v_mbcnt_lo_u32_b32 v2, -1, 0
	v_and_b32_e32 v1, 64, v1
	v_and_b32_e32 v4, 32, v0
	s_mul_i32 s28, s25, s48
	s_addc_u32 s5, s7, s3
	s_lshl_b64 s[2:3], s[28:29], 2
	v_or_b32_e32 v3, v2, v1
	s_add_u32 s25, s4, s2
	v_lshrrev_b32_e32 v5, 5, v1
	v_or_b32_e32 v7, v2, v4
	s_addc_u32 s57, s5, s3
	v_or_b32_e32 v6, 32, v3
	s_add_i32 s0, s34, 0x7ff
	v_add_nc_u32_e32 v5, v5, v3
	s_lshr_b32 s58, s0, 11
	v_cmp_gt_u32_e64 s0, 0x80, v3
	v_lshrrev_b32_e32 v8, 5, v6
	v_lshlrev_b32_e32 v9, 1, v7
	v_bfe_u32 v7, v7, 4, 27
	s_waitcnt lgkmcnt(0)
	s_bitcmp1_b32 s6, 0
	v_lshl_add_u32 v43, v5, 4, 0
	v_add_lshl_u32 v3, v8, v3, 4
	s_cselect_b32 s59, -1, 0
	s_cmp_gt_i32 s35, 0
	v_add_lshl_u32 v5, v7, v9, 4
	s_cselect_b32 s60, -1, 0
	s_add_i32 s2, 0, 0x840
	v_add_nc_u32_e32 v44, 0, v3
	v_add_nc_u32_e32 v46, s2, v3
	v_and_b32_e32 v3, 15, v2
	s_and_b32 s3, s34, 0x1ff
	v_add_nc_u32_e32 v47, s2, v5
	s_cmp_eq_u32 s3, 0
	s_mul_i32 s28, s12, s14
	v_cmp_ne_u32_e64 s2, 0, v3
	v_cmp_lt_u32_e64 s3, 1, v3
	v_cmp_lt_u32_e64 s4, 3, v3
	;; [unrolled: 1-line block ×3, first 2 shown]
	v_add_nc_u32_e32 v3, -1, v2
	s_cselect_b32 s61, -1, 0
	s_lshl_b64 s[14:15], s[28:29], 2
	s_add_i32 s62, s58, -1
	s_mul_i32 s28, s13, s48
	v_cmp_gt_i32_e32 vcc_lo, 0, v3
	v_add_nc_u32_e32 v45, 0, v5
	v_lshlrev_b32_e32 v48, 3, v0
	v_lshrrev_b32_e32 v5, 2, v0
	v_cmp_gt_u32_e64 s8, 2, v0
	v_cndmask_b32_e32 v3, v3, v2, vcc_lo
	v_or_b32_e32 v4, 31, v4
	v_cmp_gt_u32_e64 s10, 32, v0
	v_cmp_lt_u32_e64 s11, 31, v0
	v_cmp_eq_u32_e64 s12, 0, v0
	s_add_u32 s16, s30, s14
	v_cmp_eq_u32_e64 s7, v4, v0
	v_lshlrev_b32_e32 v0, 4, v2
	s_addc_u32 s13, s31, s15
	s_lshl_b64 s[14:15], s[28:29], 2
	v_and_b32_e32 v4, 1, v2
	s_add_u32 s14, s16, s14
	v_lshlrev_b32_e32 v51, 2, v3
	s_addc_u32 s13, s13, s15
	v_lshlrev_b32_e32 v3, 4, v1
	v_add_co_u32 v0, s14, s14, v0
	v_cmp_gt_u32_e64 s1, 0x80, v6
	v_and_b32_e32 v6, 16, v2
	v_and_b32_e32 v5, 8, v5
	v_cmp_eq_u32_e64 s9, 0, v4
	v_add_co_ci_u32_e64 v4, null, s13, 0, s14
	v_add_co_u32 v52, vcc_lo, v0, v3
	v_cmp_ne_u32_e64 s6, 0, v6
	v_add_nc_u32_e32 v49, 0, v5
	v_add_nc_u32_e32 v50, 0, v48
	v_cmp_eq_u32_e64 s13, 0, v2
	v_add_co_ci_u32_e32 v53, vcc_lo, 0, v4, vcc_lo
	v_or_b32_e32 v54, 1, v48
	v_or_b32_e32 v55, 2, v48
	;; [unrolled: 1-line block ×7, first 2 shown]
	v_lshlrev_b32_e32 v61, 4, v2
	v_lshlrev_b32_e32 v62, 4, v1
	s_mov_b32 s48, 0x3e9b6dac
	s_add_i32 s63, 0, 0x1090
	s_mov_b32 s64, 0
                                        ; implicit-def: $vgpr3
                                        ; implicit-def: $vgpr11
                                        ; implicit-def: $vgpr12
                                        ; implicit-def: $vgpr4
	s_branch .LBB139_12
.LBB139_11:                             ;   in Loop: Header=BB139_12 Depth=1
	s_waitcnt_vscnt null, 0x0
	s_barrier
	buffer_gl0_inv
	ds_store_b128 v45, v[20:23]
	ds_store_b128 v45, v[16:19] offset:16
	; wave barrier
	ds_load_b128 v[16:19], v43
	ds_load_b128 v[20:23], v44 offset:512
	s_add_u32 s53, s53, 0x800
	s_addc_u32 s36, s36, 0
	s_mov_b32 s31, s29
	s_add_u32 s49, s49, 0x800
	s_addc_u32 s52, s52, 0
	s_lshl_b64 s[14:15], s[30:31], 2
	s_add_u32 s41, s41, 0x800
	v_add_co_u32 v24, vcc_lo, v52, s14
	s_addc_u32 s55, s55, 0
	v_add_co_ci_u32_e32 v25, vcc_lo, s15, v53, vcc_lo
	s_add_u32 s45, s45, 0x800
	s_addc_u32 s56, s56, 0
	s_add_i32 s64, s64, 1
	s_waitcnt lgkmcnt(1)
	global_store_b128 v[24:25], v[16:19], off
	s_waitcnt lgkmcnt(0)
	global_store_b128 v[24:25], v[20:23], off offset:512
	s_cmp_eq_u32 s64, s58
	s_cbranch_scc1 .LBB139_68
.LBB139_12:                             ; =>This Loop Header: Depth=1
                                        ;     Child Loop BB139_39 Depth 2
	v_add_co_u32 v16, s14, s49, v61
	s_delay_alu instid0(VALU_DEP_1) | instskip(NEXT) | instid1(VALU_DEP_2)
	v_add_co_ci_u32_e64 v17, null, s52, 0, s14
	v_add_co_u32 v16, vcc_lo, v16, v62
	s_delay_alu instid0(VALU_DEP_2)
	v_add_co_ci_u32_e32 v17, vcc_lo, 0, v17, vcc_lo
	s_waitcnt_vscnt null, 0x0
	s_barrier
	buffer_gl0_inv
	s_and_saveexec_b32 s14, s0
	s_cbranch_execz .LBB139_14
; %bb.13:                               ;   in Loop: Header=BB139_12 Depth=1
	global_load_b128 v[12:15], v[16:17], off
.LBB139_14:                             ;   in Loop: Header=BB139_12 Depth=1
	s_or_b32 exec_lo, exec_lo, s14
	s_and_saveexec_b32 s14, s1
	s_cbranch_execz .LBB139_16
; %bb.15:                               ;   in Loop: Header=BB139_12 Depth=1
	global_load_b128 v[4:7], v[16:17], off offset:512
.LBB139_16:                             ;   in Loop: Header=BB139_12 Depth=1
	s_or_b32 exec_lo, exec_lo, s14
	s_waitcnt vmcnt(0)
	ds_store_b128 v43, v[12:15]
	ds_store_b128 v44, v[4:7] offset:512
	; wave barrier
	ds_load_b128 v[12:15], v45
	ds_load_b128 v[4:7], v45 offset:16
	v_add_co_u32 v16, s14, s53, v61
	s_delay_alu instid0(VALU_DEP_1) | instskip(SKIP_1) | instid1(VALU_DEP_2)
	v_add_co_ci_u32_e64 v17, null, s36, 0, s14
	s_waitcnt lgkmcnt(0)
	v_add_co_u32 v16, vcc_lo, v16, v62
	s_delay_alu instid0(VALU_DEP_2)
	v_add_co_ci_u32_e32 v17, vcc_lo, 0, v17, vcc_lo
	s_barrier
	buffer_gl0_inv
	s_and_saveexec_b32 s14, s0
	s_cbranch_execz .LBB139_18
; %bb.17:                               ;   in Loop: Header=BB139_12 Depth=1
	global_load_b128 v[8:11], v[16:17], off
.LBB139_18:                             ;   in Loop: Header=BB139_12 Depth=1
	s_or_b32 exec_lo, exec_lo, s14
	s_and_saveexec_b32 s14, s1
	s_cbranch_execz .LBB139_20
; %bb.19:                               ;   in Loop: Header=BB139_12 Depth=1
	global_load_b128 v[0:3], v[16:17], off offset:512
.LBB139_20:                             ;   in Loop: Header=BB139_12 Depth=1
	s_or_b32 exec_lo, exec_lo, s14
	s_waitcnt vmcnt(0)
	ds_store_b128 v43, v[8:11]
	ds_store_b128 v44, v[0:3] offset:512
	; wave barrier
	ds_load_b128 v[8:11], v45
	ds_load_b128 v[0:3], v45 offset:16
	s_waitcnt lgkmcnt(1)
	v_add_f32_e32 v63, s50, v8
	s_delay_alu instid0(VALU_DEP_1) | instskip(SKIP_1) | instid1(SALU_CYCLE_1)
	v_cmp_ge_f32_e32 vcc_lo, 0x41a00000, v63
	s_and_b32 s14, s59, vcc_lo
	s_and_saveexec_b32 s15, s14
	s_cbranch_execz .LBB139_22
; %bb.21:                               ;   in Loop: Header=BB139_12 Depth=1
	v_mul_f32_e32 v16, 0x3fb8aa3b, v63
	v_cmp_ngt_f32_e32 vcc_lo, 0xc2ce8ed0, v63
	s_delay_alu instid0(VALU_DEP_2) | instskip(SKIP_1) | instid1(VALU_DEP_2)
	v_rndne_f32_e32 v17, v16
	v_fma_f32 v18, 0x3fb8aa3b, v63, -v16
	v_sub_f32_e32 v16, v16, v17
	s_delay_alu instid0(VALU_DEP_2) | instskip(SKIP_1) | instid1(VALU_DEP_2)
	v_fmac_f32_e32 v18, 0x32a5705f, v63
	v_cvt_i32_f32_e32 v17, v17
	v_add_f32_e32 v16, v16, v18
	s_delay_alu instid0(VALU_DEP_1) | instskip(SKIP_2) | instid1(VALU_DEP_1)
	v_exp_f32_e32 v16, v16
	s_waitcnt_depctr 0xfff
	v_ldexp_f32 v16, v16, v17
	v_cndmask_b32_e32 v16, 0, v16, vcc_lo
	v_cmp_nlt_f32_e32 vcc_lo, 0x42b17218, v63
	s_delay_alu instid0(VALU_DEP_2) | instskip(NEXT) | instid1(VALU_DEP_1)
	v_cndmask_b32_e32 v18, 0x7f800000, v16, vcc_lo
	v_add_f32_e32 v19, 1.0, v18
	s_delay_alu instid0(VALU_DEP_1) | instskip(NEXT) | instid1(VALU_DEP_1)
	v_cvt_f64_f32_e32 v[16:17], v19
	v_frexp_exp_i32_f64_e32 v16, v[16:17]
	v_frexp_mant_f32_e32 v17, v19
	s_delay_alu instid0(VALU_DEP_1) | instskip(SKIP_1) | instid1(VALU_DEP_1)
	v_cmp_gt_f32_e32 vcc_lo, 0x3f2aaaab, v17
	v_add_f32_e32 v17, -1.0, v19
	v_sub_f32_e32 v21, v17, v19
	v_sub_f32_e32 v17, v18, v17
	s_delay_alu instid0(VALU_DEP_2) | instskip(NEXT) | instid1(VALU_DEP_1)
	v_add_f32_e32 v21, 1.0, v21
	v_add_f32_e32 v17, v17, v21
	v_cmp_gt_f32_e64 s14, 0x33800000, v18
	v_subrev_co_ci_u32_e32 v16, vcc_lo, 0, v16, vcc_lo
	v_cmp_eq_f32_e32 vcc_lo, 0x7f800000, v18
	s_delay_alu instid0(VALU_DEP_2) | instskip(SKIP_2) | instid1(VALU_DEP_2)
	v_sub_nc_u32_e32 v20, 0, v16
	v_cvt_f32_i32_e32 v16, v16
	s_or_b32 vcc_lo, s14, vcc_lo
	v_ldexp_f32 v19, v19, v20
	v_ldexp_f32 v17, v17, v20
	s_delay_alu instid0(VALU_DEP_2) | instskip(NEXT) | instid1(VALU_DEP_1)
	v_add_f32_e32 v22, 1.0, v19
	v_dual_add_f32 v20, -1.0, v19 :: v_dual_add_f32 v21, -1.0, v22
	s_delay_alu instid0(VALU_DEP_1) | instskip(NEXT) | instid1(VALU_DEP_2)
	v_add_f32_e32 v23, 1.0, v20
	v_sub_f32_e32 v21, v19, v21
	s_delay_alu instid0(VALU_DEP_2) | instskip(NEXT) | instid1(VALU_DEP_2)
	v_sub_f32_e32 v19, v19, v23
	v_add_f32_e32 v21, v17, v21
	s_delay_alu instid0(VALU_DEP_2) | instskip(NEXT) | instid1(VALU_DEP_1)
	v_add_f32_e32 v17, v17, v19
	v_add_f32_e32 v24, v20, v17
	s_delay_alu instid0(VALU_DEP_1) | instskip(NEXT) | instid1(VALU_DEP_1)
	v_dual_add_f32 v23, v22, v21 :: v_dual_sub_f32 v20, v20, v24
	v_rcp_f32_e32 v19, v23
	v_sub_f32_e32 v22, v22, v23
	s_delay_alu instid0(VALU_DEP_1) | instskip(SKIP_2) | instid1(VALU_DEP_1)
	v_add_f32_e32 v21, v21, v22
	s_waitcnt_depctr 0xfff
	v_mul_f32_e32 v25, v24, v19
	v_mul_f32_e32 v26, v23, v25
	s_delay_alu instid0(VALU_DEP_1) | instskip(NEXT) | instid1(VALU_DEP_1)
	v_fma_f32 v22, v25, v23, -v26
	v_fmac_f32_e32 v22, v25, v21
	s_delay_alu instid0(VALU_DEP_1) | instskip(NEXT) | instid1(VALU_DEP_1)
	v_add_f32_e32 v27, v26, v22
	v_sub_f32_e32 v28, v24, v27
	s_delay_alu instid0(VALU_DEP_1) | instskip(SKIP_1) | instid1(VALU_DEP_2)
	v_sub_f32_e32 v24, v24, v28
	v_dual_add_f32 v17, v17, v20 :: v_dual_sub_f32 v20, v27, v26
	v_sub_f32_e32 v24, v24, v27
	s_delay_alu instid0(VALU_DEP_1) | instskip(NEXT) | instid1(VALU_DEP_1)
	v_dual_sub_f32 v20, v20, v22 :: v_dual_add_f32 v17, v17, v24
	v_add_f32_e32 v17, v20, v17
	s_delay_alu instid0(VALU_DEP_1) | instskip(NEXT) | instid1(VALU_DEP_1)
	v_add_f32_e32 v20, v28, v17
	v_mul_f32_e32 v22, v19, v20
	s_delay_alu instid0(VALU_DEP_1) | instskip(NEXT) | instid1(VALU_DEP_1)
	v_dual_sub_f32 v27, v28, v20 :: v_dual_mul_f32 v24, v23, v22
	v_add_f32_e32 v17, v17, v27
	s_delay_alu instid0(VALU_DEP_2) | instskip(NEXT) | instid1(VALU_DEP_1)
	v_fma_f32 v23, v22, v23, -v24
	v_fmac_f32_e32 v23, v22, v21
	s_delay_alu instid0(VALU_DEP_1) | instskip(NEXT) | instid1(VALU_DEP_1)
	v_add_f32_e32 v21, v24, v23
	v_sub_f32_e32 v26, v20, v21
	s_delay_alu instid0(VALU_DEP_1) | instskip(NEXT) | instid1(VALU_DEP_1)
	v_sub_f32_e32 v20, v20, v26
	v_sub_f32_e32 v20, v20, v21
	s_delay_alu instid0(VALU_DEP_1) | instskip(SKIP_2) | instid1(VALU_DEP_1)
	v_add_f32_e32 v17, v17, v20
	v_add_f32_e32 v20, v25, v22
	v_sub_f32_e32 v24, v21, v24
	v_sub_f32_e32 v21, v24, v23
	s_delay_alu instid0(VALU_DEP_1) | instskip(NEXT) | instid1(VALU_DEP_4)
	v_add_f32_e32 v17, v21, v17
	v_sub_f32_e32 v21, v20, v25
	s_delay_alu instid0(VALU_DEP_2) | instskip(NEXT) | instid1(VALU_DEP_2)
	v_add_f32_e32 v17, v26, v17
	v_sub_f32_e32 v21, v22, v21
	s_delay_alu instid0(VALU_DEP_2) | instskip(NEXT) | instid1(VALU_DEP_1)
	v_mul_f32_e32 v17, v19, v17
	v_add_f32_e32 v17, v21, v17
	s_delay_alu instid0(VALU_DEP_1) | instskip(NEXT) | instid1(VALU_DEP_1)
	v_add_f32_e32 v19, v20, v17
	v_mul_f32_e32 v21, v19, v19
	s_delay_alu instid0(VALU_DEP_1) | instskip(SKIP_1) | instid1(VALU_DEP_2)
	v_fmaak_f32 v22, s48, v21, 0x3ecc95a3
	v_mul_f32_e32 v23, v19, v21
	v_fmaak_f32 v21, v21, v22, 0x3f2aaada
	v_ldexp_f32 v22, v19, 1
	s_delay_alu instid0(VALU_DEP_2) | instskip(SKIP_1) | instid1(VALU_DEP_2)
	v_mul_f32_e32 v21, v23, v21
	v_sub_f32_e32 v19, v19, v20
	v_dual_mul_f32 v23, 0x3f317218, v16 :: v_dual_add_f32 v20, v22, v21
	s_delay_alu instid0(VALU_DEP_2) | instskip(NEXT) | instid1(VALU_DEP_2)
	v_sub_f32_e32 v17, v17, v19
	v_sub_f32_e32 v19, v20, v22
	s_delay_alu instid0(VALU_DEP_3) | instskip(NEXT) | instid1(VALU_DEP_3)
	v_fma_f32 v22, 0x3f317218, v16, -v23
	v_ldexp_f32 v17, v17, 1
	s_delay_alu instid0(VALU_DEP_2) | instskip(NEXT) | instid1(VALU_DEP_1)
	v_dual_sub_f32 v19, v21, v19 :: v_dual_fmac_f32 v22, 0xb102e308, v16
	v_dual_add_f32 v16, v17, v19 :: v_dual_add_f32 v17, v23, v22
	s_delay_alu instid0(VALU_DEP_1) | instskip(NEXT) | instid1(VALU_DEP_1)
	v_add_f32_e32 v19, v20, v16
	v_dual_add_f32 v21, v17, v19 :: v_dual_sub_f32 v20, v19, v20
	s_delay_alu instid0(VALU_DEP_1) | instskip(NEXT) | instid1(VALU_DEP_2)
	v_sub_f32_e32 v24, v21, v17
	v_dual_sub_f32 v23, v17, v23 :: v_dual_sub_f32 v16, v16, v20
	s_delay_alu instid0(VALU_DEP_1) | instskip(SKIP_1) | instid1(VALU_DEP_2)
	v_dual_sub_f32 v25, v21, v24 :: v_dual_sub_f32 v22, v22, v23
	v_sub_f32_e32 v19, v19, v24
	v_dual_sub_f32 v17, v17, v25 :: v_dual_add_f32 v20, v22, v16
	s_delay_alu instid0(VALU_DEP_1) | instskip(NEXT) | instid1(VALU_DEP_2)
	v_add_f32_e32 v17, v19, v17
	v_sub_f32_e32 v19, v20, v22
	s_delay_alu instid0(VALU_DEP_2) | instskip(NEXT) | instid1(VALU_DEP_2)
	v_add_f32_e32 v17, v20, v17
	v_sub_f32_e32 v20, v20, v19
	s_delay_alu instid0(VALU_DEP_2) | instskip(NEXT) | instid1(VALU_DEP_1)
	v_dual_sub_f32 v16, v16, v19 :: v_dual_add_f32 v23, v21, v17
	v_dual_sub_f32 v20, v22, v20 :: v_dual_sub_f32 v19, v23, v21
	s_delay_alu instid0(VALU_DEP_1) | instskip(NEXT) | instid1(VALU_DEP_1)
	v_dual_add_f32 v16, v16, v20 :: v_dual_sub_f32 v17, v17, v19
	v_add_f32_e32 v16, v16, v17
	s_delay_alu instid0(VALU_DEP_1) | instskip(NEXT) | instid1(VALU_DEP_1)
	v_add_f32_e32 v16, v23, v16
	v_cndmask_b32_e32 v63, v16, v18, vcc_lo
.LBB139_22:                             ;   in Loop: Header=BB139_12 Depth=1
	s_or_b32 exec_lo, exec_lo, s15
	v_add_f32_e32 v64, s50, v9
	s_delay_alu instid0(VALU_DEP_1) | instskip(SKIP_1) | instid1(SALU_CYCLE_1)
	v_cmp_ge_f32_e32 vcc_lo, 0x41a00000, v64
	s_and_b32 s14, s59, vcc_lo
	s_and_saveexec_b32 s15, s14
	s_cbranch_execz .LBB139_24
; %bb.23:                               ;   in Loop: Header=BB139_12 Depth=1
	v_mul_f32_e32 v16, 0x3fb8aa3b, v64
	v_cmp_ngt_f32_e32 vcc_lo, 0xc2ce8ed0, v64
	s_delay_alu instid0(VALU_DEP_2) | instskip(SKIP_1) | instid1(VALU_DEP_2)
	v_rndne_f32_e32 v17, v16
	v_fma_f32 v18, 0x3fb8aa3b, v64, -v16
	v_sub_f32_e32 v16, v16, v17
	s_delay_alu instid0(VALU_DEP_2) | instskip(SKIP_1) | instid1(VALU_DEP_2)
	v_fmac_f32_e32 v18, 0x32a5705f, v64
	v_cvt_i32_f32_e32 v17, v17
	v_add_f32_e32 v16, v16, v18
	s_delay_alu instid0(VALU_DEP_1) | instskip(SKIP_2) | instid1(VALU_DEP_1)
	v_exp_f32_e32 v16, v16
	s_waitcnt_depctr 0xfff
	v_ldexp_f32 v16, v16, v17
	v_cndmask_b32_e32 v16, 0, v16, vcc_lo
	v_cmp_nlt_f32_e32 vcc_lo, 0x42b17218, v64
	s_delay_alu instid0(VALU_DEP_2) | instskip(NEXT) | instid1(VALU_DEP_1)
	v_cndmask_b32_e32 v18, 0x7f800000, v16, vcc_lo
	v_add_f32_e32 v19, 1.0, v18
	s_delay_alu instid0(VALU_DEP_1) | instskip(NEXT) | instid1(VALU_DEP_1)
	v_cvt_f64_f32_e32 v[16:17], v19
	v_frexp_exp_i32_f64_e32 v16, v[16:17]
	v_frexp_mant_f32_e32 v17, v19
	s_delay_alu instid0(VALU_DEP_1) | instskip(SKIP_1) | instid1(VALU_DEP_1)
	v_cmp_gt_f32_e32 vcc_lo, 0x3f2aaaab, v17
	v_add_f32_e32 v17, -1.0, v19
	v_sub_f32_e32 v21, v17, v19
	v_sub_f32_e32 v17, v18, v17
	s_delay_alu instid0(VALU_DEP_2) | instskip(NEXT) | instid1(VALU_DEP_1)
	v_add_f32_e32 v21, 1.0, v21
	v_add_f32_e32 v17, v17, v21
	v_cmp_gt_f32_e64 s14, 0x33800000, v18
	v_subrev_co_ci_u32_e32 v16, vcc_lo, 0, v16, vcc_lo
	v_cmp_eq_f32_e32 vcc_lo, 0x7f800000, v18
	s_delay_alu instid0(VALU_DEP_2) | instskip(SKIP_2) | instid1(VALU_DEP_2)
	v_sub_nc_u32_e32 v20, 0, v16
	v_cvt_f32_i32_e32 v16, v16
	s_or_b32 vcc_lo, s14, vcc_lo
	v_ldexp_f32 v19, v19, v20
	v_ldexp_f32 v17, v17, v20
	s_delay_alu instid0(VALU_DEP_2) | instskip(NEXT) | instid1(VALU_DEP_1)
	v_add_f32_e32 v22, 1.0, v19
	v_dual_add_f32 v20, -1.0, v19 :: v_dual_add_f32 v21, -1.0, v22
	s_delay_alu instid0(VALU_DEP_1) | instskip(NEXT) | instid1(VALU_DEP_2)
	v_add_f32_e32 v23, 1.0, v20
	v_sub_f32_e32 v21, v19, v21
	s_delay_alu instid0(VALU_DEP_2) | instskip(NEXT) | instid1(VALU_DEP_2)
	v_sub_f32_e32 v19, v19, v23
	v_add_f32_e32 v21, v17, v21
	s_delay_alu instid0(VALU_DEP_2) | instskip(NEXT) | instid1(VALU_DEP_1)
	v_add_f32_e32 v17, v17, v19
	v_add_f32_e32 v24, v20, v17
	s_delay_alu instid0(VALU_DEP_1) | instskip(NEXT) | instid1(VALU_DEP_1)
	v_dual_add_f32 v23, v22, v21 :: v_dual_sub_f32 v20, v20, v24
	v_rcp_f32_e32 v19, v23
	v_sub_f32_e32 v22, v22, v23
	s_delay_alu instid0(VALU_DEP_1) | instskip(SKIP_2) | instid1(VALU_DEP_1)
	v_add_f32_e32 v21, v21, v22
	s_waitcnt_depctr 0xfff
	v_mul_f32_e32 v25, v24, v19
	v_mul_f32_e32 v26, v23, v25
	s_delay_alu instid0(VALU_DEP_1) | instskip(NEXT) | instid1(VALU_DEP_1)
	v_fma_f32 v22, v25, v23, -v26
	v_fmac_f32_e32 v22, v25, v21
	s_delay_alu instid0(VALU_DEP_1) | instskip(NEXT) | instid1(VALU_DEP_1)
	v_add_f32_e32 v27, v26, v22
	v_sub_f32_e32 v28, v24, v27
	s_delay_alu instid0(VALU_DEP_1) | instskip(SKIP_1) | instid1(VALU_DEP_2)
	v_sub_f32_e32 v24, v24, v28
	v_dual_add_f32 v17, v17, v20 :: v_dual_sub_f32 v20, v27, v26
	v_sub_f32_e32 v24, v24, v27
	s_delay_alu instid0(VALU_DEP_1) | instskip(NEXT) | instid1(VALU_DEP_1)
	v_dual_sub_f32 v20, v20, v22 :: v_dual_add_f32 v17, v17, v24
	v_add_f32_e32 v17, v20, v17
	s_delay_alu instid0(VALU_DEP_1) | instskip(NEXT) | instid1(VALU_DEP_1)
	v_add_f32_e32 v20, v28, v17
	v_mul_f32_e32 v22, v19, v20
	s_delay_alu instid0(VALU_DEP_1) | instskip(NEXT) | instid1(VALU_DEP_1)
	v_dual_sub_f32 v27, v28, v20 :: v_dual_mul_f32 v24, v23, v22
	v_add_f32_e32 v17, v17, v27
	s_delay_alu instid0(VALU_DEP_2) | instskip(NEXT) | instid1(VALU_DEP_1)
	v_fma_f32 v23, v22, v23, -v24
	v_fmac_f32_e32 v23, v22, v21
	s_delay_alu instid0(VALU_DEP_1) | instskip(NEXT) | instid1(VALU_DEP_1)
	v_add_f32_e32 v21, v24, v23
	v_sub_f32_e32 v26, v20, v21
	s_delay_alu instid0(VALU_DEP_1) | instskip(NEXT) | instid1(VALU_DEP_1)
	v_sub_f32_e32 v20, v20, v26
	v_sub_f32_e32 v20, v20, v21
	s_delay_alu instid0(VALU_DEP_1) | instskip(SKIP_2) | instid1(VALU_DEP_1)
	v_add_f32_e32 v17, v17, v20
	v_add_f32_e32 v20, v25, v22
	v_sub_f32_e32 v24, v21, v24
	v_sub_f32_e32 v21, v24, v23
	s_delay_alu instid0(VALU_DEP_1) | instskip(NEXT) | instid1(VALU_DEP_4)
	v_add_f32_e32 v17, v21, v17
	v_sub_f32_e32 v21, v20, v25
	s_delay_alu instid0(VALU_DEP_2) | instskip(NEXT) | instid1(VALU_DEP_2)
	v_add_f32_e32 v17, v26, v17
	v_sub_f32_e32 v21, v22, v21
	s_delay_alu instid0(VALU_DEP_2) | instskip(NEXT) | instid1(VALU_DEP_1)
	v_mul_f32_e32 v17, v19, v17
	v_add_f32_e32 v17, v21, v17
	s_delay_alu instid0(VALU_DEP_1) | instskip(NEXT) | instid1(VALU_DEP_1)
	v_add_f32_e32 v19, v20, v17
	v_mul_f32_e32 v21, v19, v19
	s_delay_alu instid0(VALU_DEP_1) | instskip(SKIP_1) | instid1(VALU_DEP_2)
	v_fmaak_f32 v22, s48, v21, 0x3ecc95a3
	v_mul_f32_e32 v23, v19, v21
	v_fmaak_f32 v21, v21, v22, 0x3f2aaada
	v_ldexp_f32 v22, v19, 1
	s_delay_alu instid0(VALU_DEP_2) | instskip(SKIP_1) | instid1(VALU_DEP_2)
	v_mul_f32_e32 v21, v23, v21
	v_sub_f32_e32 v19, v19, v20
	v_dual_mul_f32 v23, 0x3f317218, v16 :: v_dual_add_f32 v20, v22, v21
	s_delay_alu instid0(VALU_DEP_2) | instskip(NEXT) | instid1(VALU_DEP_2)
	v_sub_f32_e32 v17, v17, v19
	v_sub_f32_e32 v19, v20, v22
	s_delay_alu instid0(VALU_DEP_3) | instskip(NEXT) | instid1(VALU_DEP_3)
	v_fma_f32 v22, 0x3f317218, v16, -v23
	v_ldexp_f32 v17, v17, 1
	s_delay_alu instid0(VALU_DEP_2) | instskip(NEXT) | instid1(VALU_DEP_1)
	v_dual_sub_f32 v19, v21, v19 :: v_dual_fmac_f32 v22, 0xb102e308, v16
	v_dual_add_f32 v16, v17, v19 :: v_dual_add_f32 v17, v23, v22
	s_delay_alu instid0(VALU_DEP_1) | instskip(NEXT) | instid1(VALU_DEP_1)
	v_add_f32_e32 v19, v20, v16
	v_dual_add_f32 v21, v17, v19 :: v_dual_sub_f32 v20, v19, v20
	s_delay_alu instid0(VALU_DEP_1) | instskip(NEXT) | instid1(VALU_DEP_2)
	v_sub_f32_e32 v24, v21, v17
	v_dual_sub_f32 v23, v17, v23 :: v_dual_sub_f32 v16, v16, v20
	s_delay_alu instid0(VALU_DEP_1) | instskip(SKIP_1) | instid1(VALU_DEP_2)
	v_dual_sub_f32 v25, v21, v24 :: v_dual_sub_f32 v22, v22, v23
	v_sub_f32_e32 v19, v19, v24
	v_dual_sub_f32 v17, v17, v25 :: v_dual_add_f32 v20, v22, v16
	s_delay_alu instid0(VALU_DEP_1) | instskip(NEXT) | instid1(VALU_DEP_2)
	v_add_f32_e32 v17, v19, v17
	v_sub_f32_e32 v19, v20, v22
	s_delay_alu instid0(VALU_DEP_2) | instskip(NEXT) | instid1(VALU_DEP_2)
	v_add_f32_e32 v17, v20, v17
	v_sub_f32_e32 v20, v20, v19
	s_delay_alu instid0(VALU_DEP_2) | instskip(NEXT) | instid1(VALU_DEP_1)
	v_dual_sub_f32 v16, v16, v19 :: v_dual_add_f32 v23, v21, v17
	v_dual_sub_f32 v20, v22, v20 :: v_dual_sub_f32 v19, v23, v21
	s_delay_alu instid0(VALU_DEP_1) | instskip(NEXT) | instid1(VALU_DEP_1)
	v_dual_add_f32 v16, v16, v20 :: v_dual_sub_f32 v17, v17, v19
	v_add_f32_e32 v16, v16, v17
	s_delay_alu instid0(VALU_DEP_1) | instskip(NEXT) | instid1(VALU_DEP_1)
	v_add_f32_e32 v16, v23, v16
	v_cndmask_b32_e32 v64, v16, v18, vcc_lo
.LBB139_24:                             ;   in Loop: Header=BB139_12 Depth=1
	s_or_b32 exec_lo, exec_lo, s15
	v_add_f32_e32 v65, s50, v10
	s_delay_alu instid0(VALU_DEP_1) | instskip(SKIP_1) | instid1(SALU_CYCLE_1)
	v_cmp_ge_f32_e32 vcc_lo, 0x41a00000, v65
	s_and_b32 s14, s59, vcc_lo
	s_and_saveexec_b32 s15, s14
	s_cbranch_execz .LBB139_26
; %bb.25:                               ;   in Loop: Header=BB139_12 Depth=1
	v_mul_f32_e32 v16, 0x3fb8aa3b, v65
	v_cmp_ngt_f32_e32 vcc_lo, 0xc2ce8ed0, v65
	s_delay_alu instid0(VALU_DEP_2) | instskip(SKIP_1) | instid1(VALU_DEP_2)
	v_rndne_f32_e32 v17, v16
	v_fma_f32 v18, 0x3fb8aa3b, v65, -v16
	v_sub_f32_e32 v16, v16, v17
	s_delay_alu instid0(VALU_DEP_2) | instskip(SKIP_1) | instid1(VALU_DEP_2)
	v_fmac_f32_e32 v18, 0x32a5705f, v65
	v_cvt_i32_f32_e32 v17, v17
	v_add_f32_e32 v16, v16, v18
	s_delay_alu instid0(VALU_DEP_1) | instskip(SKIP_2) | instid1(VALU_DEP_1)
	v_exp_f32_e32 v16, v16
	s_waitcnt_depctr 0xfff
	v_ldexp_f32 v16, v16, v17
	v_cndmask_b32_e32 v16, 0, v16, vcc_lo
	v_cmp_nlt_f32_e32 vcc_lo, 0x42b17218, v65
	s_delay_alu instid0(VALU_DEP_2) | instskip(NEXT) | instid1(VALU_DEP_1)
	v_cndmask_b32_e32 v18, 0x7f800000, v16, vcc_lo
	v_add_f32_e32 v19, 1.0, v18
	s_delay_alu instid0(VALU_DEP_1) | instskip(NEXT) | instid1(VALU_DEP_1)
	v_cvt_f64_f32_e32 v[16:17], v19
	v_frexp_exp_i32_f64_e32 v16, v[16:17]
	v_frexp_mant_f32_e32 v17, v19
	s_delay_alu instid0(VALU_DEP_1) | instskip(SKIP_1) | instid1(VALU_DEP_1)
	v_cmp_gt_f32_e32 vcc_lo, 0x3f2aaaab, v17
	v_add_f32_e32 v17, -1.0, v19
	v_sub_f32_e32 v21, v17, v19
	v_sub_f32_e32 v17, v18, v17
	s_delay_alu instid0(VALU_DEP_2) | instskip(NEXT) | instid1(VALU_DEP_1)
	v_add_f32_e32 v21, 1.0, v21
	v_add_f32_e32 v17, v17, v21
	v_cmp_gt_f32_e64 s14, 0x33800000, v18
	v_subrev_co_ci_u32_e32 v16, vcc_lo, 0, v16, vcc_lo
	v_cmp_eq_f32_e32 vcc_lo, 0x7f800000, v18
	s_delay_alu instid0(VALU_DEP_2) | instskip(SKIP_2) | instid1(VALU_DEP_2)
	v_sub_nc_u32_e32 v20, 0, v16
	v_cvt_f32_i32_e32 v16, v16
	s_or_b32 vcc_lo, s14, vcc_lo
	v_ldexp_f32 v19, v19, v20
	v_ldexp_f32 v17, v17, v20
	s_delay_alu instid0(VALU_DEP_2) | instskip(NEXT) | instid1(VALU_DEP_1)
	v_add_f32_e32 v22, 1.0, v19
	v_dual_add_f32 v20, -1.0, v19 :: v_dual_add_f32 v21, -1.0, v22
	s_delay_alu instid0(VALU_DEP_1) | instskip(NEXT) | instid1(VALU_DEP_2)
	v_add_f32_e32 v23, 1.0, v20
	v_sub_f32_e32 v21, v19, v21
	s_delay_alu instid0(VALU_DEP_2) | instskip(NEXT) | instid1(VALU_DEP_2)
	v_sub_f32_e32 v19, v19, v23
	v_add_f32_e32 v21, v17, v21
	s_delay_alu instid0(VALU_DEP_2) | instskip(NEXT) | instid1(VALU_DEP_1)
	v_add_f32_e32 v17, v17, v19
	v_add_f32_e32 v24, v20, v17
	s_delay_alu instid0(VALU_DEP_1) | instskip(NEXT) | instid1(VALU_DEP_1)
	v_dual_add_f32 v23, v22, v21 :: v_dual_sub_f32 v20, v20, v24
	v_rcp_f32_e32 v19, v23
	v_sub_f32_e32 v22, v22, v23
	s_delay_alu instid0(VALU_DEP_1) | instskip(SKIP_2) | instid1(VALU_DEP_1)
	v_add_f32_e32 v21, v21, v22
	s_waitcnt_depctr 0xfff
	v_mul_f32_e32 v25, v24, v19
	v_mul_f32_e32 v26, v23, v25
	s_delay_alu instid0(VALU_DEP_1) | instskip(NEXT) | instid1(VALU_DEP_1)
	v_fma_f32 v22, v25, v23, -v26
	v_fmac_f32_e32 v22, v25, v21
	s_delay_alu instid0(VALU_DEP_1) | instskip(NEXT) | instid1(VALU_DEP_1)
	v_add_f32_e32 v27, v26, v22
	v_sub_f32_e32 v28, v24, v27
	s_delay_alu instid0(VALU_DEP_1) | instskip(SKIP_1) | instid1(VALU_DEP_2)
	v_sub_f32_e32 v24, v24, v28
	v_dual_add_f32 v17, v17, v20 :: v_dual_sub_f32 v20, v27, v26
	v_sub_f32_e32 v24, v24, v27
	s_delay_alu instid0(VALU_DEP_1) | instskip(NEXT) | instid1(VALU_DEP_1)
	v_dual_sub_f32 v20, v20, v22 :: v_dual_add_f32 v17, v17, v24
	v_add_f32_e32 v17, v20, v17
	s_delay_alu instid0(VALU_DEP_1) | instskip(NEXT) | instid1(VALU_DEP_1)
	v_add_f32_e32 v20, v28, v17
	v_mul_f32_e32 v22, v19, v20
	s_delay_alu instid0(VALU_DEP_1) | instskip(NEXT) | instid1(VALU_DEP_1)
	v_dual_sub_f32 v27, v28, v20 :: v_dual_mul_f32 v24, v23, v22
	v_add_f32_e32 v17, v17, v27
	s_delay_alu instid0(VALU_DEP_2) | instskip(NEXT) | instid1(VALU_DEP_1)
	v_fma_f32 v23, v22, v23, -v24
	v_fmac_f32_e32 v23, v22, v21
	s_delay_alu instid0(VALU_DEP_1) | instskip(NEXT) | instid1(VALU_DEP_1)
	v_add_f32_e32 v21, v24, v23
	v_sub_f32_e32 v26, v20, v21
	s_delay_alu instid0(VALU_DEP_1) | instskip(NEXT) | instid1(VALU_DEP_1)
	v_sub_f32_e32 v20, v20, v26
	v_sub_f32_e32 v20, v20, v21
	s_delay_alu instid0(VALU_DEP_1) | instskip(SKIP_2) | instid1(VALU_DEP_1)
	v_add_f32_e32 v17, v17, v20
	v_add_f32_e32 v20, v25, v22
	v_sub_f32_e32 v24, v21, v24
	v_sub_f32_e32 v21, v24, v23
	s_delay_alu instid0(VALU_DEP_1) | instskip(NEXT) | instid1(VALU_DEP_4)
	v_add_f32_e32 v17, v21, v17
	v_sub_f32_e32 v21, v20, v25
	s_delay_alu instid0(VALU_DEP_2) | instskip(NEXT) | instid1(VALU_DEP_2)
	v_add_f32_e32 v17, v26, v17
	v_sub_f32_e32 v21, v22, v21
	s_delay_alu instid0(VALU_DEP_2) | instskip(NEXT) | instid1(VALU_DEP_1)
	v_mul_f32_e32 v17, v19, v17
	v_add_f32_e32 v17, v21, v17
	s_delay_alu instid0(VALU_DEP_1) | instskip(NEXT) | instid1(VALU_DEP_1)
	v_add_f32_e32 v19, v20, v17
	v_mul_f32_e32 v21, v19, v19
	s_delay_alu instid0(VALU_DEP_1) | instskip(SKIP_1) | instid1(VALU_DEP_2)
	v_fmaak_f32 v22, s48, v21, 0x3ecc95a3
	v_mul_f32_e32 v23, v19, v21
	v_fmaak_f32 v21, v21, v22, 0x3f2aaada
	v_ldexp_f32 v22, v19, 1
	s_delay_alu instid0(VALU_DEP_2) | instskip(SKIP_1) | instid1(VALU_DEP_2)
	v_mul_f32_e32 v21, v23, v21
	v_sub_f32_e32 v19, v19, v20
	v_dual_mul_f32 v23, 0x3f317218, v16 :: v_dual_add_f32 v20, v22, v21
	s_delay_alu instid0(VALU_DEP_2) | instskip(NEXT) | instid1(VALU_DEP_2)
	v_sub_f32_e32 v17, v17, v19
	v_sub_f32_e32 v19, v20, v22
	s_delay_alu instid0(VALU_DEP_3) | instskip(NEXT) | instid1(VALU_DEP_3)
	v_fma_f32 v22, 0x3f317218, v16, -v23
	v_ldexp_f32 v17, v17, 1
	s_delay_alu instid0(VALU_DEP_2) | instskip(NEXT) | instid1(VALU_DEP_1)
	v_dual_sub_f32 v19, v21, v19 :: v_dual_fmac_f32 v22, 0xb102e308, v16
	v_dual_add_f32 v16, v17, v19 :: v_dual_add_f32 v17, v23, v22
	s_delay_alu instid0(VALU_DEP_1) | instskip(NEXT) | instid1(VALU_DEP_1)
	v_add_f32_e32 v19, v20, v16
	v_dual_add_f32 v21, v17, v19 :: v_dual_sub_f32 v20, v19, v20
	s_delay_alu instid0(VALU_DEP_1) | instskip(NEXT) | instid1(VALU_DEP_2)
	v_sub_f32_e32 v24, v21, v17
	v_dual_sub_f32 v23, v17, v23 :: v_dual_sub_f32 v16, v16, v20
	s_delay_alu instid0(VALU_DEP_1) | instskip(SKIP_1) | instid1(VALU_DEP_2)
	v_dual_sub_f32 v25, v21, v24 :: v_dual_sub_f32 v22, v22, v23
	v_sub_f32_e32 v19, v19, v24
	v_dual_sub_f32 v17, v17, v25 :: v_dual_add_f32 v20, v22, v16
	s_delay_alu instid0(VALU_DEP_1) | instskip(NEXT) | instid1(VALU_DEP_2)
	v_add_f32_e32 v17, v19, v17
	v_sub_f32_e32 v19, v20, v22
	s_delay_alu instid0(VALU_DEP_2) | instskip(NEXT) | instid1(VALU_DEP_2)
	v_add_f32_e32 v17, v20, v17
	v_sub_f32_e32 v20, v20, v19
	s_delay_alu instid0(VALU_DEP_2) | instskip(NEXT) | instid1(VALU_DEP_1)
	v_dual_sub_f32 v16, v16, v19 :: v_dual_add_f32 v23, v21, v17
	v_dual_sub_f32 v20, v22, v20 :: v_dual_sub_f32 v19, v23, v21
	s_delay_alu instid0(VALU_DEP_1) | instskip(NEXT) | instid1(VALU_DEP_1)
	v_dual_add_f32 v16, v16, v20 :: v_dual_sub_f32 v17, v17, v19
	v_add_f32_e32 v16, v16, v17
	s_delay_alu instid0(VALU_DEP_1) | instskip(NEXT) | instid1(VALU_DEP_1)
	v_add_f32_e32 v16, v23, v16
	v_cndmask_b32_e32 v65, v16, v18, vcc_lo
.LBB139_26:                             ;   in Loop: Header=BB139_12 Depth=1
	s_or_b32 exec_lo, exec_lo, s15
	v_add_f32_e32 v66, s50, v11
	s_delay_alu instid0(VALU_DEP_1) | instskip(SKIP_1) | instid1(SALU_CYCLE_1)
	v_cmp_ge_f32_e32 vcc_lo, 0x41a00000, v66
	s_and_b32 s14, s59, vcc_lo
	s_and_saveexec_b32 s15, s14
	s_cbranch_execz .LBB139_28
; %bb.27:                               ;   in Loop: Header=BB139_12 Depth=1
	v_mul_f32_e32 v16, 0x3fb8aa3b, v66
	v_cmp_ngt_f32_e32 vcc_lo, 0xc2ce8ed0, v66
	s_delay_alu instid0(VALU_DEP_2) | instskip(SKIP_1) | instid1(VALU_DEP_2)
	v_rndne_f32_e32 v17, v16
	v_fma_f32 v18, 0x3fb8aa3b, v66, -v16
	v_sub_f32_e32 v16, v16, v17
	s_delay_alu instid0(VALU_DEP_2) | instskip(SKIP_1) | instid1(VALU_DEP_2)
	v_fmac_f32_e32 v18, 0x32a5705f, v66
	v_cvt_i32_f32_e32 v17, v17
	v_add_f32_e32 v16, v16, v18
	s_delay_alu instid0(VALU_DEP_1) | instskip(SKIP_2) | instid1(VALU_DEP_1)
	v_exp_f32_e32 v16, v16
	s_waitcnt_depctr 0xfff
	v_ldexp_f32 v16, v16, v17
	v_cndmask_b32_e32 v16, 0, v16, vcc_lo
	v_cmp_nlt_f32_e32 vcc_lo, 0x42b17218, v66
	s_delay_alu instid0(VALU_DEP_2) | instskip(NEXT) | instid1(VALU_DEP_1)
	v_cndmask_b32_e32 v18, 0x7f800000, v16, vcc_lo
	v_add_f32_e32 v19, 1.0, v18
	s_delay_alu instid0(VALU_DEP_1) | instskip(NEXT) | instid1(VALU_DEP_1)
	v_cvt_f64_f32_e32 v[16:17], v19
	v_frexp_exp_i32_f64_e32 v16, v[16:17]
	v_frexp_mant_f32_e32 v17, v19
	s_delay_alu instid0(VALU_DEP_1) | instskip(SKIP_1) | instid1(VALU_DEP_1)
	v_cmp_gt_f32_e32 vcc_lo, 0x3f2aaaab, v17
	v_add_f32_e32 v17, -1.0, v19
	v_sub_f32_e32 v21, v17, v19
	v_sub_f32_e32 v17, v18, v17
	s_delay_alu instid0(VALU_DEP_2) | instskip(NEXT) | instid1(VALU_DEP_1)
	v_add_f32_e32 v21, 1.0, v21
	v_add_f32_e32 v17, v17, v21
	v_cmp_gt_f32_e64 s14, 0x33800000, v18
	v_subrev_co_ci_u32_e32 v16, vcc_lo, 0, v16, vcc_lo
	v_cmp_eq_f32_e32 vcc_lo, 0x7f800000, v18
	s_delay_alu instid0(VALU_DEP_2) | instskip(SKIP_2) | instid1(VALU_DEP_2)
	v_sub_nc_u32_e32 v20, 0, v16
	v_cvt_f32_i32_e32 v16, v16
	s_or_b32 vcc_lo, s14, vcc_lo
	v_ldexp_f32 v19, v19, v20
	v_ldexp_f32 v17, v17, v20
	s_delay_alu instid0(VALU_DEP_2) | instskip(NEXT) | instid1(VALU_DEP_1)
	v_add_f32_e32 v22, 1.0, v19
	v_dual_add_f32 v20, -1.0, v19 :: v_dual_add_f32 v21, -1.0, v22
	s_delay_alu instid0(VALU_DEP_1) | instskip(NEXT) | instid1(VALU_DEP_2)
	v_add_f32_e32 v23, 1.0, v20
	v_sub_f32_e32 v21, v19, v21
	s_delay_alu instid0(VALU_DEP_2) | instskip(NEXT) | instid1(VALU_DEP_2)
	v_sub_f32_e32 v19, v19, v23
	v_add_f32_e32 v21, v17, v21
	s_delay_alu instid0(VALU_DEP_2) | instskip(NEXT) | instid1(VALU_DEP_1)
	v_add_f32_e32 v17, v17, v19
	v_add_f32_e32 v24, v20, v17
	s_delay_alu instid0(VALU_DEP_1) | instskip(NEXT) | instid1(VALU_DEP_1)
	v_dual_add_f32 v23, v22, v21 :: v_dual_sub_f32 v20, v20, v24
	v_rcp_f32_e32 v19, v23
	v_sub_f32_e32 v22, v22, v23
	s_delay_alu instid0(VALU_DEP_1) | instskip(SKIP_2) | instid1(VALU_DEP_1)
	v_add_f32_e32 v21, v21, v22
	s_waitcnt_depctr 0xfff
	v_mul_f32_e32 v25, v24, v19
	v_mul_f32_e32 v26, v23, v25
	s_delay_alu instid0(VALU_DEP_1) | instskip(NEXT) | instid1(VALU_DEP_1)
	v_fma_f32 v22, v25, v23, -v26
	v_fmac_f32_e32 v22, v25, v21
	s_delay_alu instid0(VALU_DEP_1) | instskip(NEXT) | instid1(VALU_DEP_1)
	v_add_f32_e32 v27, v26, v22
	v_sub_f32_e32 v28, v24, v27
	s_delay_alu instid0(VALU_DEP_1) | instskip(SKIP_1) | instid1(VALU_DEP_2)
	v_sub_f32_e32 v24, v24, v28
	v_dual_add_f32 v17, v17, v20 :: v_dual_sub_f32 v20, v27, v26
	v_sub_f32_e32 v24, v24, v27
	s_delay_alu instid0(VALU_DEP_1) | instskip(NEXT) | instid1(VALU_DEP_1)
	v_dual_sub_f32 v20, v20, v22 :: v_dual_add_f32 v17, v17, v24
	v_add_f32_e32 v17, v20, v17
	s_delay_alu instid0(VALU_DEP_1) | instskip(NEXT) | instid1(VALU_DEP_1)
	v_add_f32_e32 v20, v28, v17
	v_mul_f32_e32 v22, v19, v20
	s_delay_alu instid0(VALU_DEP_1) | instskip(NEXT) | instid1(VALU_DEP_1)
	v_dual_sub_f32 v27, v28, v20 :: v_dual_mul_f32 v24, v23, v22
	v_add_f32_e32 v17, v17, v27
	s_delay_alu instid0(VALU_DEP_2) | instskip(NEXT) | instid1(VALU_DEP_1)
	v_fma_f32 v23, v22, v23, -v24
	v_fmac_f32_e32 v23, v22, v21
	s_delay_alu instid0(VALU_DEP_1) | instskip(NEXT) | instid1(VALU_DEP_1)
	v_add_f32_e32 v21, v24, v23
	v_sub_f32_e32 v26, v20, v21
	s_delay_alu instid0(VALU_DEP_1) | instskip(NEXT) | instid1(VALU_DEP_1)
	v_sub_f32_e32 v20, v20, v26
	v_sub_f32_e32 v20, v20, v21
	s_delay_alu instid0(VALU_DEP_1) | instskip(SKIP_2) | instid1(VALU_DEP_1)
	v_add_f32_e32 v17, v17, v20
	v_add_f32_e32 v20, v25, v22
	v_sub_f32_e32 v24, v21, v24
	v_sub_f32_e32 v21, v24, v23
	s_delay_alu instid0(VALU_DEP_1) | instskip(NEXT) | instid1(VALU_DEP_4)
	v_add_f32_e32 v17, v21, v17
	v_sub_f32_e32 v21, v20, v25
	s_delay_alu instid0(VALU_DEP_2) | instskip(NEXT) | instid1(VALU_DEP_2)
	v_add_f32_e32 v17, v26, v17
	v_sub_f32_e32 v21, v22, v21
	s_delay_alu instid0(VALU_DEP_2) | instskip(NEXT) | instid1(VALU_DEP_1)
	v_mul_f32_e32 v17, v19, v17
	v_add_f32_e32 v17, v21, v17
	s_delay_alu instid0(VALU_DEP_1) | instskip(NEXT) | instid1(VALU_DEP_1)
	v_add_f32_e32 v19, v20, v17
	v_mul_f32_e32 v21, v19, v19
	s_delay_alu instid0(VALU_DEP_1) | instskip(SKIP_1) | instid1(VALU_DEP_2)
	v_fmaak_f32 v22, s48, v21, 0x3ecc95a3
	v_mul_f32_e32 v23, v19, v21
	v_fmaak_f32 v21, v21, v22, 0x3f2aaada
	v_ldexp_f32 v22, v19, 1
	s_delay_alu instid0(VALU_DEP_2) | instskip(SKIP_1) | instid1(VALU_DEP_2)
	v_mul_f32_e32 v21, v23, v21
	v_sub_f32_e32 v19, v19, v20
	v_dual_mul_f32 v23, 0x3f317218, v16 :: v_dual_add_f32 v20, v22, v21
	s_delay_alu instid0(VALU_DEP_2) | instskip(NEXT) | instid1(VALU_DEP_2)
	v_sub_f32_e32 v17, v17, v19
	v_sub_f32_e32 v19, v20, v22
	s_delay_alu instid0(VALU_DEP_3) | instskip(NEXT) | instid1(VALU_DEP_3)
	v_fma_f32 v22, 0x3f317218, v16, -v23
	v_ldexp_f32 v17, v17, 1
	s_delay_alu instid0(VALU_DEP_2) | instskip(NEXT) | instid1(VALU_DEP_1)
	v_dual_sub_f32 v19, v21, v19 :: v_dual_fmac_f32 v22, 0xb102e308, v16
	v_dual_add_f32 v16, v17, v19 :: v_dual_add_f32 v17, v23, v22
	s_delay_alu instid0(VALU_DEP_1) | instskip(NEXT) | instid1(VALU_DEP_1)
	v_add_f32_e32 v19, v20, v16
	v_dual_add_f32 v21, v17, v19 :: v_dual_sub_f32 v20, v19, v20
	s_delay_alu instid0(VALU_DEP_1) | instskip(NEXT) | instid1(VALU_DEP_2)
	v_sub_f32_e32 v24, v21, v17
	v_dual_sub_f32 v23, v17, v23 :: v_dual_sub_f32 v16, v16, v20
	s_delay_alu instid0(VALU_DEP_1) | instskip(SKIP_1) | instid1(VALU_DEP_2)
	v_dual_sub_f32 v25, v21, v24 :: v_dual_sub_f32 v22, v22, v23
	v_sub_f32_e32 v19, v19, v24
	v_dual_sub_f32 v17, v17, v25 :: v_dual_add_f32 v20, v22, v16
	s_delay_alu instid0(VALU_DEP_1) | instskip(NEXT) | instid1(VALU_DEP_2)
	v_add_f32_e32 v17, v19, v17
	v_sub_f32_e32 v19, v20, v22
	s_delay_alu instid0(VALU_DEP_2) | instskip(NEXT) | instid1(VALU_DEP_2)
	v_add_f32_e32 v17, v20, v17
	v_sub_f32_e32 v20, v20, v19
	s_delay_alu instid0(VALU_DEP_2) | instskip(NEXT) | instid1(VALU_DEP_1)
	v_dual_sub_f32 v16, v16, v19 :: v_dual_add_f32 v23, v21, v17
	v_dual_sub_f32 v20, v22, v20 :: v_dual_sub_f32 v19, v23, v21
	s_delay_alu instid0(VALU_DEP_1) | instskip(NEXT) | instid1(VALU_DEP_1)
	v_dual_add_f32 v16, v16, v20 :: v_dual_sub_f32 v17, v17, v19
	v_add_f32_e32 v16, v16, v17
	s_delay_alu instid0(VALU_DEP_1) | instskip(NEXT) | instid1(VALU_DEP_1)
	v_add_f32_e32 v16, v23, v16
	v_cndmask_b32_e32 v66, v16, v18, vcc_lo
.LBB139_28:                             ;   in Loop: Header=BB139_12 Depth=1
	s_or_b32 exec_lo, exec_lo, s15
	s_waitcnt lgkmcnt(0)
	v_add_f32_e32 v67, s50, v0
	s_delay_alu instid0(VALU_DEP_1) | instskip(SKIP_1) | instid1(SALU_CYCLE_1)
	v_cmp_ge_f32_e32 vcc_lo, 0x41a00000, v67
	s_and_b32 s14, s59, vcc_lo
	s_and_saveexec_b32 s15, s14
	s_cbranch_execz .LBB139_30
; %bb.29:                               ;   in Loop: Header=BB139_12 Depth=1
	v_mul_f32_e32 v16, 0x3fb8aa3b, v67
	v_cmp_ngt_f32_e32 vcc_lo, 0xc2ce8ed0, v67
	s_delay_alu instid0(VALU_DEP_2) | instskip(SKIP_1) | instid1(VALU_DEP_2)
	v_rndne_f32_e32 v17, v16
	v_fma_f32 v18, 0x3fb8aa3b, v67, -v16
	v_sub_f32_e32 v16, v16, v17
	s_delay_alu instid0(VALU_DEP_2) | instskip(SKIP_1) | instid1(VALU_DEP_2)
	v_fmac_f32_e32 v18, 0x32a5705f, v67
	v_cvt_i32_f32_e32 v17, v17
	v_add_f32_e32 v16, v16, v18
	s_delay_alu instid0(VALU_DEP_1) | instskip(SKIP_2) | instid1(VALU_DEP_1)
	v_exp_f32_e32 v16, v16
	s_waitcnt_depctr 0xfff
	v_ldexp_f32 v16, v16, v17
	v_cndmask_b32_e32 v16, 0, v16, vcc_lo
	v_cmp_nlt_f32_e32 vcc_lo, 0x42b17218, v67
	s_delay_alu instid0(VALU_DEP_2) | instskip(NEXT) | instid1(VALU_DEP_1)
	v_cndmask_b32_e32 v18, 0x7f800000, v16, vcc_lo
	v_add_f32_e32 v19, 1.0, v18
	s_delay_alu instid0(VALU_DEP_1) | instskip(NEXT) | instid1(VALU_DEP_1)
	v_cvt_f64_f32_e32 v[16:17], v19
	v_frexp_exp_i32_f64_e32 v16, v[16:17]
	v_frexp_mant_f32_e32 v17, v19
	s_delay_alu instid0(VALU_DEP_1) | instskip(SKIP_1) | instid1(VALU_DEP_1)
	v_cmp_gt_f32_e32 vcc_lo, 0x3f2aaaab, v17
	v_add_f32_e32 v17, -1.0, v19
	v_sub_f32_e32 v21, v17, v19
	v_sub_f32_e32 v17, v18, v17
	s_delay_alu instid0(VALU_DEP_2) | instskip(NEXT) | instid1(VALU_DEP_1)
	v_add_f32_e32 v21, 1.0, v21
	v_add_f32_e32 v17, v17, v21
	v_cmp_gt_f32_e64 s14, 0x33800000, v18
	v_subrev_co_ci_u32_e32 v16, vcc_lo, 0, v16, vcc_lo
	v_cmp_eq_f32_e32 vcc_lo, 0x7f800000, v18
	s_delay_alu instid0(VALU_DEP_2) | instskip(SKIP_2) | instid1(VALU_DEP_2)
	v_sub_nc_u32_e32 v20, 0, v16
	v_cvt_f32_i32_e32 v16, v16
	s_or_b32 vcc_lo, s14, vcc_lo
	v_ldexp_f32 v19, v19, v20
	v_ldexp_f32 v17, v17, v20
	s_delay_alu instid0(VALU_DEP_2) | instskip(NEXT) | instid1(VALU_DEP_1)
	v_add_f32_e32 v22, 1.0, v19
	v_dual_add_f32 v20, -1.0, v19 :: v_dual_add_f32 v21, -1.0, v22
	s_delay_alu instid0(VALU_DEP_1) | instskip(NEXT) | instid1(VALU_DEP_2)
	v_add_f32_e32 v23, 1.0, v20
	v_sub_f32_e32 v21, v19, v21
	s_delay_alu instid0(VALU_DEP_2) | instskip(NEXT) | instid1(VALU_DEP_2)
	v_sub_f32_e32 v19, v19, v23
	v_add_f32_e32 v21, v17, v21
	s_delay_alu instid0(VALU_DEP_2) | instskip(NEXT) | instid1(VALU_DEP_1)
	v_add_f32_e32 v17, v17, v19
	v_add_f32_e32 v24, v20, v17
	s_delay_alu instid0(VALU_DEP_1) | instskip(NEXT) | instid1(VALU_DEP_1)
	v_dual_add_f32 v23, v22, v21 :: v_dual_sub_f32 v20, v20, v24
	v_rcp_f32_e32 v19, v23
	v_sub_f32_e32 v22, v22, v23
	s_delay_alu instid0(VALU_DEP_1) | instskip(SKIP_2) | instid1(VALU_DEP_1)
	v_add_f32_e32 v21, v21, v22
	s_waitcnt_depctr 0xfff
	v_mul_f32_e32 v25, v24, v19
	v_mul_f32_e32 v26, v23, v25
	s_delay_alu instid0(VALU_DEP_1) | instskip(NEXT) | instid1(VALU_DEP_1)
	v_fma_f32 v22, v25, v23, -v26
	v_fmac_f32_e32 v22, v25, v21
	s_delay_alu instid0(VALU_DEP_1) | instskip(NEXT) | instid1(VALU_DEP_1)
	v_add_f32_e32 v27, v26, v22
	v_sub_f32_e32 v28, v24, v27
	s_delay_alu instid0(VALU_DEP_1) | instskip(SKIP_1) | instid1(VALU_DEP_2)
	v_sub_f32_e32 v24, v24, v28
	v_dual_add_f32 v17, v17, v20 :: v_dual_sub_f32 v20, v27, v26
	v_sub_f32_e32 v24, v24, v27
	s_delay_alu instid0(VALU_DEP_1) | instskip(NEXT) | instid1(VALU_DEP_1)
	v_dual_sub_f32 v20, v20, v22 :: v_dual_add_f32 v17, v17, v24
	v_add_f32_e32 v17, v20, v17
	s_delay_alu instid0(VALU_DEP_1) | instskip(NEXT) | instid1(VALU_DEP_1)
	v_add_f32_e32 v20, v28, v17
	v_mul_f32_e32 v22, v19, v20
	s_delay_alu instid0(VALU_DEP_1) | instskip(NEXT) | instid1(VALU_DEP_1)
	v_dual_sub_f32 v27, v28, v20 :: v_dual_mul_f32 v24, v23, v22
	v_add_f32_e32 v17, v17, v27
	s_delay_alu instid0(VALU_DEP_2) | instskip(NEXT) | instid1(VALU_DEP_1)
	v_fma_f32 v23, v22, v23, -v24
	v_fmac_f32_e32 v23, v22, v21
	s_delay_alu instid0(VALU_DEP_1) | instskip(NEXT) | instid1(VALU_DEP_1)
	v_add_f32_e32 v21, v24, v23
	v_sub_f32_e32 v26, v20, v21
	s_delay_alu instid0(VALU_DEP_1) | instskip(NEXT) | instid1(VALU_DEP_1)
	v_sub_f32_e32 v20, v20, v26
	v_sub_f32_e32 v20, v20, v21
	s_delay_alu instid0(VALU_DEP_1) | instskip(SKIP_2) | instid1(VALU_DEP_1)
	v_add_f32_e32 v17, v17, v20
	v_add_f32_e32 v20, v25, v22
	v_sub_f32_e32 v24, v21, v24
	v_sub_f32_e32 v21, v24, v23
	s_delay_alu instid0(VALU_DEP_1) | instskip(NEXT) | instid1(VALU_DEP_4)
	v_add_f32_e32 v17, v21, v17
	v_sub_f32_e32 v21, v20, v25
	s_delay_alu instid0(VALU_DEP_2) | instskip(NEXT) | instid1(VALU_DEP_2)
	v_add_f32_e32 v17, v26, v17
	v_sub_f32_e32 v21, v22, v21
	s_delay_alu instid0(VALU_DEP_2) | instskip(NEXT) | instid1(VALU_DEP_1)
	v_mul_f32_e32 v17, v19, v17
	v_add_f32_e32 v17, v21, v17
	s_delay_alu instid0(VALU_DEP_1) | instskip(NEXT) | instid1(VALU_DEP_1)
	v_add_f32_e32 v19, v20, v17
	v_mul_f32_e32 v21, v19, v19
	s_delay_alu instid0(VALU_DEP_1) | instskip(SKIP_1) | instid1(VALU_DEP_2)
	v_fmaak_f32 v22, s48, v21, 0x3ecc95a3
	v_mul_f32_e32 v23, v19, v21
	v_fmaak_f32 v21, v21, v22, 0x3f2aaada
	v_ldexp_f32 v22, v19, 1
	s_delay_alu instid0(VALU_DEP_2) | instskip(SKIP_1) | instid1(VALU_DEP_2)
	v_mul_f32_e32 v21, v23, v21
	v_sub_f32_e32 v19, v19, v20
	v_dual_mul_f32 v23, 0x3f317218, v16 :: v_dual_add_f32 v20, v22, v21
	s_delay_alu instid0(VALU_DEP_2) | instskip(NEXT) | instid1(VALU_DEP_2)
	v_sub_f32_e32 v17, v17, v19
	v_sub_f32_e32 v19, v20, v22
	s_delay_alu instid0(VALU_DEP_3) | instskip(NEXT) | instid1(VALU_DEP_3)
	v_fma_f32 v22, 0x3f317218, v16, -v23
	v_ldexp_f32 v17, v17, 1
	s_delay_alu instid0(VALU_DEP_2) | instskip(NEXT) | instid1(VALU_DEP_1)
	v_dual_sub_f32 v19, v21, v19 :: v_dual_fmac_f32 v22, 0xb102e308, v16
	v_dual_add_f32 v16, v17, v19 :: v_dual_add_f32 v17, v23, v22
	s_delay_alu instid0(VALU_DEP_1) | instskip(NEXT) | instid1(VALU_DEP_1)
	v_add_f32_e32 v19, v20, v16
	v_dual_add_f32 v21, v17, v19 :: v_dual_sub_f32 v20, v19, v20
	s_delay_alu instid0(VALU_DEP_1) | instskip(NEXT) | instid1(VALU_DEP_2)
	v_sub_f32_e32 v24, v21, v17
	v_dual_sub_f32 v23, v17, v23 :: v_dual_sub_f32 v16, v16, v20
	s_delay_alu instid0(VALU_DEP_1) | instskip(SKIP_1) | instid1(VALU_DEP_2)
	v_dual_sub_f32 v25, v21, v24 :: v_dual_sub_f32 v22, v22, v23
	v_sub_f32_e32 v19, v19, v24
	v_dual_sub_f32 v17, v17, v25 :: v_dual_add_f32 v20, v22, v16
	s_delay_alu instid0(VALU_DEP_1) | instskip(NEXT) | instid1(VALU_DEP_2)
	v_add_f32_e32 v17, v19, v17
	v_sub_f32_e32 v19, v20, v22
	s_delay_alu instid0(VALU_DEP_2) | instskip(NEXT) | instid1(VALU_DEP_2)
	v_add_f32_e32 v17, v20, v17
	v_sub_f32_e32 v20, v20, v19
	s_delay_alu instid0(VALU_DEP_2) | instskip(NEXT) | instid1(VALU_DEP_1)
	v_dual_sub_f32 v16, v16, v19 :: v_dual_add_f32 v23, v21, v17
	v_dual_sub_f32 v20, v22, v20 :: v_dual_sub_f32 v19, v23, v21
	s_delay_alu instid0(VALU_DEP_1) | instskip(NEXT) | instid1(VALU_DEP_1)
	v_dual_add_f32 v16, v16, v20 :: v_dual_sub_f32 v17, v17, v19
	v_add_f32_e32 v16, v16, v17
	s_delay_alu instid0(VALU_DEP_1) | instskip(NEXT) | instid1(VALU_DEP_1)
	v_add_f32_e32 v16, v23, v16
	v_cndmask_b32_e32 v67, v16, v18, vcc_lo
.LBB139_30:                             ;   in Loop: Header=BB139_12 Depth=1
	s_or_b32 exec_lo, exec_lo, s15
	v_add_f32_e32 v68, s50, v1
	s_delay_alu instid0(VALU_DEP_1) | instskip(SKIP_1) | instid1(SALU_CYCLE_1)
	v_cmp_ge_f32_e32 vcc_lo, 0x41a00000, v68
	s_and_b32 s14, s59, vcc_lo
	s_and_saveexec_b32 s15, s14
	s_cbranch_execz .LBB139_32
; %bb.31:                               ;   in Loop: Header=BB139_12 Depth=1
	v_mul_f32_e32 v16, 0x3fb8aa3b, v68
	v_cmp_ngt_f32_e32 vcc_lo, 0xc2ce8ed0, v68
	s_delay_alu instid0(VALU_DEP_2) | instskip(SKIP_1) | instid1(VALU_DEP_2)
	v_rndne_f32_e32 v17, v16
	v_fma_f32 v18, 0x3fb8aa3b, v68, -v16
	v_sub_f32_e32 v16, v16, v17
	s_delay_alu instid0(VALU_DEP_2) | instskip(SKIP_1) | instid1(VALU_DEP_2)
	v_fmac_f32_e32 v18, 0x32a5705f, v68
	v_cvt_i32_f32_e32 v17, v17
	v_add_f32_e32 v16, v16, v18
	s_delay_alu instid0(VALU_DEP_1) | instskip(SKIP_2) | instid1(VALU_DEP_1)
	v_exp_f32_e32 v16, v16
	s_waitcnt_depctr 0xfff
	v_ldexp_f32 v16, v16, v17
	v_cndmask_b32_e32 v16, 0, v16, vcc_lo
	v_cmp_nlt_f32_e32 vcc_lo, 0x42b17218, v68
	s_delay_alu instid0(VALU_DEP_2) | instskip(NEXT) | instid1(VALU_DEP_1)
	v_cndmask_b32_e32 v18, 0x7f800000, v16, vcc_lo
	v_add_f32_e32 v19, 1.0, v18
	s_delay_alu instid0(VALU_DEP_1) | instskip(NEXT) | instid1(VALU_DEP_1)
	v_cvt_f64_f32_e32 v[16:17], v19
	v_frexp_exp_i32_f64_e32 v16, v[16:17]
	v_frexp_mant_f32_e32 v17, v19
	s_delay_alu instid0(VALU_DEP_1) | instskip(SKIP_1) | instid1(VALU_DEP_1)
	v_cmp_gt_f32_e32 vcc_lo, 0x3f2aaaab, v17
	v_add_f32_e32 v17, -1.0, v19
	v_sub_f32_e32 v21, v17, v19
	v_sub_f32_e32 v17, v18, v17
	s_delay_alu instid0(VALU_DEP_2) | instskip(NEXT) | instid1(VALU_DEP_1)
	v_add_f32_e32 v21, 1.0, v21
	v_add_f32_e32 v17, v17, v21
	v_cmp_gt_f32_e64 s14, 0x33800000, v18
	v_subrev_co_ci_u32_e32 v16, vcc_lo, 0, v16, vcc_lo
	v_cmp_eq_f32_e32 vcc_lo, 0x7f800000, v18
	s_delay_alu instid0(VALU_DEP_2) | instskip(SKIP_2) | instid1(VALU_DEP_2)
	v_sub_nc_u32_e32 v20, 0, v16
	v_cvt_f32_i32_e32 v16, v16
	s_or_b32 vcc_lo, s14, vcc_lo
	v_ldexp_f32 v19, v19, v20
	v_ldexp_f32 v17, v17, v20
	s_delay_alu instid0(VALU_DEP_2) | instskip(NEXT) | instid1(VALU_DEP_1)
	v_add_f32_e32 v22, 1.0, v19
	v_dual_add_f32 v20, -1.0, v19 :: v_dual_add_f32 v21, -1.0, v22
	s_delay_alu instid0(VALU_DEP_1) | instskip(NEXT) | instid1(VALU_DEP_2)
	v_add_f32_e32 v23, 1.0, v20
	v_sub_f32_e32 v21, v19, v21
	s_delay_alu instid0(VALU_DEP_2) | instskip(NEXT) | instid1(VALU_DEP_2)
	v_sub_f32_e32 v19, v19, v23
	v_add_f32_e32 v21, v17, v21
	s_delay_alu instid0(VALU_DEP_2) | instskip(NEXT) | instid1(VALU_DEP_1)
	v_add_f32_e32 v17, v17, v19
	v_add_f32_e32 v24, v20, v17
	s_delay_alu instid0(VALU_DEP_1) | instskip(NEXT) | instid1(VALU_DEP_1)
	v_dual_add_f32 v23, v22, v21 :: v_dual_sub_f32 v20, v20, v24
	v_rcp_f32_e32 v19, v23
	v_sub_f32_e32 v22, v22, v23
	s_delay_alu instid0(VALU_DEP_1) | instskip(SKIP_2) | instid1(VALU_DEP_1)
	v_add_f32_e32 v21, v21, v22
	s_waitcnt_depctr 0xfff
	v_mul_f32_e32 v25, v24, v19
	v_mul_f32_e32 v26, v23, v25
	s_delay_alu instid0(VALU_DEP_1) | instskip(NEXT) | instid1(VALU_DEP_1)
	v_fma_f32 v22, v25, v23, -v26
	v_fmac_f32_e32 v22, v25, v21
	s_delay_alu instid0(VALU_DEP_1) | instskip(NEXT) | instid1(VALU_DEP_1)
	v_add_f32_e32 v27, v26, v22
	v_sub_f32_e32 v28, v24, v27
	s_delay_alu instid0(VALU_DEP_1) | instskip(SKIP_1) | instid1(VALU_DEP_2)
	v_sub_f32_e32 v24, v24, v28
	v_dual_add_f32 v17, v17, v20 :: v_dual_sub_f32 v20, v27, v26
	v_sub_f32_e32 v24, v24, v27
	s_delay_alu instid0(VALU_DEP_1) | instskip(NEXT) | instid1(VALU_DEP_1)
	v_dual_sub_f32 v20, v20, v22 :: v_dual_add_f32 v17, v17, v24
	v_add_f32_e32 v17, v20, v17
	s_delay_alu instid0(VALU_DEP_1) | instskip(NEXT) | instid1(VALU_DEP_1)
	v_add_f32_e32 v20, v28, v17
	v_mul_f32_e32 v22, v19, v20
	s_delay_alu instid0(VALU_DEP_1) | instskip(NEXT) | instid1(VALU_DEP_1)
	v_dual_sub_f32 v27, v28, v20 :: v_dual_mul_f32 v24, v23, v22
	v_add_f32_e32 v17, v17, v27
	s_delay_alu instid0(VALU_DEP_2) | instskip(NEXT) | instid1(VALU_DEP_1)
	v_fma_f32 v23, v22, v23, -v24
	v_fmac_f32_e32 v23, v22, v21
	s_delay_alu instid0(VALU_DEP_1) | instskip(NEXT) | instid1(VALU_DEP_1)
	v_add_f32_e32 v21, v24, v23
	v_sub_f32_e32 v26, v20, v21
	s_delay_alu instid0(VALU_DEP_1) | instskip(NEXT) | instid1(VALU_DEP_1)
	v_sub_f32_e32 v20, v20, v26
	v_sub_f32_e32 v20, v20, v21
	s_delay_alu instid0(VALU_DEP_1) | instskip(SKIP_2) | instid1(VALU_DEP_1)
	v_add_f32_e32 v17, v17, v20
	v_add_f32_e32 v20, v25, v22
	v_sub_f32_e32 v24, v21, v24
	v_sub_f32_e32 v21, v24, v23
	s_delay_alu instid0(VALU_DEP_1) | instskip(NEXT) | instid1(VALU_DEP_4)
	v_add_f32_e32 v17, v21, v17
	v_sub_f32_e32 v21, v20, v25
	s_delay_alu instid0(VALU_DEP_2) | instskip(NEXT) | instid1(VALU_DEP_2)
	v_add_f32_e32 v17, v26, v17
	v_sub_f32_e32 v21, v22, v21
	s_delay_alu instid0(VALU_DEP_2) | instskip(NEXT) | instid1(VALU_DEP_1)
	v_mul_f32_e32 v17, v19, v17
	v_add_f32_e32 v17, v21, v17
	s_delay_alu instid0(VALU_DEP_1) | instskip(NEXT) | instid1(VALU_DEP_1)
	v_add_f32_e32 v19, v20, v17
	v_mul_f32_e32 v21, v19, v19
	s_delay_alu instid0(VALU_DEP_1) | instskip(SKIP_1) | instid1(VALU_DEP_2)
	v_fmaak_f32 v22, s48, v21, 0x3ecc95a3
	v_mul_f32_e32 v23, v19, v21
	v_fmaak_f32 v21, v21, v22, 0x3f2aaada
	v_ldexp_f32 v22, v19, 1
	s_delay_alu instid0(VALU_DEP_2) | instskip(SKIP_1) | instid1(VALU_DEP_2)
	v_mul_f32_e32 v21, v23, v21
	v_sub_f32_e32 v19, v19, v20
	v_dual_mul_f32 v23, 0x3f317218, v16 :: v_dual_add_f32 v20, v22, v21
	s_delay_alu instid0(VALU_DEP_2) | instskip(NEXT) | instid1(VALU_DEP_2)
	v_sub_f32_e32 v17, v17, v19
	v_sub_f32_e32 v19, v20, v22
	s_delay_alu instid0(VALU_DEP_3) | instskip(NEXT) | instid1(VALU_DEP_3)
	v_fma_f32 v22, 0x3f317218, v16, -v23
	v_ldexp_f32 v17, v17, 1
	s_delay_alu instid0(VALU_DEP_2) | instskip(NEXT) | instid1(VALU_DEP_1)
	v_dual_sub_f32 v19, v21, v19 :: v_dual_fmac_f32 v22, 0xb102e308, v16
	v_dual_add_f32 v16, v17, v19 :: v_dual_add_f32 v17, v23, v22
	s_delay_alu instid0(VALU_DEP_1) | instskip(NEXT) | instid1(VALU_DEP_1)
	v_add_f32_e32 v19, v20, v16
	v_dual_add_f32 v21, v17, v19 :: v_dual_sub_f32 v20, v19, v20
	s_delay_alu instid0(VALU_DEP_1) | instskip(NEXT) | instid1(VALU_DEP_2)
	v_sub_f32_e32 v24, v21, v17
	v_dual_sub_f32 v23, v17, v23 :: v_dual_sub_f32 v16, v16, v20
	s_delay_alu instid0(VALU_DEP_1) | instskip(SKIP_1) | instid1(VALU_DEP_2)
	v_dual_sub_f32 v25, v21, v24 :: v_dual_sub_f32 v22, v22, v23
	v_sub_f32_e32 v19, v19, v24
	v_dual_sub_f32 v17, v17, v25 :: v_dual_add_f32 v20, v22, v16
	s_delay_alu instid0(VALU_DEP_1) | instskip(NEXT) | instid1(VALU_DEP_2)
	v_add_f32_e32 v17, v19, v17
	v_sub_f32_e32 v19, v20, v22
	s_delay_alu instid0(VALU_DEP_2) | instskip(NEXT) | instid1(VALU_DEP_2)
	v_add_f32_e32 v17, v20, v17
	v_sub_f32_e32 v20, v20, v19
	s_delay_alu instid0(VALU_DEP_2) | instskip(NEXT) | instid1(VALU_DEP_1)
	v_dual_sub_f32 v16, v16, v19 :: v_dual_add_f32 v23, v21, v17
	v_dual_sub_f32 v20, v22, v20 :: v_dual_sub_f32 v19, v23, v21
	s_delay_alu instid0(VALU_DEP_1) | instskip(NEXT) | instid1(VALU_DEP_1)
	v_dual_add_f32 v16, v16, v20 :: v_dual_sub_f32 v17, v17, v19
	v_add_f32_e32 v16, v16, v17
	s_delay_alu instid0(VALU_DEP_1) | instskip(NEXT) | instid1(VALU_DEP_1)
	v_add_f32_e32 v16, v23, v16
	v_cndmask_b32_e32 v68, v16, v18, vcc_lo
.LBB139_32:                             ;   in Loop: Header=BB139_12 Depth=1
	s_or_b32 exec_lo, exec_lo, s15
	v_add_f32_e32 v69, s50, v2
	s_delay_alu instid0(VALU_DEP_1) | instskip(SKIP_1) | instid1(SALU_CYCLE_1)
	v_cmp_ge_f32_e32 vcc_lo, 0x41a00000, v69
	s_and_b32 s14, s59, vcc_lo
	s_and_saveexec_b32 s15, s14
	s_cbranch_execz .LBB139_34
; %bb.33:                               ;   in Loop: Header=BB139_12 Depth=1
	v_mul_f32_e32 v16, 0x3fb8aa3b, v69
	v_cmp_ngt_f32_e32 vcc_lo, 0xc2ce8ed0, v69
	s_delay_alu instid0(VALU_DEP_2) | instskip(SKIP_1) | instid1(VALU_DEP_2)
	v_rndne_f32_e32 v17, v16
	v_fma_f32 v18, 0x3fb8aa3b, v69, -v16
	v_sub_f32_e32 v16, v16, v17
	s_delay_alu instid0(VALU_DEP_2) | instskip(SKIP_1) | instid1(VALU_DEP_2)
	v_fmac_f32_e32 v18, 0x32a5705f, v69
	v_cvt_i32_f32_e32 v17, v17
	v_add_f32_e32 v16, v16, v18
	s_delay_alu instid0(VALU_DEP_1) | instskip(SKIP_2) | instid1(VALU_DEP_1)
	v_exp_f32_e32 v16, v16
	s_waitcnt_depctr 0xfff
	v_ldexp_f32 v16, v16, v17
	v_cndmask_b32_e32 v16, 0, v16, vcc_lo
	v_cmp_nlt_f32_e32 vcc_lo, 0x42b17218, v69
	s_delay_alu instid0(VALU_DEP_2) | instskip(NEXT) | instid1(VALU_DEP_1)
	v_cndmask_b32_e32 v18, 0x7f800000, v16, vcc_lo
	v_add_f32_e32 v19, 1.0, v18
	s_delay_alu instid0(VALU_DEP_1) | instskip(NEXT) | instid1(VALU_DEP_1)
	v_cvt_f64_f32_e32 v[16:17], v19
	v_frexp_exp_i32_f64_e32 v16, v[16:17]
	v_frexp_mant_f32_e32 v17, v19
	s_delay_alu instid0(VALU_DEP_1) | instskip(SKIP_1) | instid1(VALU_DEP_1)
	v_cmp_gt_f32_e32 vcc_lo, 0x3f2aaaab, v17
	v_add_f32_e32 v17, -1.0, v19
	v_sub_f32_e32 v21, v17, v19
	v_sub_f32_e32 v17, v18, v17
	s_delay_alu instid0(VALU_DEP_2) | instskip(NEXT) | instid1(VALU_DEP_1)
	v_add_f32_e32 v21, 1.0, v21
	v_add_f32_e32 v17, v17, v21
	v_cmp_gt_f32_e64 s14, 0x33800000, v18
	v_subrev_co_ci_u32_e32 v16, vcc_lo, 0, v16, vcc_lo
	v_cmp_eq_f32_e32 vcc_lo, 0x7f800000, v18
	s_delay_alu instid0(VALU_DEP_2) | instskip(SKIP_2) | instid1(VALU_DEP_2)
	v_sub_nc_u32_e32 v20, 0, v16
	v_cvt_f32_i32_e32 v16, v16
	s_or_b32 vcc_lo, s14, vcc_lo
	v_ldexp_f32 v19, v19, v20
	v_ldexp_f32 v17, v17, v20
	s_delay_alu instid0(VALU_DEP_2) | instskip(NEXT) | instid1(VALU_DEP_1)
	v_add_f32_e32 v22, 1.0, v19
	v_dual_add_f32 v20, -1.0, v19 :: v_dual_add_f32 v21, -1.0, v22
	s_delay_alu instid0(VALU_DEP_1) | instskip(NEXT) | instid1(VALU_DEP_2)
	v_add_f32_e32 v23, 1.0, v20
	v_sub_f32_e32 v21, v19, v21
	s_delay_alu instid0(VALU_DEP_2) | instskip(NEXT) | instid1(VALU_DEP_2)
	v_sub_f32_e32 v19, v19, v23
	v_add_f32_e32 v21, v17, v21
	s_delay_alu instid0(VALU_DEP_2) | instskip(NEXT) | instid1(VALU_DEP_1)
	v_add_f32_e32 v17, v17, v19
	v_add_f32_e32 v24, v20, v17
	s_delay_alu instid0(VALU_DEP_1) | instskip(NEXT) | instid1(VALU_DEP_1)
	v_dual_add_f32 v23, v22, v21 :: v_dual_sub_f32 v20, v20, v24
	v_rcp_f32_e32 v19, v23
	v_sub_f32_e32 v22, v22, v23
	s_delay_alu instid0(VALU_DEP_1) | instskip(SKIP_2) | instid1(VALU_DEP_1)
	v_add_f32_e32 v21, v21, v22
	s_waitcnt_depctr 0xfff
	v_mul_f32_e32 v25, v24, v19
	v_mul_f32_e32 v26, v23, v25
	s_delay_alu instid0(VALU_DEP_1) | instskip(NEXT) | instid1(VALU_DEP_1)
	v_fma_f32 v22, v25, v23, -v26
	v_fmac_f32_e32 v22, v25, v21
	s_delay_alu instid0(VALU_DEP_1) | instskip(NEXT) | instid1(VALU_DEP_1)
	v_add_f32_e32 v27, v26, v22
	v_sub_f32_e32 v28, v24, v27
	s_delay_alu instid0(VALU_DEP_1) | instskip(SKIP_1) | instid1(VALU_DEP_2)
	v_sub_f32_e32 v24, v24, v28
	v_dual_add_f32 v17, v17, v20 :: v_dual_sub_f32 v20, v27, v26
	v_sub_f32_e32 v24, v24, v27
	s_delay_alu instid0(VALU_DEP_1) | instskip(NEXT) | instid1(VALU_DEP_1)
	v_dual_sub_f32 v20, v20, v22 :: v_dual_add_f32 v17, v17, v24
	v_add_f32_e32 v17, v20, v17
	s_delay_alu instid0(VALU_DEP_1) | instskip(NEXT) | instid1(VALU_DEP_1)
	v_add_f32_e32 v20, v28, v17
	v_mul_f32_e32 v22, v19, v20
	s_delay_alu instid0(VALU_DEP_1) | instskip(NEXT) | instid1(VALU_DEP_1)
	v_dual_sub_f32 v27, v28, v20 :: v_dual_mul_f32 v24, v23, v22
	v_add_f32_e32 v17, v17, v27
	s_delay_alu instid0(VALU_DEP_2) | instskip(NEXT) | instid1(VALU_DEP_1)
	v_fma_f32 v23, v22, v23, -v24
	v_fmac_f32_e32 v23, v22, v21
	s_delay_alu instid0(VALU_DEP_1) | instskip(NEXT) | instid1(VALU_DEP_1)
	v_add_f32_e32 v21, v24, v23
	v_sub_f32_e32 v26, v20, v21
	s_delay_alu instid0(VALU_DEP_1) | instskip(NEXT) | instid1(VALU_DEP_1)
	v_sub_f32_e32 v20, v20, v26
	v_sub_f32_e32 v20, v20, v21
	s_delay_alu instid0(VALU_DEP_1) | instskip(SKIP_2) | instid1(VALU_DEP_1)
	v_add_f32_e32 v17, v17, v20
	v_add_f32_e32 v20, v25, v22
	v_sub_f32_e32 v24, v21, v24
	v_sub_f32_e32 v21, v24, v23
	s_delay_alu instid0(VALU_DEP_1) | instskip(NEXT) | instid1(VALU_DEP_4)
	v_add_f32_e32 v17, v21, v17
	v_sub_f32_e32 v21, v20, v25
	s_delay_alu instid0(VALU_DEP_2) | instskip(NEXT) | instid1(VALU_DEP_2)
	v_add_f32_e32 v17, v26, v17
	v_sub_f32_e32 v21, v22, v21
	s_delay_alu instid0(VALU_DEP_2) | instskip(NEXT) | instid1(VALU_DEP_1)
	v_mul_f32_e32 v17, v19, v17
	v_add_f32_e32 v17, v21, v17
	s_delay_alu instid0(VALU_DEP_1) | instskip(NEXT) | instid1(VALU_DEP_1)
	v_add_f32_e32 v19, v20, v17
	v_mul_f32_e32 v21, v19, v19
	s_delay_alu instid0(VALU_DEP_1) | instskip(SKIP_1) | instid1(VALU_DEP_2)
	v_fmaak_f32 v22, s48, v21, 0x3ecc95a3
	v_mul_f32_e32 v23, v19, v21
	v_fmaak_f32 v21, v21, v22, 0x3f2aaada
	v_ldexp_f32 v22, v19, 1
	s_delay_alu instid0(VALU_DEP_2) | instskip(SKIP_1) | instid1(VALU_DEP_2)
	v_mul_f32_e32 v21, v23, v21
	v_sub_f32_e32 v19, v19, v20
	v_dual_mul_f32 v23, 0x3f317218, v16 :: v_dual_add_f32 v20, v22, v21
	s_delay_alu instid0(VALU_DEP_2) | instskip(NEXT) | instid1(VALU_DEP_2)
	v_sub_f32_e32 v17, v17, v19
	v_sub_f32_e32 v19, v20, v22
	s_delay_alu instid0(VALU_DEP_3) | instskip(NEXT) | instid1(VALU_DEP_3)
	v_fma_f32 v22, 0x3f317218, v16, -v23
	v_ldexp_f32 v17, v17, 1
	s_delay_alu instid0(VALU_DEP_2) | instskip(NEXT) | instid1(VALU_DEP_1)
	v_dual_sub_f32 v19, v21, v19 :: v_dual_fmac_f32 v22, 0xb102e308, v16
	v_dual_add_f32 v16, v17, v19 :: v_dual_add_f32 v17, v23, v22
	s_delay_alu instid0(VALU_DEP_1) | instskip(NEXT) | instid1(VALU_DEP_1)
	v_add_f32_e32 v19, v20, v16
	v_dual_add_f32 v21, v17, v19 :: v_dual_sub_f32 v20, v19, v20
	s_delay_alu instid0(VALU_DEP_1) | instskip(NEXT) | instid1(VALU_DEP_2)
	v_sub_f32_e32 v24, v21, v17
	v_dual_sub_f32 v23, v17, v23 :: v_dual_sub_f32 v16, v16, v20
	s_delay_alu instid0(VALU_DEP_1) | instskip(SKIP_1) | instid1(VALU_DEP_2)
	v_dual_sub_f32 v25, v21, v24 :: v_dual_sub_f32 v22, v22, v23
	v_sub_f32_e32 v19, v19, v24
	v_dual_sub_f32 v17, v17, v25 :: v_dual_add_f32 v20, v22, v16
	s_delay_alu instid0(VALU_DEP_1) | instskip(NEXT) | instid1(VALU_DEP_2)
	v_add_f32_e32 v17, v19, v17
	v_sub_f32_e32 v19, v20, v22
	s_delay_alu instid0(VALU_DEP_2) | instskip(NEXT) | instid1(VALU_DEP_2)
	v_add_f32_e32 v17, v20, v17
	v_sub_f32_e32 v20, v20, v19
	s_delay_alu instid0(VALU_DEP_2) | instskip(NEXT) | instid1(VALU_DEP_1)
	v_dual_sub_f32 v16, v16, v19 :: v_dual_add_f32 v23, v21, v17
	v_dual_sub_f32 v20, v22, v20 :: v_dual_sub_f32 v19, v23, v21
	s_delay_alu instid0(VALU_DEP_1) | instskip(NEXT) | instid1(VALU_DEP_1)
	v_dual_add_f32 v16, v16, v20 :: v_dual_sub_f32 v17, v17, v19
	v_add_f32_e32 v16, v16, v17
	s_delay_alu instid0(VALU_DEP_1) | instskip(NEXT) | instid1(VALU_DEP_1)
	v_add_f32_e32 v16, v23, v16
	v_cndmask_b32_e32 v69, v16, v18, vcc_lo
.LBB139_34:                             ;   in Loop: Header=BB139_12 Depth=1
	s_or_b32 exec_lo, exec_lo, s15
	v_add_f32_e32 v70, s50, v3
	s_delay_alu instid0(VALU_DEP_1) | instskip(SKIP_1) | instid1(SALU_CYCLE_1)
	v_cmp_ge_f32_e32 vcc_lo, 0x41a00000, v70
	s_and_b32 s14, s59, vcc_lo
	s_and_saveexec_b32 s15, s14
	s_cbranch_execz .LBB139_36
; %bb.35:                               ;   in Loop: Header=BB139_12 Depth=1
	v_mul_f32_e32 v16, 0x3fb8aa3b, v70
	v_cmp_ngt_f32_e32 vcc_lo, 0xc2ce8ed0, v70
	s_delay_alu instid0(VALU_DEP_2) | instskip(SKIP_1) | instid1(VALU_DEP_2)
	v_rndne_f32_e32 v17, v16
	v_fma_f32 v18, 0x3fb8aa3b, v70, -v16
	v_sub_f32_e32 v16, v16, v17
	s_delay_alu instid0(VALU_DEP_2) | instskip(SKIP_1) | instid1(VALU_DEP_2)
	v_fmac_f32_e32 v18, 0x32a5705f, v70
	v_cvt_i32_f32_e32 v17, v17
	v_add_f32_e32 v16, v16, v18
	s_delay_alu instid0(VALU_DEP_1) | instskip(SKIP_2) | instid1(VALU_DEP_1)
	v_exp_f32_e32 v16, v16
	s_waitcnt_depctr 0xfff
	v_ldexp_f32 v16, v16, v17
	v_cndmask_b32_e32 v16, 0, v16, vcc_lo
	v_cmp_nlt_f32_e32 vcc_lo, 0x42b17218, v70
	s_delay_alu instid0(VALU_DEP_2) | instskip(NEXT) | instid1(VALU_DEP_1)
	v_cndmask_b32_e32 v18, 0x7f800000, v16, vcc_lo
	v_add_f32_e32 v19, 1.0, v18
	s_delay_alu instid0(VALU_DEP_1) | instskip(NEXT) | instid1(VALU_DEP_1)
	v_cvt_f64_f32_e32 v[16:17], v19
	v_frexp_exp_i32_f64_e32 v16, v[16:17]
	v_frexp_mant_f32_e32 v17, v19
	s_delay_alu instid0(VALU_DEP_1) | instskip(SKIP_1) | instid1(VALU_DEP_1)
	v_cmp_gt_f32_e32 vcc_lo, 0x3f2aaaab, v17
	v_add_f32_e32 v17, -1.0, v19
	v_sub_f32_e32 v21, v17, v19
	v_sub_f32_e32 v17, v18, v17
	s_delay_alu instid0(VALU_DEP_2) | instskip(NEXT) | instid1(VALU_DEP_1)
	v_add_f32_e32 v21, 1.0, v21
	v_add_f32_e32 v17, v17, v21
	v_cmp_gt_f32_e64 s14, 0x33800000, v18
	v_subrev_co_ci_u32_e32 v16, vcc_lo, 0, v16, vcc_lo
	v_cmp_eq_f32_e32 vcc_lo, 0x7f800000, v18
	s_delay_alu instid0(VALU_DEP_2) | instskip(SKIP_2) | instid1(VALU_DEP_2)
	v_sub_nc_u32_e32 v20, 0, v16
	v_cvt_f32_i32_e32 v16, v16
	s_or_b32 vcc_lo, s14, vcc_lo
	v_ldexp_f32 v19, v19, v20
	v_ldexp_f32 v17, v17, v20
	s_delay_alu instid0(VALU_DEP_2) | instskip(NEXT) | instid1(VALU_DEP_1)
	v_add_f32_e32 v22, 1.0, v19
	v_dual_add_f32 v20, -1.0, v19 :: v_dual_add_f32 v21, -1.0, v22
	s_delay_alu instid0(VALU_DEP_1) | instskip(NEXT) | instid1(VALU_DEP_2)
	v_add_f32_e32 v23, 1.0, v20
	v_sub_f32_e32 v21, v19, v21
	s_delay_alu instid0(VALU_DEP_2) | instskip(NEXT) | instid1(VALU_DEP_2)
	v_sub_f32_e32 v19, v19, v23
	v_add_f32_e32 v21, v17, v21
	s_delay_alu instid0(VALU_DEP_2) | instskip(NEXT) | instid1(VALU_DEP_1)
	v_add_f32_e32 v17, v17, v19
	v_add_f32_e32 v24, v20, v17
	s_delay_alu instid0(VALU_DEP_1) | instskip(NEXT) | instid1(VALU_DEP_1)
	v_dual_add_f32 v23, v22, v21 :: v_dual_sub_f32 v20, v20, v24
	v_rcp_f32_e32 v19, v23
	v_sub_f32_e32 v22, v22, v23
	s_delay_alu instid0(VALU_DEP_1) | instskip(SKIP_2) | instid1(VALU_DEP_1)
	v_add_f32_e32 v21, v21, v22
	s_waitcnt_depctr 0xfff
	v_mul_f32_e32 v25, v24, v19
	v_mul_f32_e32 v26, v23, v25
	s_delay_alu instid0(VALU_DEP_1) | instskip(NEXT) | instid1(VALU_DEP_1)
	v_fma_f32 v22, v25, v23, -v26
	v_fmac_f32_e32 v22, v25, v21
	s_delay_alu instid0(VALU_DEP_1) | instskip(NEXT) | instid1(VALU_DEP_1)
	v_add_f32_e32 v27, v26, v22
	v_sub_f32_e32 v28, v24, v27
	s_delay_alu instid0(VALU_DEP_1) | instskip(SKIP_1) | instid1(VALU_DEP_2)
	v_sub_f32_e32 v24, v24, v28
	v_dual_add_f32 v17, v17, v20 :: v_dual_sub_f32 v20, v27, v26
	v_sub_f32_e32 v24, v24, v27
	s_delay_alu instid0(VALU_DEP_1) | instskip(NEXT) | instid1(VALU_DEP_1)
	v_dual_sub_f32 v20, v20, v22 :: v_dual_add_f32 v17, v17, v24
	v_add_f32_e32 v17, v20, v17
	s_delay_alu instid0(VALU_DEP_1) | instskip(NEXT) | instid1(VALU_DEP_1)
	v_add_f32_e32 v20, v28, v17
	v_mul_f32_e32 v22, v19, v20
	s_delay_alu instid0(VALU_DEP_1) | instskip(NEXT) | instid1(VALU_DEP_1)
	v_dual_sub_f32 v27, v28, v20 :: v_dual_mul_f32 v24, v23, v22
	v_add_f32_e32 v17, v17, v27
	s_delay_alu instid0(VALU_DEP_2) | instskip(NEXT) | instid1(VALU_DEP_1)
	v_fma_f32 v23, v22, v23, -v24
	v_fmac_f32_e32 v23, v22, v21
	s_delay_alu instid0(VALU_DEP_1) | instskip(NEXT) | instid1(VALU_DEP_1)
	v_add_f32_e32 v21, v24, v23
	v_sub_f32_e32 v26, v20, v21
	s_delay_alu instid0(VALU_DEP_1) | instskip(NEXT) | instid1(VALU_DEP_1)
	v_sub_f32_e32 v20, v20, v26
	v_sub_f32_e32 v20, v20, v21
	s_delay_alu instid0(VALU_DEP_1) | instskip(SKIP_2) | instid1(VALU_DEP_1)
	v_add_f32_e32 v17, v17, v20
	v_add_f32_e32 v20, v25, v22
	v_sub_f32_e32 v24, v21, v24
	v_sub_f32_e32 v21, v24, v23
	s_delay_alu instid0(VALU_DEP_1) | instskip(NEXT) | instid1(VALU_DEP_4)
	v_add_f32_e32 v17, v21, v17
	v_sub_f32_e32 v21, v20, v25
	s_delay_alu instid0(VALU_DEP_2) | instskip(NEXT) | instid1(VALU_DEP_2)
	v_add_f32_e32 v17, v26, v17
	v_sub_f32_e32 v21, v22, v21
	s_delay_alu instid0(VALU_DEP_2) | instskip(NEXT) | instid1(VALU_DEP_1)
	v_mul_f32_e32 v17, v19, v17
	v_add_f32_e32 v17, v21, v17
	s_delay_alu instid0(VALU_DEP_1) | instskip(NEXT) | instid1(VALU_DEP_1)
	v_add_f32_e32 v19, v20, v17
	v_mul_f32_e32 v21, v19, v19
	s_delay_alu instid0(VALU_DEP_1) | instskip(SKIP_1) | instid1(VALU_DEP_2)
	v_fmaak_f32 v22, s48, v21, 0x3ecc95a3
	v_mul_f32_e32 v23, v19, v21
	v_fmaak_f32 v21, v21, v22, 0x3f2aaada
	v_ldexp_f32 v22, v19, 1
	s_delay_alu instid0(VALU_DEP_2) | instskip(SKIP_1) | instid1(VALU_DEP_2)
	v_mul_f32_e32 v21, v23, v21
	v_sub_f32_e32 v19, v19, v20
	v_dual_mul_f32 v23, 0x3f317218, v16 :: v_dual_add_f32 v20, v22, v21
	s_delay_alu instid0(VALU_DEP_2) | instskip(NEXT) | instid1(VALU_DEP_2)
	v_sub_f32_e32 v17, v17, v19
	v_sub_f32_e32 v19, v20, v22
	s_delay_alu instid0(VALU_DEP_3) | instskip(NEXT) | instid1(VALU_DEP_3)
	v_fma_f32 v22, 0x3f317218, v16, -v23
	v_ldexp_f32 v17, v17, 1
	s_delay_alu instid0(VALU_DEP_2) | instskip(NEXT) | instid1(VALU_DEP_1)
	v_dual_sub_f32 v19, v21, v19 :: v_dual_fmac_f32 v22, 0xb102e308, v16
	v_dual_add_f32 v16, v17, v19 :: v_dual_add_f32 v17, v23, v22
	s_delay_alu instid0(VALU_DEP_1) | instskip(NEXT) | instid1(VALU_DEP_1)
	v_add_f32_e32 v19, v20, v16
	v_dual_add_f32 v21, v17, v19 :: v_dual_sub_f32 v20, v19, v20
	s_delay_alu instid0(VALU_DEP_1) | instskip(NEXT) | instid1(VALU_DEP_2)
	v_sub_f32_e32 v24, v21, v17
	v_dual_sub_f32 v23, v17, v23 :: v_dual_sub_f32 v16, v16, v20
	s_delay_alu instid0(VALU_DEP_1) | instskip(SKIP_1) | instid1(VALU_DEP_2)
	v_dual_sub_f32 v25, v21, v24 :: v_dual_sub_f32 v22, v22, v23
	v_sub_f32_e32 v19, v19, v24
	v_dual_sub_f32 v17, v17, v25 :: v_dual_add_f32 v20, v22, v16
	s_delay_alu instid0(VALU_DEP_1) | instskip(NEXT) | instid1(VALU_DEP_2)
	v_add_f32_e32 v17, v19, v17
	v_sub_f32_e32 v19, v20, v22
	s_delay_alu instid0(VALU_DEP_2) | instskip(NEXT) | instid1(VALU_DEP_2)
	v_add_f32_e32 v17, v20, v17
	v_sub_f32_e32 v20, v20, v19
	s_delay_alu instid0(VALU_DEP_2) | instskip(NEXT) | instid1(VALU_DEP_1)
	v_dual_sub_f32 v16, v16, v19 :: v_dual_add_f32 v23, v21, v17
	v_dual_sub_f32 v20, v22, v20 :: v_dual_sub_f32 v19, v23, v21
	s_delay_alu instid0(VALU_DEP_1) | instskip(NEXT) | instid1(VALU_DEP_1)
	v_dual_add_f32 v16, v16, v20 :: v_dual_sub_f32 v17, v17, v19
	v_add_f32_e32 v16, v16, v17
	s_delay_alu instid0(VALU_DEP_1) | instskip(NEXT) | instid1(VALU_DEP_1)
	v_add_f32_e32 v16, v23, v16
	v_cndmask_b32_e32 v70, v16, v18, vcc_lo
.LBB139_36:                             ;   in Loop: Header=BB139_12 Depth=1
	s_or_b32 exec_lo, exec_lo, s15
	v_dual_mul_f32 v18, s51, v6 :: v_dual_mul_f32 v17, s51, v5
	v_dual_mul_f32 v16, s51, v4 :: v_dual_mul_f32 v23, s51, v15
	;; [unrolled: 1-line block ×4, first 2 shown]
	s_lshl_b32 s30, s64, 9
	s_and_b32 vcc_lo, exec_lo, s60
	s_barrier
	buffer_gl0_inv
	s_cbranch_vccz .LBB139_11
; %bb.37:                               ;   in Loop: Header=BB139_12 Depth=1
	v_add_co_u32 v24, s14, s41, v61
	s_delay_alu instid0(VALU_DEP_1) | instskip(SKIP_1) | instid1(VALU_DEP_1)
	v_add_co_ci_u32_e64 v25, null, s55, 0, s14
	v_add_co_u32 v26, s14, s45, v61
	v_add_co_ci_u32_e64 v27, null, s56, 0, s14
	s_delay_alu instid0(VALU_DEP_4) | instskip(NEXT) | instid1(VALU_DEP_4)
	v_add_co_u32 v72, vcc_lo, v24, v62
	v_add_co_ci_u32_e32 v73, vcc_lo, 0, v25, vcc_lo
	s_delay_alu instid0(VALU_DEP_4)
	v_add_co_u32 v74, vcc_lo, v26, v62
	s_sub_i32 s17, s34, s30
	v_add_co_ci_u32_e32 v75, vcc_lo, 0, v27, vcc_lo
	v_cmp_gt_u32_e32 vcc_lo, s17, v48
	s_cmp_lg_u32 s64, 0
	v_cmp_gt_u32_e64 s15, s17, v54
	s_cselect_b32 s31, -1, 0
	s_cmp_eq_u32 s64, s62
	v_cmp_gt_u32_e64 s16, s17, v55
	s_cselect_b32 s65, -1, 0
	s_or_b32 s14, s61, vcc_lo
	v_cmp_gt_u32_e32 vcc_lo, s17, v56
	v_cmp_gt_u32_e64 s18, s17, v57
	v_cmp_gt_u32_e64 s19, s17, v58
	;; [unrolled: 1-line block ×4, first 2 shown]
	v_dual_mul_f32 v71, v7, v70 :: v_dual_mul_f32 v76, v6, v69
	v_dual_mul_f32 v77, v5, v68 :: v_dual_mul_f32 v78, v4, v67
	;; [unrolled: 1-line block ×4, first 2 shown]
	s_mov_b32 s28, 0
	s_or_b32 s15, s61, s15
	s_or_b32 s16, s61, s16
	s_or_b32 s17, s61, vcc_lo
	s_or_b32 s18, s61, s18
	s_or_b32 s19, s61, s19
	;; [unrolled: 1-line block ×4, first 2 shown]
	s_mov_b32 s38, s28
	s_mov_b32 s42, s28
	;; [unrolled: 1-line block ×5, first 2 shown]
	s_branch .LBB139_39
.LBB139_38:                             ;   in Loop: Header=BB139_39 Depth=2
	s_or_b32 exec_lo, exec_lo, s22
	v_cndmask_b32_e64 v33, v96, v35, s13
	v_cndmask_b32_e64 v34, v95, v34, s13
	s_add_i32 s66, s66, -1
	s_add_i32 s67, s67, 8
	s_add_i32 s46, s46, s26
	v_fma_f32 v33, v33, v85, v37
	v_mul_f32_e32 v34, v34, v85
	s_add_i32 s42, s42, s44
	s_add_i32 s38, s38, s40
	;; [unrolled: 1-line block ×3, first 2 shown]
	v_cndmask_b32_e64 v33, v33, v37, s12
	v_cndmask_b32_e64 v34, v34, v85, s12
	s_cmp_eq_u32 s66, 0
	s_waitcnt lgkmcnt(0)
	s_delay_alu instid0(VALU_DEP_1) | instskip(NEXT) | instid1(VALU_DEP_1)
	v_fmac_f32_e32 v33, v32, v34
	v_fmac_f32_e32 v36, v33, v84
	s_delay_alu instid0(VALU_DEP_1) | instskip(NEXT) | instid1(VALU_DEP_1)
	v_fmac_f32_e32 v38, v36, v87
	v_fmac_f32_e32 v39, v38, v88
	;; [unrolled: 3-line block ×3, first 2 shown]
	v_fmac_f32_e32 v23, v31, v39
	v_dual_fmac_f32 v16, v24, v83 :: v_dual_fmac_f32 v21, v29, v36
	s_delay_alu instid0(VALU_DEP_3) | instskip(SKIP_1) | instid1(VALU_DEP_1)
	v_fmac_f32_e32 v17, v25, v86
	v_fmac_f32_e32 v89, v86, v92
	v_dual_fmac_f32 v22, v30, v38 :: v_dual_fmac_f32 v91, v89, v93
	v_fmac_f32_e32 v18, v26, v89
	s_delay_alu instid0(VALU_DEP_2)
	v_dual_fmac_f32 v20, v28, v33 :: v_dual_fmac_f32 v19, v27, v91
	s_cbranch_scc1 .LBB139_11
.LBB139_39:                             ;   Parent Loop BB139_12 Depth=1
                                        ; =>  This Inner Loop Header: Depth=2
	s_lshl_b64 s[22:23], s[28:29], 2
	s_mov_b32 s39, s29
	s_add_u32 s22, s54, s22
	s_addc_u32 s23, s27, s23
	s_lshl_b64 s[68:69], s[38:39], 2
	s_mov_b32 s43, s29
	v_add_co_u32 v28, vcc_lo, v72, s68
	v_add_co_ci_u32_e32 v29, vcc_lo, s69, v73, vcc_lo
	s_lshl_b64 s[68:69], s[42:43], 2
	s_clause 0x1
	global_load_b128 v[24:27], v[28:29], off
	global_load_b128 v[28:31], v[28:29], off offset:512
	v_add_co_u32 v32, vcc_lo, v74, s68
	v_add_co_ci_u32_e32 v33, vcc_lo, s69, v75, vcc_lo
	global_load_b32 v83, v42, s[22:23]
	s_and_not1_b32 vcc_lo, exec_lo, s31
	s_waitcnt vmcnt(2)
	ds_store_b128 v43, v[24:27]
	s_waitcnt vmcnt(1)
	ds_store_b128 v44, v[28:31] offset:512
	; wave barrier
	s_clause 0x1
	global_load_b128 v[24:27], v[32:33], off
	global_load_b128 v[28:31], v[32:33], off offset:512
	ds_load_b128 v[36:39], v45
	ds_load_b128 v[32:35], v45 offset:16
	s_waitcnt vmcnt(1)
	ds_store_b128 v43, v[24:27] offset:2112
	s_waitcnt vmcnt(0)
	ds_store_b128 v46, v[28:31] offset:512
	; wave barrier
	ds_load_b128 v[28:31], v45 offset:2112
	ds_load_b128 v[24:27], v47 offset:16
	s_cbranch_vccnz .LBB139_41
; %bb.40:                               ;   in Loop: Header=BB139_39 Depth=2
	v_mov_b32_e32 v40, s67
	ds_load_b64 v[40:41], v40
	s_cbranch_execz .LBB139_42
	s_branch .LBB139_45
.LBB139_41:                             ;   in Loop: Header=BB139_39 Depth=2
                                        ; implicit-def: $vgpr40
.LBB139_42:                             ;   in Loop: Header=BB139_39 Depth=2
	s_waitcnt lgkmcnt(0)
	v_mov_b32_e32 v41, 0
	s_and_not1_b32 vcc_lo, exec_lo, s33
	s_cbranch_vccnz .LBB139_44
; %bb.43:                               ;   in Loop: Header=BB139_39 Depth=2
	s_mov_b32 s47, s29
	s_delay_alu instid0(SALU_CYCLE_1) | instskip(NEXT) | instid1(SALU_CYCLE_1)
	s_lshl_b64 s[22:23], s[46:47], 2
	s_add_u32 s22, s25, s22
	s_addc_u32 s23, s57, s23
	global_load_b32 v41, v42, s[22:23]
.LBB139_44:                             ;   in Loop: Header=BB139_39 Depth=2
	v_mov_b32_e32 v40, 1.0
.LBB139_45:                             ;   in Loop: Header=BB139_39 Depth=2
	s_waitcnt lgkmcnt(5)
	v_dual_mul_f32 v89, 0x3fb8aa3b, v83 :: v_dual_mul_f32 v36, v36, v82
	v_dual_mul_f32 v39, v39, v79 :: v_dual_mul_f32 v38, v38, v80
	s_waitcnt lgkmcnt(4)
	s_delay_alu instid0(VALU_DEP_2)
	v_dual_mul_f32 v35, v35, v71 :: v_dual_mul_f32 v86, v89, v65
	v_mul_f32_e32 v83, v89, v63
	v_mul_f32_e32 v90, v89, v67
	;; [unrolled: 1-line block ×3, first 2 shown]
	v_cndmask_b32_e64 v38, 0, v38, s16
	v_cmp_gt_f32_e64 s23, 0xc2fc0000, v86
	v_cmp_gt_f32_e32 vcc_lo, 0xc2fc0000, v83
	v_cndmask_b32_e64 v39, 0, v39, s17
	v_mul_f32_e32 v32, v32, v78
	v_mul_f32_e32 v34, v34, v76
	v_cndmask_b32_e64 v86, 0, 0x42800000, s23
	v_cndmask_b32_e64 v83, 0, 0x42800000, vcc_lo
	v_cndmask_b32_e64 v87, 1.0, 0x1f800000, vcc_lo
	v_cmp_gt_f32_e32 vcc_lo, 0xc2fc0000, v90
	s_delay_alu instid0(VALU_DEP_4) | instskip(NEXT) | instid1(VALU_DEP_1)
	v_fmac_f32_e32 v86, v89, v65
	v_exp_f32_e32 v86, v86
	v_fmac_f32_e32 v83, v89, v63
	s_delay_alu instid0(VALU_DEP_1) | instskip(SKIP_2) | instid1(VALU_DEP_1)
	v_exp_f32_e32 v83, v83
	s_waitcnt_depctr 0xfff
	v_dual_mul_f32 v84, v89, v64 :: v_dual_mul_f32 v83, v83, v87
	v_cmp_gt_f32_e64 s22, 0xc2fc0000, v84
	v_cndmask_b32_e64 v87, 0, 0x42800000, vcc_lo
	s_delay_alu instid0(VALU_DEP_2) | instskip(SKIP_1) | instid1(VALU_DEP_3)
	v_cndmask_b32_e64 v84, 0, 0x42800000, s22
	v_cndmask_b32_e64 v88, 1.0, 0x1f800000, s22
	v_fmac_f32_e32 v87, v89, v67
	s_delay_alu instid0(VALU_DEP_3) | instskip(NEXT) | instid1(VALU_DEP_2)
	v_fmac_f32_e32 v84, v89, v64
	v_exp_f32_e32 v91, v87
	s_delay_alu instid0(VALU_DEP_1)
	v_exp_f32_e32 v84, v84
	v_mul_f32_e32 v85, v37, v81
	v_cndmask_b32_e64 v37, 0, v36, s14
	s_waitcnt_depctr 0xfff
	v_mul_f32_e32 v84, v84, v88
	v_cndmask_b32_e64 v36, 0, v85, s15
	v_mul_f32_e32 v85, v89, v66
	v_cndmask_b32_e64 v88, 1.0, 0x1f800000, s23
	s_delay_alu instid0(VALU_DEP_4) | instskip(NEXT) | instid1(VALU_DEP_3)
	v_cndmask_b32_e64 v84, 1.0, v84, s15
	v_cmp_gt_f32_e64 s24, 0xc2fc0000, v85
	s_delay_alu instid0(VALU_DEP_3) | instskip(NEXT) | instid1(VALU_DEP_3)
	v_mul_f32_e32 v86, v86, v88
	v_fma_f32 v93, v84, v37, v36
	s_delay_alu instid0(VALU_DEP_3) | instskip(SKIP_1) | instid1(VALU_DEP_4)
	v_cndmask_b32_e64 v85, 0, 0x42800000, s24
	v_cndmask_b32_e64 v88, 1.0, 0x1f800000, s24
	v_cndmask_b32_e64 v87, 1.0, v86, s16
	s_delay_alu instid0(VALU_DEP_3) | instskip(NEXT) | instid1(VALU_DEP_1)
	v_fmac_f32_e32 v85, v89, v66
	v_exp_f32_e32 v90, v85
	v_cndmask_b32_e64 v85, 1.0, v83, s14
	v_mul_f32_e32 v83, v89, v68
	s_delay_alu instid0(VALU_DEP_1)
	v_cmp_gt_f32_e64 s22, 0xc2fc0000, v83
	s_waitcnt_depctr 0xfff
	v_mul_f32_e32 v86, v90, v88
	v_cndmask_b32_e64 v90, 1.0, 0x1f800000, vcc_lo
	v_cndmask_b32_e64 v83, 0, 0x42800000, s22
	v_cmp_gt_f32_e32 vcc_lo, 0xc2fc0000, v92
	v_mul_f32_e32 v92, v89, v70
	v_cndmask_b32_e64 v88, 1.0, v86, s17
	s_delay_alu instid0(VALU_DEP_4) | instskip(SKIP_1) | instid1(VALU_DEP_2)
	v_dual_mul_f32 v90, v91, v90 :: v_dual_fmac_f32 v83, v89, v68
	v_cndmask_b32_e64 v91, 0, 0x42800000, vcc_lo
	v_cndmask_b32_e64 v90, 1.0, v90, s18
	s_delay_alu instid0(VALU_DEP_3)
	v_exp_f32_e32 v86, v83
	v_cndmask_b32_e64 v83, 0, v32, s18
	v_cndmask_b32_e64 v32, 1.0, 0x1f800000, s22
	v_cmp_gt_f32_e64 s22, 0xc2fc0000, v92
	v_mul_f32_e32 v92, v84, v85
	v_mul_f32_e32 v33, v33, v77
	s_waitcnt_depctr 0xfff
	v_dual_fmac_f32 v91, v89, v69 :: v_dual_mul_f32 v32, v86, v32
	s_delay_alu instid0(VALU_DEP_1) | instskip(NEXT) | instid1(VALU_DEP_1)
	v_exp_f32_e32 v91, v91
	v_cndmask_b32_e64 v94, 1.0, v32, s19
	v_mul_f32_e32 v32, v92, v87
	v_cndmask_b32_e64 v86, 0, v33, s19
	v_cndmask_b32_e64 v33, 0, 0x42800000, s22
	v_cndmask_b32_e64 v92, 1.0, 0x1f800000, vcc_lo
	s_delay_alu instid0(VALU_DEP_2)
	v_dual_mul_f32 v32, v32, v88 :: v_dual_fmac_f32 v33, v89, v70
	v_fma_f32 v89, v93, v87, v38
	s_delay_alu instid0(TRANS32_DEP_1) | instid1(VALU_DEP_2)
	v_dual_mul_f32 v91, v91, v92 :: v_dual_mul_f32 v32, v32, v90
	s_delay_alu instid0(VALU_DEP_3) | instskip(NEXT) | instid1(VALU_DEP_2)
	v_exp_f32_e32 v33, v33
	v_fma_f32 v93, v89, v88, v39
	v_cndmask_b32_e64 v89, 0, v34, s20
	v_cndmask_b32_e64 v34, 1.0, 0x1f800000, s22
	v_cndmask_b32_e64 v92, 1.0, v91, s20
	v_mul_f32_e32 v32, v32, v94
	v_fma_f32 v93, v93, v90, v83
	v_cndmask_b32_e64 v91, 0, v35, s21
	s_delay_alu instid0(TRANS32_DEP_1) | instid1(VALU_DEP_3)
	v_dual_mul_f32 v33, v33, v34 :: v_dual_mul_f32 v32, v32, v92
	s_delay_alu instid0(VALU_DEP_3) | instskip(NEXT) | instid1(VALU_DEP_2)
	v_fma_f32 v34, v93, v94, v86
	v_cndmask_b32_e64 v93, 1.0, v33, s21
	s_delay_alu instid0(VALU_DEP_2) | instskip(NEXT) | instid1(VALU_DEP_2)
	v_fma_f32 v33, v34, v92, v89
	v_mul_f32_e32 v32, v32, v93
	s_delay_alu instid0(VALU_DEP_2) | instskip(NEXT) | instid1(VALU_DEP_2)
	v_fma_f32 v33, v33, v93, v91
	v_mov_b32_dpp v35, v32 row_shr:1 row_mask:0xf bank_mask:0xf
	s_delay_alu instid0(VALU_DEP_2)
	v_mov_b32_dpp v34, v33 row_shr:1 row_mask:0xf bank_mask:0xf
	s_and_saveexec_b32 s22, s2
; %bb.46:                               ;   in Loop: Header=BB139_39 Depth=2
	s_delay_alu instid0(VALU_DEP_2) | instskip(NEXT) | instid1(VALU_DEP_1)
	v_mul_f32_e32 v35, v32, v35
	v_dual_fmac_f32 v33, v32, v34 :: v_dual_mov_b32 v32, v35
; %bb.47:                               ;   in Loop: Header=BB139_39 Depth=2
	s_or_b32 exec_lo, exec_lo, s22
	s_delay_alu instid0(VALU_DEP_1) | instskip(NEXT) | instid1(VALU_DEP_2)
	v_mov_b32_dpp v34, v32 row_shr:2 row_mask:0xf bank_mask:0xf
	v_mov_b32_dpp v35, v33 row_shr:2 row_mask:0xf bank_mask:0xf
	s_and_saveexec_b32 s22, s3
; %bb.48:                               ;   in Loop: Header=BB139_39 Depth=2
	s_delay_alu instid0(VALU_DEP_1) | instskip(NEXT) | instid1(VALU_DEP_3)
	v_fmac_f32_e32 v33, v32, v35
	v_mul_f32_e32 v32, v32, v34
; %bb.49:                               ;   in Loop: Header=BB139_39 Depth=2
	s_or_b32 exec_lo, exec_lo, s22
	s_delay_alu instid0(VALU_DEP_1) | instskip(NEXT) | instid1(VALU_DEP_3)
	v_mov_b32_dpp v34, v32 row_shr:4 row_mask:0xf bank_mask:0xf
	v_mov_b32_dpp v35, v33 row_shr:4 row_mask:0xf bank_mask:0xf
	s_and_saveexec_b32 s22, s4
; %bb.50:                               ;   in Loop: Header=BB139_39 Depth=2
	s_delay_alu instid0(VALU_DEP_1) | instskip(NEXT) | instid1(VALU_DEP_3)
	v_fmac_f32_e32 v33, v32, v35
	v_mul_f32_e32 v32, v32, v34
; %bb.51:                               ;   in Loop: Header=BB139_39 Depth=2
	s_or_b32 exec_lo, exec_lo, s22
	s_delay_alu instid0(VALU_DEP_1) | instskip(NEXT) | instid1(VALU_DEP_3)
	v_mov_b32_dpp v34, v32 row_shr:8 row_mask:0xf bank_mask:0xf
	v_mov_b32_dpp v35, v33 row_shr:8 row_mask:0xf bank_mask:0xf
	s_and_saveexec_b32 s22, s5
; %bb.52:                               ;   in Loop: Header=BB139_39 Depth=2
	s_delay_alu instid0(VALU_DEP_1) | instskip(NEXT) | instid1(VALU_DEP_3)
	v_fmac_f32_e32 v33, v32, v35
	v_mul_f32_e32 v32, v32, v34
; %bb.53:                               ;   in Loop: Header=BB139_39 Depth=2
	s_or_b32 exec_lo, exec_lo, s22
	ds_swizzle_b32 v35, v32 offset:swizzle(BROADCAST,32,15)
	ds_swizzle_b32 v34, v33 offset:swizzle(BROADCAST,32,15)
	s_and_saveexec_b32 s22, s6
	s_cbranch_execz .LBB139_55
; %bb.54:                               ;   in Loop: Header=BB139_39 Depth=2
	s_waitcnt lgkmcnt(1)
	v_mul_f32_e32 v35, v32, v35
	s_waitcnt lgkmcnt(0)
	s_delay_alu instid0(VALU_DEP_1)
	v_dual_fmac_f32 v33, v32, v34 :: v_dual_mov_b32 v32, v35
.LBB139_55:                             ;   in Loop: Header=BB139_39 Depth=2
	s_or_b32 exec_lo, exec_lo, s22
	s_and_saveexec_b32 s22, s7
	s_cbranch_execz .LBB139_57
; %bb.56:                               ;   in Loop: Header=BB139_39 Depth=2
	ds_store_b64 v49, v[32:33] offset:4224
.LBB139_57:                             ;   in Loop: Header=BB139_39 Depth=2
	s_or_b32 exec_lo, exec_lo, s22
	s_waitcnt vmcnt(0) lgkmcnt(0)
	s_waitcnt_vscnt null, 0x0
	s_barrier
	buffer_gl0_inv
	s_and_saveexec_b32 s22, s8
	s_cbranch_execz .LBB139_59
; %bb.58:                               ;   in Loop: Header=BB139_39 Depth=2
	ds_load_b64 v[34:35], v50 offset:4224
	s_waitcnt lgkmcnt(0)
	v_mov_b32_dpp v95, v34 row_shr:1 row_mask:0xf bank_mask:0xf
	v_mov_b32_dpp v96, v35 row_shr:1 row_mask:0xf bank_mask:0xf
	s_delay_alu instid0(VALU_DEP_2) | instskip(NEXT) | instid1(VALU_DEP_2)
	v_mul_f32_e32 v95, v34, v95
	v_fma_f32 v96, v34, v96, v35
	s_delay_alu instid0(VALU_DEP_2) | instskip(NEXT) | instid1(VALU_DEP_2)
	v_cndmask_b32_e64 v34, v95, v34, s9
	v_cndmask_b32_e64 v35, v96, v35, s9
	ds_store_b64 v50, v[34:35] offset:4224
.LBB139_59:                             ;   in Loop: Header=BB139_39 Depth=2
	s_or_b32 exec_lo, exec_lo, s22
	s_waitcnt lgkmcnt(0)
	s_barrier
	buffer_gl0_inv
                                        ; implicit-def: $vgpr35
	s_and_saveexec_b32 s22, s11
	s_cbranch_execz .LBB139_61
; %bb.60:                               ;   in Loop: Header=BB139_39 Depth=2
	ds_load_b64 v[34:35], v49 offset:4216
	s_waitcnt lgkmcnt(0)
	v_mul_f32_e32 v95, v32, v34
	s_delay_alu instid0(VALU_DEP_1)
	v_dual_fmac_f32 v33, v32, v35 :: v_dual_mov_b32 v32, v95
.LBB139_61:                             ;   in Loop: Header=BB139_39 Depth=2
	s_or_b32 exec_lo, exec_lo, s22
	ds_bpermute_b32 v95, v51, v32
	ds_bpermute_b32 v96, v51, v33
	s_and_saveexec_b32 s22, s10
	s_cbranch_execz .LBB139_65
; %bb.62:                               ;   in Loop: Header=BB139_39 Depth=2
	ds_load_b64 v[32:33], v42 offset:4232
	s_and_saveexec_b32 s23, s12
	s_cbranch_execz .LBB139_64
; %bb.63:                               ;   in Loop: Header=BB139_39 Depth=2
	ds_store_b64 v42, v[40:41] offset:4232
.LBB139_64:                             ;   in Loop: Header=BB139_39 Depth=2
	s_or_b32 exec_lo, exec_lo, s23
	s_waitcnt lgkmcnt(0)
	v_fmac_f32_e32 v33, v41, v32
	s_delay_alu instid0(VALU_DEP_1)
	v_dual_mul_f32 v40, v40, v32 :: v_dual_mov_b32 v41, v33
.LBB139_65:                             ;   in Loop: Header=BB139_39 Depth=2
	s_or_b32 exec_lo, exec_lo, s22
	s_waitcnt lgkmcnt(0)
	s_barrier
	buffer_gl0_inv
	ds_load_b32 v32, v42 offset:4236
	s_and_saveexec_b32 s22, s12
	s_cbranch_execz .LBB139_38
; %bb.66:                               ;   in Loop: Header=BB139_39 Depth=2
	v_mov_b32_e32 v33, s67
	s_and_not1_b32 vcc_lo, exec_lo, s65
	ds_store_b64 v33, v[40:41]
	s_cbranch_vccnz .LBB139_38
; %bb.67:                               ;   in Loop: Header=BB139_39 Depth=2
	s_mov_b32 s47, s29
	s_delay_alu instid0(SALU_CYCLE_1) | instskip(NEXT) | instid1(SALU_CYCLE_1)
	s_lshl_b64 s[68:69], s[46:47], 2
	s_add_u32 s68, s25, s68
	s_addc_u32 s69, s57, s69
	global_store_b32 v42, v41, s[68:69]
	s_branch .LBB139_38
.LBB139_68:
	s_nop 0
	s_sendmsg sendmsg(MSG_DEALLOC_VGPRS)
	s_endpgm
	.section	.rodata,"a",@progbits
	.p2align	6, 0x0
	.amdhsa_kernel _Z25selective_scan_fwd_kernelI32Selective_Scan_fwd_kernel_traitsILi64ELi8ELi1ELb1ELb1ELb1ELb0ELb0EfffEEv13SSMParamsBase
		.amdhsa_group_segment_fixed_size 0
		.amdhsa_private_segment_fixed_size 0
		.amdhsa_kernarg_size 248
		.amdhsa_user_sgpr_count 14
		.amdhsa_user_sgpr_dispatch_ptr 0
		.amdhsa_user_sgpr_queue_ptr 0
		.amdhsa_user_sgpr_kernarg_segment_ptr 1
		.amdhsa_user_sgpr_dispatch_id 0
		.amdhsa_user_sgpr_private_segment_size 0
		.amdhsa_wavefront_size32 1
		.amdhsa_uses_dynamic_stack 0
		.amdhsa_enable_private_segment 0
		.amdhsa_system_sgpr_workgroup_id_x 1
		.amdhsa_system_sgpr_workgroup_id_y 1
		.amdhsa_system_sgpr_workgroup_id_z 0
		.amdhsa_system_sgpr_workgroup_info 0
		.amdhsa_system_vgpr_workitem_id 0
		.amdhsa_next_free_vgpr 97
		.amdhsa_next_free_sgpr 70
		.amdhsa_reserve_vcc 1
		.amdhsa_float_round_mode_32 0
		.amdhsa_float_round_mode_16_64 0
		.amdhsa_float_denorm_mode_32 3
		.amdhsa_float_denorm_mode_16_64 3
		.amdhsa_dx10_clamp 1
		.amdhsa_ieee_mode 1
		.amdhsa_fp16_overflow 0
		.amdhsa_workgroup_processor_mode 1
		.amdhsa_memory_ordered 1
		.amdhsa_forward_progress 0
		.amdhsa_shared_vgpr_count 0
		.amdhsa_exception_fp_ieee_invalid_op 0
		.amdhsa_exception_fp_denorm_src 0
		.amdhsa_exception_fp_ieee_div_zero 0
		.amdhsa_exception_fp_ieee_overflow 0
		.amdhsa_exception_fp_ieee_underflow 0
		.amdhsa_exception_fp_ieee_inexact 0
		.amdhsa_exception_int_div_zero 0
	.end_amdhsa_kernel
	.section	.text._Z25selective_scan_fwd_kernelI32Selective_Scan_fwd_kernel_traitsILi64ELi8ELi1ELb1ELb1ELb1ELb0ELb0EfffEEv13SSMParamsBase,"axG",@progbits,_Z25selective_scan_fwd_kernelI32Selective_Scan_fwd_kernel_traitsILi64ELi8ELi1ELb1ELb1ELb1ELb0ELb0EfffEEv13SSMParamsBase,comdat
.Lfunc_end139:
	.size	_Z25selective_scan_fwd_kernelI32Selective_Scan_fwd_kernel_traitsILi64ELi8ELi1ELb1ELb1ELb1ELb0ELb0EfffEEv13SSMParamsBase, .Lfunc_end139-_Z25selective_scan_fwd_kernelI32Selective_Scan_fwd_kernel_traitsILi64ELi8ELi1ELb1ELb1ELb1ELb0ELb0EfffEEv13SSMParamsBase
                                        ; -- End function
	.section	.AMDGPU.csdata,"",@progbits
; Kernel info:
; codeLenInByte = 9856
; NumSgprs: 72
; NumVgprs: 97
; ScratchSize: 0
; MemoryBound: 1
; FloatMode: 240
; IeeeMode: 1
; LDSByteSize: 0 bytes/workgroup (compile time only)
; SGPRBlocks: 8
; VGPRBlocks: 12
; NumSGPRsForWavesPerEU: 72
; NumVGPRsForWavesPerEU: 97
; Occupancy: 12
; WaveLimiterHint : 1
; COMPUTE_PGM_RSRC2:SCRATCH_EN: 0
; COMPUTE_PGM_RSRC2:USER_SGPR: 14
; COMPUTE_PGM_RSRC2:TRAP_HANDLER: 0
; COMPUTE_PGM_RSRC2:TGID_X_EN: 1
; COMPUTE_PGM_RSRC2:TGID_Y_EN: 1
; COMPUTE_PGM_RSRC2:TGID_Z_EN: 0
; COMPUTE_PGM_RSRC2:TIDIG_COMP_CNT: 0
	.section	.text._Z25selective_scan_fwd_kernelI32Selective_Scan_fwd_kernel_traitsILi64ELi8ELi1ELb0ELb1ELb1ELb1ELb1EfffEEv13SSMParamsBase,"axG",@progbits,_Z25selective_scan_fwd_kernelI32Selective_Scan_fwd_kernel_traitsILi64ELi8ELi1ELb0ELb1ELb1ELb1ELb1EfffEEv13SSMParamsBase,comdat
	.protected	_Z25selective_scan_fwd_kernelI32Selective_Scan_fwd_kernel_traitsILi64ELi8ELi1ELb0ELb1ELb1ELb1ELb1EfffEEv13SSMParamsBase ; -- Begin function _Z25selective_scan_fwd_kernelI32Selective_Scan_fwd_kernel_traitsILi64ELi8ELi1ELb0ELb1ELb1ELb1ELb1EfffEEv13SSMParamsBase
	.globl	_Z25selective_scan_fwd_kernelI32Selective_Scan_fwd_kernel_traitsILi64ELi8ELi1ELb0ELb1ELb1ELb1ELb1EfffEEv13SSMParamsBase
	.p2align	8
	.type	_Z25selective_scan_fwd_kernelI32Selective_Scan_fwd_kernel_traitsILi64ELi8ELi1ELb0ELb1ELb1ELb1ELb1EfffEEv13SSMParamsBase,@function
_Z25selective_scan_fwd_kernelI32Selective_Scan_fwd_kernel_traitsILi64ELi8ELi1ELb0ELb1ELb1ELb1ELb1EfffEEv13SSMParamsBase: ; @_Z25selective_scan_fwd_kernelI32Selective_Scan_fwd_kernel_traitsILi64ELi8ELi1ELb0ELb1ELb1ELb1ELb1EfffEEv13SSMParamsBase
; %bb.0:
	s_clause 0x2
	s_load_b32 s11, s[0:1], 0x18
	s_load_b256 s[56:63], s[0:1], 0xc8
	s_load_b128 s[4:7], s[0:1], 0xe8
	s_mov_b32 s12, s15
	s_ashr_i32 s15, s14, 31
	s_mov_b32 s33, 0
	s_lshl_b64 s[8:9], s[14:15], 2
	s_waitcnt lgkmcnt(0)
	s_abs_i32 s10, s11
	s_add_u32 s2, s62, s8
	v_cvt_f32_u32_e32 v1, s10
	s_addc_u32 s3, s63, s9
	s_cmp_eq_u64 s[6:7], 0
	s_delay_alu instid0(VALU_DEP_1) | instskip(SKIP_2) | instid1(VALU_DEP_1)
	v_rcp_iflag_f32_e32 v1, v1
	s_waitcnt_depctr 0xfff
	v_mul_f32_e32 v1, 0x4f7ffffe, v1
	v_cvt_u32_f32_e32 v1, v1
	s_delay_alu instid0(VALU_DEP_1)
	v_readfirstlane_b32 s52, v1
	s_cbranch_scc1 .LBB140_2
; %bb.1:
	v_mov_b32_e32 v1, 0
	s_add_u32 s6, s6, s14
	s_addc_u32 s7, s7, s15
	global_load_u8 v1, v1, s[6:7]
	s_waitcnt vmcnt(0)
	v_and_b32_e32 v1, 1, v1
	s_delay_alu instid0(VALU_DEP_1)
	v_cmp_eq_u32_e64 s33, 1, v1
.LBB140_2:
	s_load_b64 s[6:7], s[0:1], 0x20
	s_cmp_eq_u64 s[4:5], 0
	s_cbranch_scc1 .LBB140_4
; %bb.3:
	s_add_u32 s4, s4, s8
	s_addc_u32 s5, s5, s9
	s_load_b32 s14, s[4:5], 0x0
	s_waitcnt lgkmcnt(0)
	s_ashr_i32 s15, s14, 31
.LBB140_4:
	s_waitcnt lgkmcnt(0)
	s_cmp_eq_u64 s[6:7], s[14:15]
	s_cbranch_scc1 .LBB140_172
; %bb.5:
	s_load_b512 s[16:31], s[0:1], 0x88
	s_load_b64 s[34:35], s[2:3], 0x0
	s_mov_b32 s64, 0
	s_mov_b32 s65, 0
	s_waitcnt lgkmcnt(0)
	s_cmp_eq_u64 s[22:23], 0
	s_cbranch_scc1 .LBB140_7
; %bb.6:
	s_ashr_i32 s13, s12, 31
	s_delay_alu instid0(SALU_CYCLE_1) | instskip(NEXT) | instid1(SALU_CYCLE_1)
	s_lshl_b64 s[2:3], s[12:13], 2
	s_add_u32 s2, s22, s2
	s_addc_u32 s3, s23, s3
	s_load_b32 s65, s[2:3], 0x0
.LBB140_7:
	s_cmp_eq_u64 s[28:29], 0
	s_cbranch_scc1 .LBB140_9
; %bb.8:
	s_ashr_i32 s13, s12, 31
	s_delay_alu instid0(SALU_CYCLE_1) | instskip(NEXT) | instid1(SALU_CYCLE_1)
	s_lshl_b64 s[2:3], s[12:13], 2
	s_add_u32 s2, s28, s2
	s_addc_u32 s3, s29, s3
	s_load_b32 s64, s[2:3], 0x0
.LBB140_9:
	s_sub_i32 s66, s35, s34
	s_delay_alu instid0(SALU_CYCLE_1)
	s_cmp_lt_i32 s66, 1
	s_cbranch_scc1 .LBB140_172
; %bb.10:
	s_sub_i32 s2, 0, s10
	s_load_b256 s[36:43], s[0:1], 0x4c
	s_mul_i32 s2, s2, s52
	s_abs_i32 s3, s12
	s_mul_hi_u32 s2, s52, s2
	s_ashr_i32 s5, s11, 31
	s_add_i32 s52, s52, s2
	s_ashr_i32 s2, s12, 31
	s_mul_hi_u32 s4, s3, s52
	s_xor_b32 s5, s2, s5
	s_mul_i32 s6, s4, s10
	s_load_b256 s[44:51], s[0:1], 0x2c
	s_sub_i32 s2, s3, s6
	s_add_i32 s3, s4, 1
	s_sub_i32 s6, s2, s10
	s_cmp_ge_u32 s2, s10
	s_mov_b32 s53, 0
	s_cselect_b32 s3, s3, s4
	s_cselect_b32 s2, s6, s2
	s_add_i32 s4, s3, 1
	s_cmp_ge_u32 s2, s10
	s_waitcnt lgkmcnt(0)
	s_mul_i32 s52, s34, s38
	s_cselect_b32 s4, s4, s3
	s_lshl_b64 s[2:3], s[52:53], 2
	s_xor_b32 s4, s4, s5
	s_mul_i32 s52, s39, s12
	s_sub_i32 s6, s4, s5
	s_add_u32 s4, s24, s2
	s_addc_u32 s5, s25, s3
	s_lshl_b64 s[2:3], s[52:53], 2
	s_mul_i32 s52, s34, s40
	s_add_u32 s47, s4, s2
	s_addc_u32 s51, s5, s3
	s_lshl_b64 s[2:3], s[52:53], 2
	s_mul_i32 s52, s41, s12
	s_add_u32 s4, s26, s2
	s_addc_u32 s5, s27, s3
	s_lshl_b64 s[2:3], s[52:53], 2
	s_mul_i32 s52, s44, s12
	s_add_u32 s67, s4, s2
	s_addc_u32 s44, s5, s3
	s_load_b64 s[4:5], s[0:1], 0x7c
	s_lshl_b64 s[2:3], s[52:53], 2
	s_mul_i32 s52, s34, s46
	s_add_u32 s68, s16, s2
	v_dual_mov_b32 v1, 0 :: v_dual_lshlrev_b32 v20, 3, v0
	s_addc_u32 s46, s17, s3
	s_lshl_b64 s[2:3], s[52:53], 2
	s_mul_i32 s52, s6, s49
	s_add_u32 s7, s18, s2
	s_addc_u32 s8, s19, s3
	s_clause 0x3
	s_load_b128 s[16:19], s[0:1], 0x6c
	s_load_b32 s70, s[0:1], 0x84
	s_load_b32 s73, s[0:1], 0xc
	;; [unrolled: 1-line block ×3, first 2 shown]
	v_mbcnt_lo_u32_b32 v2, -1, 0
	v_and_b32_e32 v3, 0x100, v20
	s_lshl_b64 s[2:3], s[52:53], 2
	s_mul_i32 s52, s34, s50
	s_add_u32 s49, s7, s2
	s_addc_u32 s50, s8, s3
	s_lshl_b64 s[2:3], s[52:53], 2
	s_mul_i32 s52, s6, s37
	v_or_b32_e32 v21, v2, v3
	v_lshrrev_b32_e32 v4, 5, v3
	s_add_u32 s7, s20, s2
	s_addc_u32 s6, s21, s3
	s_lshl_b64 s[2:3], s[52:53], 2
	s_waitcnt lgkmcnt(0)
	s_mul_i32 s52, s14, s4
	s_add_u32 s37, s7, s2
	s_addc_u32 s69, s6, s3
	s_lshl_b64 s[2:3], s[52:53], 2
	v_or_b32_e32 v25, 0x80, v21
	v_add_nc_u32_e32 v4, v4, v21
	v_and_b32_e32 v8, 32, v0
	s_mul_i32 s52, s5, s12
	s_add_u32 s4, s56, s2
	s_addc_u32 s5, s57, s3
	s_lshl_b64 s[2:3], s[52:53], 2
	v_or_b32_e32 v22, 32, v21
	s_add_u32 s71, s4, s2
	v_or_b32_e32 v23, 64, v21
	v_or_b32_e32 v24, 0x60, v21
	;; [unrolled: 1-line block ×5, first 2 shown]
	v_lshl_add_u32 v29, v4, 2, 0
	v_lshrrev_b32_e32 v4, 5, v25
	v_or_b32_e32 v11, v2, v8
	s_addc_u32 s72, s5, s3
	s_add_i32 s2, s66, 0x7ff
	v_lshrrev_b32_e32 v5, 5, v22
	s_lshr_b32 s74, s2, 11
	s_bitcmp1_b32 s0, 0
	v_lshrrev_b32_e32 v6, 5, v23
	v_lshrrev_b32_e32 v7, 5, v24
	v_add_lshl_u32 v4, v4, v21, 2
	v_lshrrev_b32_e32 v9, 5, v26
	v_lshrrev_b32_e32 v10, 5, v27
	v_lshrrev_b32_e32 v12, 5, v28
	v_lshlrev_b32_e32 v13, 3, v11
	v_bfe_u32 v11, v11, 2, 27
	s_cselect_b32 s75, -1, 0
	s_cmp_gt_i32 s73, 0
	v_add_lshl_u32 v5, v5, v21, 2
	s_cselect_b32 s76, -1, 0
	s_add_i32 s0, 0, 0x840
	v_add_lshl_u32 v6, v6, v21, 2
	v_add_lshl_u32 v7, v7, v21, 2
	v_add_nc_u32_e32 v33, 0, v4
	v_add_lshl_u32 v9, v9, v21, 2
	v_add_lshl_u32 v10, v10, v21, 2
	;; [unrolled: 1-line block ×4, first 2 shown]
	v_add_nc_u32_e32 v41, s0, v4
	v_and_b32_e32 v4, 15, v2
	s_and_b32 s1, s66, 0x1ff
	v_add_nc_u32_e32 v38, s0, v5
	v_add_nc_u32_e32 v39, s0, v6
	;; [unrolled: 1-line block ×6, first 2 shown]
	s_cmp_eq_u32 s1, 0
	v_add_nc_u32_e32 v45, s0, v11
	v_cmp_ne_u32_e64 s0, 0, v4
	v_cmp_lt_u32_e64 s1, 1, v4
	v_cmp_lt_u32_e64 s2, 3, v4
	;; [unrolled: 1-line block ×3, first 2 shown]
	v_add_nc_u32_e32 v4, -1, v2
	v_add_nc_u32_e32 v30, 0, v5
	v_lshrrev_b32_e32 v5, 2, v0
	s_mul_i32 s52, s34, s16
	s_cselect_b32 s77, -1, 0
	v_cmp_gt_i32_e32 vcc_lo, 0, v4
	s_lshl_b64 s[14:15], s[52:53], 2
	v_and_b32_e32 v5, 8, v5
	s_add_i32 s78, s74, -1
	s_mul_i32 s52, s17, s12
	v_cndmask_b32_e32 v4, v4, v2, vcc_lo
	s_add_u32 s13, s30, s14
	s_addc_u32 s16, s31, s15
	s_lshl_b64 s[14:15], s[52:53], 2
	v_add_nc_u32_e32 v32, 0, v7
	v_or_b32_e32 v7, 31, v8
	v_lshlrev_b32_e32 v48, 2, v4
	s_mul_i32 s52, s34, s42
	v_lshlrev_b32_e32 v4, 2, v2
	v_add_nc_u32_e32 v31, 0, v6
	v_and_b32_e32 v6, 16, v2
	s_add_u32 s13, s13, s14
	v_add_nc_u32_e32 v46, 0, v5
	v_and_b32_e32 v5, 1, v2
	s_addc_u32 s16, s16, s15
	s_lshl_b64 s[14:15], s[52:53], 2
	s_mul_i32 s52, s43, s12
	s_add_u32 s17, s58, s14
	v_cmp_eq_u32_e64 s5, v7, v0
	v_cmp_gt_u32_e64 s6, 2, v0
	v_cmp_gt_u32_e64 s8, 32, v0
	v_cmp_lt_u32_e64 s9, 31, v0
	v_cmp_eq_u32_e64 s10, 0, v0
	s_addc_u32 s20, s59, s15
	s_lshl_b64 s[14:15], s[52:53], 2
	v_add_co_u32 v0, s13, s13, v4
	v_cmp_ne_u32_e64 s4, 0, v6
	s_mul_i32 s52, s34, s18
	v_lshlrev_b32_e32 v6, 2, v3
	v_cmp_eq_u32_e64 s7, 0, v5
	v_add_co_ci_u32_e64 v5, null, s16, 0, s13
	s_add_u32 s16, s17, s14
	s_addc_u32 s17, s20, s15
	s_lshl_b64 s[14:15], s[52:53], 2
	s_mul_i32 s52, s19, s12
	s_add_u32 s14, s60, s14
	s_addc_u32 s15, s61, s15
	s_lshl_b64 s[12:13], s[52:53], 2
	v_add_co_u32 v0, vcc_lo, v0, v6
	v_add_co_ci_u32_e32 v49, vcc_lo, 0, v5, vcc_lo
	s_add_u32 s12, s14, s12
	v_add_co_u32 v5, s14, s16, v4
	s_delay_alu instid0(VALU_DEP_1) | instskip(SKIP_2) | instid1(VALU_DEP_1)
	v_add_co_ci_u32_e64 v7, null, s17, 0, s14
	s_addc_u32 s13, s15, s13
	v_add_co_u32 v4, s12, s12, v4
	v_add_co_ci_u32_e64 v8, null, s13, 0, s12
	v_add_co_u32 v50, vcc_lo, v5, v6
	v_add_co_ci_u32_e32 v51, vcc_lo, 0, v7, vcc_lo
	s_delay_alu instid0(VALU_DEP_4)
	v_add_co_u32 v52, vcc_lo, v4, v6
	v_add_nc_u32_e32 v34, 0, v9
	v_add_nc_u32_e32 v35, 0, v10
	;; [unrolled: 1-line block ×5, first 2 shown]
	v_cmp_eq_u32_e64 s11, 0, v2
	v_add_co_ci_u32_e32 v53, vcc_lo, 0, v8, vcc_lo
	v_or_b32_e32 v54, 1, v20
	v_or_b32_e32 v55, 2, v20
	;; [unrolled: 1-line block ×7, first 2 shown]
	v_lshlrev_b32_e32 v61, 2, v2
	v_lshlrev_b32_e32 v62, 2, v3
	s_mov_b32 s31, 0x3e9b6dac
	s_add_i32 s79, 0, 0x1090
	s_mov_b32 s80, 0
	s_branch .LBB140_12
.LBB140_11:                             ;   in Loop: Header=BB140_12 Depth=1
	s_or_b32 exec_lo, exec_lo, s12
	s_add_u32 s67, s67, 0x800
	s_addc_u32 s44, s44, 0
	s_add_u32 s47, s47, 0x800
	s_addc_u32 s51, s51, 0
	;; [unrolled: 2-line block ×4, first 2 shown]
	s_add_i32 s80, s80, 1
	s_delay_alu instid0(SALU_CYCLE_1)
	s_cmp_lg_u32 s80, s74
	s_cbranch_scc0 .LBB140_172
.LBB140_12:                             ; =>This Loop Header: Depth=1
                                        ;     Child Loop BB140_61 Depth 2
	v_add_co_u32 v2, s12, s47, v61
	s_delay_alu instid0(VALU_DEP_1) | instskip(SKIP_1) | instid1(VALU_DEP_2)
	v_add_co_ci_u32_e64 v3, null, s51, 0, s12
	s_lshl_b32 s34, s80, 9
	v_add_co_u32 v2, vcc_lo, v2, v62
	s_sub_i32 s23, s66, s34
	s_delay_alu instid0(VALU_DEP_2)
	v_add_co_ci_u32_e32 v3, vcc_lo, 0, v3, vcc_lo
	v_cmp_gt_u32_e64 s12, s23, v21
	s_waitcnt lgkmcnt(0)
	v_mov_b32_e32 v4, v1
	s_waitcnt_vscnt null, 0x0
	s_barrier
	buffer_gl0_inv
	s_and_saveexec_b32 s13, s12
	s_cbranch_execz .LBB140_14
; %bb.13:                               ;   in Loop: Header=BB140_12 Depth=1
	global_load_b32 v4, v[2:3], off
.LBB140_14:                             ;   in Loop: Header=BB140_12 Depth=1
	s_or_b32 exec_lo, exec_lo, s13
	v_cmp_gt_u32_e64 s13, s23, v22
	v_dual_mov_b32 v5, 0 :: v_dual_mov_b32 v6, 0
	s_delay_alu instid0(VALU_DEP_2)
	s_and_saveexec_b32 s14, s13
	s_cbranch_execz .LBB140_16
; %bb.15:                               ;   in Loop: Header=BB140_12 Depth=1
	global_load_b32 v6, v[2:3], off offset:128
.LBB140_16:                             ;   in Loop: Header=BB140_12 Depth=1
	s_or_b32 exec_lo, exec_lo, s14
	v_cmp_gt_u32_e64 s14, s23, v23
	s_delay_alu instid0(VALU_DEP_1)
	s_and_saveexec_b32 s15, s14
	s_cbranch_execz .LBB140_18
; %bb.17:                               ;   in Loop: Header=BB140_12 Depth=1
	global_load_b32 v5, v[2:3], off offset:256
.LBB140_18:                             ;   in Loop: Header=BB140_12 Depth=1
	s_or_b32 exec_lo, exec_lo, s15
	v_cmp_gt_u32_e64 s15, s23, v24
	v_dual_mov_b32 v7, 0 :: v_dual_mov_b32 v8, 0
	s_delay_alu instid0(VALU_DEP_2)
	s_and_saveexec_b32 s16, s15
	s_cbranch_execz .LBB140_20
; %bb.19:                               ;   in Loop: Header=BB140_12 Depth=1
	global_load_b32 v8, v[2:3], off offset:384
.LBB140_20:                             ;   in Loop: Header=BB140_12 Depth=1
	s_or_b32 exec_lo, exec_lo, s16
	v_cmp_gt_u32_e64 s16, s23, v25
	s_delay_alu instid0(VALU_DEP_1)
	s_and_saveexec_b32 s17, s16
	s_cbranch_execz .LBB140_22
; %bb.21:                               ;   in Loop: Header=BB140_12 Depth=1
	global_load_b32 v7, v[2:3], off offset:512
.LBB140_22:                             ;   in Loop: Header=BB140_12 Depth=1
	;; [unrolled: 17-line block ×3, first 2 shown]
	s_or_b32 exec_lo, exec_lo, s19
	v_cmp_gt_u32_e64 s19, s23, v28
	v_dual_mov_b32 v12, 0 :: v_dual_mov_b32 v11, 0
	s_delay_alu instid0(VALU_DEP_2)
	s_and_saveexec_b32 s20, s19
	s_cbranch_execz .LBB140_28
; %bb.27:                               ;   in Loop: Header=BB140_12 Depth=1
	global_load_b32 v11, v[2:3], off offset:896
.LBB140_28:                             ;   in Loop: Header=BB140_12 Depth=1
	s_or_b32 exec_lo, exec_lo, s20
	s_waitcnt vmcnt(0)
	ds_store_b32 v29, v4
	ds_store_b32 v30, v6 offset:128
	ds_store_b32 v31, v5 offset:256
	ds_store_b32 v32, v8 offset:384
	ds_store_b32 v33, v7 offset:512
	ds_store_b32 v34, v10 offset:640
	ds_store_b32 v35, v9 offset:768
	ds_store_b32 v36, v11 offset:896
	; wave barrier
	ds_load_2addr_b32 v[2:3], v37 offset1:1
	ds_load_2addr_b32 v[4:5], v37 offset0:2 offset1:3
	ds_load_2addr_b32 v[6:7], v37 offset0:4 offset1:5
	;; [unrolled: 1-line block ×3, first 2 shown]
	v_add_co_u32 v10, s20, s67, v61
	s_delay_alu instid0(VALU_DEP_1) | instskip(SKIP_1) | instid1(VALU_DEP_2)
	v_add_co_ci_u32_e64 v11, null, s44, 0, s20
	s_waitcnt lgkmcnt(0)
	v_add_co_u32 v10, vcc_lo, v10, v62
	s_delay_alu instid0(VALU_DEP_2)
	v_add_co_ci_u32_e32 v11, vcc_lo, 0, v11, vcc_lo
	s_barrier
	buffer_gl0_inv
	s_and_saveexec_b32 s20, s12
	s_cbranch_execz .LBB140_30
; %bb.29:                               ;   in Loop: Header=BB140_12 Depth=1
	global_load_b32 v12, v[10:11], off
.LBB140_30:                             ;   in Loop: Header=BB140_12 Depth=1
	s_or_b32 exec_lo, exec_lo, s20
	v_dual_mov_b32 v13, 0 :: v_dual_mov_b32 v14, 0
	s_and_saveexec_b32 s20, s13
	s_cbranch_execz .LBB140_32
; %bb.31:                               ;   in Loop: Header=BB140_12 Depth=1
	global_load_b32 v14, v[10:11], off offset:128
.LBB140_32:                             ;   in Loop: Header=BB140_12 Depth=1
	s_or_b32 exec_lo, exec_lo, s20
	s_and_saveexec_b32 s20, s14
	s_cbranch_execz .LBB140_34
; %bb.33:                               ;   in Loop: Header=BB140_12 Depth=1
	global_load_b32 v13, v[10:11], off offset:256
.LBB140_34:                             ;   in Loop: Header=BB140_12 Depth=1
	s_or_b32 exec_lo, exec_lo, s20
	v_dual_mov_b32 v15, 0 :: v_dual_mov_b32 v16, 0
	s_and_saveexec_b32 s20, s15
	s_cbranch_execz .LBB140_36
; %bb.35:                               ;   in Loop: Header=BB140_12 Depth=1
	global_load_b32 v16, v[10:11], off offset:384
.LBB140_36:                             ;   in Loop: Header=BB140_12 Depth=1
	s_or_b32 exec_lo, exec_lo, s20
	s_and_saveexec_b32 s20, s16
	s_cbranch_execz .LBB140_38
; %bb.37:                               ;   in Loop: Header=BB140_12 Depth=1
	global_load_b32 v15, v[10:11], off offset:512
.LBB140_38:                             ;   in Loop: Header=BB140_12 Depth=1
	s_or_b32 exec_lo, exec_lo, s20
	v_dual_mov_b32 v17, 0 :: v_dual_mov_b32 v18, 0
	s_and_saveexec_b32 s20, s17
	s_cbranch_execnz .LBB140_148
; %bb.39:                               ;   in Loop: Header=BB140_12 Depth=1
	s_or_b32 exec_lo, exec_lo, s20
	s_and_saveexec_b32 s20, s18
	s_cbranch_execnz .LBB140_149
.LBB140_40:                             ;   in Loop: Header=BB140_12 Depth=1
	s_or_b32 exec_lo, exec_lo, s20
	v_mov_b32_e32 v19, 0
	s_and_saveexec_b32 s20, s19
	s_cbranch_execz .LBB140_42
.LBB140_41:                             ;   in Loop: Header=BB140_12 Depth=1
	global_load_b32 v19, v[10:11], off offset:896
.LBB140_42:                             ;   in Loop: Header=BB140_12 Depth=1
	s_or_b32 exec_lo, exec_lo, s20
	s_waitcnt vmcnt(0)
	ds_store_b32 v29, v12
	ds_store_b32 v30, v14 offset:128
	ds_store_b32 v31, v13 offset:256
	;; [unrolled: 1-line block ×7, first 2 shown]
	; wave barrier
	ds_load_2addr_b32 v[16:17], v37 offset1:1
	ds_load_2addr_b32 v[14:15], v37 offset0:2 offset1:3
	ds_load_2addr_b32 v[12:13], v37 offset0:4 offset1:5
	;; [unrolled: 1-line block ×3, first 2 shown]
	s_waitcnt lgkmcnt(3)
	v_add_f32_e32 v63, s64, v16
	s_delay_alu instid0(VALU_DEP_1) | instskip(SKIP_1) | instid1(SALU_CYCLE_1)
	v_cmp_ge_f32_e32 vcc_lo, 0x41a00000, v63
	s_and_b32 s20, s75, vcc_lo
	s_and_saveexec_b32 s21, s20
	s_cbranch_execz .LBB140_44
; %bb.43:                               ;   in Loop: Header=BB140_12 Depth=1
	v_mul_f32_e32 v16, 0x3fb8aa3b, v63
	v_cmp_ngt_f32_e32 vcc_lo, 0xc2ce8ed0, v63
	s_delay_alu instid0(VALU_DEP_2) | instskip(SKIP_1) | instid1(VALU_DEP_1)
	v_rndne_f32_e32 v18, v16
	v_fma_f32 v19, 0x3fb8aa3b, v63, -v16
	v_dual_sub_f32 v16, v16, v18 :: v_dual_fmac_f32 v19, 0x32a5705f, v63
	v_cvt_i32_f32_e32 v18, v18
	s_delay_alu instid0(VALU_DEP_2) | instskip(NEXT) | instid1(VALU_DEP_1)
	v_add_f32_e32 v16, v16, v19
	v_exp_f32_e32 v16, v16
	s_waitcnt_depctr 0xfff
	v_ldexp_f32 v16, v16, v18
	s_delay_alu instid0(VALU_DEP_1) | instskip(SKIP_1) | instid1(VALU_DEP_2)
	v_cndmask_b32_e32 v16, 0, v16, vcc_lo
	v_cmp_nlt_f32_e32 vcc_lo, 0x42b17218, v63
	v_cndmask_b32_e32 v16, 0x7f800000, v16, vcc_lo
	s_delay_alu instid0(VALU_DEP_1) | instskip(NEXT) | instid1(VALU_DEP_1)
	v_add_f32_e32 v63, 1.0, v16
	v_cvt_f64_f32_e32 v[18:19], v63
	s_delay_alu instid0(VALU_DEP_1) | instskip(SKIP_1) | instid1(VALU_DEP_1)
	v_frexp_exp_i32_f64_e32 v18, v[18:19]
	v_frexp_mant_f32_e32 v19, v63
	v_cmp_gt_f32_e32 vcc_lo, 0x3f2aaaab, v19
	v_add_f32_e32 v19, -1.0, v63
	s_delay_alu instid0(VALU_DEP_1) | instskip(SKIP_2) | instid1(VALU_DEP_3)
	v_sub_f32_e32 v65, v19, v63
	v_sub_f32_e32 v19, v16, v19
	v_cmp_gt_f32_e64 s20, 0x33800000, v16
	v_add_f32_e32 v65, 1.0, v65
	s_delay_alu instid0(VALU_DEP_1) | instskip(SKIP_2) | instid1(VALU_DEP_2)
	v_add_f32_e32 v19, v19, v65
	v_subrev_co_ci_u32_e32 v18, vcc_lo, 0, v18, vcc_lo
	v_cmp_eq_f32_e32 vcc_lo, 0x7f800000, v16
	v_sub_nc_u32_e32 v64, 0, v18
	v_cvt_f32_i32_e32 v18, v18
	s_or_b32 vcc_lo, s20, vcc_lo
	s_delay_alu instid0(VALU_DEP_2) | instskip(SKIP_1) | instid1(VALU_DEP_2)
	v_ldexp_f32 v63, v63, v64
	v_ldexp_f32 v19, v19, v64
	v_add_f32_e32 v66, 1.0, v63
	s_delay_alu instid0(VALU_DEP_1) | instskip(NEXT) | instid1(VALU_DEP_1)
	v_dual_add_f32 v64, -1.0, v63 :: v_dual_add_f32 v65, -1.0, v66
	v_add_f32_e32 v67, 1.0, v64
	s_delay_alu instid0(VALU_DEP_2) | instskip(NEXT) | instid1(VALU_DEP_2)
	v_sub_f32_e32 v65, v63, v65
	v_sub_f32_e32 v63, v63, v67
	s_delay_alu instid0(VALU_DEP_2) | instskip(NEXT) | instid1(VALU_DEP_2)
	v_add_f32_e32 v65, v19, v65
	v_add_f32_e32 v19, v19, v63
	s_delay_alu instid0(VALU_DEP_1) | instskip(NEXT) | instid1(VALU_DEP_1)
	v_dual_add_f32 v68, v64, v19 :: v_dual_add_f32 v67, v66, v65
	v_sub_f32_e32 v64, v64, v68
	s_delay_alu instid0(VALU_DEP_2) | instskip(SKIP_1) | instid1(VALU_DEP_1)
	v_rcp_f32_e32 v63, v67
	v_sub_f32_e32 v66, v66, v67
	v_add_f32_e32 v65, v65, v66
	s_waitcnt_depctr 0xfff
	v_mul_f32_e32 v69, v68, v63
	s_delay_alu instid0(VALU_DEP_1) | instskip(NEXT) | instid1(VALU_DEP_1)
	v_mul_f32_e32 v70, v67, v69
	v_fma_f32 v66, v69, v67, -v70
	s_delay_alu instid0(VALU_DEP_1) | instskip(NEXT) | instid1(VALU_DEP_1)
	v_fmac_f32_e32 v66, v69, v65
	v_add_f32_e32 v71, v70, v66
	s_delay_alu instid0(VALU_DEP_1) | instskip(NEXT) | instid1(VALU_DEP_1)
	v_sub_f32_e32 v72, v68, v71
	v_sub_f32_e32 v68, v68, v72
	v_add_f32_e32 v19, v19, v64
	v_sub_f32_e32 v64, v71, v70
	s_delay_alu instid0(VALU_DEP_3) | instskip(NEXT) | instid1(VALU_DEP_1)
	v_sub_f32_e32 v68, v68, v71
	v_dual_sub_f32 v64, v64, v66 :: v_dual_add_f32 v19, v19, v68
	s_delay_alu instid0(VALU_DEP_1) | instskip(NEXT) | instid1(VALU_DEP_1)
	v_add_f32_e32 v19, v64, v19
	v_add_f32_e32 v64, v72, v19
	s_delay_alu instid0(VALU_DEP_1) | instskip(NEXT) | instid1(VALU_DEP_1)
	v_mul_f32_e32 v66, v63, v64
	v_dual_sub_f32 v71, v72, v64 :: v_dual_mul_f32 v68, v67, v66
	s_delay_alu instid0(VALU_DEP_1) | instskip(NEXT) | instid1(VALU_DEP_2)
	v_add_f32_e32 v19, v19, v71
	v_fma_f32 v67, v66, v67, -v68
	s_delay_alu instid0(VALU_DEP_1) | instskip(NEXT) | instid1(VALU_DEP_1)
	v_fmac_f32_e32 v67, v66, v65
	v_add_f32_e32 v65, v68, v67
	s_delay_alu instid0(VALU_DEP_1) | instskip(NEXT) | instid1(VALU_DEP_1)
	v_sub_f32_e32 v70, v64, v65
	v_sub_f32_e32 v64, v64, v70
	s_delay_alu instid0(VALU_DEP_1) | instskip(NEXT) | instid1(VALU_DEP_1)
	v_sub_f32_e32 v64, v64, v65
	v_dual_add_f32 v19, v19, v64 :: v_dual_add_f32 v64, v69, v66
	v_sub_f32_e32 v68, v65, v68
	s_delay_alu instid0(VALU_DEP_1) | instskip(NEXT) | instid1(VALU_DEP_1)
	v_sub_f32_e32 v65, v68, v67
	v_add_f32_e32 v19, v65, v19
	s_delay_alu instid0(VALU_DEP_4) | instskip(NEXT) | instid1(VALU_DEP_2)
	v_sub_f32_e32 v65, v64, v69
	v_add_f32_e32 v19, v70, v19
	s_delay_alu instid0(VALU_DEP_2) | instskip(NEXT) | instid1(VALU_DEP_2)
	v_sub_f32_e32 v65, v66, v65
	v_mul_f32_e32 v19, v63, v19
	s_delay_alu instid0(VALU_DEP_1) | instskip(NEXT) | instid1(VALU_DEP_1)
	v_add_f32_e32 v19, v65, v19
	v_add_f32_e32 v63, v64, v19
	s_delay_alu instid0(VALU_DEP_1) | instskip(NEXT) | instid1(VALU_DEP_1)
	v_mul_f32_e32 v65, v63, v63
	v_fmaak_f32 v66, s31, v65, 0x3ecc95a3
	v_mul_f32_e32 v67, v63, v65
	s_delay_alu instid0(VALU_DEP_2) | instskip(SKIP_2) | instid1(VALU_DEP_3)
	v_fmaak_f32 v65, v65, v66, 0x3f2aaada
	v_ldexp_f32 v66, v63, 1
	v_sub_f32_e32 v63, v63, v64
	v_mul_f32_e32 v65, v67, v65
	v_mul_f32_e32 v67, 0x3f317218, v18
	s_delay_alu instid0(VALU_DEP_2) | instskip(NEXT) | instid1(VALU_DEP_1)
	v_dual_sub_f32 v19, v19, v63 :: v_dual_add_f32 v64, v66, v65
	v_ldexp_f32 v19, v19, 1
	s_delay_alu instid0(VALU_DEP_2) | instskip(NEXT) | instid1(VALU_DEP_4)
	v_sub_f32_e32 v63, v64, v66
	v_fma_f32 v66, 0x3f317218, v18, -v67
	s_delay_alu instid0(VALU_DEP_1) | instskip(NEXT) | instid1(VALU_DEP_1)
	v_dual_sub_f32 v63, v65, v63 :: v_dual_fmac_f32 v66, 0xb102e308, v18
	v_add_f32_e32 v18, v19, v63
	s_delay_alu instid0(VALU_DEP_2) | instskip(NEXT) | instid1(VALU_DEP_2)
	v_add_f32_e32 v19, v67, v66
	v_add_f32_e32 v63, v64, v18
	s_delay_alu instid0(VALU_DEP_2) | instskip(NEXT) | instid1(VALU_DEP_2)
	v_sub_f32_e32 v67, v19, v67
	v_add_f32_e32 v65, v19, v63
	v_sub_f32_e32 v64, v63, v64
	s_delay_alu instid0(VALU_DEP_3) | instskip(NEXT) | instid1(VALU_DEP_3)
	v_sub_f32_e32 v66, v66, v67
	v_sub_f32_e32 v68, v65, v19
	s_delay_alu instid0(VALU_DEP_3) | instskip(NEXT) | instid1(VALU_DEP_2)
	v_sub_f32_e32 v18, v18, v64
	v_sub_f32_e32 v69, v65, v68
	s_delay_alu instid0(VALU_DEP_2) | instskip(NEXT) | instid1(VALU_DEP_2)
	v_dual_sub_f32 v63, v63, v68 :: v_dual_add_f32 v64, v66, v18
	v_sub_f32_e32 v19, v19, v69
	s_delay_alu instid0(VALU_DEP_1) | instskip(NEXT) | instid1(VALU_DEP_3)
	v_add_f32_e32 v19, v63, v19
	v_sub_f32_e32 v63, v64, v66
	s_delay_alu instid0(VALU_DEP_2) | instskip(NEXT) | instid1(VALU_DEP_2)
	v_add_f32_e32 v19, v64, v19
	v_sub_f32_e32 v64, v64, v63
	v_sub_f32_e32 v18, v18, v63
	s_delay_alu instid0(VALU_DEP_2) | instskip(NEXT) | instid1(VALU_DEP_1)
	v_dual_add_f32 v67, v65, v19 :: v_dual_sub_f32 v64, v66, v64
	v_dual_sub_f32 v63, v67, v65 :: v_dual_add_f32 v18, v18, v64
	s_delay_alu instid0(VALU_DEP_1) | instskip(NEXT) | instid1(VALU_DEP_1)
	v_sub_f32_e32 v19, v19, v63
	v_add_f32_e32 v18, v18, v19
	s_delay_alu instid0(VALU_DEP_1) | instskip(NEXT) | instid1(VALU_DEP_1)
	v_add_f32_e32 v18, v67, v18
	v_cndmask_b32_e32 v63, v18, v16, vcc_lo
.LBB140_44:                             ;   in Loop: Header=BB140_12 Depth=1
	s_or_b32 exec_lo, exec_lo, s21
	v_add_f32_e32 v64, s64, v17
	s_delay_alu instid0(VALU_DEP_1) | instskip(SKIP_1) | instid1(SALU_CYCLE_1)
	v_cmp_ge_f32_e32 vcc_lo, 0x41a00000, v64
	s_and_b32 s20, s75, vcc_lo
	s_and_saveexec_b32 s21, s20
	s_cbranch_execz .LBB140_46
; %bb.45:                               ;   in Loop: Header=BB140_12 Depth=1
	v_mul_f32_e32 v16, 0x3fb8aa3b, v64
	v_cmp_ngt_f32_e32 vcc_lo, 0xc2ce8ed0, v64
	s_delay_alu instid0(VALU_DEP_2) | instskip(SKIP_1) | instid1(VALU_DEP_2)
	v_rndne_f32_e32 v17, v16
	v_fma_f32 v18, 0x3fb8aa3b, v64, -v16
	v_sub_f32_e32 v16, v16, v17
	s_delay_alu instid0(VALU_DEP_2) | instskip(SKIP_1) | instid1(VALU_DEP_2)
	v_fmac_f32_e32 v18, 0x32a5705f, v64
	v_cvt_i32_f32_e32 v17, v17
	v_add_f32_e32 v16, v16, v18
	s_delay_alu instid0(VALU_DEP_1) | instskip(SKIP_2) | instid1(VALU_DEP_1)
	v_exp_f32_e32 v16, v16
	s_waitcnt_depctr 0xfff
	v_ldexp_f32 v16, v16, v17
	v_cndmask_b32_e32 v16, 0, v16, vcc_lo
	v_cmp_nlt_f32_e32 vcc_lo, 0x42b17218, v64
	s_delay_alu instid0(VALU_DEP_2) | instskip(NEXT) | instid1(VALU_DEP_1)
	v_cndmask_b32_e32 v18, 0x7f800000, v16, vcc_lo
	v_add_f32_e32 v19, 1.0, v18
	s_delay_alu instid0(VALU_DEP_1) | instskip(NEXT) | instid1(VALU_DEP_1)
	v_cvt_f64_f32_e32 v[16:17], v19
	v_frexp_exp_i32_f64_e32 v16, v[16:17]
	v_frexp_mant_f32_e32 v17, v19
	s_delay_alu instid0(VALU_DEP_1) | instskip(SKIP_1) | instid1(VALU_DEP_1)
	v_cmp_gt_f32_e32 vcc_lo, 0x3f2aaaab, v17
	v_add_f32_e32 v17, -1.0, v19
	v_sub_f32_e32 v65, v17, v19
	v_sub_f32_e32 v17, v18, v17
	s_delay_alu instid0(VALU_DEP_2) | instskip(NEXT) | instid1(VALU_DEP_1)
	v_add_f32_e32 v65, 1.0, v65
	v_add_f32_e32 v17, v17, v65
	v_cmp_gt_f32_e64 s20, 0x33800000, v18
	v_subrev_co_ci_u32_e32 v16, vcc_lo, 0, v16, vcc_lo
	v_cmp_eq_f32_e32 vcc_lo, 0x7f800000, v18
	s_delay_alu instid0(VALU_DEP_2) | instskip(SKIP_2) | instid1(VALU_DEP_2)
	v_sub_nc_u32_e32 v64, 0, v16
	v_cvt_f32_i32_e32 v16, v16
	s_or_b32 vcc_lo, s20, vcc_lo
	v_ldexp_f32 v19, v19, v64
	v_ldexp_f32 v17, v17, v64
	s_delay_alu instid0(VALU_DEP_2) | instskip(NEXT) | instid1(VALU_DEP_1)
	v_add_f32_e32 v66, 1.0, v19
	v_dual_add_f32 v64, -1.0, v19 :: v_dual_add_f32 v65, -1.0, v66
	s_delay_alu instid0(VALU_DEP_1) | instskip(NEXT) | instid1(VALU_DEP_2)
	v_add_f32_e32 v67, 1.0, v64
	v_sub_f32_e32 v65, v19, v65
	s_delay_alu instid0(VALU_DEP_2) | instskip(NEXT) | instid1(VALU_DEP_2)
	v_sub_f32_e32 v19, v19, v67
	v_add_f32_e32 v65, v17, v65
	s_delay_alu instid0(VALU_DEP_2) | instskip(NEXT) | instid1(VALU_DEP_1)
	v_add_f32_e32 v17, v17, v19
	v_add_f32_e32 v68, v64, v17
	s_delay_alu instid0(VALU_DEP_1) | instskip(NEXT) | instid1(VALU_DEP_1)
	v_dual_add_f32 v67, v66, v65 :: v_dual_sub_f32 v64, v64, v68
	v_rcp_f32_e32 v19, v67
	v_sub_f32_e32 v66, v66, v67
	s_delay_alu instid0(VALU_DEP_1) | instskip(SKIP_2) | instid1(VALU_DEP_1)
	v_add_f32_e32 v65, v65, v66
	s_waitcnt_depctr 0xfff
	v_mul_f32_e32 v69, v68, v19
	v_mul_f32_e32 v70, v67, v69
	s_delay_alu instid0(VALU_DEP_1) | instskip(NEXT) | instid1(VALU_DEP_1)
	v_fma_f32 v66, v69, v67, -v70
	v_fmac_f32_e32 v66, v69, v65
	s_delay_alu instid0(VALU_DEP_1) | instskip(NEXT) | instid1(VALU_DEP_1)
	v_add_f32_e32 v71, v70, v66
	v_sub_f32_e32 v72, v68, v71
	s_delay_alu instid0(VALU_DEP_1) | instskip(SKIP_1) | instid1(VALU_DEP_2)
	v_sub_f32_e32 v68, v68, v72
	v_dual_add_f32 v17, v17, v64 :: v_dual_sub_f32 v64, v71, v70
	v_sub_f32_e32 v68, v68, v71
	s_delay_alu instid0(VALU_DEP_1) | instskip(NEXT) | instid1(VALU_DEP_1)
	v_dual_sub_f32 v64, v64, v66 :: v_dual_add_f32 v17, v17, v68
	v_add_f32_e32 v17, v64, v17
	s_delay_alu instid0(VALU_DEP_1) | instskip(NEXT) | instid1(VALU_DEP_1)
	v_add_f32_e32 v64, v72, v17
	v_mul_f32_e32 v66, v19, v64
	s_delay_alu instid0(VALU_DEP_1) | instskip(NEXT) | instid1(VALU_DEP_1)
	v_dual_sub_f32 v71, v72, v64 :: v_dual_mul_f32 v68, v67, v66
	v_add_f32_e32 v17, v17, v71
	s_delay_alu instid0(VALU_DEP_2) | instskip(NEXT) | instid1(VALU_DEP_1)
	v_fma_f32 v67, v66, v67, -v68
	v_fmac_f32_e32 v67, v66, v65
	s_delay_alu instid0(VALU_DEP_1) | instskip(NEXT) | instid1(VALU_DEP_1)
	v_add_f32_e32 v65, v68, v67
	v_sub_f32_e32 v70, v64, v65
	s_delay_alu instid0(VALU_DEP_1) | instskip(NEXT) | instid1(VALU_DEP_1)
	v_sub_f32_e32 v64, v64, v70
	v_sub_f32_e32 v64, v64, v65
	s_delay_alu instid0(VALU_DEP_1) | instskip(SKIP_2) | instid1(VALU_DEP_1)
	v_add_f32_e32 v17, v17, v64
	v_add_f32_e32 v64, v69, v66
	v_sub_f32_e32 v68, v65, v68
	v_sub_f32_e32 v65, v68, v67
	s_delay_alu instid0(VALU_DEP_1) | instskip(NEXT) | instid1(VALU_DEP_4)
	v_add_f32_e32 v17, v65, v17
	v_sub_f32_e32 v65, v64, v69
	s_delay_alu instid0(VALU_DEP_2) | instskip(NEXT) | instid1(VALU_DEP_2)
	v_add_f32_e32 v17, v70, v17
	v_sub_f32_e32 v65, v66, v65
	s_delay_alu instid0(VALU_DEP_2) | instskip(NEXT) | instid1(VALU_DEP_1)
	v_mul_f32_e32 v17, v19, v17
	v_add_f32_e32 v17, v65, v17
	s_delay_alu instid0(VALU_DEP_1) | instskip(NEXT) | instid1(VALU_DEP_1)
	v_add_f32_e32 v19, v64, v17
	v_mul_f32_e32 v65, v19, v19
	s_delay_alu instid0(VALU_DEP_1) | instskip(SKIP_1) | instid1(VALU_DEP_2)
	v_fmaak_f32 v66, s31, v65, 0x3ecc95a3
	v_mul_f32_e32 v67, v19, v65
	v_fmaak_f32 v65, v65, v66, 0x3f2aaada
	v_ldexp_f32 v66, v19, 1
	s_delay_alu instid0(VALU_DEP_2) | instskip(SKIP_1) | instid1(VALU_DEP_2)
	v_mul_f32_e32 v65, v67, v65
	v_sub_f32_e32 v19, v19, v64
	v_dual_mul_f32 v67, 0x3f317218, v16 :: v_dual_add_f32 v64, v66, v65
	s_delay_alu instid0(VALU_DEP_2) | instskip(NEXT) | instid1(VALU_DEP_2)
	v_sub_f32_e32 v17, v17, v19
	v_sub_f32_e32 v19, v64, v66
	s_delay_alu instid0(VALU_DEP_3) | instskip(NEXT) | instid1(VALU_DEP_3)
	v_fma_f32 v66, 0x3f317218, v16, -v67
	v_ldexp_f32 v17, v17, 1
	s_delay_alu instid0(VALU_DEP_2) | instskip(NEXT) | instid1(VALU_DEP_1)
	v_dual_sub_f32 v19, v65, v19 :: v_dual_fmac_f32 v66, 0xb102e308, v16
	v_dual_add_f32 v16, v17, v19 :: v_dual_add_f32 v17, v67, v66
	s_delay_alu instid0(VALU_DEP_1) | instskip(NEXT) | instid1(VALU_DEP_1)
	v_add_f32_e32 v19, v64, v16
	v_dual_add_f32 v65, v17, v19 :: v_dual_sub_f32 v64, v19, v64
	s_delay_alu instid0(VALU_DEP_1) | instskip(NEXT) | instid1(VALU_DEP_2)
	v_sub_f32_e32 v68, v65, v17
	v_dual_sub_f32 v67, v17, v67 :: v_dual_sub_f32 v16, v16, v64
	s_delay_alu instid0(VALU_DEP_1) | instskip(SKIP_1) | instid1(VALU_DEP_2)
	v_dual_sub_f32 v69, v65, v68 :: v_dual_sub_f32 v66, v66, v67
	v_sub_f32_e32 v19, v19, v68
	v_dual_sub_f32 v17, v17, v69 :: v_dual_add_f32 v64, v66, v16
	s_delay_alu instid0(VALU_DEP_1) | instskip(NEXT) | instid1(VALU_DEP_2)
	v_add_f32_e32 v17, v19, v17
	v_sub_f32_e32 v19, v64, v66
	s_delay_alu instid0(VALU_DEP_2) | instskip(NEXT) | instid1(VALU_DEP_2)
	v_add_f32_e32 v17, v64, v17
	v_sub_f32_e32 v64, v64, v19
	s_delay_alu instid0(VALU_DEP_2) | instskip(NEXT) | instid1(VALU_DEP_1)
	v_dual_sub_f32 v16, v16, v19 :: v_dual_add_f32 v67, v65, v17
	v_dual_sub_f32 v64, v66, v64 :: v_dual_sub_f32 v19, v67, v65
	s_delay_alu instid0(VALU_DEP_1) | instskip(NEXT) | instid1(VALU_DEP_1)
	v_dual_add_f32 v16, v16, v64 :: v_dual_sub_f32 v17, v17, v19
	v_add_f32_e32 v16, v16, v17
	s_delay_alu instid0(VALU_DEP_1) | instskip(NEXT) | instid1(VALU_DEP_1)
	v_add_f32_e32 v16, v67, v16
	v_cndmask_b32_e32 v64, v16, v18, vcc_lo
.LBB140_46:                             ;   in Loop: Header=BB140_12 Depth=1
	s_or_b32 exec_lo, exec_lo, s21
	s_waitcnt lgkmcnt(2)
	v_add_f32_e32 v65, s64, v14
	s_delay_alu instid0(VALU_DEP_1) | instskip(SKIP_1) | instid1(SALU_CYCLE_1)
	v_cmp_ge_f32_e32 vcc_lo, 0x41a00000, v65
	s_and_b32 s20, s75, vcc_lo
	s_and_saveexec_b32 s21, s20
	s_cbranch_execz .LBB140_48
; %bb.47:                               ;   in Loop: Header=BB140_12 Depth=1
	v_mul_f32_e32 v14, 0x3fb8aa3b, v65
	v_cmp_ngt_f32_e32 vcc_lo, 0xc2ce8ed0, v65
	s_delay_alu instid0(VALU_DEP_2) | instskip(SKIP_1) | instid1(VALU_DEP_1)
	v_rndne_f32_e32 v16, v14
	v_fma_f32 v17, 0x3fb8aa3b, v65, -v14
	v_dual_sub_f32 v14, v14, v16 :: v_dual_fmac_f32 v17, 0x32a5705f, v65
	v_cvt_i32_f32_e32 v16, v16
	s_delay_alu instid0(VALU_DEP_2) | instskip(NEXT) | instid1(VALU_DEP_1)
	v_add_f32_e32 v14, v14, v17
	v_exp_f32_e32 v14, v14
	s_waitcnt_depctr 0xfff
	v_ldexp_f32 v14, v14, v16
	s_delay_alu instid0(VALU_DEP_1) | instskip(SKIP_1) | instid1(VALU_DEP_2)
	v_cndmask_b32_e32 v14, 0, v14, vcc_lo
	v_cmp_nlt_f32_e32 vcc_lo, 0x42b17218, v65
	v_cndmask_b32_e32 v14, 0x7f800000, v14, vcc_lo
	s_delay_alu instid0(VALU_DEP_1) | instskip(NEXT) | instid1(VALU_DEP_1)
	v_add_f32_e32 v18, 1.0, v14
	v_cvt_f64_f32_e32 v[16:17], v18
	s_delay_alu instid0(VALU_DEP_1) | instskip(SKIP_1) | instid1(VALU_DEP_1)
	v_frexp_exp_i32_f64_e32 v16, v[16:17]
	v_frexp_mant_f32_e32 v17, v18
	v_cmp_gt_f32_e32 vcc_lo, 0x3f2aaaab, v17
	v_add_f32_e32 v17, -1.0, v18
	s_delay_alu instid0(VALU_DEP_1) | instskip(SKIP_1) | instid1(VALU_DEP_2)
	v_sub_f32_e32 v65, v17, v18
	v_sub_f32_e32 v17, v14, v17
	v_add_f32_e32 v65, 1.0, v65
	s_delay_alu instid0(VALU_DEP_1) | instskip(SKIP_3) | instid1(VALU_DEP_2)
	v_add_f32_e32 v17, v17, v65
	v_cmp_gt_f32_e64 s20, 0x33800000, v14
	v_subrev_co_ci_u32_e32 v16, vcc_lo, 0, v16, vcc_lo
	v_cmp_eq_f32_e32 vcc_lo, 0x7f800000, v14
	v_sub_nc_u32_e32 v19, 0, v16
	v_cvt_f32_i32_e32 v16, v16
	s_or_b32 vcc_lo, s20, vcc_lo
	s_delay_alu instid0(VALU_DEP_2) | instskip(SKIP_1) | instid1(VALU_DEP_2)
	v_ldexp_f32 v18, v18, v19
	v_ldexp_f32 v17, v17, v19
	v_add_f32_e32 v66, 1.0, v18
	v_add_f32_e32 v19, -1.0, v18
	s_delay_alu instid0(VALU_DEP_1) | instskip(NEXT) | instid1(VALU_DEP_3)
	v_add_f32_e32 v67, 1.0, v19
	v_add_f32_e32 v65, -1.0, v66
	s_delay_alu instid0(VALU_DEP_1) | instskip(NEXT) | instid1(VALU_DEP_1)
	v_sub_f32_e32 v65, v18, v65
	v_dual_sub_f32 v18, v18, v67 :: v_dual_add_f32 v65, v17, v65
	s_delay_alu instid0(VALU_DEP_1) | instskip(NEXT) | instid1(VALU_DEP_2)
	v_add_f32_e32 v67, v66, v65
	v_add_f32_e32 v17, v17, v18
	s_delay_alu instid0(VALU_DEP_2) | instskip(SKIP_1) | instid1(VALU_DEP_1)
	v_rcp_f32_e32 v18, v67
	v_sub_f32_e32 v66, v66, v67
	v_dual_add_f32 v68, v19, v17 :: v_dual_add_f32 v65, v65, v66
	s_delay_alu instid0(VALU_DEP_1) | instskip(SKIP_2) | instid1(VALU_DEP_1)
	v_sub_f32_e32 v19, v19, v68
	s_waitcnt_depctr 0xfff
	v_mul_f32_e32 v69, v68, v18
	v_mul_f32_e32 v70, v67, v69
	s_delay_alu instid0(VALU_DEP_1) | instskip(NEXT) | instid1(VALU_DEP_1)
	v_fma_f32 v66, v69, v67, -v70
	v_fmac_f32_e32 v66, v69, v65
	s_delay_alu instid0(VALU_DEP_1) | instskip(NEXT) | instid1(VALU_DEP_1)
	v_add_f32_e32 v71, v70, v66
	v_sub_f32_e32 v72, v68, v71
	s_delay_alu instid0(VALU_DEP_1) | instskip(NEXT) | instid1(VALU_DEP_1)
	v_dual_sub_f32 v68, v68, v72 :: v_dual_add_f32 v17, v17, v19
	v_dual_sub_f32 v19, v71, v70 :: v_dual_sub_f32 v68, v68, v71
	s_delay_alu instid0(VALU_DEP_1) | instskip(NEXT) | instid1(VALU_DEP_2)
	v_sub_f32_e32 v19, v19, v66
	v_add_f32_e32 v17, v17, v68
	s_delay_alu instid0(VALU_DEP_1) | instskip(NEXT) | instid1(VALU_DEP_1)
	v_add_f32_e32 v17, v19, v17
	v_add_f32_e32 v19, v72, v17
	s_delay_alu instid0(VALU_DEP_1) | instskip(NEXT) | instid1(VALU_DEP_1)
	v_mul_f32_e32 v66, v18, v19
	v_dual_sub_f32 v71, v72, v19 :: v_dual_mul_f32 v68, v67, v66
	s_delay_alu instid0(VALU_DEP_1) | instskip(NEXT) | instid1(VALU_DEP_2)
	v_add_f32_e32 v17, v17, v71
	v_fma_f32 v67, v66, v67, -v68
	s_delay_alu instid0(VALU_DEP_1) | instskip(NEXT) | instid1(VALU_DEP_1)
	v_fmac_f32_e32 v67, v66, v65
	v_add_f32_e32 v65, v68, v67
	s_delay_alu instid0(VALU_DEP_1) | instskip(NEXT) | instid1(VALU_DEP_1)
	v_sub_f32_e32 v70, v19, v65
	v_dual_sub_f32 v68, v65, v68 :: v_dual_sub_f32 v19, v19, v70
	s_delay_alu instid0(VALU_DEP_1) | instskip(NEXT) | instid1(VALU_DEP_2)
	v_sub_f32_e32 v19, v19, v65
	v_sub_f32_e32 v65, v68, v67
	s_delay_alu instid0(VALU_DEP_2) | instskip(SKIP_1) | instid1(VALU_DEP_2)
	v_add_f32_e32 v17, v17, v19
	v_add_f32_e32 v19, v69, v66
	;; [unrolled: 1-line block ×3, first 2 shown]
	s_delay_alu instid0(VALU_DEP_2) | instskip(NEXT) | instid1(VALU_DEP_2)
	v_sub_f32_e32 v65, v19, v69
	v_add_f32_e32 v17, v70, v17
	s_delay_alu instid0(VALU_DEP_2) | instskip(NEXT) | instid1(VALU_DEP_2)
	v_sub_f32_e32 v65, v66, v65
	v_mul_f32_e32 v17, v18, v17
	s_delay_alu instid0(VALU_DEP_1) | instskip(NEXT) | instid1(VALU_DEP_1)
	v_add_f32_e32 v17, v65, v17
	v_add_f32_e32 v18, v19, v17
	s_delay_alu instid0(VALU_DEP_1) | instskip(NEXT) | instid1(VALU_DEP_1)
	v_mul_f32_e32 v65, v18, v18
	v_fmaak_f32 v66, s31, v65, 0x3ecc95a3
	v_mul_f32_e32 v67, v18, v65
	s_delay_alu instid0(VALU_DEP_2) | instskip(SKIP_1) | instid1(VALU_DEP_2)
	v_fmaak_f32 v65, v65, v66, 0x3f2aaada
	v_ldexp_f32 v66, v18, 1
	v_dual_sub_f32 v18, v18, v19 :: v_dual_mul_f32 v65, v67, v65
	v_mul_f32_e32 v67, 0x3f317218, v16
	s_delay_alu instid0(VALU_DEP_2) | instskip(NEXT) | instid1(VALU_DEP_3)
	v_sub_f32_e32 v17, v17, v18
	v_add_f32_e32 v19, v66, v65
	s_delay_alu instid0(VALU_DEP_2) | instskip(NEXT) | instid1(VALU_DEP_2)
	v_ldexp_f32 v17, v17, 1
	v_sub_f32_e32 v18, v19, v66
	v_fma_f32 v66, 0x3f317218, v16, -v67
	s_delay_alu instid0(VALU_DEP_2) | instskip(NEXT) | instid1(VALU_DEP_2)
	v_sub_f32_e32 v18, v65, v18
	v_fmac_f32_e32 v66, 0xb102e308, v16
	s_delay_alu instid0(VALU_DEP_2) | instskip(NEXT) | instid1(VALU_DEP_2)
	v_add_f32_e32 v16, v17, v18
	v_add_f32_e32 v17, v67, v66
	s_delay_alu instid0(VALU_DEP_1) | instskip(NEXT) | instid1(VALU_DEP_1)
	v_dual_add_f32 v18, v19, v16 :: v_dual_sub_f32 v67, v17, v67
	v_add_f32_e32 v65, v17, v18
	v_sub_f32_e32 v19, v18, v19
	s_delay_alu instid0(VALU_DEP_3) | instskip(NEXT) | instid1(VALU_DEP_3)
	v_sub_f32_e32 v66, v66, v67
	v_sub_f32_e32 v68, v65, v17
	s_delay_alu instid0(VALU_DEP_1) | instskip(SKIP_1) | instid1(VALU_DEP_2)
	v_dual_sub_f32 v16, v16, v19 :: v_dual_sub_f32 v69, v65, v68
	v_sub_f32_e32 v18, v18, v68
	v_add_f32_e32 v19, v66, v16
	s_delay_alu instid0(VALU_DEP_3) | instskip(NEXT) | instid1(VALU_DEP_1)
	v_sub_f32_e32 v17, v17, v69
	v_dual_add_f32 v17, v18, v17 :: v_dual_sub_f32 v18, v19, v66
	s_delay_alu instid0(VALU_DEP_1) | instskip(NEXT) | instid1(VALU_DEP_2)
	v_add_f32_e32 v17, v19, v17
	v_sub_f32_e32 v19, v19, v18
	s_delay_alu instid0(VALU_DEP_2) | instskip(NEXT) | instid1(VALU_DEP_1)
	v_dual_sub_f32 v16, v16, v18 :: v_dual_add_f32 v67, v65, v17
	v_dual_sub_f32 v19, v66, v19 :: v_dual_sub_f32 v18, v67, v65
	s_delay_alu instid0(VALU_DEP_1) | instskip(NEXT) | instid1(VALU_DEP_1)
	v_dual_add_f32 v16, v16, v19 :: v_dual_sub_f32 v17, v17, v18
	v_add_f32_e32 v16, v16, v17
	s_delay_alu instid0(VALU_DEP_1) | instskip(NEXT) | instid1(VALU_DEP_1)
	v_add_f32_e32 v16, v67, v16
	v_cndmask_b32_e32 v65, v16, v14, vcc_lo
.LBB140_48:                             ;   in Loop: Header=BB140_12 Depth=1
	s_or_b32 exec_lo, exec_lo, s21
	v_add_f32_e32 v66, s64, v15
	s_delay_alu instid0(VALU_DEP_1) | instskip(SKIP_1) | instid1(SALU_CYCLE_1)
	v_cmp_ge_f32_e32 vcc_lo, 0x41a00000, v66
	s_and_b32 s20, s75, vcc_lo
	s_and_saveexec_b32 s21, s20
	s_cbranch_execz .LBB140_50
; %bb.49:                               ;   in Loop: Header=BB140_12 Depth=1
	v_mul_f32_e32 v14, 0x3fb8aa3b, v66
	v_cmp_ngt_f32_e32 vcc_lo, 0xc2ce8ed0, v66
	s_delay_alu instid0(VALU_DEP_2) | instskip(SKIP_1) | instid1(VALU_DEP_2)
	v_rndne_f32_e32 v15, v14
	v_fma_f32 v16, 0x3fb8aa3b, v66, -v14
	v_sub_f32_e32 v14, v14, v15
	s_delay_alu instid0(VALU_DEP_2) | instskip(SKIP_1) | instid1(VALU_DEP_2)
	v_fmac_f32_e32 v16, 0x32a5705f, v66
	v_cvt_i32_f32_e32 v15, v15
	v_add_f32_e32 v14, v14, v16
	s_delay_alu instid0(VALU_DEP_1) | instskip(SKIP_2) | instid1(VALU_DEP_1)
	v_exp_f32_e32 v14, v14
	s_waitcnt_depctr 0xfff
	v_ldexp_f32 v14, v14, v15
	v_cndmask_b32_e32 v14, 0, v14, vcc_lo
	v_cmp_nlt_f32_e32 vcc_lo, 0x42b17218, v66
	s_delay_alu instid0(VALU_DEP_2) | instskip(NEXT) | instid1(VALU_DEP_1)
	v_cndmask_b32_e32 v16, 0x7f800000, v14, vcc_lo
	v_add_f32_e32 v17, 1.0, v16
	s_delay_alu instid0(VALU_DEP_1) | instskip(NEXT) | instid1(VALU_DEP_1)
	v_cvt_f64_f32_e32 v[14:15], v17
	v_frexp_exp_i32_f64_e32 v14, v[14:15]
	v_frexp_mant_f32_e32 v15, v17
	s_delay_alu instid0(VALU_DEP_1) | instskip(SKIP_1) | instid1(VALU_DEP_1)
	v_cmp_gt_f32_e32 vcc_lo, 0x3f2aaaab, v15
	v_add_f32_e32 v15, -1.0, v17
	v_sub_f32_e32 v19, v15, v17
	v_sub_f32_e32 v15, v16, v15
	s_delay_alu instid0(VALU_DEP_2) | instskip(NEXT) | instid1(VALU_DEP_1)
	v_add_f32_e32 v19, 1.0, v19
	v_add_f32_e32 v15, v15, v19
	v_cmp_gt_f32_e64 s20, 0x33800000, v16
	v_subrev_co_ci_u32_e32 v14, vcc_lo, 0, v14, vcc_lo
	v_cmp_eq_f32_e32 vcc_lo, 0x7f800000, v16
	s_delay_alu instid0(VALU_DEP_2) | instskip(SKIP_2) | instid1(VALU_DEP_2)
	v_sub_nc_u32_e32 v18, 0, v14
	v_cvt_f32_i32_e32 v14, v14
	s_or_b32 vcc_lo, s20, vcc_lo
	v_ldexp_f32 v17, v17, v18
	v_ldexp_f32 v15, v15, v18
	s_delay_alu instid0(VALU_DEP_2) | instskip(NEXT) | instid1(VALU_DEP_1)
	v_add_f32_e32 v66, 1.0, v17
	v_dual_add_f32 v18, -1.0, v17 :: v_dual_add_f32 v19, -1.0, v66
	s_delay_alu instid0(VALU_DEP_1) | instskip(NEXT) | instid1(VALU_DEP_2)
	v_add_f32_e32 v67, 1.0, v18
	v_sub_f32_e32 v19, v17, v19
	s_delay_alu instid0(VALU_DEP_2) | instskip(NEXT) | instid1(VALU_DEP_2)
	v_sub_f32_e32 v17, v17, v67
	v_add_f32_e32 v19, v15, v19
	s_delay_alu instid0(VALU_DEP_2) | instskip(NEXT) | instid1(VALU_DEP_1)
	v_add_f32_e32 v15, v15, v17
	v_add_f32_e32 v68, v18, v15
	s_delay_alu instid0(VALU_DEP_1) | instskip(NEXT) | instid1(VALU_DEP_4)
	v_sub_f32_e32 v18, v18, v68
	v_add_f32_e32 v67, v66, v19
	s_delay_alu instid0(VALU_DEP_1) | instskip(NEXT) | instid1(VALU_DEP_2)
	v_rcp_f32_e32 v17, v67
	v_dual_sub_f32 v66, v66, v67 :: v_dual_add_f32 v15, v15, v18
	s_delay_alu instid0(VALU_DEP_1) | instskip(SKIP_2) | instid1(VALU_DEP_1)
	v_add_f32_e32 v19, v19, v66
	s_waitcnt_depctr 0xfff
	v_mul_f32_e32 v69, v68, v17
	v_mul_f32_e32 v70, v67, v69
	s_delay_alu instid0(VALU_DEP_1) | instskip(NEXT) | instid1(VALU_DEP_1)
	v_fma_f32 v66, v69, v67, -v70
	v_fmac_f32_e32 v66, v69, v19
	s_delay_alu instid0(VALU_DEP_1) | instskip(NEXT) | instid1(VALU_DEP_1)
	v_add_f32_e32 v71, v70, v66
	v_sub_f32_e32 v72, v68, v71
	v_sub_f32_e32 v18, v71, v70
	s_delay_alu instid0(VALU_DEP_2) | instskip(NEXT) | instid1(VALU_DEP_1)
	v_sub_f32_e32 v68, v68, v72
	v_sub_f32_e32 v68, v68, v71
	s_delay_alu instid0(VALU_DEP_1) | instskip(NEXT) | instid1(VALU_DEP_1)
	v_dual_sub_f32 v18, v18, v66 :: v_dual_add_f32 v15, v15, v68
	v_add_f32_e32 v15, v18, v15
	s_delay_alu instid0(VALU_DEP_1) | instskip(NEXT) | instid1(VALU_DEP_1)
	v_add_f32_e32 v18, v72, v15
	v_mul_f32_e32 v66, v17, v18
	v_sub_f32_e32 v71, v72, v18
	s_delay_alu instid0(VALU_DEP_2) | instskip(NEXT) | instid1(VALU_DEP_2)
	v_mul_f32_e32 v68, v67, v66
	v_add_f32_e32 v15, v15, v71
	s_delay_alu instid0(VALU_DEP_2) | instskip(NEXT) | instid1(VALU_DEP_1)
	v_fma_f32 v67, v66, v67, -v68
	v_fmac_f32_e32 v67, v66, v19
	s_delay_alu instid0(VALU_DEP_1) | instskip(NEXT) | instid1(VALU_DEP_1)
	v_add_f32_e32 v19, v68, v67
	v_sub_f32_e32 v70, v18, v19
	s_delay_alu instid0(VALU_DEP_1) | instskip(NEXT) | instid1(VALU_DEP_1)
	v_sub_f32_e32 v18, v18, v70
	v_sub_f32_e32 v18, v18, v19
	s_delay_alu instid0(VALU_DEP_1) | instskip(SKIP_2) | instid1(VALU_DEP_1)
	v_add_f32_e32 v15, v15, v18
	v_add_f32_e32 v18, v69, v66
	v_sub_f32_e32 v68, v19, v68
	v_sub_f32_e32 v19, v68, v67
	s_delay_alu instid0(VALU_DEP_1) | instskip(NEXT) | instid1(VALU_DEP_4)
	v_add_f32_e32 v15, v19, v15
	v_sub_f32_e32 v19, v18, v69
	s_delay_alu instid0(VALU_DEP_2) | instskip(NEXT) | instid1(VALU_DEP_2)
	v_add_f32_e32 v15, v70, v15
	v_sub_f32_e32 v19, v66, v19
	s_delay_alu instid0(VALU_DEP_2) | instskip(NEXT) | instid1(VALU_DEP_1)
	v_mul_f32_e32 v15, v17, v15
	v_add_f32_e32 v15, v19, v15
	s_delay_alu instid0(VALU_DEP_1) | instskip(NEXT) | instid1(VALU_DEP_1)
	v_add_f32_e32 v17, v18, v15
	v_mul_f32_e32 v19, v17, v17
	s_delay_alu instid0(VALU_DEP_1) | instskip(SKIP_1) | instid1(VALU_DEP_2)
	v_fmaak_f32 v66, s31, v19, 0x3ecc95a3
	v_mul_f32_e32 v67, v17, v19
	v_fmaak_f32 v19, v19, v66, 0x3f2aaada
	v_ldexp_f32 v66, v17, 1
	v_sub_f32_e32 v17, v17, v18
	s_delay_alu instid0(VALU_DEP_3) | instskip(SKIP_1) | instid1(VALU_DEP_2)
	v_mul_f32_e32 v19, v67, v19
	v_mul_f32_e32 v67, 0x3f317218, v14
	v_dual_sub_f32 v15, v15, v17 :: v_dual_add_f32 v18, v66, v19
	s_delay_alu instid0(VALU_DEP_1) | instskip(NEXT) | instid1(VALU_DEP_2)
	v_ldexp_f32 v15, v15, 1
	v_sub_f32_e32 v17, v18, v66
	s_delay_alu instid0(VALU_DEP_4) | instskip(NEXT) | instid1(VALU_DEP_1)
	v_fma_f32 v66, 0x3f317218, v14, -v67
	v_dual_sub_f32 v17, v19, v17 :: v_dual_fmac_f32 v66, 0xb102e308, v14
	s_delay_alu instid0(VALU_DEP_1) | instskip(NEXT) | instid1(VALU_DEP_1)
	v_add_f32_e32 v14, v15, v17
	v_add_f32_e32 v17, v18, v14
	s_delay_alu instid0(VALU_DEP_1) | instskip(NEXT) | instid1(VALU_DEP_1)
	v_sub_f32_e32 v18, v17, v18
	v_sub_f32_e32 v14, v14, v18
	v_add_f32_e32 v15, v67, v66
	s_delay_alu instid0(VALU_DEP_1) | instskip(SKIP_1) | instid1(VALU_DEP_2)
	v_add_f32_e32 v19, v15, v17
	v_sub_f32_e32 v67, v15, v67
	v_sub_f32_e32 v68, v19, v15
	s_delay_alu instid0(VALU_DEP_1) | instskip(NEXT) | instid1(VALU_DEP_1)
	v_dual_sub_f32 v66, v66, v67 :: v_dual_sub_f32 v69, v19, v68
	v_dual_sub_f32 v17, v17, v68 :: v_dual_add_f32 v18, v66, v14
	s_delay_alu instid0(VALU_DEP_2) | instskip(NEXT) | instid1(VALU_DEP_1)
	v_sub_f32_e32 v15, v15, v69
	v_add_f32_e32 v15, v17, v15
	s_delay_alu instid0(VALU_DEP_3) | instskip(NEXT) | instid1(VALU_DEP_2)
	v_sub_f32_e32 v17, v18, v66
	v_add_f32_e32 v15, v18, v15
	s_delay_alu instid0(VALU_DEP_2) | instskip(NEXT) | instid1(VALU_DEP_2)
	v_sub_f32_e32 v18, v18, v17
	v_dual_sub_f32 v14, v14, v17 :: v_dual_add_f32 v67, v19, v15
	s_delay_alu instid0(VALU_DEP_1) | instskip(NEXT) | instid1(VALU_DEP_1)
	v_dual_sub_f32 v18, v66, v18 :: v_dual_sub_f32 v17, v67, v19
	v_dual_add_f32 v14, v14, v18 :: v_dual_sub_f32 v15, v15, v17
	s_delay_alu instid0(VALU_DEP_1) | instskip(NEXT) | instid1(VALU_DEP_1)
	v_add_f32_e32 v14, v14, v15
	v_add_f32_e32 v14, v67, v14
	s_delay_alu instid0(VALU_DEP_1)
	v_cndmask_b32_e32 v66, v14, v16, vcc_lo
.LBB140_50:                             ;   in Loop: Header=BB140_12 Depth=1
	s_or_b32 exec_lo, exec_lo, s21
	s_waitcnt lgkmcnt(1)
	v_add_f32_e32 v72, s64, v12
	s_delay_alu instid0(VALU_DEP_1) | instskip(SKIP_1) | instid1(SALU_CYCLE_1)
	v_cmp_ge_f32_e32 vcc_lo, 0x41a00000, v72
	s_and_b32 s20, s75, vcc_lo
	s_and_saveexec_b32 s21, s20
	s_cbranch_execz .LBB140_52
; %bb.51:                               ;   in Loop: Header=BB140_12 Depth=1
	v_mul_f32_e32 v12, 0x3fb8aa3b, v72
	v_cmp_ngt_f32_e32 vcc_lo, 0xc2ce8ed0, v72
	s_delay_alu instid0(VALU_DEP_2) | instskip(SKIP_1) | instid1(VALU_DEP_1)
	v_rndne_f32_e32 v14, v12
	v_fma_f32 v15, 0x3fb8aa3b, v72, -v12
	v_dual_sub_f32 v12, v12, v14 :: v_dual_fmac_f32 v15, 0x32a5705f, v72
	v_cvt_i32_f32_e32 v14, v14
	s_delay_alu instid0(VALU_DEP_2) | instskip(NEXT) | instid1(VALU_DEP_1)
	v_add_f32_e32 v12, v12, v15
	v_exp_f32_e32 v12, v12
	s_waitcnt_depctr 0xfff
	v_ldexp_f32 v12, v12, v14
	s_delay_alu instid0(VALU_DEP_1) | instskip(SKIP_1) | instid1(VALU_DEP_2)
	v_cndmask_b32_e32 v12, 0, v12, vcc_lo
	v_cmp_nlt_f32_e32 vcc_lo, 0x42b17218, v72
	v_cndmask_b32_e32 v12, 0x7f800000, v12, vcc_lo
	s_delay_alu instid0(VALU_DEP_1) | instskip(NEXT) | instid1(VALU_DEP_1)
	v_add_f32_e32 v16, 1.0, v12
	v_cvt_f64_f32_e32 v[14:15], v16
	s_delay_alu instid0(VALU_DEP_1) | instskip(SKIP_1) | instid1(VALU_DEP_1)
	v_frexp_exp_i32_f64_e32 v14, v[14:15]
	v_frexp_mant_f32_e32 v15, v16
	v_cmp_gt_f32_e32 vcc_lo, 0x3f2aaaab, v15
	v_add_f32_e32 v15, -1.0, v16
	s_delay_alu instid0(VALU_DEP_1) | instskip(SKIP_1) | instid1(VALU_DEP_1)
	v_dual_sub_f32 v18, v15, v16 :: v_dual_sub_f32 v15, v12, v15
	v_subrev_co_ci_u32_e32 v14, vcc_lo, 0, v14, vcc_lo
	v_sub_nc_u32_e32 v17, 0, v14
	v_cvt_f32_i32_e32 v14, v14
	s_delay_alu instid0(VALU_DEP_2) | instskip(NEXT) | instid1(VALU_DEP_1)
	v_ldexp_f32 v16, v16, v17
	v_dual_add_f32 v18, 1.0, v18 :: v_dual_add_f32 v19, 1.0, v16
	s_delay_alu instid0(VALU_DEP_1) | instskip(NEXT) | instid1(VALU_DEP_1)
	v_dual_add_f32 v15, v15, v18 :: v_dual_add_f32 v18, -1.0, v19
	v_ldexp_f32 v15, v15, v17
	s_delay_alu instid0(VALU_DEP_2) | instskip(NEXT) | instid1(VALU_DEP_1)
	v_dual_add_f32 v17, -1.0, v16 :: v_dual_sub_f32 v18, v16, v18
	v_dual_add_f32 v67, 1.0, v17 :: v_dual_add_f32 v18, v15, v18
	s_delay_alu instid0(VALU_DEP_1) | instskip(SKIP_1) | instid1(VALU_DEP_2)
	v_dual_sub_f32 v16, v16, v67 :: v_dual_add_f32 v67, v19, v18
	v_cmp_eq_f32_e32 vcc_lo, 0x7f800000, v12
	v_add_f32_e32 v15, v15, v16
	v_cmp_gt_f32_e64 s20, 0x33800000, v12
	s_delay_alu instid0(VALU_DEP_4) | instskip(NEXT) | instid1(VALU_DEP_2)
	v_rcp_f32_e32 v16, v67
	v_add_f32_e32 v68, v17, v15
	s_delay_alu instid0(VALU_DEP_2) | instskip(NEXT) | instid1(VALU_DEP_1)
	s_or_b32 vcc_lo, s20, vcc_lo
	v_sub_f32_e32 v17, v17, v68
	s_delay_alu instid0(VALU_DEP_1) | instskip(SKIP_3) | instid1(VALU_DEP_2)
	v_add_f32_e32 v15, v15, v17
	s_waitcnt_depctr 0xfff
	v_mul_f32_e32 v69, v68, v16
	v_sub_f32_e32 v19, v19, v67
	v_mul_f32_e32 v70, v67, v69
	s_delay_alu instid0(VALU_DEP_2) | instskip(NEXT) | instid1(VALU_DEP_2)
	v_add_f32_e32 v18, v18, v19
	v_fma_f32 v19, v69, v67, -v70
	s_delay_alu instid0(VALU_DEP_1) | instskip(NEXT) | instid1(VALU_DEP_1)
	v_fmac_f32_e32 v19, v69, v18
	v_add_f32_e32 v71, v70, v19
	s_delay_alu instid0(VALU_DEP_1) | instskip(NEXT) | instid1(VALU_DEP_1)
	v_dual_sub_f32 v17, v71, v70 :: v_dual_sub_f32 v72, v68, v71
	v_dual_sub_f32 v17, v17, v19 :: v_dual_sub_f32 v68, v68, v72
	s_delay_alu instid0(VALU_DEP_1) | instskip(NEXT) | instid1(VALU_DEP_1)
	v_sub_f32_e32 v68, v68, v71
	v_add_f32_e32 v15, v15, v68
	s_delay_alu instid0(VALU_DEP_1) | instskip(NEXT) | instid1(VALU_DEP_1)
	v_add_f32_e32 v15, v17, v15
	v_add_f32_e32 v17, v72, v15
	s_delay_alu instid0(VALU_DEP_1) | instskip(NEXT) | instid1(VALU_DEP_1)
	v_mul_f32_e32 v19, v16, v17
	v_dual_sub_f32 v71, v72, v17 :: v_dual_mul_f32 v68, v67, v19
	s_delay_alu instid0(VALU_DEP_1) | instskip(NEXT) | instid1(VALU_DEP_1)
	v_fma_f32 v67, v19, v67, -v68
	v_fmac_f32_e32 v67, v19, v18
	s_delay_alu instid0(VALU_DEP_1) | instskip(NEXT) | instid1(VALU_DEP_1)
	v_add_f32_e32 v18, v68, v67
	v_sub_f32_e32 v70, v17, v18
	s_delay_alu instid0(VALU_DEP_1) | instskip(SKIP_1) | instid1(VALU_DEP_2)
	v_dual_sub_f32 v17, v17, v70 :: v_dual_sub_f32 v68, v18, v68
	v_add_f32_e32 v15, v15, v71
	v_dual_sub_f32 v17, v17, v18 :: v_dual_sub_f32 v18, v68, v67
	s_delay_alu instid0(VALU_DEP_1) | instskip(SKIP_1) | instid1(VALU_DEP_1)
	v_add_f32_e32 v15, v15, v17
	v_add_f32_e32 v17, v69, v19
	v_dual_add_f32 v15, v18, v15 :: v_dual_sub_f32 v18, v17, v69
	s_delay_alu instid0(VALU_DEP_1) | instskip(NEXT) | instid1(VALU_DEP_1)
	v_dual_add_f32 v15, v70, v15 :: v_dual_sub_f32 v18, v19, v18
	v_mul_f32_e32 v15, v16, v15
	s_delay_alu instid0(VALU_DEP_1) | instskip(NEXT) | instid1(VALU_DEP_1)
	v_add_f32_e32 v15, v18, v15
	v_add_f32_e32 v16, v17, v15
	s_delay_alu instid0(VALU_DEP_1) | instskip(NEXT) | instid1(VALU_DEP_1)
	v_mul_f32_e32 v18, v16, v16
	v_fmaak_f32 v19, s31, v18, 0x3ecc95a3
	s_delay_alu instid0(VALU_DEP_1) | instskip(SKIP_1) | instid1(VALU_DEP_2)
	v_dual_mul_f32 v67, v16, v18 :: v_dual_fmaak_f32 v18, v18, v19, 0x3f2aaada
	v_ldexp_f32 v19, v16, 1
	v_mul_f32_e32 v18, v67, v18
	s_delay_alu instid0(VALU_DEP_1) | instskip(NEXT) | instid1(VALU_DEP_1)
	v_dual_sub_f32 v16, v16, v17 :: v_dual_add_f32 v17, v19, v18
	v_dual_sub_f32 v15, v15, v16 :: v_dual_sub_f32 v16, v17, v19
	s_delay_alu instid0(VALU_DEP_1) | instskip(NEXT) | instid1(VALU_DEP_2)
	v_ldexp_f32 v15, v15, 1
	v_dual_sub_f32 v16, v18, v16 :: v_dual_mul_f32 v67, 0x3f317218, v14
	s_delay_alu instid0(VALU_DEP_1) | instskip(NEXT) | instid1(VALU_DEP_1)
	v_fma_f32 v19, 0x3f317218, v14, -v67
	v_dual_fmac_f32 v19, 0xb102e308, v14 :: v_dual_add_f32 v14, v15, v16
	s_delay_alu instid0(VALU_DEP_1) | instskip(NEXT) | instid1(VALU_DEP_1)
	v_dual_add_f32 v15, v67, v19 :: v_dual_add_f32 v16, v17, v14
	v_sub_f32_e32 v67, v15, v67
	s_delay_alu instid0(VALU_DEP_2) | instskip(NEXT) | instid1(VALU_DEP_2)
	v_add_f32_e32 v18, v15, v16
	v_sub_f32_e32 v19, v19, v67
	s_delay_alu instid0(VALU_DEP_2) | instskip(NEXT) | instid1(VALU_DEP_1)
	v_dual_sub_f32 v68, v18, v15 :: v_dual_sub_f32 v17, v16, v17
	v_sub_f32_e32 v16, v16, v68
	s_delay_alu instid0(VALU_DEP_2) | instskip(NEXT) | instid1(VALU_DEP_1)
	v_sub_f32_e32 v14, v14, v17
	v_add_f32_e32 v17, v19, v14
	v_sub_f32_e32 v69, v18, v68
	s_delay_alu instid0(VALU_DEP_1) | instskip(NEXT) | instid1(VALU_DEP_1)
	v_sub_f32_e32 v15, v15, v69
	v_add_f32_e32 v15, v16, v15
	s_delay_alu instid0(VALU_DEP_4) | instskip(NEXT) | instid1(VALU_DEP_2)
	v_sub_f32_e32 v16, v17, v19
	v_add_f32_e32 v15, v17, v15
	s_delay_alu instid0(VALU_DEP_2) | instskip(SKIP_1) | instid1(VALU_DEP_3)
	v_sub_f32_e32 v17, v17, v16
	v_sub_f32_e32 v14, v14, v16
	v_add_f32_e32 v67, v18, v15
	s_delay_alu instid0(VALU_DEP_3) | instskip(NEXT) | instid1(VALU_DEP_2)
	v_sub_f32_e32 v17, v19, v17
	v_sub_f32_e32 v16, v67, v18
	s_delay_alu instid0(VALU_DEP_1) | instskip(NEXT) | instid1(VALU_DEP_1)
	v_dual_add_f32 v14, v14, v17 :: v_dual_sub_f32 v15, v15, v16
	v_add_f32_e32 v14, v14, v15
	s_delay_alu instid0(VALU_DEP_1) | instskip(NEXT) | instid1(VALU_DEP_1)
	v_add_f32_e32 v14, v67, v14
	v_cndmask_b32_e32 v72, v14, v12, vcc_lo
.LBB140_52:                             ;   in Loop: Header=BB140_12 Depth=1
	s_or_b32 exec_lo, exec_lo, s21
	v_add_f32_e32 v76, s64, v13
	s_delay_alu instid0(VALU_DEP_1) | instskip(SKIP_1) | instid1(SALU_CYCLE_1)
	v_cmp_ge_f32_e32 vcc_lo, 0x41a00000, v76
	s_and_b32 s20, s75, vcc_lo
	s_and_saveexec_b32 s21, s20
	s_cbranch_execz .LBB140_54
; %bb.53:                               ;   in Loop: Header=BB140_12 Depth=1
	v_mul_f32_e32 v12, 0x3fb8aa3b, v76
	v_cmp_ngt_f32_e32 vcc_lo, 0xc2ce8ed0, v76
	s_delay_alu instid0(VALU_DEP_2) | instskip(SKIP_1) | instid1(VALU_DEP_2)
	v_rndne_f32_e32 v13, v12
	v_fma_f32 v14, 0x3fb8aa3b, v76, -v12
	v_sub_f32_e32 v12, v12, v13
	s_delay_alu instid0(VALU_DEP_2) | instskip(SKIP_1) | instid1(VALU_DEP_2)
	v_fmac_f32_e32 v14, 0x32a5705f, v76
	v_cvt_i32_f32_e32 v13, v13
	v_add_f32_e32 v12, v12, v14
	s_delay_alu instid0(VALU_DEP_1) | instskip(SKIP_2) | instid1(VALU_DEP_1)
	v_exp_f32_e32 v12, v12
	s_waitcnt_depctr 0xfff
	v_ldexp_f32 v12, v12, v13
	v_cndmask_b32_e32 v12, 0, v12, vcc_lo
	v_cmp_nlt_f32_e32 vcc_lo, 0x42b17218, v76
	s_delay_alu instid0(VALU_DEP_2) | instskip(NEXT) | instid1(VALU_DEP_1)
	v_cndmask_b32_e32 v14, 0x7f800000, v12, vcc_lo
	v_add_f32_e32 v15, 1.0, v14
	s_delay_alu instid0(VALU_DEP_1) | instskip(NEXT) | instid1(VALU_DEP_1)
	v_cvt_f64_f32_e32 v[12:13], v15
	v_frexp_exp_i32_f64_e32 v12, v[12:13]
	v_frexp_mant_f32_e32 v13, v15
	s_delay_alu instid0(VALU_DEP_1) | instskip(SKIP_1) | instid1(VALU_DEP_1)
	v_cmp_gt_f32_e32 vcc_lo, 0x3f2aaaab, v13
	v_add_f32_e32 v13, -1.0, v15
	v_sub_f32_e32 v17, v13, v15
	v_sub_f32_e32 v13, v14, v13
	s_delay_alu instid0(VALU_DEP_2) | instskip(NEXT) | instid1(VALU_DEP_1)
	v_add_f32_e32 v17, 1.0, v17
	v_add_f32_e32 v13, v13, v17
	v_cmp_gt_f32_e64 s20, 0x33800000, v14
	v_subrev_co_ci_u32_e32 v12, vcc_lo, 0, v12, vcc_lo
	v_cmp_eq_f32_e32 vcc_lo, 0x7f800000, v14
	s_delay_alu instid0(VALU_DEP_2) | instskip(SKIP_2) | instid1(VALU_DEP_2)
	v_sub_nc_u32_e32 v16, 0, v12
	v_cvt_f32_i32_e32 v12, v12
	s_or_b32 vcc_lo, s20, vcc_lo
	v_ldexp_f32 v15, v15, v16
	v_ldexp_f32 v13, v13, v16
	s_delay_alu instid0(VALU_DEP_2) | instskip(NEXT) | instid1(VALU_DEP_1)
	v_add_f32_e32 v18, 1.0, v15
	v_dual_add_f32 v16, -1.0, v15 :: v_dual_add_f32 v17, -1.0, v18
	s_delay_alu instid0(VALU_DEP_1) | instskip(NEXT) | instid1(VALU_DEP_2)
	v_add_f32_e32 v19, 1.0, v16
	v_sub_f32_e32 v17, v15, v17
	s_delay_alu instid0(VALU_DEP_2) | instskip(NEXT) | instid1(VALU_DEP_2)
	v_sub_f32_e32 v15, v15, v19
	v_add_f32_e32 v17, v13, v17
	s_delay_alu instid0(VALU_DEP_2) | instskip(NEXT) | instid1(VALU_DEP_2)
	v_add_f32_e32 v13, v13, v15
	v_add_f32_e32 v19, v18, v17
	s_delay_alu instid0(VALU_DEP_1) | instskip(NEXT) | instid1(VALU_DEP_2)
	v_rcp_f32_e32 v15, v19
	v_dual_add_f32 v67, v16, v13 :: v_dual_sub_f32 v18, v18, v19
	s_delay_alu instid0(VALU_DEP_1) | instskip(SKIP_2) | instid1(VALU_DEP_1)
	v_dual_sub_f32 v16, v16, v67 :: v_dual_add_f32 v17, v17, v18
	s_waitcnt_depctr 0xfff
	v_dual_mul_f32 v68, v67, v15 :: v_dual_add_f32 v13, v13, v16
	v_mul_f32_e32 v69, v19, v68
	s_delay_alu instid0(VALU_DEP_1) | instskip(NEXT) | instid1(VALU_DEP_1)
	v_fma_f32 v18, v68, v19, -v69
	v_fmac_f32_e32 v18, v68, v17
	s_delay_alu instid0(VALU_DEP_1) | instskip(NEXT) | instid1(VALU_DEP_1)
	v_add_f32_e32 v70, v69, v18
	v_dual_sub_f32 v71, v67, v70 :: v_dual_sub_f32 v16, v70, v69
	s_delay_alu instid0(VALU_DEP_1) | instskip(NEXT) | instid1(VALU_DEP_1)
	v_dual_sub_f32 v67, v67, v71 :: v_dual_sub_f32 v16, v16, v18
	v_sub_f32_e32 v67, v67, v70
	s_delay_alu instid0(VALU_DEP_1) | instskip(NEXT) | instid1(VALU_DEP_1)
	v_add_f32_e32 v13, v13, v67
	v_add_f32_e32 v13, v16, v13
	s_delay_alu instid0(VALU_DEP_1) | instskip(NEXT) | instid1(VALU_DEP_1)
	v_add_f32_e32 v16, v71, v13
	v_mul_f32_e32 v18, v15, v16
	v_sub_f32_e32 v70, v71, v16
	s_delay_alu instid0(VALU_DEP_2) | instskip(NEXT) | instid1(VALU_DEP_2)
	v_mul_f32_e32 v67, v19, v18
	v_add_f32_e32 v13, v13, v70
	s_delay_alu instid0(VALU_DEP_2) | instskip(NEXT) | instid1(VALU_DEP_1)
	v_fma_f32 v19, v18, v19, -v67
	v_fmac_f32_e32 v19, v18, v17
	s_delay_alu instid0(VALU_DEP_1) | instskip(NEXT) | instid1(VALU_DEP_1)
	v_add_f32_e32 v17, v67, v19
	v_sub_f32_e32 v69, v16, v17
	s_delay_alu instid0(VALU_DEP_1) | instskip(NEXT) | instid1(VALU_DEP_1)
	v_dual_sub_f32 v67, v17, v67 :: v_dual_sub_f32 v16, v16, v69
	v_sub_f32_e32 v16, v16, v17
	s_delay_alu instid0(VALU_DEP_1) | instskip(NEXT) | instid1(VALU_DEP_3)
	v_dual_add_f32 v13, v13, v16 :: v_dual_add_f32 v16, v68, v18
	v_sub_f32_e32 v17, v67, v19
	s_delay_alu instid0(VALU_DEP_1) | instskip(NEXT) | instid1(VALU_DEP_3)
	v_add_f32_e32 v13, v17, v13
	v_sub_f32_e32 v17, v16, v68
	s_delay_alu instid0(VALU_DEP_2) | instskip(NEXT) | instid1(VALU_DEP_2)
	v_add_f32_e32 v13, v69, v13
	v_sub_f32_e32 v17, v18, v17
	s_delay_alu instid0(VALU_DEP_2) | instskip(NEXT) | instid1(VALU_DEP_1)
	v_mul_f32_e32 v13, v15, v13
	v_add_f32_e32 v13, v17, v13
	s_delay_alu instid0(VALU_DEP_1) | instskip(NEXT) | instid1(VALU_DEP_1)
	v_add_f32_e32 v15, v16, v13
	v_mul_f32_e32 v17, v15, v15
	s_delay_alu instid0(VALU_DEP_1) | instskip(SKIP_1) | instid1(VALU_DEP_2)
	v_fmaak_f32 v18, s31, v17, 0x3ecc95a3
	v_mul_f32_e32 v19, v15, v17
	v_fmaak_f32 v17, v17, v18, 0x3f2aaada
	v_ldexp_f32 v18, v15, 1
	v_sub_f32_e32 v15, v15, v16
	s_delay_alu instid0(VALU_DEP_3) | instskip(SKIP_1) | instid1(VALU_DEP_2)
	v_mul_f32_e32 v17, v19, v17
	v_mul_f32_e32 v19, 0x3f317218, v12
	v_dual_sub_f32 v13, v13, v15 :: v_dual_add_f32 v16, v18, v17
	s_delay_alu instid0(VALU_DEP_1) | instskip(NEXT) | instid1(VALU_DEP_2)
	v_ldexp_f32 v13, v13, 1
	v_sub_f32_e32 v15, v16, v18
	s_delay_alu instid0(VALU_DEP_4) | instskip(NEXT) | instid1(VALU_DEP_1)
	v_fma_f32 v18, 0x3f317218, v12, -v19
	v_dual_sub_f32 v15, v17, v15 :: v_dual_fmac_f32 v18, 0xb102e308, v12
	s_delay_alu instid0(VALU_DEP_1) | instskip(NEXT) | instid1(VALU_DEP_1)
	v_dual_add_f32 v12, v13, v15 :: v_dual_add_f32 v13, v19, v18
	v_add_f32_e32 v15, v16, v12
	s_delay_alu instid0(VALU_DEP_2) | instskip(NEXT) | instid1(VALU_DEP_2)
	v_sub_f32_e32 v19, v13, v19
	v_dual_add_f32 v17, v13, v15 :: v_dual_sub_f32 v16, v15, v16
	s_delay_alu instid0(VALU_DEP_1) | instskip(NEXT) | instid1(VALU_DEP_2)
	v_dual_sub_f32 v18, v18, v19 :: v_dual_sub_f32 v67, v17, v13
	v_sub_f32_e32 v12, v12, v16
	s_delay_alu instid0(VALU_DEP_2) | instskip(NEXT) | instid1(VALU_DEP_2)
	v_sub_f32_e32 v68, v17, v67
	v_dual_sub_f32 v15, v15, v67 :: v_dual_add_f32 v16, v18, v12
	s_delay_alu instid0(VALU_DEP_2) | instskip(NEXT) | instid1(VALU_DEP_1)
	v_sub_f32_e32 v13, v13, v68
	v_add_f32_e32 v13, v15, v13
	s_delay_alu instid0(VALU_DEP_3) | instskip(NEXT) | instid1(VALU_DEP_2)
	v_sub_f32_e32 v15, v16, v18
	v_add_f32_e32 v13, v16, v13
	s_delay_alu instid0(VALU_DEP_2) | instskip(NEXT) | instid1(VALU_DEP_2)
	v_sub_f32_e32 v16, v16, v15
	v_dual_sub_f32 v12, v12, v15 :: v_dual_add_f32 v19, v17, v13
	s_delay_alu instid0(VALU_DEP_1) | instskip(NEXT) | instid1(VALU_DEP_1)
	v_dual_sub_f32 v16, v18, v16 :: v_dual_sub_f32 v15, v19, v17
	v_dual_add_f32 v12, v12, v16 :: v_dual_sub_f32 v13, v13, v15
	s_delay_alu instid0(VALU_DEP_1) | instskip(NEXT) | instid1(VALU_DEP_1)
	v_add_f32_e32 v12, v12, v13
	v_add_f32_e32 v12, v19, v12
	s_delay_alu instid0(VALU_DEP_1)
	v_cndmask_b32_e32 v76, v12, v14, vcc_lo
.LBB140_54:                             ;   in Loop: Header=BB140_12 Depth=1
	s_or_b32 exec_lo, exec_lo, s21
	s_waitcnt lgkmcnt(0)
	v_add_f32_e32 v77, s64, v10
	s_delay_alu instid0(VALU_DEP_1) | instskip(SKIP_1) | instid1(SALU_CYCLE_1)
	v_cmp_ge_f32_e32 vcc_lo, 0x41a00000, v77
	s_and_b32 s20, s75, vcc_lo
	s_and_saveexec_b32 s21, s20
	s_cbranch_execz .LBB140_56
; %bb.55:                               ;   in Loop: Header=BB140_12 Depth=1
	v_mul_f32_e32 v10, 0x3fb8aa3b, v77
	v_cmp_ngt_f32_e32 vcc_lo, 0xc2ce8ed0, v77
	s_delay_alu instid0(VALU_DEP_2) | instskip(SKIP_1) | instid1(VALU_DEP_1)
	v_rndne_f32_e32 v12, v10
	v_fma_f32 v13, 0x3fb8aa3b, v77, -v10
	v_dual_sub_f32 v10, v10, v12 :: v_dual_fmac_f32 v13, 0x32a5705f, v77
	v_cvt_i32_f32_e32 v12, v12
	s_delay_alu instid0(VALU_DEP_2) | instskip(NEXT) | instid1(VALU_DEP_1)
	v_add_f32_e32 v10, v10, v13
	v_exp_f32_e32 v10, v10
	s_waitcnt_depctr 0xfff
	v_ldexp_f32 v10, v10, v12
	s_delay_alu instid0(VALU_DEP_1) | instskip(SKIP_1) | instid1(VALU_DEP_2)
	v_cndmask_b32_e32 v10, 0, v10, vcc_lo
	v_cmp_nlt_f32_e32 vcc_lo, 0x42b17218, v77
	v_cndmask_b32_e32 v10, 0x7f800000, v10, vcc_lo
	s_delay_alu instid0(VALU_DEP_1) | instskip(NEXT) | instid1(VALU_DEP_1)
	v_add_f32_e32 v14, 1.0, v10
	v_cvt_f64_f32_e32 v[12:13], v14
	s_delay_alu instid0(VALU_DEP_1) | instskip(SKIP_1) | instid1(VALU_DEP_1)
	v_frexp_exp_i32_f64_e32 v12, v[12:13]
	v_frexp_mant_f32_e32 v13, v14
	v_cmp_gt_f32_e32 vcc_lo, 0x3f2aaaab, v13
	v_add_f32_e32 v13, -1.0, v14
	s_delay_alu instid0(VALU_DEP_1) | instskip(SKIP_1) | instid1(VALU_DEP_1)
	v_dual_sub_f32 v16, v13, v14 :: v_dual_sub_f32 v13, v10, v13
	v_subrev_co_ci_u32_e32 v12, vcc_lo, 0, v12, vcc_lo
	v_sub_nc_u32_e32 v15, 0, v12
	v_cvt_f32_i32_e32 v12, v12
	s_delay_alu instid0(VALU_DEP_2) | instskip(NEXT) | instid1(VALU_DEP_1)
	v_ldexp_f32 v14, v14, v15
	v_dual_add_f32 v16, 1.0, v16 :: v_dual_add_f32 v17, 1.0, v14
	s_delay_alu instid0(VALU_DEP_1) | instskip(NEXT) | instid1(VALU_DEP_1)
	v_add_f32_e32 v13, v13, v16
	v_ldexp_f32 v13, v13, v15
	s_delay_alu instid0(VALU_DEP_3) | instskip(NEXT) | instid1(VALU_DEP_1)
	v_dual_add_f32 v15, -1.0, v14 :: v_dual_add_f32 v16, -1.0, v17
	v_add_f32_e32 v18, 1.0, v15
	s_delay_alu instid0(VALU_DEP_2) | instskip(NEXT) | instid1(VALU_DEP_2)
	v_sub_f32_e32 v16, v14, v16
	v_sub_f32_e32 v14, v14, v18
	s_delay_alu instid0(VALU_DEP_2) | instskip(NEXT) | instid1(VALU_DEP_2)
	v_add_f32_e32 v16, v13, v16
	v_add_f32_e32 v13, v13, v14
	s_delay_alu instid0(VALU_DEP_1) | instskip(SKIP_2) | instid1(VALU_DEP_3)
	v_add_f32_e32 v19, v15, v13
	v_cmp_eq_f32_e32 vcc_lo, 0x7f800000, v10
	v_cmp_gt_f32_e64 s20, 0x33800000, v10
	v_dual_sub_f32 v15, v15, v19 :: v_dual_add_f32 v18, v17, v16
	s_delay_alu instid0(VALU_DEP_2) | instskip(NEXT) | instid1(VALU_DEP_1)
	s_or_b32 vcc_lo, s20, vcc_lo
	v_add_f32_e32 v13, v13, v15
	s_delay_alu instid0(VALU_DEP_2) | instskip(SKIP_2) | instid1(VALU_DEP_1)
	v_rcp_f32_e32 v14, v18
	s_waitcnt_depctr 0xfff
	v_mul_f32_e32 v67, v19, v14
	v_dual_sub_f32 v17, v17, v18 :: v_dual_mul_f32 v68, v18, v67
	s_delay_alu instid0(VALU_DEP_1) | instskip(NEXT) | instid1(VALU_DEP_2)
	v_add_f32_e32 v16, v16, v17
	v_fma_f32 v17, v67, v18, -v68
	s_delay_alu instid0(VALU_DEP_1) | instskip(NEXT) | instid1(VALU_DEP_1)
	v_fmac_f32_e32 v17, v67, v16
	v_add_f32_e32 v69, v68, v17
	s_delay_alu instid0(VALU_DEP_1) | instskip(NEXT) | instid1(VALU_DEP_1)
	v_dual_sub_f32 v15, v69, v68 :: v_dual_sub_f32 v70, v19, v69
	v_sub_f32_e32 v15, v15, v17
	s_delay_alu instid0(VALU_DEP_2) | instskip(NEXT) | instid1(VALU_DEP_1)
	v_sub_f32_e32 v19, v19, v70
	v_sub_f32_e32 v19, v19, v69
	s_delay_alu instid0(VALU_DEP_1) | instskip(NEXT) | instid1(VALU_DEP_1)
	v_add_f32_e32 v13, v13, v19
	v_add_f32_e32 v13, v15, v13
	s_delay_alu instid0(VALU_DEP_1) | instskip(NEXT) | instid1(VALU_DEP_1)
	v_add_f32_e32 v15, v70, v13
	v_mul_f32_e32 v17, v14, v15
	s_delay_alu instid0(VALU_DEP_1) | instskip(NEXT) | instid1(VALU_DEP_1)
	v_mul_f32_e32 v19, v18, v17
	v_fma_f32 v18, v17, v18, -v19
	s_delay_alu instid0(VALU_DEP_1) | instskip(NEXT) | instid1(VALU_DEP_1)
	v_fmac_f32_e32 v18, v17, v16
	v_add_f32_e32 v16, v19, v18
	s_delay_alu instid0(VALU_DEP_1) | instskip(SKIP_1) | instid1(VALU_DEP_2)
	v_dual_sub_f32 v68, v15, v16 :: v_dual_sub_f32 v19, v16, v19
	v_sub_f32_e32 v69, v70, v15
	v_sub_f32_e32 v15, v15, v68
	s_delay_alu instid0(VALU_DEP_1) | instskip(NEXT) | instid1(VALU_DEP_3)
	v_sub_f32_e32 v15, v15, v16
	v_dual_sub_f32 v16, v19, v18 :: v_dual_add_f32 v13, v13, v69
	s_delay_alu instid0(VALU_DEP_1) | instskip(SKIP_1) | instid1(VALU_DEP_1)
	v_add_f32_e32 v13, v13, v15
	v_add_f32_e32 v15, v67, v17
	v_dual_add_f32 v13, v16, v13 :: v_dual_sub_f32 v16, v15, v67
	s_delay_alu instid0(VALU_DEP_1) | instskip(NEXT) | instid1(VALU_DEP_1)
	v_dual_add_f32 v13, v68, v13 :: v_dual_sub_f32 v16, v17, v16
	v_mul_f32_e32 v13, v14, v13
	s_delay_alu instid0(VALU_DEP_1) | instskip(NEXT) | instid1(VALU_DEP_1)
	v_add_f32_e32 v13, v16, v13
	v_add_f32_e32 v14, v15, v13
	s_delay_alu instid0(VALU_DEP_1) | instskip(NEXT) | instid1(VALU_DEP_1)
	v_mul_f32_e32 v16, v14, v14
	v_fmaak_f32 v17, s31, v16, 0x3ecc95a3
	v_mul_f32_e32 v18, v14, v16
	s_delay_alu instid0(VALU_DEP_2) | instskip(SKIP_1) | instid1(VALU_DEP_2)
	v_fmaak_f32 v16, v16, v17, 0x3f2aaada
	v_ldexp_f32 v17, v14, 1
	v_mul_f32_e32 v16, v18, v16
	v_mul_f32_e32 v18, 0x3f317218, v12
	s_delay_alu instid0(VALU_DEP_2) | instskip(NEXT) | instid1(VALU_DEP_1)
	v_dual_sub_f32 v14, v14, v15 :: v_dual_add_f32 v15, v17, v16
	v_dual_sub_f32 v13, v13, v14 :: v_dual_sub_f32 v14, v15, v17
	s_delay_alu instid0(VALU_DEP_3) | instskip(NEXT) | instid1(VALU_DEP_2)
	v_fma_f32 v17, 0x3f317218, v12, -v18
	v_ldexp_f32 v13, v13, 1
	s_delay_alu instid0(VALU_DEP_2) | instskip(NEXT) | instid1(VALU_DEP_1)
	v_dual_sub_f32 v14, v16, v14 :: v_dual_fmac_f32 v17, 0xb102e308, v12
	v_add_f32_e32 v12, v13, v14
	s_delay_alu instid0(VALU_DEP_1) | instskip(NEXT) | instid1(VALU_DEP_1)
	v_add_f32_e32 v14, v15, v12
	v_sub_f32_e32 v15, v14, v15
	s_delay_alu instid0(VALU_DEP_1) | instskip(NEXT) | instid1(VALU_DEP_1)
	v_dual_sub_f32 v12, v12, v15 :: v_dual_add_f32 v13, v18, v17
	v_add_f32_e32 v16, v13, v14
	s_delay_alu instid0(VALU_DEP_1) | instskip(NEXT) | instid1(VALU_DEP_1)
	v_dual_sub_f32 v18, v13, v18 :: v_dual_sub_f32 v19, v16, v13
	v_dual_sub_f32 v17, v17, v18 :: v_dual_sub_f32 v14, v14, v19
	s_delay_alu instid0(VALU_DEP_1) | instskip(SKIP_1) | instid1(VALU_DEP_1)
	v_add_f32_e32 v15, v17, v12
	v_sub_f32_e32 v67, v16, v19
	v_sub_f32_e32 v13, v13, v67
	s_delay_alu instid0(VALU_DEP_1) | instskip(NEXT) | instid1(VALU_DEP_4)
	v_add_f32_e32 v13, v14, v13
	v_sub_f32_e32 v14, v15, v17
	s_delay_alu instid0(VALU_DEP_2) | instskip(NEXT) | instid1(VALU_DEP_2)
	v_add_f32_e32 v13, v15, v13
	v_sub_f32_e32 v15, v15, v14
	v_sub_f32_e32 v12, v12, v14
	s_delay_alu instid0(VALU_DEP_3) | instskip(NEXT) | instid1(VALU_DEP_1)
	v_add_f32_e32 v18, v16, v13
	v_dual_sub_f32 v14, v18, v16 :: v_dual_sub_f32 v15, v17, v15
	s_delay_alu instid0(VALU_DEP_1) | instskip(NEXT) | instid1(VALU_DEP_1)
	v_dual_sub_f32 v13, v13, v14 :: v_dual_add_f32 v12, v12, v15
	v_add_f32_e32 v12, v12, v13
	s_delay_alu instid0(VALU_DEP_1) | instskip(NEXT) | instid1(VALU_DEP_1)
	v_add_f32_e32 v12, v18, v12
	v_cndmask_b32_e32 v77, v12, v10, vcc_lo
.LBB140_56:                             ;   in Loop: Header=BB140_12 Depth=1
	s_or_b32 exec_lo, exec_lo, s21
	v_add_f32_e32 v78, s64, v11
	s_delay_alu instid0(VALU_DEP_1) | instskip(SKIP_1) | instid1(SALU_CYCLE_1)
	v_cmp_ge_f32_e32 vcc_lo, 0x41a00000, v78
	s_and_b32 s20, s75, vcc_lo
	s_and_saveexec_b32 s21, s20
	s_cbranch_execz .LBB140_58
; %bb.57:                               ;   in Loop: Header=BB140_12 Depth=1
	v_mul_f32_e32 v10, 0x3fb8aa3b, v78
	v_cmp_ngt_f32_e32 vcc_lo, 0xc2ce8ed0, v78
	s_delay_alu instid0(VALU_DEP_2) | instskip(SKIP_1) | instid1(VALU_DEP_2)
	v_rndne_f32_e32 v11, v10
	v_fma_f32 v12, 0x3fb8aa3b, v78, -v10
	v_sub_f32_e32 v10, v10, v11
	s_delay_alu instid0(VALU_DEP_2) | instskip(SKIP_1) | instid1(VALU_DEP_2)
	v_fmac_f32_e32 v12, 0x32a5705f, v78
	v_cvt_i32_f32_e32 v11, v11
	v_add_f32_e32 v10, v10, v12
	s_delay_alu instid0(VALU_DEP_1) | instskip(SKIP_2) | instid1(VALU_DEP_1)
	v_exp_f32_e32 v10, v10
	s_waitcnt_depctr 0xfff
	v_ldexp_f32 v10, v10, v11
	v_cndmask_b32_e32 v10, 0, v10, vcc_lo
	v_cmp_nlt_f32_e32 vcc_lo, 0x42b17218, v78
	s_delay_alu instid0(VALU_DEP_2) | instskip(NEXT) | instid1(VALU_DEP_1)
	v_cndmask_b32_e32 v12, 0x7f800000, v10, vcc_lo
	v_add_f32_e32 v13, 1.0, v12
	s_delay_alu instid0(VALU_DEP_1) | instskip(NEXT) | instid1(VALU_DEP_1)
	v_cvt_f64_f32_e32 v[10:11], v13
	v_frexp_exp_i32_f64_e32 v10, v[10:11]
	v_frexp_mant_f32_e32 v11, v13
	s_delay_alu instid0(VALU_DEP_1) | instskip(SKIP_1) | instid1(VALU_DEP_1)
	v_cmp_gt_f32_e32 vcc_lo, 0x3f2aaaab, v11
	v_add_f32_e32 v11, -1.0, v13
	v_sub_f32_e32 v15, v11, v13
	v_sub_f32_e32 v11, v12, v11
	s_delay_alu instid0(VALU_DEP_2) | instskip(NEXT) | instid1(VALU_DEP_1)
	v_add_f32_e32 v15, 1.0, v15
	v_add_f32_e32 v11, v11, v15
	v_cmp_gt_f32_e64 s20, 0x33800000, v12
	v_subrev_co_ci_u32_e32 v10, vcc_lo, 0, v10, vcc_lo
	v_cmp_eq_f32_e32 vcc_lo, 0x7f800000, v12
	s_delay_alu instid0(VALU_DEP_2) | instskip(SKIP_2) | instid1(VALU_DEP_2)
	v_sub_nc_u32_e32 v14, 0, v10
	v_cvt_f32_i32_e32 v10, v10
	s_or_b32 vcc_lo, s20, vcc_lo
	v_ldexp_f32 v13, v13, v14
	v_ldexp_f32 v11, v11, v14
	s_delay_alu instid0(VALU_DEP_2) | instskip(NEXT) | instid1(VALU_DEP_1)
	v_add_f32_e32 v16, 1.0, v13
	v_dual_add_f32 v14, -1.0, v13 :: v_dual_add_f32 v15, -1.0, v16
	s_delay_alu instid0(VALU_DEP_1) | instskip(NEXT) | instid1(VALU_DEP_2)
	v_add_f32_e32 v17, 1.0, v14
	v_sub_f32_e32 v15, v13, v15
	s_delay_alu instid0(VALU_DEP_2) | instskip(NEXT) | instid1(VALU_DEP_2)
	v_sub_f32_e32 v13, v13, v17
	v_add_f32_e32 v15, v11, v15
	s_delay_alu instid0(VALU_DEP_2) | instskip(NEXT) | instid1(VALU_DEP_2)
	v_add_f32_e32 v11, v11, v13
	v_add_f32_e32 v17, v16, v15
	s_delay_alu instid0(VALU_DEP_2) | instskip(NEXT) | instid1(VALU_DEP_2)
	v_add_f32_e32 v18, v14, v11
	v_rcp_f32_e32 v13, v17
	v_sub_f32_e32 v16, v16, v17
	s_delay_alu instid0(VALU_DEP_1) | instskip(SKIP_2) | instid1(VALU_DEP_1)
	v_dual_sub_f32 v14, v14, v18 :: v_dual_add_f32 v15, v15, v16
	s_waitcnt_depctr 0xfff
	v_mul_f32_e32 v19, v18, v13
	v_mul_f32_e32 v67, v17, v19
	s_delay_alu instid0(VALU_DEP_1) | instskip(NEXT) | instid1(VALU_DEP_1)
	v_fma_f32 v16, v19, v17, -v67
	v_fmac_f32_e32 v16, v19, v15
	s_delay_alu instid0(VALU_DEP_1) | instskip(NEXT) | instid1(VALU_DEP_1)
	v_add_f32_e32 v68, v67, v16
	v_sub_f32_e32 v69, v18, v68
	s_delay_alu instid0(VALU_DEP_1) | instskip(SKIP_1) | instid1(VALU_DEP_2)
	v_dual_sub_f32 v18, v18, v69 :: v_dual_add_f32 v11, v11, v14
	v_sub_f32_e32 v14, v68, v67
	v_sub_f32_e32 v18, v18, v68
	s_delay_alu instid0(VALU_DEP_1) | instskip(NEXT) | instid1(VALU_DEP_1)
	v_dual_sub_f32 v14, v14, v16 :: v_dual_add_f32 v11, v11, v18
	v_add_f32_e32 v11, v14, v11
	s_delay_alu instid0(VALU_DEP_1) | instskip(NEXT) | instid1(VALU_DEP_1)
	v_add_f32_e32 v14, v69, v11
	v_mul_f32_e32 v16, v13, v14
	v_sub_f32_e32 v68, v69, v14
	s_delay_alu instid0(VALU_DEP_2) | instskip(NEXT) | instid1(VALU_DEP_2)
	v_mul_f32_e32 v18, v17, v16
	v_add_f32_e32 v11, v11, v68
	s_delay_alu instid0(VALU_DEP_2) | instskip(NEXT) | instid1(VALU_DEP_1)
	v_fma_f32 v17, v16, v17, -v18
	v_fmac_f32_e32 v17, v16, v15
	s_delay_alu instid0(VALU_DEP_1) | instskip(NEXT) | instid1(VALU_DEP_1)
	v_add_f32_e32 v15, v18, v17
	v_sub_f32_e32 v67, v14, v15
	s_delay_alu instid0(VALU_DEP_1) | instskip(NEXT) | instid1(VALU_DEP_1)
	v_sub_f32_e32 v14, v14, v67
	v_sub_f32_e32 v14, v14, v15
	s_delay_alu instid0(VALU_DEP_1) | instskip(SKIP_2) | instid1(VALU_DEP_1)
	v_add_f32_e32 v11, v11, v14
	v_add_f32_e32 v14, v19, v16
	v_sub_f32_e32 v18, v15, v18
	v_sub_f32_e32 v15, v18, v17
	s_delay_alu instid0(VALU_DEP_1) | instskip(NEXT) | instid1(VALU_DEP_4)
	v_add_f32_e32 v11, v15, v11
	v_sub_f32_e32 v15, v14, v19
	s_delay_alu instid0(VALU_DEP_2) | instskip(NEXT) | instid1(VALU_DEP_2)
	v_add_f32_e32 v11, v67, v11
	v_sub_f32_e32 v15, v16, v15
	s_delay_alu instid0(VALU_DEP_2) | instskip(NEXT) | instid1(VALU_DEP_1)
	v_mul_f32_e32 v11, v13, v11
	v_add_f32_e32 v11, v15, v11
	s_delay_alu instid0(VALU_DEP_1) | instskip(NEXT) | instid1(VALU_DEP_1)
	v_add_f32_e32 v13, v14, v11
	v_mul_f32_e32 v15, v13, v13
	s_delay_alu instid0(VALU_DEP_1) | instskip(SKIP_1) | instid1(VALU_DEP_2)
	v_fmaak_f32 v16, s31, v15, 0x3ecc95a3
	v_mul_f32_e32 v17, v13, v15
	v_fmaak_f32 v15, v15, v16, 0x3f2aaada
	v_ldexp_f32 v16, v13, 1
	s_delay_alu instid0(VALU_DEP_2) | instskip(SKIP_1) | instid1(VALU_DEP_2)
	v_mul_f32_e32 v15, v17, v15
	v_sub_f32_e32 v13, v13, v14
	v_dual_mul_f32 v17, 0x3f317218, v10 :: v_dual_add_f32 v14, v16, v15
	s_delay_alu instid0(VALU_DEP_2) | instskip(NEXT) | instid1(VALU_DEP_2)
	v_sub_f32_e32 v11, v11, v13
	v_sub_f32_e32 v13, v14, v16
	s_delay_alu instid0(VALU_DEP_3) | instskip(NEXT) | instid1(VALU_DEP_3)
	v_fma_f32 v16, 0x3f317218, v10, -v17
	v_ldexp_f32 v11, v11, 1
	s_delay_alu instid0(VALU_DEP_2) | instskip(NEXT) | instid1(VALU_DEP_1)
	v_dual_sub_f32 v13, v15, v13 :: v_dual_fmac_f32 v16, 0xb102e308, v10
	v_dual_add_f32 v10, v11, v13 :: v_dual_add_f32 v11, v17, v16
	s_delay_alu instid0(VALU_DEP_1) | instskip(NEXT) | instid1(VALU_DEP_1)
	v_add_f32_e32 v13, v14, v10
	v_dual_add_f32 v15, v11, v13 :: v_dual_sub_f32 v14, v13, v14
	s_delay_alu instid0(VALU_DEP_1) | instskip(NEXT) | instid1(VALU_DEP_2)
	v_sub_f32_e32 v18, v15, v11
	v_dual_sub_f32 v17, v11, v17 :: v_dual_sub_f32 v10, v10, v14
	s_delay_alu instid0(VALU_DEP_1) | instskip(SKIP_1) | instid1(VALU_DEP_2)
	v_dual_sub_f32 v19, v15, v18 :: v_dual_sub_f32 v16, v16, v17
	v_sub_f32_e32 v13, v13, v18
	v_dual_sub_f32 v11, v11, v19 :: v_dual_add_f32 v14, v16, v10
	s_delay_alu instid0(VALU_DEP_1) | instskip(NEXT) | instid1(VALU_DEP_2)
	v_add_f32_e32 v11, v13, v11
	v_sub_f32_e32 v13, v14, v16
	s_delay_alu instid0(VALU_DEP_2) | instskip(NEXT) | instid1(VALU_DEP_2)
	v_add_f32_e32 v11, v14, v11
	v_sub_f32_e32 v14, v14, v13
	s_delay_alu instid0(VALU_DEP_2) | instskip(NEXT) | instid1(VALU_DEP_1)
	v_dual_sub_f32 v10, v10, v13 :: v_dual_add_f32 v17, v15, v11
	v_dual_sub_f32 v14, v16, v14 :: v_dual_sub_f32 v13, v17, v15
	s_delay_alu instid0(VALU_DEP_1) | instskip(NEXT) | instid1(VALU_DEP_1)
	v_dual_add_f32 v10, v10, v14 :: v_dual_sub_f32 v11, v11, v13
	v_add_f32_e32 v10, v10, v11
	s_delay_alu instid0(VALU_DEP_1) | instskip(NEXT) | instid1(VALU_DEP_1)
	v_add_f32_e32 v10, v17, v10
	v_cndmask_b32_e32 v78, v10, v12, vcc_lo
.LBB140_58:                             ;   in Loop: Header=BB140_12 Depth=1
	s_or_b32 exec_lo, exec_lo, s21
	v_dual_mul_f32 v67, s65, v8 :: v_dual_mul_f32 v68, s65, v7
	v_dual_mul_f32 v69, s65, v6 :: v_dual_mul_f32 v70, s65, v5
	;; [unrolled: 1-line block ×3, first 2 shown]
	v_mul_f32_e32 v75, s65, v2
	v_mul_f32_e32 v71, s65, v9
	s_and_b32 vcc_lo, exec_lo, s76
	s_barrier
	buffer_gl0_inv
	s_cbranch_vccz .LBB140_122
; %bb.59:                               ;   in Loop: Header=BB140_12 Depth=1
	v_dual_mul_f32 v79, v9, v78 :: v_dual_mul_f32 v84, v8, v77
	v_add_co_u32 v9, s20, s49, v61
	s_delay_alu instid0(VALU_DEP_1) | instskip(SKIP_1) | instid1(VALU_DEP_1)
	v_add_co_ci_u32_e64 v10, null, s50, 0, s20
	v_add_co_u32 v11, s20, s37, v61
	v_add_co_ci_u32_e64 v12, null, s69, 0, s20
	s_delay_alu instid0(VALU_DEP_4) | instskip(NEXT) | instid1(VALU_DEP_4)
	v_add_co_u32 v80, vcc_lo, v9, v62
	v_add_co_ci_u32_e32 v81, vcc_lo, 0, v10, vcc_lo
	s_delay_alu instid0(VALU_DEP_4) | instskip(NEXT) | instid1(VALU_DEP_4)
	v_add_co_u32 v82, vcc_lo, v11, v62
	v_add_co_ci_u32_e32 v83, vcc_lo, 0, v12, vcc_lo
	v_cmp_gt_u32_e32 vcc_lo, s23, v20
	s_cmp_lg_u32 s80, 0
	v_cmp_gt_u32_e64 s21, s23, v54
	s_cselect_b32 s35, -1, 0
	s_cmp_eq_u32 s80, s78
	v_cmp_gt_u32_e64 s22, s23, v55
	s_cselect_b32 s54, -1, 0
	s_or_b32 s20, s77, vcc_lo
	v_cmp_gt_u32_e32 vcc_lo, s23, v56
	v_cmp_gt_u32_e64 s24, s23, v57
	v_cmp_gt_u32_e64 s25, s23, v58
	;; [unrolled: 1-line block ×4, first 2 shown]
	v_dual_mul_f32 v85, v7, v76 :: v_dual_mul_f32 v88, v4, v65
	v_dual_mul_f32 v86, v6, v72 :: v_dual_mul_f32 v87, v5, v66
	;; [unrolled: 1-line block ×3, first 2 shown]
	s_mov_b32 s56, 0
	s_or_b32 s21, s77, s21
	s_or_b32 s22, s77, s22
	s_or_b32 s23, s77, vcc_lo
	s_or_b32 s24, s77, s24
	s_or_b32 s25, s77, s25
	;; [unrolled: 1-line block ×4, first 2 shown]
	s_mov_b32 s52, s56
	s_mov_b32 s38, 0
	s_mov_b32 s40, 0
	s_mov_b32 s42, 0
	s_mov_b32 s55, s73
	s_mov_b32 s81, s79
	s_branch .LBB140_61
.LBB140_60:                             ;   in Loop: Header=BB140_61 Depth=2
	s_or_b32 exec_lo, exec_lo, s28
	v_cndmask_b32_e64 v10, v104, v15, s11
	v_cndmask_b32_e64 v11, v103, v14, s11
	s_add_i32 s55, s55, -1
	s_add_i32 s81, s81, 8
	s_add_i32 s42, s42, s70
	v_fma_f32 v10, v10, v93, v18
	v_mul_f32_e32 v11, v11, v93
	s_add_i32 s40, s40, s36
	s_add_i32 s38, s38, s48
	;; [unrolled: 1-line block ×3, first 2 shown]
	v_cndmask_b32_e64 v10, v10, v18, s10
	v_cndmask_b32_e64 v11, v11, v93, s10
	s_cmp_eq_u32 s55, 0
	s_waitcnt lgkmcnt(0)
	s_delay_alu instid0(VALU_DEP_1) | instskip(NEXT) | instid1(VALU_DEP_1)
	v_fmac_f32_e32 v10, v12, v11
	v_fmac_f32_e32 v16, v10, v92
	s_delay_alu instid0(VALU_DEP_1) | instskip(NEXT) | instid1(VALU_DEP_1)
	v_dual_fmac_f32 v19, v16, v95 :: v_dual_fmac_f32 v74, v9, v16
	v_fmac_f32_e32 v17, v19, v96
	v_fmac_f32_e32 v75, v8, v10
	s_delay_alu instid0(VALU_DEP_2) | instskip(NEXT) | instid1(VALU_DEP_1)
	v_dual_fmac_f32 v91, v17, v98 :: v_dual_fmac_f32 v70, v7, v17
	v_dual_fmac_f32 v94, v91, v102 :: v_dual_fmac_f32 v73, v6, v19
	v_fmac_f32_e32 v69, v2, v91
	s_delay_alu instid0(VALU_DEP_2) | instskip(NEXT) | instid1(VALU_DEP_1)
	v_dual_fmac_f32 v97, v94, v100 :: v_dual_fmac_f32 v68, v3, v94
	v_fmac_f32_e32 v99, v97, v101
	v_fmac_f32_e32 v67, v4, v97
	s_delay_alu instid0(VALU_DEP_2)
	v_fmac_f32_e32 v71, v5, v99
	s_cbranch_scc1 .LBB140_122
.LBB140_61:                             ;   Parent Loop BB140_12 Depth=1
                                        ; =>  This Inner Loop Header: Depth=2
	s_lshl_b64 s[28:29], s[52:53], 2
	s_mov_b32 s39, s53
	s_add_u32 s28, s68, s28
	s_addc_u32 s29, s46, s29
	s_mov_b32 s57, s56
	global_load_b32 v91, v1, s[28:29]
	s_lshl_b64 s[28:29], s[38:39], 2
	s_mov_b32 s58, s56
	s_mov_b32 s59, s56
	;; [unrolled: 1-line block ×6, first 2 shown]
	v_add_co_u32 v10, vcc_lo, v80, s28
	v_dual_mov_b32 v2, s56 :: v_dual_mov_b32 v3, s57
	v_add_co_ci_u32_e32 v11, vcc_lo, s29, v81, vcc_lo
	v_dual_mov_b32 v4, s58 :: v_dual_mov_b32 v5, s59
	v_dual_mov_b32 v6, s60 :: v_dual_mov_b32 v7, s61
	;; [unrolled: 1-line block ×3, first 2 shown]
	v_mov_b32_e32 v12, 0
	s_and_saveexec_b32 s28, s12
	s_cbranch_execnz .LBB140_81
; %bb.62:                               ;   in Loop: Header=BB140_61 Depth=2
	s_or_b32 exec_lo, exec_lo, s28
	s_and_saveexec_b32 s28, s13
	s_cbranch_execnz .LBB140_82
.LBB140_63:                             ;   in Loop: Header=BB140_61 Depth=2
	s_or_b32 exec_lo, exec_lo, s28
	s_and_saveexec_b32 s28, s14
	s_cbranch_execnz .LBB140_83
.LBB140_64:                             ;   in Loop: Header=BB140_61 Depth=2
	s_or_b32 exec_lo, exec_lo, s28
	s_and_saveexec_b32 s28, s15
	s_cbranch_execnz .LBB140_84
.LBB140_65:                             ;   in Loop: Header=BB140_61 Depth=2
	s_or_b32 exec_lo, exec_lo, s28
	s_and_saveexec_b32 s28, s16
	s_cbranch_execnz .LBB140_85
.LBB140_66:                             ;   in Loop: Header=BB140_61 Depth=2
	s_or_b32 exec_lo, exec_lo, s28
	s_and_saveexec_b32 s28, s17
	s_cbranch_execnz .LBB140_86
.LBB140_67:                             ;   in Loop: Header=BB140_61 Depth=2
	s_or_b32 exec_lo, exec_lo, s28
	s_and_saveexec_b32 s28, s18
	s_cbranch_execnz .LBB140_87
.LBB140_68:                             ;   in Loop: Header=BB140_61 Depth=2
	s_or_b32 exec_lo, exec_lo, s28
	s_and_saveexec_b32 s28, s19
	s_cbranch_execz .LBB140_70
.LBB140_69:                             ;   in Loop: Header=BB140_61 Depth=2
	global_load_b32 v9, v[10:11], off offset:896
.LBB140_70:                             ;   in Loop: Header=BB140_61 Depth=2
	s_or_b32 exec_lo, exec_lo, s28
	s_waitcnt vmcnt(0)
	ds_store_b32 v29, v12
	ds_store_b32 v30, v3 offset:128
	ds_store_b32 v31, v4 offset:256
	;; [unrolled: 1-line block ×7, first 2 shown]
	; wave barrier
	ds_load_2addr_b32 v[18:19], v37 offset1:1
	ds_load_2addr_b32 v[16:17], v37 offset0:2 offset1:3
	ds_load_2addr_b32 v[14:15], v37 offset0:4 offset1:5
	;; [unrolled: 1-line block ×3, first 2 shown]
	s_mov_b32 s41, s53
	s_mov_b32 s84, s53
	s_lshl_b64 s[28:29], s[40:41], 2
	s_mov_b32 s85, s53
	s_mov_b32 s86, s53
	;; [unrolled: 1-line block ×7, first 2 shown]
	v_add_co_u32 v10, vcc_lo, v82, s28
	v_dual_mov_b32 v2, s84 :: v_dual_mov_b32 v3, s85
	v_add_co_ci_u32_e32 v11, vcc_lo, s29, v83, vcc_lo
	v_dual_mov_b32 v4, s86 :: v_dual_mov_b32 v5, s87
	v_dual_mov_b32 v6, s88 :: v_dual_mov_b32 v7, s89
	;; [unrolled: 1-line block ×3, first 2 shown]
	v_mov_b32_e32 v92, 0
	s_and_saveexec_b32 s28, s12
	s_cbranch_execnz .LBB140_88
; %bb.71:                               ;   in Loop: Header=BB140_61 Depth=2
	s_or_b32 exec_lo, exec_lo, s28
	s_and_saveexec_b32 s28, s13
	s_cbranch_execnz .LBB140_89
.LBB140_72:                             ;   in Loop: Header=BB140_61 Depth=2
	s_or_b32 exec_lo, exec_lo, s28
	s_and_saveexec_b32 s28, s14
	s_cbranch_execnz .LBB140_90
.LBB140_73:                             ;   in Loop: Header=BB140_61 Depth=2
	s_or_b32 exec_lo, exec_lo, s28
	s_and_saveexec_b32 s28, s15
	s_cbranch_execnz .LBB140_91
.LBB140_74:                             ;   in Loop: Header=BB140_61 Depth=2
	s_or_b32 exec_lo, exec_lo, s28
	s_and_saveexec_b32 s28, s16
	s_cbranch_execnz .LBB140_92
.LBB140_75:                             ;   in Loop: Header=BB140_61 Depth=2
	s_or_b32 exec_lo, exec_lo, s28
	s_and_saveexec_b32 s28, s17
	s_cbranch_execnz .LBB140_93
.LBB140_76:                             ;   in Loop: Header=BB140_61 Depth=2
	s_or_b32 exec_lo, exec_lo, s28
	s_and_saveexec_b32 s28, s18
	s_cbranch_execnz .LBB140_94
.LBB140_77:                             ;   in Loop: Header=BB140_61 Depth=2
	s_or_b32 exec_lo, exec_lo, s28
	s_and_saveexec_b32 s28, s19
	s_cbranch_execz .LBB140_79
.LBB140_78:                             ;   in Loop: Header=BB140_61 Depth=2
	global_load_b32 v9, v[10:11], off offset:896
.LBB140_79:                             ;   in Loop: Header=BB140_61 Depth=2
	s_or_b32 exec_lo, exec_lo, s28
	s_waitcnt vmcnt(0)
	ds_store_b32 v29, v92 offset:2112
	ds_store_b32 v38, v3 offset:128
	;; [unrolled: 1-line block ×8, first 2 shown]
	v_add_nc_u32_e32 v4, 0x840, v37
	; wave barrier
	ds_load_2addr_b32 v[6:7], v45 offset0:2 offset1:3
	ds_load_2addr_b32 v[2:3], v45 offset0:4 offset1:5
	ds_load_2addr_b32 v[8:9], v4 offset1:1
	ds_load_2addr_b32 v[4:5], v45 offset0:6 offset1:7
	s_and_not1_b32 vcc_lo, exec_lo, s35
	s_cbranch_vccnz .LBB140_95
; %bb.80:                               ;   in Loop: Header=BB140_61 Depth=2
	v_mov_b32_e32 v10, s81
	ds_load_b64 v[10:11], v10
	s_cbranch_execz .LBB140_96
	s_branch .LBB140_99
.LBB140_81:                             ;   in Loop: Header=BB140_61 Depth=2
	global_load_b32 v12, v[10:11], off
	v_mov_b32_e32 v7, v1
	v_mov_b32_e32 v2, v1
	;; [unrolled: 1-line block ×7, first 2 shown]
	s_delay_alu instid0(VALU_DEP_2)
	v_dual_mov_b32 v8, v6 :: v_dual_mov_b32 v7, v5
	v_mov_b32_e32 v6, v4
	v_mov_b32_e32 v5, v3
	;; [unrolled: 1-line block ×5, first 2 shown]
	s_or_b32 exec_lo, exec_lo, s28
	s_and_saveexec_b32 s28, s13
	s_cbranch_execz .LBB140_63
.LBB140_82:                             ;   in Loop: Header=BB140_61 Depth=2
	global_load_b32 v3, v[10:11], off offset:128
	s_or_b32 exec_lo, exec_lo, s28
	s_and_saveexec_b32 s28, s14
	s_cbranch_execz .LBB140_64
.LBB140_83:                             ;   in Loop: Header=BB140_61 Depth=2
	global_load_b32 v4, v[10:11], off offset:256
	s_or_b32 exec_lo, exec_lo, s28
	s_and_saveexec_b32 s28, s15
	s_cbranch_execz .LBB140_65
.LBB140_84:                             ;   in Loop: Header=BB140_61 Depth=2
	global_load_b32 v5, v[10:11], off offset:384
	s_or_b32 exec_lo, exec_lo, s28
	s_and_saveexec_b32 s28, s16
	s_cbranch_execz .LBB140_66
.LBB140_85:                             ;   in Loop: Header=BB140_61 Depth=2
	global_load_b32 v6, v[10:11], off offset:512
	s_or_b32 exec_lo, exec_lo, s28
	s_and_saveexec_b32 s28, s17
	s_cbranch_execz .LBB140_67
.LBB140_86:                             ;   in Loop: Header=BB140_61 Depth=2
	global_load_b32 v7, v[10:11], off offset:640
	s_or_b32 exec_lo, exec_lo, s28
	s_and_saveexec_b32 s28, s18
	s_cbranch_execz .LBB140_68
.LBB140_87:                             ;   in Loop: Header=BB140_61 Depth=2
	global_load_b32 v8, v[10:11], off offset:768
	s_or_b32 exec_lo, exec_lo, s28
	s_and_saveexec_b32 s28, s19
	s_cbranch_execnz .LBB140_69
	s_branch .LBB140_70
.LBB140_88:                             ;   in Loop: Header=BB140_61 Depth=2
	global_load_b32 v92, v[10:11], off
	v_mov_b32_e32 v7, v1
	v_mov_b32_e32 v2, v1
	;; [unrolled: 1-line block ×7, first 2 shown]
	s_delay_alu instid0(VALU_DEP_2)
	v_dual_mov_b32 v8, v6 :: v_dual_mov_b32 v7, v5
	v_mov_b32_e32 v6, v4
	v_mov_b32_e32 v5, v3
	;; [unrolled: 1-line block ×5, first 2 shown]
	s_or_b32 exec_lo, exec_lo, s28
	s_and_saveexec_b32 s28, s13
	s_cbranch_execz .LBB140_72
.LBB140_89:                             ;   in Loop: Header=BB140_61 Depth=2
	global_load_b32 v3, v[10:11], off offset:128
	s_or_b32 exec_lo, exec_lo, s28
	s_and_saveexec_b32 s28, s14
	s_cbranch_execz .LBB140_73
.LBB140_90:                             ;   in Loop: Header=BB140_61 Depth=2
	global_load_b32 v4, v[10:11], off offset:256
	s_or_b32 exec_lo, exec_lo, s28
	s_and_saveexec_b32 s28, s15
	s_cbranch_execz .LBB140_74
.LBB140_91:                             ;   in Loop: Header=BB140_61 Depth=2
	global_load_b32 v5, v[10:11], off offset:384
	s_or_b32 exec_lo, exec_lo, s28
	s_and_saveexec_b32 s28, s16
	s_cbranch_execz .LBB140_75
.LBB140_92:                             ;   in Loop: Header=BB140_61 Depth=2
	global_load_b32 v6, v[10:11], off offset:512
	s_or_b32 exec_lo, exec_lo, s28
	s_and_saveexec_b32 s28, s17
	s_cbranch_execz .LBB140_76
.LBB140_93:                             ;   in Loop: Header=BB140_61 Depth=2
	global_load_b32 v7, v[10:11], off offset:640
	s_or_b32 exec_lo, exec_lo, s28
	s_and_saveexec_b32 s28, s18
	s_cbranch_execz .LBB140_77
.LBB140_94:                             ;   in Loop: Header=BB140_61 Depth=2
	global_load_b32 v8, v[10:11], off offset:768
	s_or_b32 exec_lo, exec_lo, s28
	s_and_saveexec_b32 s28, s19
	s_cbranch_execnz .LBB140_78
	s_branch .LBB140_79
.LBB140_95:                             ;   in Loop: Header=BB140_61 Depth=2
                                        ; implicit-def: $vgpr10
.LBB140_96:                             ;   in Loop: Header=BB140_61 Depth=2
	s_waitcnt lgkmcnt(0)
	v_mov_b32_e32 v11, 0
	s_and_not1_b32 vcc_lo, exec_lo, s33
	s_cbranch_vccnz .LBB140_98
; %bb.97:                               ;   in Loop: Header=BB140_61 Depth=2
	s_mov_b32 s43, s53
	s_delay_alu instid0(SALU_CYCLE_1) | instskip(NEXT) | instid1(SALU_CYCLE_1)
	s_lshl_b64 s[28:29], s[42:43], 2
	s_add_u32 s28, s71, s28
	s_addc_u32 s29, s72, s29
	global_load_b32 v11, v1, s[28:29]
.LBB140_98:                             ;   in Loop: Header=BB140_61 Depth=2
	v_mov_b32_e32 v10, 1.0
.LBB140_99:                             ;   in Loop: Header=BB140_61 Depth=2
	s_waitcnt lgkmcnt(15)
	v_dual_mul_f32 v97, 0x3fb8aa3b, v91 :: v_dual_mul_f32 v18, v18, v90
	s_waitcnt lgkmcnt(14)
	v_dual_mul_f32 v19, v19, v89 :: v_dual_mul_f32 v94, v16, v88
	s_waitcnt lgkmcnt(13)
	s_delay_alu instid0(VALU_DEP_2)
	v_dual_mul_f32 v15, v15, v85 :: v_dual_mul_f32 v92, v97, v64
	v_mul_f32_e32 v91, v97, v63
	v_mul_f32_e32 v98, v97, v72
	;; [unrolled: 1-line block ×3, first 2 shown]
	v_cndmask_b32_e64 v18, 0, v18, s20
	v_cmp_gt_f32_e64 s28, 0xc2fc0000, v92
	v_cmp_gt_f32_e32 vcc_lo, 0xc2fc0000, v91
	v_cndmask_b32_e64 v16, 0, v19, s21
	v_mul_f32_e32 v14, v14, v86
	s_waitcnt lgkmcnt(12)
	v_mul_f32_e32 v12, v12, v84
	v_cndmask_b32_e64 v92, 0, 0x42800000, s28
	v_cndmask_b32_e64 v95, 1.0, 0x1f800000, vcc_lo
	v_cndmask_b32_e64 v96, 1.0, 0x1f800000, s28
	v_cndmask_b32_e64 v91, 0, 0x42800000, vcc_lo
	v_cmp_gt_f32_e32 vcc_lo, 0xc2fc0000, v98
	v_fmac_f32_e32 v92, v97, v64
	s_delay_alu instid0(VALU_DEP_1) | instskip(SKIP_2) | instid1(VALU_DEP_1)
	v_exp_f32_e32 v92, v92
	s_waitcnt_depctr 0xfff
	v_dual_mul_f32 v93, v97, v65 :: v_dual_mul_f32 v92, v92, v96
	v_cmp_gt_f32_e64 s29, 0xc2fc0000, v93
	s_delay_alu instid0(VALU_DEP_2) | instskip(NEXT) | instid1(VALU_DEP_2)
	v_cndmask_b32_e64 v92, 1.0, v92, s21
	v_cndmask_b32_e64 v93, 0, 0x42800000, s29
	v_cndmask_b32_e64 v96, 1.0, 0x1f800000, s29
	s_delay_alu instid0(VALU_DEP_3) | instskip(NEXT) | instid1(VALU_DEP_3)
	v_fma_f32 v101, v92, v18, v16
	v_fmac_f32_e32 v93, v97, v65
	s_delay_alu instid0(VALU_DEP_1) | instskip(SKIP_2) | instid1(VALU_DEP_1)
	v_exp_f32_e32 v99, v93
	s_waitcnt_depctr 0xfff
	v_dual_fmac_f32 v91, v97, v63 :: v_dual_mul_f32 v96, v99, v96
	v_exp_f32_e32 v91, v91
	s_waitcnt_depctr 0xfff
	v_mul_f32_e32 v91, v91, v95
	v_cndmask_b32_e64 v95, 0, 0x42800000, vcc_lo
	s_delay_alu instid0(VALU_DEP_2) | instskip(SKIP_1) | instid1(VALU_DEP_3)
	v_cndmask_b32_e64 v93, 1.0, v91, s20
	v_mul_f32_e32 v19, v97, v66
	v_fmac_f32_e32 v95, v97, v72
	v_mul_f32_e32 v91, v97, v76
	s_delay_alu instid0(VALU_DEP_3) | instskip(NEXT) | instid1(VALU_DEP_3)
	v_cmp_gt_f32_e64 s30, 0xc2fc0000, v19
	v_exp_f32_e32 v99, v95
	v_cndmask_b32_e64 v95, 1.0, v96, s22
	s_delay_alu instid0(VALU_DEP_3) | instskip(NEXT) | instid1(VALU_DEP_3)
	v_cmp_gt_f32_e64 s28, 0xc2fc0000, v91
	v_cndmask_b32_e64 v19, 0, 0x42800000, s30
	s_delay_alu instid0(VALU_DEP_2) | instskip(NEXT) | instid1(VALU_DEP_2)
	v_cndmask_b32_e64 v91, 0, 0x42800000, s28
	v_fmac_f32_e32 v19, v97, v66
	s_delay_alu instid0(VALU_DEP_1)
	v_exp_f32_e32 v98, v19
	v_cndmask_b32_e64 v19, 0, v94, s22
	v_cndmask_b32_e64 v94, 1.0, 0x1f800000, s30
	s_waitcnt_depctr 0xfff
	v_mul_f32_e32 v94, v98, v94
	v_cndmask_b32_e64 v98, 1.0, 0x1f800000, vcc_lo
	v_cmp_gt_f32_e32 vcc_lo, 0xc2fc0000, v100
	v_mul_f32_e32 v100, v97, v78
	s_delay_alu instid0(VALU_DEP_4) | instskip(NEXT) | instid1(VALU_DEP_4)
	v_cndmask_b32_e64 v96, 1.0, v94, s23
	v_mul_f32_e32 v98, v99, v98
	v_cndmask_b32_e64 v99, 0, 0x42800000, vcc_lo
	s_delay_alu instid0(VALU_DEP_2) | instskip(SKIP_1) | instid1(VALU_DEP_3)
	v_cndmask_b32_e64 v98, 1.0, v98, s24
	v_fmac_f32_e32 v91, v97, v76
	v_fmac_f32_e32 v99, v97, v77
	s_delay_alu instid0(VALU_DEP_2)
	v_exp_f32_e32 v94, v91
	v_cndmask_b32_e64 v91, 0, v14, s24
	v_cndmask_b32_e64 v14, 1.0, 0x1f800000, s28
	v_cmp_gt_f32_e64 s28, 0xc2fc0000, v100
	v_dual_mul_f32 v17, v17, v87 :: v_dual_mul_f32 v100, v92, v93
	v_exp_f32_e32 v99, v99
	s_waitcnt_depctr 0xfff
	v_mul_f32_e32 v14, v94, v14
	v_cndmask_b32_e64 v94, 0, v15, s25
	v_cndmask_b32_e64 v15, 0, 0x42800000, s28
	;; [unrolled: 1-line block ×3, first 2 shown]
	s_delay_alu instid0(VALU_DEP_4) | instskip(NEXT) | instid1(VALU_DEP_3)
	v_cndmask_b32_e64 v102, 1.0, v14, s25
	v_dual_mul_f32 v14, v100, v95 :: v_dual_fmac_f32 v15, v97, v78
	v_fma_f32 v97, v101, v95, v19
	v_cndmask_b32_e64 v100, 1.0, 0x1f800000, vcc_lo
	s_delay_alu instid0(VALU_DEP_3) | instskip(NEXT) | instid1(VALU_DEP_4)
	v_mul_f32_e32 v14, v14, v96
	v_exp_f32_e32 v15, v15
	s_delay_alu instid0(VALU_DEP_3) | instskip(SKIP_3) | instid1(VALU_DEP_4)
	v_fma_f32 v101, v97, v96, v17
	v_cndmask_b32_e64 v97, 0, v12, s26
	v_cndmask_b32_e64 v12, 1.0, 0x1f800000, s28
	v_dual_mul_f32 v14, v14, v98 :: v_dual_mul_f32 v99, v99, v100
	v_fma_f32 v101, v101, v98, v91
	s_delay_alu instid0(VALU_DEP_2)
	v_dual_mul_f32 v13, v13, v79 :: v_dual_mul_f32 v14, v14, v102
	s_delay_alu instid0(TRANS32_DEP_1) | instid1(VALU_DEP_4)
	v_mul_f32_e32 v12, v15, v12
	s_delay_alu instid0(VALU_DEP_4) | instskip(NEXT) | instid1(VALU_DEP_4)
	v_cndmask_b32_e64 v100, 1.0, v99, s26
	v_fma_f32 v15, v101, v102, v94
	s_delay_alu instid0(VALU_DEP_4) | instskip(NEXT) | instid1(VALU_DEP_4)
	v_cndmask_b32_e64 v99, 0, v13, s27
	v_cndmask_b32_e64 v101, 1.0, v12, s27
	s_delay_alu instid0(VALU_DEP_4) | instskip(NEXT) | instid1(VALU_DEP_4)
	v_mul_f32_e32 v12, v14, v100
	v_fma_f32 v13, v15, v100, v97
	s_delay_alu instid0(VALU_DEP_2) | instskip(NEXT) | instid1(VALU_DEP_2)
	v_mul_f32_e32 v12, v12, v101
	v_fma_f32 v13, v13, v101, v99
	s_delay_alu instid0(VALU_DEP_2) | instskip(NEXT) | instid1(VALU_DEP_2)
	v_mov_b32_dpp v15, v12 row_shr:1 row_mask:0xf bank_mask:0xf
	v_mov_b32_dpp v14, v13 row_shr:1 row_mask:0xf bank_mask:0xf
	s_and_saveexec_b32 s28, s0
; %bb.100:                              ;   in Loop: Header=BB140_61 Depth=2
	s_delay_alu instid0(VALU_DEP_2) | instskip(NEXT) | instid1(VALU_DEP_1)
	v_mul_f32_e32 v15, v12, v15
	v_dual_fmac_f32 v13, v12, v14 :: v_dual_mov_b32 v12, v15
; %bb.101:                              ;   in Loop: Header=BB140_61 Depth=2
	s_or_b32 exec_lo, exec_lo, s28
	s_delay_alu instid0(VALU_DEP_1) | instskip(NEXT) | instid1(VALU_DEP_2)
	v_mov_b32_dpp v14, v12 row_shr:2 row_mask:0xf bank_mask:0xf
	v_mov_b32_dpp v15, v13 row_shr:2 row_mask:0xf bank_mask:0xf
	s_and_saveexec_b32 s28, s1
; %bb.102:                              ;   in Loop: Header=BB140_61 Depth=2
	s_delay_alu instid0(VALU_DEP_1) | instskip(NEXT) | instid1(VALU_DEP_3)
	v_fmac_f32_e32 v13, v12, v15
	v_mul_f32_e32 v12, v12, v14
; %bb.103:                              ;   in Loop: Header=BB140_61 Depth=2
	s_or_b32 exec_lo, exec_lo, s28
	s_delay_alu instid0(VALU_DEP_1) | instskip(NEXT) | instid1(VALU_DEP_3)
	v_mov_b32_dpp v14, v12 row_shr:4 row_mask:0xf bank_mask:0xf
	v_mov_b32_dpp v15, v13 row_shr:4 row_mask:0xf bank_mask:0xf
	s_and_saveexec_b32 s28, s2
; %bb.104:                              ;   in Loop: Header=BB140_61 Depth=2
	s_delay_alu instid0(VALU_DEP_1) | instskip(NEXT) | instid1(VALU_DEP_3)
	v_fmac_f32_e32 v13, v12, v15
	v_mul_f32_e32 v12, v12, v14
; %bb.105:                              ;   in Loop: Header=BB140_61 Depth=2
	s_or_b32 exec_lo, exec_lo, s28
	s_delay_alu instid0(VALU_DEP_1) | instskip(NEXT) | instid1(VALU_DEP_3)
	v_mov_b32_dpp v14, v12 row_shr:8 row_mask:0xf bank_mask:0xf
	v_mov_b32_dpp v15, v13 row_shr:8 row_mask:0xf bank_mask:0xf
	s_and_saveexec_b32 s28, s3
; %bb.106:                              ;   in Loop: Header=BB140_61 Depth=2
	s_delay_alu instid0(VALU_DEP_1) | instskip(NEXT) | instid1(VALU_DEP_3)
	v_fmac_f32_e32 v13, v12, v15
	v_mul_f32_e32 v12, v12, v14
; %bb.107:                              ;   in Loop: Header=BB140_61 Depth=2
	s_or_b32 exec_lo, exec_lo, s28
	ds_swizzle_b32 v15, v12 offset:swizzle(BROADCAST,32,15)
	ds_swizzle_b32 v14, v13 offset:swizzle(BROADCAST,32,15)
	s_and_saveexec_b32 s28, s4
	s_cbranch_execz .LBB140_109
; %bb.108:                              ;   in Loop: Header=BB140_61 Depth=2
	s_waitcnt lgkmcnt(1)
	v_mul_f32_e32 v15, v12, v15
	s_waitcnt lgkmcnt(0)
	s_delay_alu instid0(VALU_DEP_1)
	v_dual_fmac_f32 v13, v12, v14 :: v_dual_mov_b32 v12, v15
.LBB140_109:                            ;   in Loop: Header=BB140_61 Depth=2
	s_or_b32 exec_lo, exec_lo, s28
	s_and_saveexec_b32 s28, s5
	s_cbranch_execz .LBB140_111
; %bb.110:                              ;   in Loop: Header=BB140_61 Depth=2
	ds_store_b64 v46, v[12:13] offset:4224
.LBB140_111:                            ;   in Loop: Header=BB140_61 Depth=2
	s_or_b32 exec_lo, exec_lo, s28
	s_waitcnt vmcnt(0) lgkmcnt(0)
	s_waitcnt_vscnt null, 0x0
	s_barrier
	buffer_gl0_inv
	s_and_saveexec_b32 s28, s6
	s_cbranch_execz .LBB140_113
; %bb.112:                              ;   in Loop: Header=BB140_61 Depth=2
	ds_load_b64 v[14:15], v47 offset:4224
	s_waitcnt lgkmcnt(0)
	v_mov_b32_dpp v103, v14 row_shr:1 row_mask:0xf bank_mask:0xf
	v_mov_b32_dpp v104, v15 row_shr:1 row_mask:0xf bank_mask:0xf
	s_delay_alu instid0(VALU_DEP_2) | instskip(NEXT) | instid1(VALU_DEP_2)
	v_mul_f32_e32 v103, v14, v103
	v_fma_f32 v104, v14, v104, v15
	s_delay_alu instid0(VALU_DEP_2) | instskip(NEXT) | instid1(VALU_DEP_2)
	v_cndmask_b32_e64 v14, v103, v14, s7
	v_cndmask_b32_e64 v15, v104, v15, s7
	ds_store_b64 v47, v[14:15] offset:4224
.LBB140_113:                            ;   in Loop: Header=BB140_61 Depth=2
	s_or_b32 exec_lo, exec_lo, s28
	s_waitcnt lgkmcnt(0)
	s_barrier
	buffer_gl0_inv
                                        ; implicit-def: $vgpr15
	s_and_saveexec_b32 s28, s9
	s_cbranch_execz .LBB140_115
; %bb.114:                              ;   in Loop: Header=BB140_61 Depth=2
	ds_load_b64 v[14:15], v46 offset:4216
	s_waitcnt lgkmcnt(0)
	v_mul_f32_e32 v103, v12, v14
	s_delay_alu instid0(VALU_DEP_1)
	v_dual_fmac_f32 v13, v12, v15 :: v_dual_mov_b32 v12, v103
.LBB140_115:                            ;   in Loop: Header=BB140_61 Depth=2
	s_or_b32 exec_lo, exec_lo, s28
	ds_bpermute_b32 v103, v48, v12
	ds_bpermute_b32 v104, v48, v13
	s_and_saveexec_b32 s28, s8
	s_cbranch_execz .LBB140_119
; %bb.116:                              ;   in Loop: Header=BB140_61 Depth=2
	ds_load_b64 v[12:13], v1 offset:4232
	s_and_saveexec_b32 s29, s10
	s_cbranch_execz .LBB140_118
; %bb.117:                              ;   in Loop: Header=BB140_61 Depth=2
	ds_store_b64 v1, v[10:11] offset:4232
.LBB140_118:                            ;   in Loop: Header=BB140_61 Depth=2
	s_or_b32 exec_lo, exec_lo, s29
	s_waitcnt lgkmcnt(0)
	v_fmac_f32_e32 v13, v11, v12
	s_delay_alu instid0(VALU_DEP_1)
	v_dual_mul_f32 v10, v10, v12 :: v_dual_mov_b32 v11, v13
.LBB140_119:                            ;   in Loop: Header=BB140_61 Depth=2
	s_or_b32 exec_lo, exec_lo, s28
	s_waitcnt lgkmcnt(0)
	s_barrier
	buffer_gl0_inv
	ds_load_b32 v12, v1 offset:4236
	s_and_saveexec_b32 s28, s10
	s_cbranch_execz .LBB140_60
; %bb.120:                              ;   in Loop: Header=BB140_61 Depth=2
	v_mov_b32_e32 v13, s81
	s_and_not1_b32 vcc_lo, exec_lo, s54
	ds_store_b64 v13, v[10:11]
	s_cbranch_vccnz .LBB140_60
; %bb.121:                              ;   in Loop: Header=BB140_61 Depth=2
	s_mov_b32 s43, s53
	s_delay_alu instid0(SALU_CYCLE_1) | instskip(NEXT) | instid1(SALU_CYCLE_1)
	s_lshl_b64 s[58:59], s[42:43], 2
	s_add_u32 s58, s71, s58
	s_addc_u32 s59, s72, s59
	global_store_b32 v1, v11, s[58:59]
	s_branch .LBB140_60
.LBB140_122:                            ;   in Loop: Header=BB140_12 Depth=1
	s_waitcnt_vscnt null, 0x0
	s_barrier
	buffer_gl0_inv
	ds_store_2addr_b32 v37, v75, v74 offset1:1
	ds_store_2addr_b32 v37, v73, v70 offset0:2 offset1:3
	ds_store_2addr_b32 v37, v69, v68 offset0:4 offset1:5
	;; [unrolled: 1-line block ×3, first 2 shown]
	; wave barrier
	ds_load_b32 v10, v30 offset:128
	ds_load_b32 v9, v31 offset:256
	;; [unrolled: 1-line block ×7, first 2 shown]
	s_mov_b32 s35, s53
	s_delay_alu instid0(SALU_CYCLE_1) | instskip(NEXT) | instid1(SALU_CYCLE_1)
	s_lshl_b64 s[24:25], s[34:35], 2
	v_add_co_u32 v2, vcc_lo, v0, s24
	v_add_co_ci_u32_e32 v3, vcc_lo, s25, v49, vcc_lo
	s_and_saveexec_b32 s20, s12
	s_cbranch_execnz .LBB140_150
; %bb.123:                              ;   in Loop: Header=BB140_12 Depth=1
	s_or_b32 exec_lo, exec_lo, s20
	s_and_saveexec_b32 s20, s13
	s_cbranch_execnz .LBB140_151
.LBB140_124:                            ;   in Loop: Header=BB140_12 Depth=1
	s_or_b32 exec_lo, exec_lo, s20
	s_and_saveexec_b32 s20, s14
	s_cbranch_execnz .LBB140_152
.LBB140_125:                            ;   in Loop: Header=BB140_12 Depth=1
	s_or_b32 exec_lo, exec_lo, s20
	s_and_saveexec_b32 s20, s15
	s_cbranch_execnz .LBB140_153
.LBB140_126:                            ;   in Loop: Header=BB140_12 Depth=1
	s_or_b32 exec_lo, exec_lo, s20
	s_and_saveexec_b32 s20, s16
	s_cbranch_execnz .LBB140_154
.LBB140_127:                            ;   in Loop: Header=BB140_12 Depth=1
	s_or_b32 exec_lo, exec_lo, s20
	s_and_saveexec_b32 s20, s17
	s_cbranch_execnz .LBB140_155
.LBB140_128:                            ;   in Loop: Header=BB140_12 Depth=1
	s_or_b32 exec_lo, exec_lo, s20
	s_and_saveexec_b32 s20, s18
	s_cbranch_execnz .LBB140_156
.LBB140_129:                            ;   in Loop: Header=BB140_12 Depth=1
	s_or_b32 exec_lo, exec_lo, s20
	s_and_saveexec_b32 s20, s19
	s_cbranch_execz .LBB140_131
.LBB140_130:                            ;   in Loop: Header=BB140_12 Depth=1
	s_waitcnt lgkmcnt(0)
	global_store_b32 v[2:3], v4, off offset:896
.LBB140_131:                            ;   in Loop: Header=BB140_12 Depth=1
	s_or_b32 exec_lo, exec_lo, s20
	s_mov_b32 s52, s53
	s_mov_b32 s54, s53
	;; [unrolled: 1-line block ×7, first 2 shown]
	s_waitcnt lgkmcnt(6)
	v_add_co_u32 v10, vcc_lo, v50, s24
	s_waitcnt lgkmcnt(0)
	v_dual_mov_b32 v2, s52 :: v_dual_mov_b32 v3, s53
	v_add_co_ci_u32_e32 v11, vcc_lo, s25, v51, vcc_lo
	v_dual_mov_b32 v4, s54 :: v_dual_mov_b32 v5, s55
	v_dual_mov_b32 v6, s56 :: v_dual_mov_b32 v7, s57
	;; [unrolled: 1-line block ×3, first 2 shown]
	v_mov_b32_e32 v12, 0
	s_waitcnt_vscnt null, 0x0
	s_barrier
	buffer_gl0_inv
	s_and_saveexec_b32 s20, s12
	s_cbranch_execnz .LBB140_157
; %bb.132:                              ;   in Loop: Header=BB140_12 Depth=1
	s_or_b32 exec_lo, exec_lo, s20
	s_and_saveexec_b32 s20, s13
	s_cbranch_execnz .LBB140_158
.LBB140_133:                            ;   in Loop: Header=BB140_12 Depth=1
	s_or_b32 exec_lo, exec_lo, s20
	s_and_saveexec_b32 s20, s14
	s_cbranch_execnz .LBB140_159
.LBB140_134:                            ;   in Loop: Header=BB140_12 Depth=1
	s_or_b32 exec_lo, exec_lo, s20
	s_and_saveexec_b32 s20, s15
	s_cbranch_execnz .LBB140_160
.LBB140_135:                            ;   in Loop: Header=BB140_12 Depth=1
	s_or_b32 exec_lo, exec_lo, s20
	s_and_saveexec_b32 s20, s16
	s_cbranch_execnz .LBB140_161
.LBB140_136:                            ;   in Loop: Header=BB140_12 Depth=1
	s_or_b32 exec_lo, exec_lo, s20
	s_and_saveexec_b32 s20, s17
	s_cbranch_execnz .LBB140_162
.LBB140_137:                            ;   in Loop: Header=BB140_12 Depth=1
	s_or_b32 exec_lo, exec_lo, s20
	s_and_saveexec_b32 s20, s18
	s_cbranch_execnz .LBB140_163
.LBB140_138:                            ;   in Loop: Header=BB140_12 Depth=1
	s_or_b32 exec_lo, exec_lo, s20
	s_and_saveexec_b32 s20, s19
	s_cbranch_execz .LBB140_140
.LBB140_139:                            ;   in Loop: Header=BB140_12 Depth=1
	global_load_b32 v9, v[10:11], off offset:896
.LBB140_140:                            ;   in Loop: Header=BB140_12 Depth=1
	s_or_b32 exec_lo, exec_lo, s20
	s_waitcnt vmcnt(0)
	ds_store_b32 v29, v12
	ds_store_b32 v30, v3 offset:128
	ds_store_b32 v31, v4 offset:256
	;; [unrolled: 1-line block ×7, first 2 shown]
	; wave barrier
	ds_load_2addr_b32 v[2:3], v37 offset1:1
	ds_load_2addr_b32 v[4:5], v37 offset0:2 offset1:3
	ds_load_2addr_b32 v[6:7], v37 offset0:4 offset1:5
	;; [unrolled: 1-line block ×3, first 2 shown]
	s_waitcnt lgkmcnt(0)
	s_barrier
	buffer_gl0_inv
	v_dual_mul_f32 v10, 0xbfb8aa3b, v2 :: v_dual_mul_f32 v11, 0xbfb8aa3b, v3
	v_cmp_nlt_f32_e32 vcc_lo, 0x42ce8ed0, v2
	v_cmp_ngt_f32_e64 s22, 0xc2b17218, v5
	s_delay_alu instid0(VALU_DEP_3) | instskip(NEXT) | instid1(VALU_DEP_4)
	v_rndne_f32_e32 v13, v10
	v_rndne_f32_e32 v15, v11
	v_fma_f32 v16, 0xbfb8aa3b, v3, -v11
	v_mul_f32_e32 v12, 0xbfb8aa3b, v4
	v_fma_f32 v14, 0xbfb8aa3b, v2, -v10
	s_delay_alu instid0(VALU_DEP_4) | instskip(NEXT) | instid1(VALU_DEP_4)
	v_sub_f32_e32 v11, v11, v15
	v_fmac_f32_e32 v16, 0xb2a5705f, v3
	v_sub_f32_e32 v10, v10, v13
	v_cvt_i32_f32_e32 v13, v13
	v_rndne_f32_e32 v17, v12
	v_fma_f32 v18, 0xbfb8aa3b, v4, -v12
	v_add_f32_e32 v11, v11, v16
	v_mul_f32_e32 v19, 0xbfb8aa3b, v5
	v_cvt_i32_f32_e32 v15, v15
	v_sub_f32_e32 v12, v12, v17
	v_cvt_i32_f32_e32 v17, v17
	v_exp_f32_e32 v11, v11
	v_fma_f32 v16, 0xbfb8aa3b, v5, -v19
	s_delay_alu instid0(VALU_DEP_1)
	v_fmac_f32_e32 v16, 0xb2a5705f, v5
	v_fmac_f32_e32 v14, 0xb2a5705f, v2
	s_waitcnt_depctr 0xfff
	v_ldexp_f32 v11, v11, v15
	v_add_f32_e32 v10, v10, v14
	v_rndne_f32_e32 v14, v19
	s_delay_alu instid0(VALU_DEP_2) | instskip(SKIP_2) | instid1(VALU_DEP_1)
	v_exp_f32_e32 v10, v10
	s_waitcnt_depctr 0xfff
	v_ldexp_f32 v10, v10, v13
	v_cndmask_b32_e32 v10, 0, v10, vcc_lo
	v_cmp_nlt_f32_e32 vcc_lo, 0x42ce8ed0, v3
	v_dual_fmac_f32 v18, 0xb2a5705f, v4 :: v_dual_cndmask_b32 v11, 0, v11
	s_delay_alu instid0(VALU_DEP_1) | instskip(SKIP_1) | instid1(VALU_DEP_2)
	v_add_f32_e32 v12, v12, v18
	v_cmp_nlt_f32_e32 vcc_lo, 0x42ce8ed0, v4
	v_exp_f32_e32 v12, v12
	s_waitcnt_depctr 0xfff
	v_ldexp_f32 v12, v12, v17
	s_delay_alu instid0(VALU_DEP_1)
	v_cndmask_b32_e32 v12, 0, v12, vcc_lo
	v_cmp_ngt_f32_e32 vcc_lo, 0xc2b17218, v2
	v_cndmask_b32_e32 v10, 0x7f800000, v10, vcc_lo
	v_cmp_ngt_f32_e32 vcc_lo, 0xc2b17218, v3
	v_dual_cndmask_b32 v11, 0x7f800000, v11 :: v_dual_sub_f32 v18, v19, v14
	v_mul_f32_e32 v19, 0xbfb8aa3b, v6
	v_cmp_ngt_f32_e32 vcc_lo, 0xc2b17218, v4
	v_cvt_i32_f32_e32 v14, v14
	s_delay_alu instid0(VALU_DEP_4)
	v_add_f32_e32 v11, 1.0, v11
	v_add_f32_e32 v13, v18, v16
	v_rndne_f32_e32 v65, v19
	v_fma_f32 v80, 0xbfb8aa3b, v6, -v19
	v_cndmask_b32_e32 v12, 0x7f800000, v12, vcc_lo
	v_div_scale_f32 v16, null, v11, v11, v3
	s_delay_alu instid0(VALU_DEP_4) | instskip(SKIP_1) | instid1(VALU_DEP_3)
	v_sub_f32_e32 v19, v19, v65
	v_div_scale_f32 v72, s20, v3, v11, v3
	v_rcp_f32_e32 v63, v16
	v_exp_f32_e32 v13, v13
	v_fmac_f32_e32 v80, 0xb2a5705f, v6
	v_cmp_nlt_f32_e32 vcc_lo, 0x42ce8ed0, v5
	v_mul_f32_e32 v18, 0xbfb8aa3b, v7
	s_waitcnt_depctr 0xfff
	v_fma_f32 v77, -v16, v63, 1.0
	v_ldexp_f32 v13, v13, v14
	s_delay_alu instid0(VALU_DEP_2) | instskip(NEXT) | instid1(VALU_DEP_2)
	v_fmac_f32_e32 v63, v77, v63
	v_cndmask_b32_e32 v13, 0, v13, vcc_lo
	s_delay_alu instid0(VALU_DEP_2) | instskip(NEXT) | instid1(VALU_DEP_2)
	v_mul_f32_e32 v77, v72, v63
	v_cndmask_b32_e64 v13, 0x7f800000, v13, s22
	s_delay_alu instid0(VALU_DEP_2) | instskip(NEXT) | instid1(VALU_DEP_2)
	v_fma_f32 v82, -v16, v77, v72
	v_add_f32_e32 v13, 1.0, v13
	s_delay_alu instid0(VALU_DEP_2) | instskip(NEXT) | instid1(VALU_DEP_2)
	v_dual_fmac_f32 v77, v82, v63 :: v_dual_add_f32 v10, 1.0, v10
	v_div_scale_f32 v84, null, v13, v13, v5
	s_delay_alu instid0(VALU_DEP_2) | instskip(NEXT) | instid1(VALU_DEP_3)
	v_fma_f32 v16, -v16, v77, v72
	v_div_scale_f32 v15, null, v10, v10, v2
	v_div_scale_f32 v66, vcc_lo, v2, v10, v2
	v_mul_f32_e32 v72, 0xbfb8aa3b, v8
	s_delay_alu instid0(VALU_DEP_3) | instskip(SKIP_2) | instid1(VALU_DEP_1)
	v_rcp_f32_e32 v14, v15
	s_waitcnt_depctr 0xfff
	v_fma_f32 v76, -v15, v14, 1.0
	v_fmac_f32_e32 v14, v76, v14
	s_delay_alu instid0(VALU_DEP_1) | instskip(NEXT) | instid1(VALU_DEP_1)
	v_mul_f32_e32 v76, v66, v14
	v_fma_f32 v81, -v15, v76, v66
	s_delay_alu instid0(VALU_DEP_1) | instskip(SKIP_1) | instid1(VALU_DEP_1)
	v_fmac_f32_e32 v76, v81, v14
	v_rcp_f32_e32 v81, v84
	v_fma_f32 v15, -v15, v76, v66
	s_delay_alu instid0(VALU_DEP_1) | instskip(SKIP_2) | instid1(VALU_DEP_1)
	v_div_fmas_f32 v14, v15, v14, v76
	s_mov_b32 vcc_lo, s20
	v_div_fmas_f32 v15, v16, v63, v77
	v_div_fixup_f32 v3, v15, v11, v3
	v_add_f32_e32 v12, 1.0, v12
	v_rndne_f32_e32 v15, v72
	s_delay_alu instid0(TRANS32_DEP_1) | instskip(NEXT) | instid1(VALU_DEP_4)
	v_fma_f32 v11, -v84, v81, 1.0
	v_mul_f32_e32 v3, v3, v74
	s_delay_alu instid0(VALU_DEP_4) | instskip(SKIP_1) | instid1(VALU_DEP_1)
	v_div_scale_f32 v17, null, v12, v12, v4
	v_div_scale_f32 v79, s21, v4, v12, v4
	s_mov_b32 vcc_lo, s21
	s_delay_alu instid0(VALU_DEP_2) | instskip(SKIP_4) | instid1(VALU_DEP_1)
	v_rcp_f32_e32 v64, v17
	v_fmac_f32_e32 v81, v11, v81
	v_cvt_i32_f32_e32 v11, v15
	s_waitcnt_depctr 0xfff
	v_fma_f32 v78, -v17, v64, 1.0
	v_fmac_f32_e32 v64, v78, v64
	s_delay_alu instid0(VALU_DEP_1) | instskip(NEXT) | instid1(VALU_DEP_1)
	v_mul_f32_e32 v78, v79, v64
	v_fma_f32 v83, -v17, v78, v79
	s_delay_alu instid0(VALU_DEP_1) | instskip(NEXT) | instid1(VALU_DEP_1)
	v_fmac_f32_e32 v78, v83, v64
	v_fma_f32 v17, -v17, v78, v79
	s_delay_alu instid0(VALU_DEP_1) | instskip(SKIP_3) | instid1(VALU_DEP_4)
	v_div_fmas_f32 v16, v17, v64, v78
	v_add_f32_e32 v17, v19, v80
	v_div_fixup_f32 v2, v14, v10, v2
	v_cmp_nlt_f32_e32 vcc_lo, 0x42ce8ed0, v6
	v_div_fixup_f32 v4, v16, v12, v4
	s_delay_alu instid0(VALU_DEP_4)
	v_exp_f32_e32 v10, v17
	v_mul_f32_e32 v17, 0xbfb8aa3b, v9
	v_rndne_f32_e32 v66, v18
	v_fma_f32 v19, 0xbfb8aa3b, v7, -v18
	v_cvt_i32_f32_e32 v12, v65
	v_fma_f32 v16, 0xbfb8aa3b, v8, -v72
	s_delay_alu instid0(VALU_DEP_3)
	v_dual_sub_f32 v14, v18, v66 :: v_dual_fmac_f32 v19, 0xb2a5705f, v7
	v_rndne_f32_e32 v18, v17
	s_delay_alu instid0(TRANS32_DEP_1) | instid1(VALU_DEP_4)
	v_ldexp_f32 v10, v10, v12
	s_delay_alu instid0(VALU_DEP_4) | instskip(NEXT) | instid1(VALU_DEP_4)
	v_fmac_f32_e32 v16, 0xb2a5705f, v8
	v_add_f32_e32 v12, v14, v19
	v_sub_f32_e32 v14, v72, v15
	v_fma_f32 v19, 0xbfb8aa3b, v9, -v17
	v_cndmask_b32_e32 v10, 0, v10, vcc_lo
	v_cmp_ngt_f32_e32 vcc_lo, 0xc2b17218, v6
	v_exp_f32_e32 v12, v12
	v_add_f32_e32 v14, v14, v16
	v_sub_f32_e32 v16, v17, v18
	v_cvt_i32_f32_e32 v17, v66
	v_fmac_f32_e32 v19, 0xb2a5705f, v9
	v_cndmask_b32_e32 v10, 0x7f800000, v10, vcc_lo
	v_exp_f32_e32 v14, v14
	v_cmp_nlt_f32_e32 vcc_lo, 0x42ce8ed0, v7
	s_delay_alu instid0(VALU_DEP_3) | instskip(NEXT) | instid1(TRANS32_DEP_2)
	v_add_f32_e32 v16, v16, v19
	v_ldexp_f32 v12, v12, v17
	v_add_f32_e32 v10, 1.0, v10
	s_delay_alu instid0(VALU_DEP_3) | instskip(NEXT) | instid1(VALU_DEP_2)
	v_exp_f32_e32 v15, v16
	v_cndmask_b32_e32 v12, 0, v12, vcc_lo
	s_delay_alu instid0(TRANS32_DEP_2) | instskip(SKIP_3) | instid1(VALU_DEP_4)
	v_ldexp_f32 v11, v14, v11
	v_cmp_nlt_f32_e32 vcc_lo, 0x42ce8ed0, v8
	v_cvt_i32_f32_e32 v14, v18
	v_div_scale_f32 v16, null, v10, v10, v6
	v_cndmask_b32_e32 v11, 0, v11, vcc_lo
	v_cmp_ngt_f32_e32 vcc_lo, 0xc2b17218, v7
	s_delay_alu instid0(TRANS32_DEP_1) | instid1(VALU_DEP_4)
	v_ldexp_f32 v14, v15, v14
	s_delay_alu instid0(VALU_DEP_4) | instskip(SKIP_2) | instid1(VALU_DEP_2)
	v_rcp_f32_e32 v15, v16
	v_cndmask_b32_e32 v12, 0x7f800000, v12, vcc_lo
	v_cmp_ngt_f32_e32 vcc_lo, 0xc2b17218, v8
	v_dual_add_f32 v12, 1.0, v12 :: v_dual_cndmask_b32 v11, 0x7f800000, v11
	v_cmp_nlt_f32_e32 vcc_lo, 0x42ce8ed0, v9
	s_waitcnt_depctr 0xfff
	v_fma_f32 v64, -v16, v15, 1.0
	v_div_scale_f32 v17, null, v12, v12, v7
	v_cndmask_b32_e32 v14, 0, v14, vcc_lo
	v_cmp_ngt_f32_e32 vcc_lo, 0xc2b17218, v9
	v_add_f32_e32 v11, 1.0, v11
	s_delay_alu instid0(VALU_DEP_4)
	v_rcp_f32_e32 v63, v17
	v_fmac_f32_e32 v15, v64, v15
	v_div_scale_f32 v64, s20, v6, v10, v6
	v_cndmask_b32_e32 v14, 0x7f800000, v14, vcc_lo
	v_div_scale_f32 v18, null, v11, v11, v8
	v_div_scale_f32 v19, vcc_lo, v5, v13, v5
	s_delay_alu instid0(VALU_DEP_3) | instskip(NEXT) | instid1(VALU_DEP_3)
	v_add_f32_e32 v14, 1.0, v14
	v_rcp_f32_e32 v65, v18
	v_mul_f32_e32 v4, v4, v73
	s_delay_alu instid0(VALU_DEP_3) | instskip(SKIP_3) | instid1(VALU_DEP_3)
	v_mul_f32_e32 v66, v19, v81
	v_fma_f32 v73, -v17, v63, 1.0
	v_div_scale_f32 v72, null, v14, v14, v9
	v_mul_f32_e32 v77, v64, v15
	v_fmac_f32_e32 v63, v73, v63
	s_delay_alu instid0(VALU_DEP_3) | instskip(NEXT) | instid1(TRANS32_DEP_2)
	v_rcp_f32_e32 v74, v72
	v_fma_f32 v76, -v18, v65, 1.0
	v_mul_f32_e32 v2, v2, v75
	v_fma_f32 v75, -v84, v66, v19
	v_div_scale_f32 v73, s21, v7, v12, v7
	s_delay_alu instid0(VALU_DEP_4) | instskip(SKIP_1) | instid1(VALU_DEP_4)
	v_fmac_f32_e32 v65, v76, v65
	v_div_scale_f32 v76, s22, v8, v11, v8
	v_fmac_f32_e32 v66, v75, v81
	s_delay_alu instid0(TRANS32_DEP_1) | instskip(SKIP_1) | instid1(VALU_DEP_4)
	v_fma_f32 v78, -v72, v74, 1.0
	v_fma_f32 v75, -v16, v77, v64
	v_dual_mul_f32 v79, v73, v63 :: v_dual_mul_f32 v80, v76, v65
	s_delay_alu instid0(VALU_DEP_4) | instskip(NEXT) | instid1(VALU_DEP_4)
	v_fma_f32 v19, -v84, v66, v19
	v_fmac_f32_e32 v74, v78, v74
	v_div_scale_f32 v78, s23, v9, v14, v9
	v_fmac_f32_e32 v77, v75, v15
	v_fma_f32 v75, -v17, v79, v73
	v_fma_f32 v82, -v18, v80, v76
	s_delay_alu instid0(VALU_DEP_4) | instskip(SKIP_2) | instid1(VALU_DEP_4)
	v_mul_f32_e32 v83, v78, v74
	v_div_fmas_f32 v19, v19, v81, v66
	v_fma_f32 v16, -v16, v77, v64
	v_dual_fmac_f32 v79, v75, v63 :: v_dual_fmac_f32 v80, v82, v65
	s_delay_alu instid0(VALU_DEP_4)
	v_fma_f32 v64, -v72, v83, v78
	s_mov_b32 vcc_lo, s20
	v_div_fixup_f32 v5, v19, v13, v5
	v_div_fmas_f32 v15, v16, v15, v77
	v_fma_f32 v16, -v17, v79, v73
	v_fmac_f32_e32 v83, v64, v74
	v_fma_f32 v17, -v18, v80, v76
	s_mov_b32 vcc_lo, s21
	v_div_fixup_f32 v6, v15, v10, v6
	v_div_fmas_f32 v16, v16, v63, v79
	v_fma_f32 v18, -v72, v83, v78
	s_mov_b32 vcc_lo, s22
	v_mul_f32_e32 v5, v5, v70
	v_div_fmas_f32 v17, v17, v65, v80
	s_mov_b32 vcc_lo, s23
	v_div_fixup_f32 v7, v16, v12, v7
	v_div_fmas_f32 v18, v18, v74, v83
	v_mul_f32_e32 v6, v6, v69
	v_div_fixup_f32 v8, v17, v11, v8
	s_delay_alu instid0(VALU_DEP_4) | instskip(NEXT) | instid1(VALU_DEP_4)
	v_mul_f32_e32 v7, v7, v68
	v_div_fixup_f32 v9, v18, v14, v9
	s_delay_alu instid0(VALU_DEP_3) | instskip(NEXT) | instid1(VALU_DEP_2)
	v_mul_f32_e32 v8, v8, v67
	v_mul_f32_e32 v9, v9, v71
	ds_store_2addr_b32 v37, v2, v3 offset1:1
	ds_store_2addr_b32 v37, v4, v5 offset0:2 offset1:3
	ds_store_2addr_b32 v37, v6, v7 offset0:4 offset1:5
	;; [unrolled: 1-line block ×3, first 2 shown]
	; wave barrier
	ds_load_b32 v10, v30 offset:128
	ds_load_b32 v9, v31 offset:256
	;; [unrolled: 1-line block ×7, first 2 shown]
	v_add_co_u32 v2, vcc_lo, v52, s24
	v_add_co_ci_u32_e32 v3, vcc_lo, s25, v53, vcc_lo
	s_and_saveexec_b32 s20, s12
	s_cbranch_execnz .LBB140_164
; %bb.141:                              ;   in Loop: Header=BB140_12 Depth=1
	s_or_b32 exec_lo, exec_lo, s20
	s_and_saveexec_b32 s12, s13
	s_cbranch_execnz .LBB140_165
.LBB140_142:                            ;   in Loop: Header=BB140_12 Depth=1
	s_or_b32 exec_lo, exec_lo, s12
	s_and_saveexec_b32 s12, s14
	s_cbranch_execnz .LBB140_166
.LBB140_143:                            ;   in Loop: Header=BB140_12 Depth=1
	s_or_b32 exec_lo, exec_lo, s12
	s_and_saveexec_b32 s12, s15
	s_cbranch_execnz .LBB140_167
.LBB140_144:                            ;   in Loop: Header=BB140_12 Depth=1
	s_or_b32 exec_lo, exec_lo, s12
	s_and_saveexec_b32 s12, s16
	s_cbranch_execnz .LBB140_168
.LBB140_145:                            ;   in Loop: Header=BB140_12 Depth=1
	s_or_b32 exec_lo, exec_lo, s12
	s_and_saveexec_b32 s12, s17
	s_cbranch_execnz .LBB140_169
.LBB140_146:                            ;   in Loop: Header=BB140_12 Depth=1
	s_or_b32 exec_lo, exec_lo, s12
	s_and_saveexec_b32 s12, s18
	s_cbranch_execnz .LBB140_170
.LBB140_147:                            ;   in Loop: Header=BB140_12 Depth=1
	s_or_b32 exec_lo, exec_lo, s12
	s_and_saveexec_b32 s12, s19
	s_cbranch_execz .LBB140_11
	s_branch .LBB140_171
.LBB140_148:                            ;   in Loop: Header=BB140_12 Depth=1
	global_load_b32 v18, v[10:11], off offset:640
	s_or_b32 exec_lo, exec_lo, s20
	s_and_saveexec_b32 s20, s18
	s_cbranch_execz .LBB140_40
.LBB140_149:                            ;   in Loop: Header=BB140_12 Depth=1
	global_load_b32 v17, v[10:11], off offset:768
	s_or_b32 exec_lo, exec_lo, s20
	v_mov_b32_e32 v19, 0
	s_and_saveexec_b32 s20, s19
	s_cbranch_execnz .LBB140_41
	s_branch .LBB140_42
.LBB140_150:                            ;   in Loop: Header=BB140_12 Depth=1
	ds_load_b32 v11, v29
	s_waitcnt lgkmcnt(0)
	global_store_b32 v[2:3], v11, off
	s_or_b32 exec_lo, exec_lo, s20
	s_and_saveexec_b32 s20, s13
	s_cbranch_execz .LBB140_124
.LBB140_151:                            ;   in Loop: Header=BB140_12 Depth=1
	s_waitcnt lgkmcnt(6)
	global_store_b32 v[2:3], v10, off offset:128
	s_or_b32 exec_lo, exec_lo, s20
	s_and_saveexec_b32 s20, s14
	s_cbranch_execz .LBB140_125
.LBB140_152:                            ;   in Loop: Header=BB140_12 Depth=1
	s_waitcnt lgkmcnt(5)
	global_store_b32 v[2:3], v9, off offset:256
	s_or_b32 exec_lo, exec_lo, s20
	s_and_saveexec_b32 s20, s15
	s_cbranch_execz .LBB140_126
.LBB140_153:                            ;   in Loop: Header=BB140_12 Depth=1
	s_waitcnt lgkmcnt(4)
	global_store_b32 v[2:3], v8, off offset:384
	s_or_b32 exec_lo, exec_lo, s20
	s_and_saveexec_b32 s20, s16
	s_cbranch_execz .LBB140_127
.LBB140_154:                            ;   in Loop: Header=BB140_12 Depth=1
	s_waitcnt lgkmcnt(3)
	global_store_b32 v[2:3], v7, off offset:512
	s_or_b32 exec_lo, exec_lo, s20
	s_and_saveexec_b32 s20, s17
	s_cbranch_execz .LBB140_128
.LBB140_155:                            ;   in Loop: Header=BB140_12 Depth=1
	s_waitcnt lgkmcnt(2)
	global_store_b32 v[2:3], v6, off offset:640
	s_or_b32 exec_lo, exec_lo, s20
	s_and_saveexec_b32 s20, s18
	s_cbranch_execz .LBB140_129
.LBB140_156:                            ;   in Loop: Header=BB140_12 Depth=1
	s_waitcnt lgkmcnt(1)
	global_store_b32 v[2:3], v5, off offset:768
	s_or_b32 exec_lo, exec_lo, s20
	s_and_saveexec_b32 s20, s19
	s_cbranch_execnz .LBB140_130
	s_branch .LBB140_131
.LBB140_157:                            ;   in Loop: Header=BB140_12 Depth=1
	global_load_b32 v12, v[10:11], off
	v_mov_b32_e32 v7, v1
	v_mov_b32_e32 v2, v1
	;; [unrolled: 1-line block ×7, first 2 shown]
	s_delay_alu instid0(VALU_DEP_2)
	v_dual_mov_b32 v8, v6 :: v_dual_mov_b32 v7, v5
	v_mov_b32_e32 v6, v4
	v_mov_b32_e32 v5, v3
	;; [unrolled: 1-line block ×5, first 2 shown]
	s_or_b32 exec_lo, exec_lo, s20
	s_and_saveexec_b32 s20, s13
	s_cbranch_execz .LBB140_133
.LBB140_158:                            ;   in Loop: Header=BB140_12 Depth=1
	global_load_b32 v3, v[10:11], off offset:128
	s_or_b32 exec_lo, exec_lo, s20
	s_and_saveexec_b32 s20, s14
	s_cbranch_execz .LBB140_134
.LBB140_159:                            ;   in Loop: Header=BB140_12 Depth=1
	global_load_b32 v4, v[10:11], off offset:256
	s_or_b32 exec_lo, exec_lo, s20
	s_and_saveexec_b32 s20, s15
	s_cbranch_execz .LBB140_135
.LBB140_160:                            ;   in Loop: Header=BB140_12 Depth=1
	global_load_b32 v5, v[10:11], off offset:384
	s_or_b32 exec_lo, exec_lo, s20
	s_and_saveexec_b32 s20, s16
	s_cbranch_execz .LBB140_136
.LBB140_161:                            ;   in Loop: Header=BB140_12 Depth=1
	global_load_b32 v6, v[10:11], off offset:512
	s_or_b32 exec_lo, exec_lo, s20
	s_and_saveexec_b32 s20, s17
	s_cbranch_execz .LBB140_137
.LBB140_162:                            ;   in Loop: Header=BB140_12 Depth=1
	global_load_b32 v7, v[10:11], off offset:640
	s_or_b32 exec_lo, exec_lo, s20
	s_and_saveexec_b32 s20, s18
	s_cbranch_execz .LBB140_138
.LBB140_163:                            ;   in Loop: Header=BB140_12 Depth=1
	global_load_b32 v8, v[10:11], off offset:768
	s_or_b32 exec_lo, exec_lo, s20
	s_and_saveexec_b32 s20, s19
	s_cbranch_execnz .LBB140_139
	s_branch .LBB140_140
.LBB140_164:                            ;   in Loop: Header=BB140_12 Depth=1
	ds_load_b32 v11, v29
	s_waitcnt lgkmcnt(0)
	global_store_b32 v[2:3], v11, off
	s_or_b32 exec_lo, exec_lo, s20
	s_and_saveexec_b32 s12, s13
	s_cbranch_execz .LBB140_142
.LBB140_165:                            ;   in Loop: Header=BB140_12 Depth=1
	s_waitcnt lgkmcnt(6)
	global_store_b32 v[2:3], v10, off offset:128
	s_or_b32 exec_lo, exec_lo, s12
	s_and_saveexec_b32 s12, s14
	s_cbranch_execz .LBB140_143
.LBB140_166:                            ;   in Loop: Header=BB140_12 Depth=1
	s_waitcnt lgkmcnt(5)
	global_store_b32 v[2:3], v9, off offset:256
	s_or_b32 exec_lo, exec_lo, s12
	s_and_saveexec_b32 s12, s15
	s_cbranch_execz .LBB140_144
.LBB140_167:                            ;   in Loop: Header=BB140_12 Depth=1
	s_waitcnt lgkmcnt(4)
	global_store_b32 v[2:3], v8, off offset:384
	s_or_b32 exec_lo, exec_lo, s12
	s_and_saveexec_b32 s12, s16
	s_cbranch_execz .LBB140_145
.LBB140_168:                            ;   in Loop: Header=BB140_12 Depth=1
	s_waitcnt lgkmcnt(3)
	global_store_b32 v[2:3], v7, off offset:512
	s_or_b32 exec_lo, exec_lo, s12
	s_and_saveexec_b32 s12, s17
	s_cbranch_execz .LBB140_146
.LBB140_169:                            ;   in Loop: Header=BB140_12 Depth=1
	s_waitcnt lgkmcnt(2)
	global_store_b32 v[2:3], v6, off offset:640
	s_or_b32 exec_lo, exec_lo, s12
	s_and_saveexec_b32 s12, s18
	s_cbranch_execz .LBB140_147
.LBB140_170:                            ;   in Loop: Header=BB140_12 Depth=1
	s_waitcnt lgkmcnt(1)
	global_store_b32 v[2:3], v5, off offset:768
	s_or_b32 exec_lo, exec_lo, s12
	s_and_saveexec_b32 s12, s19
	s_cbranch_execz .LBB140_11
.LBB140_171:                            ;   in Loop: Header=BB140_12 Depth=1
	s_waitcnt lgkmcnt(0)
	global_store_b32 v[2:3], v4, off offset:896
	s_branch .LBB140_11
.LBB140_172:
	s_nop 0
	s_sendmsg sendmsg(MSG_DEALLOC_VGPRS)
	s_endpgm
	.section	.rodata,"a",@progbits
	.p2align	6, 0x0
	.amdhsa_kernel _Z25selective_scan_fwd_kernelI32Selective_Scan_fwd_kernel_traitsILi64ELi8ELi1ELb0ELb1ELb1ELb1ELb1EfffEEv13SSMParamsBase
		.amdhsa_group_segment_fixed_size 0
		.amdhsa_private_segment_fixed_size 0
		.amdhsa_kernarg_size 248
		.amdhsa_user_sgpr_count 14
		.amdhsa_user_sgpr_dispatch_ptr 0
		.amdhsa_user_sgpr_queue_ptr 0
		.amdhsa_user_sgpr_kernarg_segment_ptr 1
		.amdhsa_user_sgpr_dispatch_id 0
		.amdhsa_user_sgpr_private_segment_size 0
		.amdhsa_wavefront_size32 1
		.amdhsa_uses_dynamic_stack 0
		.amdhsa_enable_private_segment 0
		.amdhsa_system_sgpr_workgroup_id_x 1
		.amdhsa_system_sgpr_workgroup_id_y 1
		.amdhsa_system_sgpr_workgroup_id_z 0
		.amdhsa_system_sgpr_workgroup_info 0
		.amdhsa_system_vgpr_workitem_id 0
		.amdhsa_next_free_vgpr 105
		.amdhsa_next_free_sgpr 92
		.amdhsa_reserve_vcc 1
		.amdhsa_float_round_mode_32 0
		.amdhsa_float_round_mode_16_64 0
		.amdhsa_float_denorm_mode_32 3
		.amdhsa_float_denorm_mode_16_64 3
		.amdhsa_dx10_clamp 1
		.amdhsa_ieee_mode 1
		.amdhsa_fp16_overflow 0
		.amdhsa_workgroup_processor_mode 1
		.amdhsa_memory_ordered 1
		.amdhsa_forward_progress 0
		.amdhsa_shared_vgpr_count 0
		.amdhsa_exception_fp_ieee_invalid_op 0
		.amdhsa_exception_fp_denorm_src 0
		.amdhsa_exception_fp_ieee_div_zero 0
		.amdhsa_exception_fp_ieee_overflow 0
		.amdhsa_exception_fp_ieee_underflow 0
		.amdhsa_exception_fp_ieee_inexact 0
		.amdhsa_exception_int_div_zero 0
	.end_amdhsa_kernel
	.section	.text._Z25selective_scan_fwd_kernelI32Selective_Scan_fwd_kernel_traitsILi64ELi8ELi1ELb0ELb1ELb1ELb1ELb1EfffEEv13SSMParamsBase,"axG",@progbits,_Z25selective_scan_fwd_kernelI32Selective_Scan_fwd_kernel_traitsILi64ELi8ELi1ELb0ELb1ELb1ELb1ELb1EfffEEv13SSMParamsBase,comdat
.Lfunc_end140:
	.size	_Z25selective_scan_fwd_kernelI32Selective_Scan_fwd_kernel_traitsILi64ELi8ELi1ELb0ELb1ELb1ELb1ELb1EfffEEv13SSMParamsBase, .Lfunc_end140-_Z25selective_scan_fwd_kernelI32Selective_Scan_fwd_kernel_traitsILi64ELi8ELi1ELb0ELb1ELb1ELb1ELb1EfffEEv13SSMParamsBase
                                        ; -- End function
	.section	.AMDGPU.csdata,"",@progbits
; Kernel info:
; codeLenInByte = 14324
; NumSgprs: 94
; NumVgprs: 105
; ScratchSize: 0
; MemoryBound: 0
; FloatMode: 240
; IeeeMode: 1
; LDSByteSize: 0 bytes/workgroup (compile time only)
; SGPRBlocks: 11
; VGPRBlocks: 13
; NumSGPRsForWavesPerEU: 94
; NumVGPRsForWavesPerEU: 105
; Occupancy: 12
; WaveLimiterHint : 1
; COMPUTE_PGM_RSRC2:SCRATCH_EN: 0
; COMPUTE_PGM_RSRC2:USER_SGPR: 14
; COMPUTE_PGM_RSRC2:TRAP_HANDLER: 0
; COMPUTE_PGM_RSRC2:TGID_X_EN: 1
; COMPUTE_PGM_RSRC2:TGID_Y_EN: 1
; COMPUTE_PGM_RSRC2:TGID_Z_EN: 0
; COMPUTE_PGM_RSRC2:TIDIG_COMP_CNT: 0
	.section	.text._Z25selective_scan_fwd_kernelI32Selective_Scan_fwd_kernel_traitsILi64ELi8ELi1ELb0ELb1ELb1ELb1ELb0EfffEEv13SSMParamsBase,"axG",@progbits,_Z25selective_scan_fwd_kernelI32Selective_Scan_fwd_kernel_traitsILi64ELi8ELi1ELb0ELb1ELb1ELb1ELb0EfffEEv13SSMParamsBase,comdat
	.protected	_Z25selective_scan_fwd_kernelI32Selective_Scan_fwd_kernel_traitsILi64ELi8ELi1ELb0ELb1ELb1ELb1ELb0EfffEEv13SSMParamsBase ; -- Begin function _Z25selective_scan_fwd_kernelI32Selective_Scan_fwd_kernel_traitsILi64ELi8ELi1ELb0ELb1ELb1ELb1ELb0EfffEEv13SSMParamsBase
	.globl	_Z25selective_scan_fwd_kernelI32Selective_Scan_fwd_kernel_traitsILi64ELi8ELi1ELb0ELb1ELb1ELb1ELb0EfffEEv13SSMParamsBase
	.p2align	8
	.type	_Z25selective_scan_fwd_kernelI32Selective_Scan_fwd_kernel_traitsILi64ELi8ELi1ELb0ELb1ELb1ELb1ELb0EfffEEv13SSMParamsBase,@function
_Z25selective_scan_fwd_kernelI32Selective_Scan_fwd_kernel_traitsILi64ELi8ELi1ELb0ELb1ELb1ELb1ELb0EfffEEv13SSMParamsBase: ; @_Z25selective_scan_fwd_kernelI32Selective_Scan_fwd_kernel_traitsILi64ELi8ELi1ELb0ELb1ELb1ELb1ELb0EfffEEv13SSMParamsBase
; %bb.0:
	s_clause 0x1
	s_load_b32 s9, s[0:1], 0x18
	s_load_b128 s[4:7], s[0:1], 0xe8
	s_mov_b32 s12, s15
	s_mov_b32 s33, 0
	s_waitcnt lgkmcnt(0)
	s_abs_i32 s8, s9
	s_cmp_eq_u64 s[6:7], 0
	v_cvt_f32_u32_e32 v1, s8
	s_delay_alu instid0(VALU_DEP_1) | instskip(SKIP_2) | instid1(VALU_DEP_1)
	v_rcp_iflag_f32_e32 v1, v1
	s_waitcnt_depctr 0xfff
	v_mul_f32_e32 v1, 0x4f7ffffe, v1
	v_cvt_u32_f32_e32 v1, v1
	s_delay_alu instid0(VALU_DEP_1)
	v_readfirstlane_b32 s10, v1
	s_cbranch_scc1 .LBB141_2
; %bb.1:
	v_mov_b32_e32 v1, 0
	s_ashr_i32 s3, s14, 31
	s_add_u32 s2, s6, s14
	s_addc_u32 s3, s7, s3
	global_load_u8 v1, v1, s[2:3]
	s_waitcnt vmcnt(0)
	v_and_b32_e32 v1, 1, v1
	s_delay_alu instid0(VALU_DEP_1)
	v_cmp_eq_u32_e64 s33, 1, v1
.LBB141_2:
	s_load_b64 s[6:7], s[0:1], 0x20
	s_cmp_eq_u64 s[4:5], 0
	s_cbranch_scc1 .LBB141_4
; %bb.3:
	s_ashr_i32 s15, s14, 31
	s_delay_alu instid0(SALU_CYCLE_1) | instskip(NEXT) | instid1(SALU_CYCLE_1)
	s_lshl_b64 s[2:3], s[14:15], 2
	s_add_u32 s2, s4, s2
	s_addc_u32 s3, s5, s3
	s_load_b32 s2, s[2:3], 0x0
	s_waitcnt lgkmcnt(0)
	s_ashr_i32 s3, s2, 31
	s_delay_alu instid0(SALU_CYCLE_1)
	s_cmp_eq_u64 s[6:7], s[2:3]
	s_cbranch_scc0 .LBB141_5
	s_branch .LBB141_172
.LBB141_4:
	s_mov_b32 s2, s14
	s_delay_alu instid0(SALU_CYCLE_1)
	s_ashr_i32 s3, s2, 31
	s_waitcnt lgkmcnt(0)
	s_cmp_eq_u64 s[6:7], s[2:3]
	s_cbranch_scc1 .LBB141_172
.LBB141_5:
	s_clause 0x1
	s_load_b512 s[16:31], s[0:1], 0x88
	s_load_b64 s[34:35], s[0:1], 0x8
	s_mov_b32 s64, 0
	s_mov_b32 s65, 0
	s_waitcnt lgkmcnt(0)
	s_cmp_eq_u64 s[22:23], 0
	s_cbranch_scc1 .LBB141_7
; %bb.6:
	s_ashr_i32 s13, s12, 31
	s_delay_alu instid0(SALU_CYCLE_1) | instskip(NEXT) | instid1(SALU_CYCLE_1)
	s_lshl_b64 s[4:5], s[12:13], 2
	s_add_u32 s4, s22, s4
	s_addc_u32 s5, s23, s5
	s_load_b32 s65, s[4:5], 0x0
.LBB141_7:
	s_cmp_eq_u64 s[28:29], 0
	s_cbranch_scc1 .LBB141_9
; %bb.8:
	s_ashr_i32 s13, s12, 31
	s_delay_alu instid0(SALU_CYCLE_1) | instskip(NEXT) | instid1(SALU_CYCLE_1)
	s_lshl_b64 s[4:5], s[12:13], 2
	s_add_u32 s4, s28, s4
	s_addc_u32 s5, s29, s5
	s_load_b32 s64, s[4:5], 0x0
.LBB141_9:
	s_cmp_lt_i32 s34, 1
	s_cbranch_scc1 .LBB141_172
; %bb.10:
	s_sub_i32 s3, 0, s8
	s_load_b256 s[36:43], s[0:1], 0x4c
	s_mul_i32 s3, s3, s10
	s_abs_i32 s4, s12
	s_mul_hi_u32 s3, s10, s3
	s_ashr_i32 s6, s9, 31
	s_add_i32 s10, s10, s3
	s_ashr_i32 s3, s12, 31
	s_mul_hi_u32 s5, s4, s10
	s_xor_b32 s3, s3, s6
	s_mul_i32 s7, s5, s8
	s_add_i32 s6, s5, 1
	s_sub_i32 s4, s4, s7
	s_load_b256 s[44:51], s[0:1], 0x2c
	s_sub_i32 s7, s4, s8
	s_cmp_ge_u32 s4, s8
	s_mov_b32 s53, 0
	s_cselect_b32 s5, s6, s5
	s_cselect_b32 s4, s7, s4
	s_add_i32 s6, s5, 1
	s_cmp_ge_u32 s4, s8
	s_waitcnt lgkmcnt(0)
	s_mul_i32 s52, s38, s14
	s_cselect_b32 s6, s6, s5
	s_lshl_b64 s[4:5], s[52:53], 2
	s_xor_b32 s6, s6, s3
	s_mul_i32 s52, s39, s12
	s_sub_i32 s3, s6, s3
	s_add_u32 s6, s24, s4
	s_addc_u32 s7, s25, s5
	s_lshl_b64 s[4:5], s[52:53], 2
	s_mul_i32 s52, s40, s14
	s_add_u32 s51, s6, s4
	s_addc_u32 s66, s7, s5
	s_lshl_b64 s[4:5], s[52:53], 2
	s_mul_i32 s52, s41, s12
	;; [unrolled: 4-line block ×4, first 2 shown]
	s_load_b64 s[6:7], s[0:1], 0x7c
	s_add_u32 s68, s16, s4
	s_addc_u32 s69, s17, s5
	s_lshl_b64 s[4:5], s[52:53], 2
	s_mul_i32 s52, s3, s49
	s_load_b128 s[24:27], s[0:1], 0xc8
	s_add_u32 s8, s18, s4
	s_addc_u32 s9, s19, s5
	s_lshl_b64 s[4:5], s[52:53], 2
	s_mul_i32 s52, s50, s14
	s_add_u32 s49, s8, s4
	v_dual_mov_b32 v1, 0 :: v_dual_lshlrev_b32 v20, 3, v0
	s_addc_u32 s50, s9, s5
	s_lshl_b64 s[4:5], s[52:53], 2
	s_load_b128 s[16:19], s[0:1], 0x6c
	s_add_u32 s8, s20, s4
	s_mul_i32 s52, s3, s37
	s_addc_u32 s3, s21, s5
	s_clause 0x2
	s_load_b32 s37, s[0:1], 0x84
	s_load_b64 s[20:21], s[0:1], 0xd8
	s_load_b32 s0, s[0:1], 0x28
	v_mbcnt_lo_u32_b32 v2, -1, 0
	v_and_b32_e32 v3, 0x100, v20
	s_lshl_b64 s[4:5], s[52:53], 2
	s_waitcnt lgkmcnt(0)
	s_mul_i32 s52, s2, s6
	s_add_u32 s70, s8, s4
	s_addc_u32 s71, s3, s5
	v_or_b32_e32 v21, v2, v3
	v_lshrrev_b32_e32 v4, 5, v3
	s_lshl_b64 s[2:3], s[52:53], 2
	v_and_b32_e32 v8, 32, v0
	s_mul_i32 s52, s7, s12
	v_or_b32_e32 v25, 0x80, v21
	v_add_nc_u32_e32 v4, v4, v21
	s_add_u32 s4, s24, s2
	s_addc_u32 s5, s25, s3
	s_lshl_b64 s[2:3], s[52:53], 2
	v_or_b32_e32 v22, 32, v21
	s_add_u32 s72, s4, s2
	v_or_b32_e32 v23, 64, v21
	v_or_b32_e32 v24, 0x60, v21
	;; [unrolled: 1-line block ×5, first 2 shown]
	v_lshl_add_u32 v29, v4, 2, 0
	v_lshrrev_b32_e32 v4, 5, v25
	v_or_b32_e32 v11, v2, v8
	s_addc_u32 s73, s5, s3
	s_add_i32 s2, s34, 0x7ff
	v_lshrrev_b32_e32 v5, 5, v22
	s_lshr_b32 s74, s2, 11
	s_bitcmp1_b32 s0, 0
	v_lshrrev_b32_e32 v6, 5, v23
	v_lshrrev_b32_e32 v7, 5, v24
	v_add_lshl_u32 v4, v4, v21, 2
	v_lshrrev_b32_e32 v9, 5, v26
	v_lshrrev_b32_e32 v10, 5, v27
	;; [unrolled: 1-line block ×3, first 2 shown]
	v_lshlrev_b32_e32 v13, 3, v11
	v_bfe_u32 v11, v11, 2, 27
	s_cselect_b32 s75, -1, 0
	s_cmp_gt_i32 s35, 0
	v_add_lshl_u32 v5, v5, v21, 2
	s_cselect_b32 s76, -1, 0
	s_add_i32 s0, 0, 0x840
	v_add_lshl_u32 v6, v6, v21, 2
	v_add_lshl_u32 v7, v7, v21, 2
	v_add_nc_u32_e32 v33, 0, v4
	v_add_lshl_u32 v9, v9, v21, 2
	v_add_lshl_u32 v10, v10, v21, 2
	;; [unrolled: 1-line block ×4, first 2 shown]
	v_add_nc_u32_e32 v41, s0, v4
	v_and_b32_e32 v4, 15, v2
	s_and_b32 s1, s34, 0x1ff
	v_add_nc_u32_e32 v38, s0, v5
	v_add_nc_u32_e32 v39, s0, v6
	;; [unrolled: 1-line block ×6, first 2 shown]
	s_cmp_eq_u32 s1, 0
	v_add_nc_u32_e32 v45, s0, v11
	v_cmp_ne_u32_e64 s0, 0, v4
	v_cmp_lt_u32_e64 s1, 1, v4
	v_cmp_lt_u32_e64 s2, 3, v4
	;; [unrolled: 1-line block ×3, first 2 shown]
	v_add_nc_u32_e32 v4, -1, v2
	v_add_nc_u32_e32 v30, 0, v5
	v_lshrrev_b32_e32 v5, 2, v0
	s_mul_i32 s52, s16, s14
	s_cselect_b32 s77, -1, 0
	v_cmp_gt_i32_e32 vcc_lo, 0, v4
	s_lshl_b64 s[22:23], s[52:53], 2
	s_add_i32 s78, s74, -1
	s_mul_i32 s52, s17, s12
	v_dual_cndmask_b32 v4, v4, v2 :: v_dual_and_b32 v5, 8, v5
	s_add_u32 s13, s30, s22
	s_addc_u32 s15, s31, s23
	s_lshl_b64 s[16:17], s[52:53], 2
	s_mul_i32 s52, s42, s14
	v_add_nc_u32_e32 v31, 0, v6
	v_add_nc_u32_e32 v32, 0, v7
	v_and_b32_e32 v6, 16, v2
	v_or_b32_e32 v7, 31, v8
	v_lshlrev_b32_e32 v48, 2, v4
	s_add_u32 s13, s13, s16
	v_lshlrev_b32_e32 v4, 2, v2
	s_addc_u32 s15, s15, s17
	s_lshl_b64 s[16:17], s[52:53], 2
	v_add_nc_u32_e32 v46, 0, v5
	v_and_b32_e32 v5, 1, v2
	s_mul_i32 s52, s43, s12
	s_add_u32 s22, s26, s16
	s_addc_u32 s23, s27, s17
	s_lshl_b64 s[16:17], s[52:53], 2
	v_cmp_ne_u32_e64 s4, 0, v6
	v_cmp_eq_u32_e64 s5, v7, v0
	v_cmp_gt_u32_e64 s6, 2, v0
	v_cmp_gt_u32_e64 s8, 32, v0
	v_cmp_lt_u32_e64 s9, 31, v0
	v_cmp_eq_u32_e64 s10, 0, v0
	v_add_co_u32 v0, s13, s13, v4
	s_mul_i32 s52, s18, s14
	v_lshlrev_b32_e32 v6, 2, v3
	s_add_u32 s16, s22, s16
	v_cmp_eq_u32_e64 s7, 0, v5
	v_add_co_ci_u32_e64 v5, null, s15, 0, s13
	s_addc_u32 s17, s23, s17
	s_lshl_b64 s[14:15], s[52:53], 2
	s_mul_i32 s52, s19, s12
	s_add_u32 s14, s20, s14
	s_addc_u32 s15, s21, s15
	s_lshl_b64 s[12:13], s[52:53], 2
	v_add_co_u32 v0, vcc_lo, v0, v6
	v_add_co_ci_u32_e32 v49, vcc_lo, 0, v5, vcc_lo
	s_add_u32 s12, s14, s12
	v_add_co_u32 v5, s14, s16, v4
	s_delay_alu instid0(VALU_DEP_1) | instskip(SKIP_2) | instid1(VALU_DEP_1)
	v_add_co_ci_u32_e64 v7, null, s17, 0, s14
	s_addc_u32 s13, s15, s13
	v_add_co_u32 v4, s12, s12, v4
	v_add_co_ci_u32_e64 v8, null, s13, 0, s12
	v_add_co_u32 v50, vcc_lo, v5, v6
	v_add_co_ci_u32_e32 v51, vcc_lo, 0, v7, vcc_lo
	s_delay_alu instid0(VALU_DEP_4)
	v_add_co_u32 v52, vcc_lo, v4, v6
	v_add_nc_u32_e32 v34, 0, v9
	v_add_nc_u32_e32 v35, 0, v10
	;; [unrolled: 1-line block ×5, first 2 shown]
	v_cmp_eq_u32_e64 s11, 0, v2
	v_add_co_ci_u32_e32 v53, vcc_lo, 0, v8, vcc_lo
	v_or_b32_e32 v54, 1, v20
	v_or_b32_e32 v55, 2, v20
	;; [unrolled: 1-line block ×7, first 2 shown]
	v_lshlrev_b32_e32 v61, 2, v2
	v_lshlrev_b32_e32 v62, 2, v3
	s_mov_b32 s31, 0x3e9b6dac
	s_add_i32 s79, 0, 0x1090
	s_mov_b32 s80, 0
	s_branch .LBB141_12
.LBB141_11:                             ;   in Loop: Header=BB141_12 Depth=1
	s_or_b32 exec_lo, exec_lo, s12
	s_add_u32 s67, s67, 0x800
	s_addc_u32 s44, s44, 0
	s_add_u32 s51, s51, 0x800
	s_addc_u32 s66, s66, 0
	;; [unrolled: 2-line block ×4, first 2 shown]
	s_add_i32 s80, s80, 1
	s_delay_alu instid0(SALU_CYCLE_1)
	s_cmp_lg_u32 s80, s74
	s_cbranch_scc0 .LBB141_172
.LBB141_12:                             ; =>This Loop Header: Depth=1
                                        ;     Child Loop BB141_61 Depth 2
	v_add_co_u32 v2, s12, s51, v61
	s_delay_alu instid0(VALU_DEP_1) | instskip(SKIP_1) | instid1(VALU_DEP_2)
	v_add_co_ci_u32_e64 v3, null, s66, 0, s12
	s_lshl_b32 s38, s80, 9
	v_add_co_u32 v2, vcc_lo, v2, v62
	s_sub_i32 s23, s34, s38
	s_delay_alu instid0(VALU_DEP_2)
	v_add_co_ci_u32_e32 v3, vcc_lo, 0, v3, vcc_lo
	v_cmp_gt_u32_e64 s12, s23, v21
	s_waitcnt lgkmcnt(0)
	v_mov_b32_e32 v4, v1
	s_waitcnt_vscnt null, 0x0
	s_barrier
	buffer_gl0_inv
	s_and_saveexec_b32 s13, s12
	s_cbranch_execz .LBB141_14
; %bb.13:                               ;   in Loop: Header=BB141_12 Depth=1
	global_load_b32 v4, v[2:3], off
.LBB141_14:                             ;   in Loop: Header=BB141_12 Depth=1
	s_or_b32 exec_lo, exec_lo, s13
	v_cmp_gt_u32_e64 s13, s23, v22
	v_dual_mov_b32 v5, 0 :: v_dual_mov_b32 v6, 0
	s_delay_alu instid0(VALU_DEP_2)
	s_and_saveexec_b32 s14, s13
	s_cbranch_execz .LBB141_16
; %bb.15:                               ;   in Loop: Header=BB141_12 Depth=1
	global_load_b32 v6, v[2:3], off offset:128
.LBB141_16:                             ;   in Loop: Header=BB141_12 Depth=1
	s_or_b32 exec_lo, exec_lo, s14
	v_cmp_gt_u32_e64 s14, s23, v23
	s_delay_alu instid0(VALU_DEP_1)
	s_and_saveexec_b32 s15, s14
	s_cbranch_execz .LBB141_18
; %bb.17:                               ;   in Loop: Header=BB141_12 Depth=1
	global_load_b32 v5, v[2:3], off offset:256
.LBB141_18:                             ;   in Loop: Header=BB141_12 Depth=1
	s_or_b32 exec_lo, exec_lo, s15
	v_cmp_gt_u32_e64 s15, s23, v24
	v_dual_mov_b32 v7, 0 :: v_dual_mov_b32 v8, 0
	s_delay_alu instid0(VALU_DEP_2)
	s_and_saveexec_b32 s16, s15
	s_cbranch_execz .LBB141_20
; %bb.19:                               ;   in Loop: Header=BB141_12 Depth=1
	global_load_b32 v8, v[2:3], off offset:384
.LBB141_20:                             ;   in Loop: Header=BB141_12 Depth=1
	s_or_b32 exec_lo, exec_lo, s16
	v_cmp_gt_u32_e64 s16, s23, v25
	s_delay_alu instid0(VALU_DEP_1)
	s_and_saveexec_b32 s17, s16
	s_cbranch_execz .LBB141_22
; %bb.21:                               ;   in Loop: Header=BB141_12 Depth=1
	global_load_b32 v7, v[2:3], off offset:512
.LBB141_22:                             ;   in Loop: Header=BB141_12 Depth=1
	;; [unrolled: 17-line block ×3, first 2 shown]
	s_or_b32 exec_lo, exec_lo, s19
	v_cmp_gt_u32_e64 s19, s23, v28
	v_dual_mov_b32 v12, 0 :: v_dual_mov_b32 v11, 0
	s_delay_alu instid0(VALU_DEP_2)
	s_and_saveexec_b32 s20, s19
	s_cbranch_execz .LBB141_28
; %bb.27:                               ;   in Loop: Header=BB141_12 Depth=1
	global_load_b32 v11, v[2:3], off offset:896
.LBB141_28:                             ;   in Loop: Header=BB141_12 Depth=1
	s_or_b32 exec_lo, exec_lo, s20
	s_waitcnt vmcnt(0)
	ds_store_b32 v29, v4
	ds_store_b32 v30, v6 offset:128
	ds_store_b32 v31, v5 offset:256
	;; [unrolled: 1-line block ×7, first 2 shown]
	; wave barrier
	ds_load_2addr_b32 v[2:3], v37 offset1:1
	ds_load_2addr_b32 v[4:5], v37 offset0:2 offset1:3
	ds_load_2addr_b32 v[6:7], v37 offset0:4 offset1:5
	;; [unrolled: 1-line block ×3, first 2 shown]
	v_add_co_u32 v10, s20, s67, v61
	s_delay_alu instid0(VALU_DEP_1) | instskip(SKIP_1) | instid1(VALU_DEP_2)
	v_add_co_ci_u32_e64 v11, null, s44, 0, s20
	s_waitcnt lgkmcnt(0)
	v_add_co_u32 v10, vcc_lo, v10, v62
	s_delay_alu instid0(VALU_DEP_2)
	v_add_co_ci_u32_e32 v11, vcc_lo, 0, v11, vcc_lo
	s_barrier
	buffer_gl0_inv
	s_and_saveexec_b32 s20, s12
	s_cbranch_execz .LBB141_30
; %bb.29:                               ;   in Loop: Header=BB141_12 Depth=1
	global_load_b32 v12, v[10:11], off
.LBB141_30:                             ;   in Loop: Header=BB141_12 Depth=1
	s_or_b32 exec_lo, exec_lo, s20
	v_dual_mov_b32 v13, 0 :: v_dual_mov_b32 v14, 0
	s_and_saveexec_b32 s20, s13
	s_cbranch_execz .LBB141_32
; %bb.31:                               ;   in Loop: Header=BB141_12 Depth=1
	global_load_b32 v14, v[10:11], off offset:128
.LBB141_32:                             ;   in Loop: Header=BB141_12 Depth=1
	s_or_b32 exec_lo, exec_lo, s20
	s_and_saveexec_b32 s20, s14
	s_cbranch_execz .LBB141_34
; %bb.33:                               ;   in Loop: Header=BB141_12 Depth=1
	global_load_b32 v13, v[10:11], off offset:256
.LBB141_34:                             ;   in Loop: Header=BB141_12 Depth=1
	s_or_b32 exec_lo, exec_lo, s20
	v_dual_mov_b32 v15, 0 :: v_dual_mov_b32 v16, 0
	s_and_saveexec_b32 s20, s15
	s_cbranch_execz .LBB141_36
; %bb.35:                               ;   in Loop: Header=BB141_12 Depth=1
	global_load_b32 v16, v[10:11], off offset:384
.LBB141_36:                             ;   in Loop: Header=BB141_12 Depth=1
	s_or_b32 exec_lo, exec_lo, s20
	s_and_saveexec_b32 s20, s16
	s_cbranch_execz .LBB141_38
; %bb.37:                               ;   in Loop: Header=BB141_12 Depth=1
	global_load_b32 v15, v[10:11], off offset:512
.LBB141_38:                             ;   in Loop: Header=BB141_12 Depth=1
	s_or_b32 exec_lo, exec_lo, s20
	v_dual_mov_b32 v17, 0 :: v_dual_mov_b32 v18, 0
	s_and_saveexec_b32 s20, s17
	s_cbranch_execnz .LBB141_148
; %bb.39:                               ;   in Loop: Header=BB141_12 Depth=1
	s_or_b32 exec_lo, exec_lo, s20
	s_and_saveexec_b32 s20, s18
	s_cbranch_execnz .LBB141_149
.LBB141_40:                             ;   in Loop: Header=BB141_12 Depth=1
	s_or_b32 exec_lo, exec_lo, s20
	v_mov_b32_e32 v19, 0
	s_and_saveexec_b32 s20, s19
	s_cbranch_execz .LBB141_42
.LBB141_41:                             ;   in Loop: Header=BB141_12 Depth=1
	global_load_b32 v19, v[10:11], off offset:896
.LBB141_42:                             ;   in Loop: Header=BB141_12 Depth=1
	s_or_b32 exec_lo, exec_lo, s20
	s_waitcnt vmcnt(0)
	ds_store_b32 v29, v12
	ds_store_b32 v30, v14 offset:128
	ds_store_b32 v31, v13 offset:256
	;; [unrolled: 1-line block ×7, first 2 shown]
	; wave barrier
	ds_load_2addr_b32 v[16:17], v37 offset1:1
	ds_load_2addr_b32 v[14:15], v37 offset0:2 offset1:3
	ds_load_2addr_b32 v[12:13], v37 offset0:4 offset1:5
	;; [unrolled: 1-line block ×3, first 2 shown]
	s_waitcnt lgkmcnt(3)
	v_add_f32_e32 v63, s64, v16
	s_delay_alu instid0(VALU_DEP_1) | instskip(SKIP_1) | instid1(SALU_CYCLE_1)
	v_cmp_ge_f32_e32 vcc_lo, 0x41a00000, v63
	s_and_b32 s20, s75, vcc_lo
	s_and_saveexec_b32 s21, s20
	s_cbranch_execz .LBB141_44
; %bb.43:                               ;   in Loop: Header=BB141_12 Depth=1
	v_mul_f32_e32 v16, 0x3fb8aa3b, v63
	v_cmp_ngt_f32_e32 vcc_lo, 0xc2ce8ed0, v63
	s_delay_alu instid0(VALU_DEP_2) | instskip(SKIP_1) | instid1(VALU_DEP_1)
	v_rndne_f32_e32 v18, v16
	v_fma_f32 v19, 0x3fb8aa3b, v63, -v16
	v_dual_sub_f32 v16, v16, v18 :: v_dual_fmac_f32 v19, 0x32a5705f, v63
	v_cvt_i32_f32_e32 v18, v18
	s_delay_alu instid0(VALU_DEP_2) | instskip(NEXT) | instid1(VALU_DEP_1)
	v_add_f32_e32 v16, v16, v19
	v_exp_f32_e32 v16, v16
	s_waitcnt_depctr 0xfff
	v_ldexp_f32 v16, v16, v18
	s_delay_alu instid0(VALU_DEP_1) | instskip(SKIP_1) | instid1(VALU_DEP_2)
	v_cndmask_b32_e32 v16, 0, v16, vcc_lo
	v_cmp_nlt_f32_e32 vcc_lo, 0x42b17218, v63
	v_cndmask_b32_e32 v16, 0x7f800000, v16, vcc_lo
	s_delay_alu instid0(VALU_DEP_1) | instskip(NEXT) | instid1(VALU_DEP_1)
	v_add_f32_e32 v63, 1.0, v16
	v_cvt_f64_f32_e32 v[18:19], v63
	s_delay_alu instid0(VALU_DEP_1) | instskip(SKIP_1) | instid1(VALU_DEP_1)
	v_frexp_exp_i32_f64_e32 v18, v[18:19]
	v_frexp_mant_f32_e32 v19, v63
	v_cmp_gt_f32_e32 vcc_lo, 0x3f2aaaab, v19
	v_add_f32_e32 v19, -1.0, v63
	s_delay_alu instid0(VALU_DEP_1) | instskip(SKIP_2) | instid1(VALU_DEP_3)
	v_sub_f32_e32 v65, v19, v63
	v_sub_f32_e32 v19, v16, v19
	v_cmp_gt_f32_e64 s20, 0x33800000, v16
	v_add_f32_e32 v65, 1.0, v65
	s_delay_alu instid0(VALU_DEP_1) | instskip(SKIP_2) | instid1(VALU_DEP_2)
	v_add_f32_e32 v19, v19, v65
	v_subrev_co_ci_u32_e32 v18, vcc_lo, 0, v18, vcc_lo
	v_cmp_eq_f32_e32 vcc_lo, 0x7f800000, v16
	v_sub_nc_u32_e32 v64, 0, v18
	v_cvt_f32_i32_e32 v18, v18
	s_or_b32 vcc_lo, s20, vcc_lo
	s_delay_alu instid0(VALU_DEP_2) | instskip(SKIP_1) | instid1(VALU_DEP_2)
	v_ldexp_f32 v63, v63, v64
	v_ldexp_f32 v19, v19, v64
	v_add_f32_e32 v66, 1.0, v63
	s_delay_alu instid0(VALU_DEP_1) | instskip(NEXT) | instid1(VALU_DEP_1)
	v_dual_add_f32 v64, -1.0, v63 :: v_dual_add_f32 v65, -1.0, v66
	v_add_f32_e32 v67, 1.0, v64
	s_delay_alu instid0(VALU_DEP_2) | instskip(NEXT) | instid1(VALU_DEP_2)
	v_sub_f32_e32 v65, v63, v65
	v_sub_f32_e32 v63, v63, v67
	s_delay_alu instid0(VALU_DEP_2) | instskip(NEXT) | instid1(VALU_DEP_2)
	v_add_f32_e32 v65, v19, v65
	v_add_f32_e32 v19, v19, v63
	s_delay_alu instid0(VALU_DEP_1) | instskip(NEXT) | instid1(VALU_DEP_1)
	v_dual_add_f32 v68, v64, v19 :: v_dual_add_f32 v67, v66, v65
	v_sub_f32_e32 v64, v64, v68
	s_delay_alu instid0(VALU_DEP_2) | instskip(SKIP_1) | instid1(VALU_DEP_1)
	v_rcp_f32_e32 v63, v67
	v_sub_f32_e32 v66, v66, v67
	v_add_f32_e32 v65, v65, v66
	s_waitcnt_depctr 0xfff
	v_mul_f32_e32 v69, v68, v63
	s_delay_alu instid0(VALU_DEP_1) | instskip(NEXT) | instid1(VALU_DEP_1)
	v_mul_f32_e32 v70, v67, v69
	v_fma_f32 v66, v69, v67, -v70
	s_delay_alu instid0(VALU_DEP_1) | instskip(NEXT) | instid1(VALU_DEP_1)
	v_fmac_f32_e32 v66, v69, v65
	v_add_f32_e32 v71, v70, v66
	s_delay_alu instid0(VALU_DEP_1) | instskip(NEXT) | instid1(VALU_DEP_1)
	v_sub_f32_e32 v72, v68, v71
	v_sub_f32_e32 v68, v68, v72
	v_add_f32_e32 v19, v19, v64
	v_sub_f32_e32 v64, v71, v70
	s_delay_alu instid0(VALU_DEP_3) | instskip(NEXT) | instid1(VALU_DEP_1)
	v_sub_f32_e32 v68, v68, v71
	v_dual_sub_f32 v64, v64, v66 :: v_dual_add_f32 v19, v19, v68
	s_delay_alu instid0(VALU_DEP_1) | instskip(NEXT) | instid1(VALU_DEP_1)
	v_add_f32_e32 v19, v64, v19
	v_add_f32_e32 v64, v72, v19
	s_delay_alu instid0(VALU_DEP_1) | instskip(NEXT) | instid1(VALU_DEP_1)
	v_mul_f32_e32 v66, v63, v64
	v_dual_sub_f32 v71, v72, v64 :: v_dual_mul_f32 v68, v67, v66
	s_delay_alu instid0(VALU_DEP_1) | instskip(NEXT) | instid1(VALU_DEP_2)
	v_add_f32_e32 v19, v19, v71
	v_fma_f32 v67, v66, v67, -v68
	s_delay_alu instid0(VALU_DEP_1) | instskip(NEXT) | instid1(VALU_DEP_1)
	v_fmac_f32_e32 v67, v66, v65
	v_add_f32_e32 v65, v68, v67
	s_delay_alu instid0(VALU_DEP_1) | instskip(NEXT) | instid1(VALU_DEP_1)
	v_sub_f32_e32 v70, v64, v65
	v_sub_f32_e32 v64, v64, v70
	s_delay_alu instid0(VALU_DEP_1) | instskip(NEXT) | instid1(VALU_DEP_1)
	v_sub_f32_e32 v64, v64, v65
	v_dual_add_f32 v19, v19, v64 :: v_dual_add_f32 v64, v69, v66
	v_sub_f32_e32 v68, v65, v68
	s_delay_alu instid0(VALU_DEP_1) | instskip(NEXT) | instid1(VALU_DEP_1)
	v_sub_f32_e32 v65, v68, v67
	v_add_f32_e32 v19, v65, v19
	s_delay_alu instid0(VALU_DEP_4) | instskip(NEXT) | instid1(VALU_DEP_2)
	v_sub_f32_e32 v65, v64, v69
	v_add_f32_e32 v19, v70, v19
	s_delay_alu instid0(VALU_DEP_2) | instskip(NEXT) | instid1(VALU_DEP_2)
	v_sub_f32_e32 v65, v66, v65
	v_mul_f32_e32 v19, v63, v19
	s_delay_alu instid0(VALU_DEP_1) | instskip(NEXT) | instid1(VALU_DEP_1)
	v_add_f32_e32 v19, v65, v19
	v_add_f32_e32 v63, v64, v19
	s_delay_alu instid0(VALU_DEP_1) | instskip(NEXT) | instid1(VALU_DEP_1)
	v_mul_f32_e32 v65, v63, v63
	v_fmaak_f32 v66, s31, v65, 0x3ecc95a3
	v_mul_f32_e32 v67, v63, v65
	s_delay_alu instid0(VALU_DEP_2) | instskip(SKIP_2) | instid1(VALU_DEP_3)
	v_fmaak_f32 v65, v65, v66, 0x3f2aaada
	v_ldexp_f32 v66, v63, 1
	v_sub_f32_e32 v63, v63, v64
	v_mul_f32_e32 v65, v67, v65
	v_mul_f32_e32 v67, 0x3f317218, v18
	s_delay_alu instid0(VALU_DEP_2) | instskip(NEXT) | instid1(VALU_DEP_1)
	v_dual_sub_f32 v19, v19, v63 :: v_dual_add_f32 v64, v66, v65
	v_ldexp_f32 v19, v19, 1
	s_delay_alu instid0(VALU_DEP_2) | instskip(NEXT) | instid1(VALU_DEP_4)
	v_sub_f32_e32 v63, v64, v66
	v_fma_f32 v66, 0x3f317218, v18, -v67
	s_delay_alu instid0(VALU_DEP_1) | instskip(NEXT) | instid1(VALU_DEP_1)
	v_dual_sub_f32 v63, v65, v63 :: v_dual_fmac_f32 v66, 0xb102e308, v18
	v_add_f32_e32 v18, v19, v63
	s_delay_alu instid0(VALU_DEP_2) | instskip(NEXT) | instid1(VALU_DEP_2)
	v_add_f32_e32 v19, v67, v66
	v_add_f32_e32 v63, v64, v18
	s_delay_alu instid0(VALU_DEP_2) | instskip(NEXT) | instid1(VALU_DEP_2)
	v_sub_f32_e32 v67, v19, v67
	v_add_f32_e32 v65, v19, v63
	v_sub_f32_e32 v64, v63, v64
	s_delay_alu instid0(VALU_DEP_3) | instskip(NEXT) | instid1(VALU_DEP_3)
	v_sub_f32_e32 v66, v66, v67
	v_sub_f32_e32 v68, v65, v19
	s_delay_alu instid0(VALU_DEP_3) | instskip(NEXT) | instid1(VALU_DEP_2)
	v_sub_f32_e32 v18, v18, v64
	v_sub_f32_e32 v69, v65, v68
	s_delay_alu instid0(VALU_DEP_2) | instskip(NEXT) | instid1(VALU_DEP_2)
	v_dual_sub_f32 v63, v63, v68 :: v_dual_add_f32 v64, v66, v18
	v_sub_f32_e32 v19, v19, v69
	s_delay_alu instid0(VALU_DEP_1) | instskip(NEXT) | instid1(VALU_DEP_3)
	v_add_f32_e32 v19, v63, v19
	v_sub_f32_e32 v63, v64, v66
	s_delay_alu instid0(VALU_DEP_2) | instskip(NEXT) | instid1(VALU_DEP_2)
	v_add_f32_e32 v19, v64, v19
	v_sub_f32_e32 v64, v64, v63
	v_sub_f32_e32 v18, v18, v63
	s_delay_alu instid0(VALU_DEP_2) | instskip(NEXT) | instid1(VALU_DEP_1)
	v_dual_add_f32 v67, v65, v19 :: v_dual_sub_f32 v64, v66, v64
	v_dual_sub_f32 v63, v67, v65 :: v_dual_add_f32 v18, v18, v64
	s_delay_alu instid0(VALU_DEP_1) | instskip(NEXT) | instid1(VALU_DEP_1)
	v_sub_f32_e32 v19, v19, v63
	v_add_f32_e32 v18, v18, v19
	s_delay_alu instid0(VALU_DEP_1) | instskip(NEXT) | instid1(VALU_DEP_1)
	v_add_f32_e32 v18, v67, v18
	v_cndmask_b32_e32 v63, v18, v16, vcc_lo
.LBB141_44:                             ;   in Loop: Header=BB141_12 Depth=1
	s_or_b32 exec_lo, exec_lo, s21
	v_add_f32_e32 v64, s64, v17
	s_delay_alu instid0(VALU_DEP_1) | instskip(SKIP_1) | instid1(SALU_CYCLE_1)
	v_cmp_ge_f32_e32 vcc_lo, 0x41a00000, v64
	s_and_b32 s20, s75, vcc_lo
	s_and_saveexec_b32 s21, s20
	s_cbranch_execz .LBB141_46
; %bb.45:                               ;   in Loop: Header=BB141_12 Depth=1
	v_mul_f32_e32 v16, 0x3fb8aa3b, v64
	v_cmp_ngt_f32_e32 vcc_lo, 0xc2ce8ed0, v64
	s_delay_alu instid0(VALU_DEP_2) | instskip(SKIP_1) | instid1(VALU_DEP_2)
	v_rndne_f32_e32 v17, v16
	v_fma_f32 v18, 0x3fb8aa3b, v64, -v16
	v_sub_f32_e32 v16, v16, v17
	s_delay_alu instid0(VALU_DEP_2) | instskip(SKIP_1) | instid1(VALU_DEP_2)
	v_fmac_f32_e32 v18, 0x32a5705f, v64
	v_cvt_i32_f32_e32 v17, v17
	v_add_f32_e32 v16, v16, v18
	s_delay_alu instid0(VALU_DEP_1) | instskip(SKIP_2) | instid1(VALU_DEP_1)
	v_exp_f32_e32 v16, v16
	s_waitcnt_depctr 0xfff
	v_ldexp_f32 v16, v16, v17
	v_cndmask_b32_e32 v16, 0, v16, vcc_lo
	v_cmp_nlt_f32_e32 vcc_lo, 0x42b17218, v64
	s_delay_alu instid0(VALU_DEP_2) | instskip(NEXT) | instid1(VALU_DEP_1)
	v_cndmask_b32_e32 v18, 0x7f800000, v16, vcc_lo
	v_add_f32_e32 v19, 1.0, v18
	s_delay_alu instid0(VALU_DEP_1) | instskip(NEXT) | instid1(VALU_DEP_1)
	v_cvt_f64_f32_e32 v[16:17], v19
	v_frexp_exp_i32_f64_e32 v16, v[16:17]
	v_frexp_mant_f32_e32 v17, v19
	s_delay_alu instid0(VALU_DEP_1) | instskip(SKIP_1) | instid1(VALU_DEP_1)
	v_cmp_gt_f32_e32 vcc_lo, 0x3f2aaaab, v17
	v_add_f32_e32 v17, -1.0, v19
	v_sub_f32_e32 v65, v17, v19
	v_sub_f32_e32 v17, v18, v17
	s_delay_alu instid0(VALU_DEP_2) | instskip(NEXT) | instid1(VALU_DEP_1)
	v_add_f32_e32 v65, 1.0, v65
	v_add_f32_e32 v17, v17, v65
	v_cmp_gt_f32_e64 s20, 0x33800000, v18
	v_subrev_co_ci_u32_e32 v16, vcc_lo, 0, v16, vcc_lo
	v_cmp_eq_f32_e32 vcc_lo, 0x7f800000, v18
	s_delay_alu instid0(VALU_DEP_2) | instskip(SKIP_2) | instid1(VALU_DEP_2)
	v_sub_nc_u32_e32 v64, 0, v16
	v_cvt_f32_i32_e32 v16, v16
	s_or_b32 vcc_lo, s20, vcc_lo
	v_ldexp_f32 v19, v19, v64
	v_ldexp_f32 v17, v17, v64
	s_delay_alu instid0(VALU_DEP_2) | instskip(NEXT) | instid1(VALU_DEP_1)
	v_add_f32_e32 v66, 1.0, v19
	v_dual_add_f32 v64, -1.0, v19 :: v_dual_add_f32 v65, -1.0, v66
	s_delay_alu instid0(VALU_DEP_1) | instskip(NEXT) | instid1(VALU_DEP_2)
	v_add_f32_e32 v67, 1.0, v64
	v_sub_f32_e32 v65, v19, v65
	s_delay_alu instid0(VALU_DEP_2) | instskip(NEXT) | instid1(VALU_DEP_2)
	v_sub_f32_e32 v19, v19, v67
	v_add_f32_e32 v65, v17, v65
	s_delay_alu instid0(VALU_DEP_2) | instskip(NEXT) | instid1(VALU_DEP_1)
	v_add_f32_e32 v17, v17, v19
	v_add_f32_e32 v68, v64, v17
	s_delay_alu instid0(VALU_DEP_1) | instskip(NEXT) | instid1(VALU_DEP_1)
	v_dual_add_f32 v67, v66, v65 :: v_dual_sub_f32 v64, v64, v68
	v_rcp_f32_e32 v19, v67
	v_sub_f32_e32 v66, v66, v67
	s_delay_alu instid0(VALU_DEP_1) | instskip(SKIP_2) | instid1(VALU_DEP_1)
	v_add_f32_e32 v65, v65, v66
	s_waitcnt_depctr 0xfff
	v_mul_f32_e32 v69, v68, v19
	v_mul_f32_e32 v70, v67, v69
	s_delay_alu instid0(VALU_DEP_1) | instskip(NEXT) | instid1(VALU_DEP_1)
	v_fma_f32 v66, v69, v67, -v70
	v_fmac_f32_e32 v66, v69, v65
	s_delay_alu instid0(VALU_DEP_1) | instskip(NEXT) | instid1(VALU_DEP_1)
	v_add_f32_e32 v71, v70, v66
	v_sub_f32_e32 v72, v68, v71
	s_delay_alu instid0(VALU_DEP_1) | instskip(SKIP_1) | instid1(VALU_DEP_2)
	v_sub_f32_e32 v68, v68, v72
	v_dual_add_f32 v17, v17, v64 :: v_dual_sub_f32 v64, v71, v70
	v_sub_f32_e32 v68, v68, v71
	s_delay_alu instid0(VALU_DEP_1) | instskip(NEXT) | instid1(VALU_DEP_1)
	v_dual_sub_f32 v64, v64, v66 :: v_dual_add_f32 v17, v17, v68
	v_add_f32_e32 v17, v64, v17
	s_delay_alu instid0(VALU_DEP_1) | instskip(NEXT) | instid1(VALU_DEP_1)
	v_add_f32_e32 v64, v72, v17
	v_mul_f32_e32 v66, v19, v64
	s_delay_alu instid0(VALU_DEP_1) | instskip(NEXT) | instid1(VALU_DEP_1)
	v_dual_sub_f32 v71, v72, v64 :: v_dual_mul_f32 v68, v67, v66
	v_add_f32_e32 v17, v17, v71
	s_delay_alu instid0(VALU_DEP_2) | instskip(NEXT) | instid1(VALU_DEP_1)
	v_fma_f32 v67, v66, v67, -v68
	v_fmac_f32_e32 v67, v66, v65
	s_delay_alu instid0(VALU_DEP_1) | instskip(NEXT) | instid1(VALU_DEP_1)
	v_add_f32_e32 v65, v68, v67
	v_sub_f32_e32 v70, v64, v65
	s_delay_alu instid0(VALU_DEP_1) | instskip(NEXT) | instid1(VALU_DEP_1)
	v_sub_f32_e32 v64, v64, v70
	v_sub_f32_e32 v64, v64, v65
	s_delay_alu instid0(VALU_DEP_1) | instskip(SKIP_2) | instid1(VALU_DEP_1)
	v_add_f32_e32 v17, v17, v64
	v_add_f32_e32 v64, v69, v66
	v_sub_f32_e32 v68, v65, v68
	v_sub_f32_e32 v65, v68, v67
	s_delay_alu instid0(VALU_DEP_1) | instskip(NEXT) | instid1(VALU_DEP_4)
	v_add_f32_e32 v17, v65, v17
	v_sub_f32_e32 v65, v64, v69
	s_delay_alu instid0(VALU_DEP_2) | instskip(NEXT) | instid1(VALU_DEP_2)
	v_add_f32_e32 v17, v70, v17
	v_sub_f32_e32 v65, v66, v65
	s_delay_alu instid0(VALU_DEP_2) | instskip(NEXT) | instid1(VALU_DEP_1)
	v_mul_f32_e32 v17, v19, v17
	v_add_f32_e32 v17, v65, v17
	s_delay_alu instid0(VALU_DEP_1) | instskip(NEXT) | instid1(VALU_DEP_1)
	v_add_f32_e32 v19, v64, v17
	v_mul_f32_e32 v65, v19, v19
	s_delay_alu instid0(VALU_DEP_1) | instskip(SKIP_1) | instid1(VALU_DEP_2)
	v_fmaak_f32 v66, s31, v65, 0x3ecc95a3
	v_mul_f32_e32 v67, v19, v65
	v_fmaak_f32 v65, v65, v66, 0x3f2aaada
	v_ldexp_f32 v66, v19, 1
	s_delay_alu instid0(VALU_DEP_2) | instskip(SKIP_1) | instid1(VALU_DEP_2)
	v_mul_f32_e32 v65, v67, v65
	v_sub_f32_e32 v19, v19, v64
	v_dual_mul_f32 v67, 0x3f317218, v16 :: v_dual_add_f32 v64, v66, v65
	s_delay_alu instid0(VALU_DEP_2) | instskip(NEXT) | instid1(VALU_DEP_2)
	v_sub_f32_e32 v17, v17, v19
	v_sub_f32_e32 v19, v64, v66
	s_delay_alu instid0(VALU_DEP_3) | instskip(NEXT) | instid1(VALU_DEP_3)
	v_fma_f32 v66, 0x3f317218, v16, -v67
	v_ldexp_f32 v17, v17, 1
	s_delay_alu instid0(VALU_DEP_2) | instskip(NEXT) | instid1(VALU_DEP_1)
	v_dual_sub_f32 v19, v65, v19 :: v_dual_fmac_f32 v66, 0xb102e308, v16
	v_dual_add_f32 v16, v17, v19 :: v_dual_add_f32 v17, v67, v66
	s_delay_alu instid0(VALU_DEP_1) | instskip(NEXT) | instid1(VALU_DEP_1)
	v_add_f32_e32 v19, v64, v16
	v_dual_add_f32 v65, v17, v19 :: v_dual_sub_f32 v64, v19, v64
	s_delay_alu instid0(VALU_DEP_1) | instskip(NEXT) | instid1(VALU_DEP_2)
	v_sub_f32_e32 v68, v65, v17
	v_dual_sub_f32 v67, v17, v67 :: v_dual_sub_f32 v16, v16, v64
	s_delay_alu instid0(VALU_DEP_1) | instskip(SKIP_1) | instid1(VALU_DEP_2)
	v_dual_sub_f32 v69, v65, v68 :: v_dual_sub_f32 v66, v66, v67
	v_sub_f32_e32 v19, v19, v68
	v_dual_sub_f32 v17, v17, v69 :: v_dual_add_f32 v64, v66, v16
	s_delay_alu instid0(VALU_DEP_1) | instskip(NEXT) | instid1(VALU_DEP_2)
	v_add_f32_e32 v17, v19, v17
	v_sub_f32_e32 v19, v64, v66
	s_delay_alu instid0(VALU_DEP_2) | instskip(NEXT) | instid1(VALU_DEP_2)
	v_add_f32_e32 v17, v64, v17
	v_sub_f32_e32 v64, v64, v19
	s_delay_alu instid0(VALU_DEP_2) | instskip(NEXT) | instid1(VALU_DEP_1)
	v_dual_sub_f32 v16, v16, v19 :: v_dual_add_f32 v67, v65, v17
	v_dual_sub_f32 v64, v66, v64 :: v_dual_sub_f32 v19, v67, v65
	s_delay_alu instid0(VALU_DEP_1) | instskip(NEXT) | instid1(VALU_DEP_1)
	v_dual_add_f32 v16, v16, v64 :: v_dual_sub_f32 v17, v17, v19
	v_add_f32_e32 v16, v16, v17
	s_delay_alu instid0(VALU_DEP_1) | instskip(NEXT) | instid1(VALU_DEP_1)
	v_add_f32_e32 v16, v67, v16
	v_cndmask_b32_e32 v64, v16, v18, vcc_lo
.LBB141_46:                             ;   in Loop: Header=BB141_12 Depth=1
	s_or_b32 exec_lo, exec_lo, s21
	s_waitcnt lgkmcnt(2)
	v_add_f32_e32 v65, s64, v14
	s_delay_alu instid0(VALU_DEP_1) | instskip(SKIP_1) | instid1(SALU_CYCLE_1)
	v_cmp_ge_f32_e32 vcc_lo, 0x41a00000, v65
	s_and_b32 s20, s75, vcc_lo
	s_and_saveexec_b32 s21, s20
	s_cbranch_execz .LBB141_48
; %bb.47:                               ;   in Loop: Header=BB141_12 Depth=1
	v_mul_f32_e32 v14, 0x3fb8aa3b, v65
	v_cmp_ngt_f32_e32 vcc_lo, 0xc2ce8ed0, v65
	s_delay_alu instid0(VALU_DEP_2) | instskip(SKIP_1) | instid1(VALU_DEP_1)
	v_rndne_f32_e32 v16, v14
	v_fma_f32 v17, 0x3fb8aa3b, v65, -v14
	v_dual_sub_f32 v14, v14, v16 :: v_dual_fmac_f32 v17, 0x32a5705f, v65
	v_cvt_i32_f32_e32 v16, v16
	s_delay_alu instid0(VALU_DEP_2) | instskip(NEXT) | instid1(VALU_DEP_1)
	v_add_f32_e32 v14, v14, v17
	v_exp_f32_e32 v14, v14
	s_waitcnt_depctr 0xfff
	v_ldexp_f32 v14, v14, v16
	s_delay_alu instid0(VALU_DEP_1) | instskip(SKIP_1) | instid1(VALU_DEP_2)
	v_cndmask_b32_e32 v14, 0, v14, vcc_lo
	v_cmp_nlt_f32_e32 vcc_lo, 0x42b17218, v65
	v_cndmask_b32_e32 v14, 0x7f800000, v14, vcc_lo
	s_delay_alu instid0(VALU_DEP_1) | instskip(NEXT) | instid1(VALU_DEP_1)
	v_add_f32_e32 v18, 1.0, v14
	v_cvt_f64_f32_e32 v[16:17], v18
	s_delay_alu instid0(VALU_DEP_1) | instskip(SKIP_1) | instid1(VALU_DEP_1)
	v_frexp_exp_i32_f64_e32 v16, v[16:17]
	v_frexp_mant_f32_e32 v17, v18
	v_cmp_gt_f32_e32 vcc_lo, 0x3f2aaaab, v17
	v_add_f32_e32 v17, -1.0, v18
	s_delay_alu instid0(VALU_DEP_1) | instskip(SKIP_1) | instid1(VALU_DEP_2)
	v_sub_f32_e32 v65, v17, v18
	v_sub_f32_e32 v17, v14, v17
	v_add_f32_e32 v65, 1.0, v65
	s_delay_alu instid0(VALU_DEP_1) | instskip(SKIP_3) | instid1(VALU_DEP_2)
	v_add_f32_e32 v17, v17, v65
	v_cmp_gt_f32_e64 s20, 0x33800000, v14
	v_subrev_co_ci_u32_e32 v16, vcc_lo, 0, v16, vcc_lo
	v_cmp_eq_f32_e32 vcc_lo, 0x7f800000, v14
	v_sub_nc_u32_e32 v19, 0, v16
	v_cvt_f32_i32_e32 v16, v16
	s_or_b32 vcc_lo, s20, vcc_lo
	s_delay_alu instid0(VALU_DEP_2) | instskip(SKIP_1) | instid1(VALU_DEP_2)
	v_ldexp_f32 v18, v18, v19
	v_ldexp_f32 v17, v17, v19
	v_add_f32_e32 v66, 1.0, v18
	v_add_f32_e32 v19, -1.0, v18
	s_delay_alu instid0(VALU_DEP_1) | instskip(NEXT) | instid1(VALU_DEP_3)
	v_add_f32_e32 v67, 1.0, v19
	v_add_f32_e32 v65, -1.0, v66
	s_delay_alu instid0(VALU_DEP_1) | instskip(NEXT) | instid1(VALU_DEP_1)
	v_sub_f32_e32 v65, v18, v65
	v_dual_sub_f32 v18, v18, v67 :: v_dual_add_f32 v65, v17, v65
	s_delay_alu instid0(VALU_DEP_1) | instskip(NEXT) | instid1(VALU_DEP_2)
	v_add_f32_e32 v67, v66, v65
	v_add_f32_e32 v17, v17, v18
	s_delay_alu instid0(VALU_DEP_2) | instskip(SKIP_1) | instid1(VALU_DEP_1)
	v_rcp_f32_e32 v18, v67
	v_sub_f32_e32 v66, v66, v67
	v_dual_add_f32 v68, v19, v17 :: v_dual_add_f32 v65, v65, v66
	s_delay_alu instid0(VALU_DEP_1) | instskip(SKIP_2) | instid1(VALU_DEP_1)
	v_sub_f32_e32 v19, v19, v68
	s_waitcnt_depctr 0xfff
	v_mul_f32_e32 v69, v68, v18
	v_mul_f32_e32 v70, v67, v69
	s_delay_alu instid0(VALU_DEP_1) | instskip(NEXT) | instid1(VALU_DEP_1)
	v_fma_f32 v66, v69, v67, -v70
	v_fmac_f32_e32 v66, v69, v65
	s_delay_alu instid0(VALU_DEP_1) | instskip(NEXT) | instid1(VALU_DEP_1)
	v_add_f32_e32 v71, v70, v66
	v_sub_f32_e32 v72, v68, v71
	s_delay_alu instid0(VALU_DEP_1) | instskip(NEXT) | instid1(VALU_DEP_1)
	v_dual_sub_f32 v68, v68, v72 :: v_dual_add_f32 v17, v17, v19
	v_dual_sub_f32 v19, v71, v70 :: v_dual_sub_f32 v68, v68, v71
	s_delay_alu instid0(VALU_DEP_1) | instskip(NEXT) | instid1(VALU_DEP_2)
	v_sub_f32_e32 v19, v19, v66
	v_add_f32_e32 v17, v17, v68
	s_delay_alu instid0(VALU_DEP_1) | instskip(NEXT) | instid1(VALU_DEP_1)
	v_add_f32_e32 v17, v19, v17
	v_add_f32_e32 v19, v72, v17
	s_delay_alu instid0(VALU_DEP_1) | instskip(NEXT) | instid1(VALU_DEP_1)
	v_mul_f32_e32 v66, v18, v19
	v_dual_sub_f32 v71, v72, v19 :: v_dual_mul_f32 v68, v67, v66
	s_delay_alu instid0(VALU_DEP_1) | instskip(NEXT) | instid1(VALU_DEP_2)
	v_add_f32_e32 v17, v17, v71
	v_fma_f32 v67, v66, v67, -v68
	s_delay_alu instid0(VALU_DEP_1) | instskip(NEXT) | instid1(VALU_DEP_1)
	v_fmac_f32_e32 v67, v66, v65
	v_add_f32_e32 v65, v68, v67
	s_delay_alu instid0(VALU_DEP_1) | instskip(NEXT) | instid1(VALU_DEP_1)
	v_sub_f32_e32 v70, v19, v65
	v_dual_sub_f32 v68, v65, v68 :: v_dual_sub_f32 v19, v19, v70
	s_delay_alu instid0(VALU_DEP_1) | instskip(NEXT) | instid1(VALU_DEP_2)
	v_sub_f32_e32 v19, v19, v65
	v_sub_f32_e32 v65, v68, v67
	s_delay_alu instid0(VALU_DEP_2) | instskip(SKIP_1) | instid1(VALU_DEP_2)
	v_add_f32_e32 v17, v17, v19
	v_add_f32_e32 v19, v69, v66
	;; [unrolled: 1-line block ×3, first 2 shown]
	s_delay_alu instid0(VALU_DEP_2) | instskip(NEXT) | instid1(VALU_DEP_2)
	v_sub_f32_e32 v65, v19, v69
	v_add_f32_e32 v17, v70, v17
	s_delay_alu instid0(VALU_DEP_2) | instskip(NEXT) | instid1(VALU_DEP_2)
	v_sub_f32_e32 v65, v66, v65
	v_mul_f32_e32 v17, v18, v17
	s_delay_alu instid0(VALU_DEP_1) | instskip(NEXT) | instid1(VALU_DEP_1)
	v_add_f32_e32 v17, v65, v17
	v_add_f32_e32 v18, v19, v17
	s_delay_alu instid0(VALU_DEP_1) | instskip(NEXT) | instid1(VALU_DEP_1)
	v_mul_f32_e32 v65, v18, v18
	v_fmaak_f32 v66, s31, v65, 0x3ecc95a3
	v_mul_f32_e32 v67, v18, v65
	s_delay_alu instid0(VALU_DEP_2) | instskip(SKIP_1) | instid1(VALU_DEP_2)
	v_fmaak_f32 v65, v65, v66, 0x3f2aaada
	v_ldexp_f32 v66, v18, 1
	v_dual_sub_f32 v18, v18, v19 :: v_dual_mul_f32 v65, v67, v65
	v_mul_f32_e32 v67, 0x3f317218, v16
	s_delay_alu instid0(VALU_DEP_2) | instskip(NEXT) | instid1(VALU_DEP_3)
	v_sub_f32_e32 v17, v17, v18
	v_add_f32_e32 v19, v66, v65
	s_delay_alu instid0(VALU_DEP_2) | instskip(NEXT) | instid1(VALU_DEP_2)
	v_ldexp_f32 v17, v17, 1
	v_sub_f32_e32 v18, v19, v66
	v_fma_f32 v66, 0x3f317218, v16, -v67
	s_delay_alu instid0(VALU_DEP_2) | instskip(NEXT) | instid1(VALU_DEP_2)
	v_sub_f32_e32 v18, v65, v18
	v_fmac_f32_e32 v66, 0xb102e308, v16
	s_delay_alu instid0(VALU_DEP_2) | instskip(NEXT) | instid1(VALU_DEP_2)
	v_add_f32_e32 v16, v17, v18
	v_add_f32_e32 v17, v67, v66
	s_delay_alu instid0(VALU_DEP_1) | instskip(NEXT) | instid1(VALU_DEP_1)
	v_dual_add_f32 v18, v19, v16 :: v_dual_sub_f32 v67, v17, v67
	v_add_f32_e32 v65, v17, v18
	v_sub_f32_e32 v19, v18, v19
	s_delay_alu instid0(VALU_DEP_3) | instskip(NEXT) | instid1(VALU_DEP_3)
	v_sub_f32_e32 v66, v66, v67
	v_sub_f32_e32 v68, v65, v17
	s_delay_alu instid0(VALU_DEP_1) | instskip(SKIP_1) | instid1(VALU_DEP_2)
	v_dual_sub_f32 v16, v16, v19 :: v_dual_sub_f32 v69, v65, v68
	v_sub_f32_e32 v18, v18, v68
	v_add_f32_e32 v19, v66, v16
	s_delay_alu instid0(VALU_DEP_3) | instskip(NEXT) | instid1(VALU_DEP_1)
	v_sub_f32_e32 v17, v17, v69
	v_dual_add_f32 v17, v18, v17 :: v_dual_sub_f32 v18, v19, v66
	s_delay_alu instid0(VALU_DEP_1) | instskip(NEXT) | instid1(VALU_DEP_2)
	v_add_f32_e32 v17, v19, v17
	v_sub_f32_e32 v19, v19, v18
	s_delay_alu instid0(VALU_DEP_2) | instskip(NEXT) | instid1(VALU_DEP_1)
	v_dual_sub_f32 v16, v16, v18 :: v_dual_add_f32 v67, v65, v17
	v_dual_sub_f32 v19, v66, v19 :: v_dual_sub_f32 v18, v67, v65
	s_delay_alu instid0(VALU_DEP_1) | instskip(NEXT) | instid1(VALU_DEP_1)
	v_dual_add_f32 v16, v16, v19 :: v_dual_sub_f32 v17, v17, v18
	v_add_f32_e32 v16, v16, v17
	s_delay_alu instid0(VALU_DEP_1) | instskip(NEXT) | instid1(VALU_DEP_1)
	v_add_f32_e32 v16, v67, v16
	v_cndmask_b32_e32 v65, v16, v14, vcc_lo
.LBB141_48:                             ;   in Loop: Header=BB141_12 Depth=1
	s_or_b32 exec_lo, exec_lo, s21
	v_add_f32_e32 v66, s64, v15
	s_delay_alu instid0(VALU_DEP_1) | instskip(SKIP_1) | instid1(SALU_CYCLE_1)
	v_cmp_ge_f32_e32 vcc_lo, 0x41a00000, v66
	s_and_b32 s20, s75, vcc_lo
	s_and_saveexec_b32 s21, s20
	s_cbranch_execz .LBB141_50
; %bb.49:                               ;   in Loop: Header=BB141_12 Depth=1
	v_mul_f32_e32 v14, 0x3fb8aa3b, v66
	v_cmp_ngt_f32_e32 vcc_lo, 0xc2ce8ed0, v66
	s_delay_alu instid0(VALU_DEP_2) | instskip(SKIP_1) | instid1(VALU_DEP_2)
	v_rndne_f32_e32 v15, v14
	v_fma_f32 v16, 0x3fb8aa3b, v66, -v14
	v_sub_f32_e32 v14, v14, v15
	s_delay_alu instid0(VALU_DEP_2) | instskip(SKIP_1) | instid1(VALU_DEP_2)
	v_fmac_f32_e32 v16, 0x32a5705f, v66
	v_cvt_i32_f32_e32 v15, v15
	v_add_f32_e32 v14, v14, v16
	s_delay_alu instid0(VALU_DEP_1) | instskip(SKIP_2) | instid1(VALU_DEP_1)
	v_exp_f32_e32 v14, v14
	s_waitcnt_depctr 0xfff
	v_ldexp_f32 v14, v14, v15
	v_cndmask_b32_e32 v14, 0, v14, vcc_lo
	v_cmp_nlt_f32_e32 vcc_lo, 0x42b17218, v66
	s_delay_alu instid0(VALU_DEP_2) | instskip(NEXT) | instid1(VALU_DEP_1)
	v_cndmask_b32_e32 v16, 0x7f800000, v14, vcc_lo
	v_add_f32_e32 v17, 1.0, v16
	s_delay_alu instid0(VALU_DEP_1) | instskip(NEXT) | instid1(VALU_DEP_1)
	v_cvt_f64_f32_e32 v[14:15], v17
	v_frexp_exp_i32_f64_e32 v14, v[14:15]
	v_frexp_mant_f32_e32 v15, v17
	s_delay_alu instid0(VALU_DEP_1) | instskip(SKIP_1) | instid1(VALU_DEP_1)
	v_cmp_gt_f32_e32 vcc_lo, 0x3f2aaaab, v15
	v_add_f32_e32 v15, -1.0, v17
	v_sub_f32_e32 v19, v15, v17
	v_sub_f32_e32 v15, v16, v15
	s_delay_alu instid0(VALU_DEP_2) | instskip(NEXT) | instid1(VALU_DEP_1)
	v_add_f32_e32 v19, 1.0, v19
	v_add_f32_e32 v15, v15, v19
	v_cmp_gt_f32_e64 s20, 0x33800000, v16
	v_subrev_co_ci_u32_e32 v14, vcc_lo, 0, v14, vcc_lo
	v_cmp_eq_f32_e32 vcc_lo, 0x7f800000, v16
	s_delay_alu instid0(VALU_DEP_2) | instskip(SKIP_2) | instid1(VALU_DEP_2)
	v_sub_nc_u32_e32 v18, 0, v14
	v_cvt_f32_i32_e32 v14, v14
	s_or_b32 vcc_lo, s20, vcc_lo
	v_ldexp_f32 v17, v17, v18
	v_ldexp_f32 v15, v15, v18
	s_delay_alu instid0(VALU_DEP_2) | instskip(NEXT) | instid1(VALU_DEP_1)
	v_add_f32_e32 v66, 1.0, v17
	v_dual_add_f32 v18, -1.0, v17 :: v_dual_add_f32 v19, -1.0, v66
	s_delay_alu instid0(VALU_DEP_1) | instskip(NEXT) | instid1(VALU_DEP_2)
	v_add_f32_e32 v67, 1.0, v18
	v_sub_f32_e32 v19, v17, v19
	s_delay_alu instid0(VALU_DEP_2) | instskip(NEXT) | instid1(VALU_DEP_2)
	v_sub_f32_e32 v17, v17, v67
	v_add_f32_e32 v19, v15, v19
	s_delay_alu instid0(VALU_DEP_2) | instskip(NEXT) | instid1(VALU_DEP_1)
	v_add_f32_e32 v15, v15, v17
	v_add_f32_e32 v68, v18, v15
	s_delay_alu instid0(VALU_DEP_1) | instskip(NEXT) | instid1(VALU_DEP_4)
	v_sub_f32_e32 v18, v18, v68
	v_add_f32_e32 v67, v66, v19
	s_delay_alu instid0(VALU_DEP_1) | instskip(NEXT) | instid1(VALU_DEP_2)
	v_rcp_f32_e32 v17, v67
	v_dual_sub_f32 v66, v66, v67 :: v_dual_add_f32 v15, v15, v18
	s_delay_alu instid0(VALU_DEP_1) | instskip(SKIP_2) | instid1(VALU_DEP_1)
	v_add_f32_e32 v19, v19, v66
	s_waitcnt_depctr 0xfff
	v_mul_f32_e32 v69, v68, v17
	v_mul_f32_e32 v70, v67, v69
	s_delay_alu instid0(VALU_DEP_1) | instskip(NEXT) | instid1(VALU_DEP_1)
	v_fma_f32 v66, v69, v67, -v70
	v_fmac_f32_e32 v66, v69, v19
	s_delay_alu instid0(VALU_DEP_1) | instskip(NEXT) | instid1(VALU_DEP_1)
	v_add_f32_e32 v71, v70, v66
	v_sub_f32_e32 v72, v68, v71
	v_sub_f32_e32 v18, v71, v70
	s_delay_alu instid0(VALU_DEP_2) | instskip(NEXT) | instid1(VALU_DEP_1)
	v_sub_f32_e32 v68, v68, v72
	v_sub_f32_e32 v68, v68, v71
	s_delay_alu instid0(VALU_DEP_1) | instskip(NEXT) | instid1(VALU_DEP_1)
	v_dual_sub_f32 v18, v18, v66 :: v_dual_add_f32 v15, v15, v68
	v_add_f32_e32 v15, v18, v15
	s_delay_alu instid0(VALU_DEP_1) | instskip(NEXT) | instid1(VALU_DEP_1)
	v_add_f32_e32 v18, v72, v15
	v_mul_f32_e32 v66, v17, v18
	v_sub_f32_e32 v71, v72, v18
	s_delay_alu instid0(VALU_DEP_2) | instskip(NEXT) | instid1(VALU_DEP_2)
	v_mul_f32_e32 v68, v67, v66
	v_add_f32_e32 v15, v15, v71
	s_delay_alu instid0(VALU_DEP_2) | instskip(NEXT) | instid1(VALU_DEP_1)
	v_fma_f32 v67, v66, v67, -v68
	v_fmac_f32_e32 v67, v66, v19
	s_delay_alu instid0(VALU_DEP_1) | instskip(NEXT) | instid1(VALU_DEP_1)
	v_add_f32_e32 v19, v68, v67
	v_sub_f32_e32 v70, v18, v19
	s_delay_alu instid0(VALU_DEP_1) | instskip(NEXT) | instid1(VALU_DEP_1)
	v_sub_f32_e32 v18, v18, v70
	v_sub_f32_e32 v18, v18, v19
	s_delay_alu instid0(VALU_DEP_1) | instskip(SKIP_2) | instid1(VALU_DEP_1)
	v_add_f32_e32 v15, v15, v18
	v_add_f32_e32 v18, v69, v66
	v_sub_f32_e32 v68, v19, v68
	v_sub_f32_e32 v19, v68, v67
	s_delay_alu instid0(VALU_DEP_1) | instskip(NEXT) | instid1(VALU_DEP_4)
	v_add_f32_e32 v15, v19, v15
	v_sub_f32_e32 v19, v18, v69
	s_delay_alu instid0(VALU_DEP_2) | instskip(NEXT) | instid1(VALU_DEP_2)
	v_add_f32_e32 v15, v70, v15
	v_sub_f32_e32 v19, v66, v19
	s_delay_alu instid0(VALU_DEP_2) | instskip(NEXT) | instid1(VALU_DEP_1)
	v_mul_f32_e32 v15, v17, v15
	v_add_f32_e32 v15, v19, v15
	s_delay_alu instid0(VALU_DEP_1) | instskip(NEXT) | instid1(VALU_DEP_1)
	v_add_f32_e32 v17, v18, v15
	v_mul_f32_e32 v19, v17, v17
	s_delay_alu instid0(VALU_DEP_1) | instskip(SKIP_1) | instid1(VALU_DEP_2)
	v_fmaak_f32 v66, s31, v19, 0x3ecc95a3
	v_mul_f32_e32 v67, v17, v19
	v_fmaak_f32 v19, v19, v66, 0x3f2aaada
	v_ldexp_f32 v66, v17, 1
	v_sub_f32_e32 v17, v17, v18
	s_delay_alu instid0(VALU_DEP_3) | instskip(SKIP_1) | instid1(VALU_DEP_2)
	v_mul_f32_e32 v19, v67, v19
	v_mul_f32_e32 v67, 0x3f317218, v14
	v_dual_sub_f32 v15, v15, v17 :: v_dual_add_f32 v18, v66, v19
	s_delay_alu instid0(VALU_DEP_1) | instskip(NEXT) | instid1(VALU_DEP_2)
	v_ldexp_f32 v15, v15, 1
	v_sub_f32_e32 v17, v18, v66
	s_delay_alu instid0(VALU_DEP_4) | instskip(NEXT) | instid1(VALU_DEP_1)
	v_fma_f32 v66, 0x3f317218, v14, -v67
	v_dual_sub_f32 v17, v19, v17 :: v_dual_fmac_f32 v66, 0xb102e308, v14
	s_delay_alu instid0(VALU_DEP_1) | instskip(NEXT) | instid1(VALU_DEP_1)
	v_add_f32_e32 v14, v15, v17
	v_add_f32_e32 v17, v18, v14
	s_delay_alu instid0(VALU_DEP_1) | instskip(NEXT) | instid1(VALU_DEP_1)
	v_sub_f32_e32 v18, v17, v18
	v_sub_f32_e32 v14, v14, v18
	v_add_f32_e32 v15, v67, v66
	s_delay_alu instid0(VALU_DEP_1) | instskip(SKIP_1) | instid1(VALU_DEP_2)
	v_add_f32_e32 v19, v15, v17
	v_sub_f32_e32 v67, v15, v67
	v_sub_f32_e32 v68, v19, v15
	s_delay_alu instid0(VALU_DEP_1) | instskip(NEXT) | instid1(VALU_DEP_1)
	v_dual_sub_f32 v66, v66, v67 :: v_dual_sub_f32 v69, v19, v68
	v_dual_sub_f32 v17, v17, v68 :: v_dual_add_f32 v18, v66, v14
	s_delay_alu instid0(VALU_DEP_2) | instskip(NEXT) | instid1(VALU_DEP_1)
	v_sub_f32_e32 v15, v15, v69
	v_add_f32_e32 v15, v17, v15
	s_delay_alu instid0(VALU_DEP_3) | instskip(NEXT) | instid1(VALU_DEP_2)
	v_sub_f32_e32 v17, v18, v66
	v_add_f32_e32 v15, v18, v15
	s_delay_alu instid0(VALU_DEP_2) | instskip(NEXT) | instid1(VALU_DEP_2)
	v_sub_f32_e32 v18, v18, v17
	v_dual_sub_f32 v14, v14, v17 :: v_dual_add_f32 v67, v19, v15
	s_delay_alu instid0(VALU_DEP_1) | instskip(NEXT) | instid1(VALU_DEP_1)
	v_dual_sub_f32 v18, v66, v18 :: v_dual_sub_f32 v17, v67, v19
	v_dual_add_f32 v14, v14, v18 :: v_dual_sub_f32 v15, v15, v17
	s_delay_alu instid0(VALU_DEP_1) | instskip(NEXT) | instid1(VALU_DEP_1)
	v_add_f32_e32 v14, v14, v15
	v_add_f32_e32 v14, v67, v14
	s_delay_alu instid0(VALU_DEP_1)
	v_cndmask_b32_e32 v66, v14, v16, vcc_lo
.LBB141_50:                             ;   in Loop: Header=BB141_12 Depth=1
	s_or_b32 exec_lo, exec_lo, s21
	s_waitcnt lgkmcnt(1)
	v_add_f32_e32 v72, s64, v12
	s_delay_alu instid0(VALU_DEP_1) | instskip(SKIP_1) | instid1(SALU_CYCLE_1)
	v_cmp_ge_f32_e32 vcc_lo, 0x41a00000, v72
	s_and_b32 s20, s75, vcc_lo
	s_and_saveexec_b32 s21, s20
	s_cbranch_execz .LBB141_52
; %bb.51:                               ;   in Loop: Header=BB141_12 Depth=1
	v_mul_f32_e32 v12, 0x3fb8aa3b, v72
	v_cmp_ngt_f32_e32 vcc_lo, 0xc2ce8ed0, v72
	s_delay_alu instid0(VALU_DEP_2) | instskip(SKIP_1) | instid1(VALU_DEP_1)
	v_rndne_f32_e32 v14, v12
	v_fma_f32 v15, 0x3fb8aa3b, v72, -v12
	v_dual_sub_f32 v12, v12, v14 :: v_dual_fmac_f32 v15, 0x32a5705f, v72
	v_cvt_i32_f32_e32 v14, v14
	s_delay_alu instid0(VALU_DEP_2) | instskip(NEXT) | instid1(VALU_DEP_1)
	v_add_f32_e32 v12, v12, v15
	v_exp_f32_e32 v12, v12
	s_waitcnt_depctr 0xfff
	v_ldexp_f32 v12, v12, v14
	s_delay_alu instid0(VALU_DEP_1) | instskip(SKIP_1) | instid1(VALU_DEP_2)
	v_cndmask_b32_e32 v12, 0, v12, vcc_lo
	v_cmp_nlt_f32_e32 vcc_lo, 0x42b17218, v72
	v_cndmask_b32_e32 v12, 0x7f800000, v12, vcc_lo
	s_delay_alu instid0(VALU_DEP_1) | instskip(NEXT) | instid1(VALU_DEP_1)
	v_add_f32_e32 v16, 1.0, v12
	v_cvt_f64_f32_e32 v[14:15], v16
	s_delay_alu instid0(VALU_DEP_1) | instskip(SKIP_1) | instid1(VALU_DEP_1)
	v_frexp_exp_i32_f64_e32 v14, v[14:15]
	v_frexp_mant_f32_e32 v15, v16
	v_cmp_gt_f32_e32 vcc_lo, 0x3f2aaaab, v15
	v_add_f32_e32 v15, -1.0, v16
	s_delay_alu instid0(VALU_DEP_1) | instskip(SKIP_1) | instid1(VALU_DEP_1)
	v_dual_sub_f32 v18, v15, v16 :: v_dual_sub_f32 v15, v12, v15
	v_subrev_co_ci_u32_e32 v14, vcc_lo, 0, v14, vcc_lo
	v_sub_nc_u32_e32 v17, 0, v14
	v_cvt_f32_i32_e32 v14, v14
	s_delay_alu instid0(VALU_DEP_2) | instskip(NEXT) | instid1(VALU_DEP_1)
	v_ldexp_f32 v16, v16, v17
	v_dual_add_f32 v18, 1.0, v18 :: v_dual_add_f32 v19, 1.0, v16
	s_delay_alu instid0(VALU_DEP_1) | instskip(NEXT) | instid1(VALU_DEP_1)
	v_dual_add_f32 v15, v15, v18 :: v_dual_add_f32 v18, -1.0, v19
	v_ldexp_f32 v15, v15, v17
	s_delay_alu instid0(VALU_DEP_2) | instskip(NEXT) | instid1(VALU_DEP_1)
	v_dual_add_f32 v17, -1.0, v16 :: v_dual_sub_f32 v18, v16, v18
	v_dual_add_f32 v67, 1.0, v17 :: v_dual_add_f32 v18, v15, v18
	s_delay_alu instid0(VALU_DEP_1) | instskip(SKIP_1) | instid1(VALU_DEP_2)
	v_dual_sub_f32 v16, v16, v67 :: v_dual_add_f32 v67, v19, v18
	v_cmp_eq_f32_e32 vcc_lo, 0x7f800000, v12
	v_add_f32_e32 v15, v15, v16
	v_cmp_gt_f32_e64 s20, 0x33800000, v12
	s_delay_alu instid0(VALU_DEP_4) | instskip(NEXT) | instid1(VALU_DEP_2)
	v_rcp_f32_e32 v16, v67
	v_add_f32_e32 v68, v17, v15
	s_delay_alu instid0(VALU_DEP_2) | instskip(NEXT) | instid1(VALU_DEP_1)
	s_or_b32 vcc_lo, s20, vcc_lo
	v_sub_f32_e32 v17, v17, v68
	s_delay_alu instid0(VALU_DEP_1) | instskip(SKIP_3) | instid1(VALU_DEP_2)
	v_add_f32_e32 v15, v15, v17
	s_waitcnt_depctr 0xfff
	v_mul_f32_e32 v69, v68, v16
	v_sub_f32_e32 v19, v19, v67
	v_mul_f32_e32 v70, v67, v69
	s_delay_alu instid0(VALU_DEP_2) | instskip(NEXT) | instid1(VALU_DEP_2)
	v_add_f32_e32 v18, v18, v19
	v_fma_f32 v19, v69, v67, -v70
	s_delay_alu instid0(VALU_DEP_1) | instskip(NEXT) | instid1(VALU_DEP_1)
	v_fmac_f32_e32 v19, v69, v18
	v_add_f32_e32 v71, v70, v19
	s_delay_alu instid0(VALU_DEP_1) | instskip(NEXT) | instid1(VALU_DEP_1)
	v_dual_sub_f32 v17, v71, v70 :: v_dual_sub_f32 v72, v68, v71
	v_dual_sub_f32 v17, v17, v19 :: v_dual_sub_f32 v68, v68, v72
	s_delay_alu instid0(VALU_DEP_1) | instskip(NEXT) | instid1(VALU_DEP_1)
	v_sub_f32_e32 v68, v68, v71
	v_add_f32_e32 v15, v15, v68
	s_delay_alu instid0(VALU_DEP_1) | instskip(NEXT) | instid1(VALU_DEP_1)
	v_add_f32_e32 v15, v17, v15
	v_add_f32_e32 v17, v72, v15
	s_delay_alu instid0(VALU_DEP_1) | instskip(NEXT) | instid1(VALU_DEP_1)
	v_mul_f32_e32 v19, v16, v17
	v_dual_sub_f32 v71, v72, v17 :: v_dual_mul_f32 v68, v67, v19
	s_delay_alu instid0(VALU_DEP_1) | instskip(NEXT) | instid1(VALU_DEP_1)
	v_fma_f32 v67, v19, v67, -v68
	v_fmac_f32_e32 v67, v19, v18
	s_delay_alu instid0(VALU_DEP_1) | instskip(NEXT) | instid1(VALU_DEP_1)
	v_add_f32_e32 v18, v68, v67
	v_sub_f32_e32 v70, v17, v18
	s_delay_alu instid0(VALU_DEP_1) | instskip(SKIP_1) | instid1(VALU_DEP_2)
	v_dual_sub_f32 v17, v17, v70 :: v_dual_sub_f32 v68, v18, v68
	v_add_f32_e32 v15, v15, v71
	v_dual_sub_f32 v17, v17, v18 :: v_dual_sub_f32 v18, v68, v67
	s_delay_alu instid0(VALU_DEP_1) | instskip(SKIP_1) | instid1(VALU_DEP_1)
	v_add_f32_e32 v15, v15, v17
	v_add_f32_e32 v17, v69, v19
	v_dual_add_f32 v15, v18, v15 :: v_dual_sub_f32 v18, v17, v69
	s_delay_alu instid0(VALU_DEP_1) | instskip(NEXT) | instid1(VALU_DEP_1)
	v_dual_add_f32 v15, v70, v15 :: v_dual_sub_f32 v18, v19, v18
	v_mul_f32_e32 v15, v16, v15
	s_delay_alu instid0(VALU_DEP_1) | instskip(NEXT) | instid1(VALU_DEP_1)
	v_add_f32_e32 v15, v18, v15
	v_add_f32_e32 v16, v17, v15
	s_delay_alu instid0(VALU_DEP_1) | instskip(NEXT) | instid1(VALU_DEP_1)
	v_mul_f32_e32 v18, v16, v16
	v_fmaak_f32 v19, s31, v18, 0x3ecc95a3
	s_delay_alu instid0(VALU_DEP_1) | instskip(SKIP_1) | instid1(VALU_DEP_2)
	v_dual_mul_f32 v67, v16, v18 :: v_dual_fmaak_f32 v18, v18, v19, 0x3f2aaada
	v_ldexp_f32 v19, v16, 1
	v_mul_f32_e32 v18, v67, v18
	s_delay_alu instid0(VALU_DEP_1) | instskip(NEXT) | instid1(VALU_DEP_1)
	v_dual_sub_f32 v16, v16, v17 :: v_dual_add_f32 v17, v19, v18
	v_dual_sub_f32 v15, v15, v16 :: v_dual_sub_f32 v16, v17, v19
	s_delay_alu instid0(VALU_DEP_1) | instskip(NEXT) | instid1(VALU_DEP_2)
	v_ldexp_f32 v15, v15, 1
	v_dual_sub_f32 v16, v18, v16 :: v_dual_mul_f32 v67, 0x3f317218, v14
	s_delay_alu instid0(VALU_DEP_1) | instskip(NEXT) | instid1(VALU_DEP_1)
	v_fma_f32 v19, 0x3f317218, v14, -v67
	v_dual_fmac_f32 v19, 0xb102e308, v14 :: v_dual_add_f32 v14, v15, v16
	s_delay_alu instid0(VALU_DEP_1) | instskip(NEXT) | instid1(VALU_DEP_1)
	v_dual_add_f32 v15, v67, v19 :: v_dual_add_f32 v16, v17, v14
	v_sub_f32_e32 v67, v15, v67
	s_delay_alu instid0(VALU_DEP_2) | instskip(NEXT) | instid1(VALU_DEP_2)
	v_add_f32_e32 v18, v15, v16
	v_sub_f32_e32 v19, v19, v67
	s_delay_alu instid0(VALU_DEP_2) | instskip(NEXT) | instid1(VALU_DEP_1)
	v_dual_sub_f32 v68, v18, v15 :: v_dual_sub_f32 v17, v16, v17
	v_sub_f32_e32 v16, v16, v68
	s_delay_alu instid0(VALU_DEP_2) | instskip(NEXT) | instid1(VALU_DEP_1)
	v_sub_f32_e32 v14, v14, v17
	v_add_f32_e32 v17, v19, v14
	v_sub_f32_e32 v69, v18, v68
	s_delay_alu instid0(VALU_DEP_1) | instskip(NEXT) | instid1(VALU_DEP_1)
	v_sub_f32_e32 v15, v15, v69
	v_add_f32_e32 v15, v16, v15
	s_delay_alu instid0(VALU_DEP_4) | instskip(NEXT) | instid1(VALU_DEP_2)
	v_sub_f32_e32 v16, v17, v19
	v_add_f32_e32 v15, v17, v15
	s_delay_alu instid0(VALU_DEP_2) | instskip(SKIP_1) | instid1(VALU_DEP_3)
	v_sub_f32_e32 v17, v17, v16
	v_sub_f32_e32 v14, v14, v16
	v_add_f32_e32 v67, v18, v15
	s_delay_alu instid0(VALU_DEP_3) | instskip(NEXT) | instid1(VALU_DEP_2)
	v_sub_f32_e32 v17, v19, v17
	v_sub_f32_e32 v16, v67, v18
	s_delay_alu instid0(VALU_DEP_1) | instskip(NEXT) | instid1(VALU_DEP_1)
	v_dual_add_f32 v14, v14, v17 :: v_dual_sub_f32 v15, v15, v16
	v_add_f32_e32 v14, v14, v15
	s_delay_alu instid0(VALU_DEP_1) | instskip(NEXT) | instid1(VALU_DEP_1)
	v_add_f32_e32 v14, v67, v14
	v_cndmask_b32_e32 v72, v14, v12, vcc_lo
.LBB141_52:                             ;   in Loop: Header=BB141_12 Depth=1
	s_or_b32 exec_lo, exec_lo, s21
	v_add_f32_e32 v76, s64, v13
	s_delay_alu instid0(VALU_DEP_1) | instskip(SKIP_1) | instid1(SALU_CYCLE_1)
	v_cmp_ge_f32_e32 vcc_lo, 0x41a00000, v76
	s_and_b32 s20, s75, vcc_lo
	s_and_saveexec_b32 s21, s20
	s_cbranch_execz .LBB141_54
; %bb.53:                               ;   in Loop: Header=BB141_12 Depth=1
	v_mul_f32_e32 v12, 0x3fb8aa3b, v76
	v_cmp_ngt_f32_e32 vcc_lo, 0xc2ce8ed0, v76
	s_delay_alu instid0(VALU_DEP_2) | instskip(SKIP_1) | instid1(VALU_DEP_2)
	v_rndne_f32_e32 v13, v12
	v_fma_f32 v14, 0x3fb8aa3b, v76, -v12
	v_sub_f32_e32 v12, v12, v13
	s_delay_alu instid0(VALU_DEP_2) | instskip(SKIP_1) | instid1(VALU_DEP_2)
	v_fmac_f32_e32 v14, 0x32a5705f, v76
	v_cvt_i32_f32_e32 v13, v13
	v_add_f32_e32 v12, v12, v14
	s_delay_alu instid0(VALU_DEP_1) | instskip(SKIP_2) | instid1(VALU_DEP_1)
	v_exp_f32_e32 v12, v12
	s_waitcnt_depctr 0xfff
	v_ldexp_f32 v12, v12, v13
	v_cndmask_b32_e32 v12, 0, v12, vcc_lo
	v_cmp_nlt_f32_e32 vcc_lo, 0x42b17218, v76
	s_delay_alu instid0(VALU_DEP_2) | instskip(NEXT) | instid1(VALU_DEP_1)
	v_cndmask_b32_e32 v14, 0x7f800000, v12, vcc_lo
	v_add_f32_e32 v15, 1.0, v14
	s_delay_alu instid0(VALU_DEP_1) | instskip(NEXT) | instid1(VALU_DEP_1)
	v_cvt_f64_f32_e32 v[12:13], v15
	v_frexp_exp_i32_f64_e32 v12, v[12:13]
	v_frexp_mant_f32_e32 v13, v15
	s_delay_alu instid0(VALU_DEP_1) | instskip(SKIP_1) | instid1(VALU_DEP_1)
	v_cmp_gt_f32_e32 vcc_lo, 0x3f2aaaab, v13
	v_add_f32_e32 v13, -1.0, v15
	v_sub_f32_e32 v17, v13, v15
	v_sub_f32_e32 v13, v14, v13
	s_delay_alu instid0(VALU_DEP_2) | instskip(NEXT) | instid1(VALU_DEP_1)
	v_add_f32_e32 v17, 1.0, v17
	v_add_f32_e32 v13, v13, v17
	v_cmp_gt_f32_e64 s20, 0x33800000, v14
	v_subrev_co_ci_u32_e32 v12, vcc_lo, 0, v12, vcc_lo
	v_cmp_eq_f32_e32 vcc_lo, 0x7f800000, v14
	s_delay_alu instid0(VALU_DEP_2) | instskip(SKIP_2) | instid1(VALU_DEP_2)
	v_sub_nc_u32_e32 v16, 0, v12
	v_cvt_f32_i32_e32 v12, v12
	s_or_b32 vcc_lo, s20, vcc_lo
	v_ldexp_f32 v15, v15, v16
	v_ldexp_f32 v13, v13, v16
	s_delay_alu instid0(VALU_DEP_2) | instskip(NEXT) | instid1(VALU_DEP_1)
	v_add_f32_e32 v18, 1.0, v15
	v_dual_add_f32 v16, -1.0, v15 :: v_dual_add_f32 v17, -1.0, v18
	s_delay_alu instid0(VALU_DEP_1) | instskip(NEXT) | instid1(VALU_DEP_2)
	v_add_f32_e32 v19, 1.0, v16
	v_sub_f32_e32 v17, v15, v17
	s_delay_alu instid0(VALU_DEP_2) | instskip(NEXT) | instid1(VALU_DEP_2)
	v_sub_f32_e32 v15, v15, v19
	v_add_f32_e32 v17, v13, v17
	s_delay_alu instid0(VALU_DEP_2) | instskip(NEXT) | instid1(VALU_DEP_2)
	v_add_f32_e32 v13, v13, v15
	v_add_f32_e32 v19, v18, v17
	s_delay_alu instid0(VALU_DEP_1) | instskip(NEXT) | instid1(VALU_DEP_2)
	v_rcp_f32_e32 v15, v19
	v_dual_add_f32 v67, v16, v13 :: v_dual_sub_f32 v18, v18, v19
	s_delay_alu instid0(VALU_DEP_1) | instskip(SKIP_2) | instid1(VALU_DEP_1)
	v_dual_sub_f32 v16, v16, v67 :: v_dual_add_f32 v17, v17, v18
	s_waitcnt_depctr 0xfff
	v_dual_mul_f32 v68, v67, v15 :: v_dual_add_f32 v13, v13, v16
	v_mul_f32_e32 v69, v19, v68
	s_delay_alu instid0(VALU_DEP_1) | instskip(NEXT) | instid1(VALU_DEP_1)
	v_fma_f32 v18, v68, v19, -v69
	v_fmac_f32_e32 v18, v68, v17
	s_delay_alu instid0(VALU_DEP_1) | instskip(NEXT) | instid1(VALU_DEP_1)
	v_add_f32_e32 v70, v69, v18
	v_dual_sub_f32 v71, v67, v70 :: v_dual_sub_f32 v16, v70, v69
	s_delay_alu instid0(VALU_DEP_1) | instskip(NEXT) | instid1(VALU_DEP_1)
	v_dual_sub_f32 v67, v67, v71 :: v_dual_sub_f32 v16, v16, v18
	v_sub_f32_e32 v67, v67, v70
	s_delay_alu instid0(VALU_DEP_1) | instskip(NEXT) | instid1(VALU_DEP_1)
	v_add_f32_e32 v13, v13, v67
	v_add_f32_e32 v13, v16, v13
	s_delay_alu instid0(VALU_DEP_1) | instskip(NEXT) | instid1(VALU_DEP_1)
	v_add_f32_e32 v16, v71, v13
	v_mul_f32_e32 v18, v15, v16
	v_sub_f32_e32 v70, v71, v16
	s_delay_alu instid0(VALU_DEP_2) | instskip(NEXT) | instid1(VALU_DEP_2)
	v_mul_f32_e32 v67, v19, v18
	v_add_f32_e32 v13, v13, v70
	s_delay_alu instid0(VALU_DEP_2) | instskip(NEXT) | instid1(VALU_DEP_1)
	v_fma_f32 v19, v18, v19, -v67
	v_fmac_f32_e32 v19, v18, v17
	s_delay_alu instid0(VALU_DEP_1) | instskip(NEXT) | instid1(VALU_DEP_1)
	v_add_f32_e32 v17, v67, v19
	v_sub_f32_e32 v69, v16, v17
	s_delay_alu instid0(VALU_DEP_1) | instskip(NEXT) | instid1(VALU_DEP_1)
	v_dual_sub_f32 v67, v17, v67 :: v_dual_sub_f32 v16, v16, v69
	v_sub_f32_e32 v16, v16, v17
	s_delay_alu instid0(VALU_DEP_1) | instskip(NEXT) | instid1(VALU_DEP_3)
	v_dual_add_f32 v13, v13, v16 :: v_dual_add_f32 v16, v68, v18
	v_sub_f32_e32 v17, v67, v19
	s_delay_alu instid0(VALU_DEP_1) | instskip(NEXT) | instid1(VALU_DEP_3)
	v_add_f32_e32 v13, v17, v13
	v_sub_f32_e32 v17, v16, v68
	s_delay_alu instid0(VALU_DEP_2) | instskip(NEXT) | instid1(VALU_DEP_2)
	v_add_f32_e32 v13, v69, v13
	v_sub_f32_e32 v17, v18, v17
	s_delay_alu instid0(VALU_DEP_2) | instskip(NEXT) | instid1(VALU_DEP_1)
	v_mul_f32_e32 v13, v15, v13
	v_add_f32_e32 v13, v17, v13
	s_delay_alu instid0(VALU_DEP_1) | instskip(NEXT) | instid1(VALU_DEP_1)
	v_add_f32_e32 v15, v16, v13
	v_mul_f32_e32 v17, v15, v15
	s_delay_alu instid0(VALU_DEP_1) | instskip(SKIP_1) | instid1(VALU_DEP_2)
	v_fmaak_f32 v18, s31, v17, 0x3ecc95a3
	v_mul_f32_e32 v19, v15, v17
	v_fmaak_f32 v17, v17, v18, 0x3f2aaada
	v_ldexp_f32 v18, v15, 1
	v_sub_f32_e32 v15, v15, v16
	s_delay_alu instid0(VALU_DEP_3) | instskip(SKIP_1) | instid1(VALU_DEP_2)
	v_mul_f32_e32 v17, v19, v17
	v_mul_f32_e32 v19, 0x3f317218, v12
	v_dual_sub_f32 v13, v13, v15 :: v_dual_add_f32 v16, v18, v17
	s_delay_alu instid0(VALU_DEP_1) | instskip(NEXT) | instid1(VALU_DEP_2)
	v_ldexp_f32 v13, v13, 1
	v_sub_f32_e32 v15, v16, v18
	s_delay_alu instid0(VALU_DEP_4) | instskip(NEXT) | instid1(VALU_DEP_1)
	v_fma_f32 v18, 0x3f317218, v12, -v19
	v_dual_sub_f32 v15, v17, v15 :: v_dual_fmac_f32 v18, 0xb102e308, v12
	s_delay_alu instid0(VALU_DEP_1) | instskip(NEXT) | instid1(VALU_DEP_1)
	v_dual_add_f32 v12, v13, v15 :: v_dual_add_f32 v13, v19, v18
	v_add_f32_e32 v15, v16, v12
	s_delay_alu instid0(VALU_DEP_2) | instskip(NEXT) | instid1(VALU_DEP_2)
	v_sub_f32_e32 v19, v13, v19
	v_dual_add_f32 v17, v13, v15 :: v_dual_sub_f32 v16, v15, v16
	s_delay_alu instid0(VALU_DEP_1) | instskip(NEXT) | instid1(VALU_DEP_2)
	v_dual_sub_f32 v18, v18, v19 :: v_dual_sub_f32 v67, v17, v13
	v_sub_f32_e32 v12, v12, v16
	s_delay_alu instid0(VALU_DEP_2) | instskip(NEXT) | instid1(VALU_DEP_2)
	v_sub_f32_e32 v68, v17, v67
	v_dual_sub_f32 v15, v15, v67 :: v_dual_add_f32 v16, v18, v12
	s_delay_alu instid0(VALU_DEP_2) | instskip(NEXT) | instid1(VALU_DEP_1)
	v_sub_f32_e32 v13, v13, v68
	v_add_f32_e32 v13, v15, v13
	s_delay_alu instid0(VALU_DEP_3) | instskip(NEXT) | instid1(VALU_DEP_2)
	v_sub_f32_e32 v15, v16, v18
	v_add_f32_e32 v13, v16, v13
	s_delay_alu instid0(VALU_DEP_2) | instskip(NEXT) | instid1(VALU_DEP_2)
	v_sub_f32_e32 v16, v16, v15
	v_dual_sub_f32 v12, v12, v15 :: v_dual_add_f32 v19, v17, v13
	s_delay_alu instid0(VALU_DEP_1) | instskip(NEXT) | instid1(VALU_DEP_1)
	v_dual_sub_f32 v16, v18, v16 :: v_dual_sub_f32 v15, v19, v17
	v_dual_add_f32 v12, v12, v16 :: v_dual_sub_f32 v13, v13, v15
	s_delay_alu instid0(VALU_DEP_1) | instskip(NEXT) | instid1(VALU_DEP_1)
	v_add_f32_e32 v12, v12, v13
	v_add_f32_e32 v12, v19, v12
	s_delay_alu instid0(VALU_DEP_1)
	v_cndmask_b32_e32 v76, v12, v14, vcc_lo
.LBB141_54:                             ;   in Loop: Header=BB141_12 Depth=1
	s_or_b32 exec_lo, exec_lo, s21
	s_waitcnt lgkmcnt(0)
	v_add_f32_e32 v77, s64, v10
	s_delay_alu instid0(VALU_DEP_1) | instskip(SKIP_1) | instid1(SALU_CYCLE_1)
	v_cmp_ge_f32_e32 vcc_lo, 0x41a00000, v77
	s_and_b32 s20, s75, vcc_lo
	s_and_saveexec_b32 s21, s20
	s_cbranch_execz .LBB141_56
; %bb.55:                               ;   in Loop: Header=BB141_12 Depth=1
	v_mul_f32_e32 v10, 0x3fb8aa3b, v77
	v_cmp_ngt_f32_e32 vcc_lo, 0xc2ce8ed0, v77
	s_delay_alu instid0(VALU_DEP_2) | instskip(SKIP_1) | instid1(VALU_DEP_1)
	v_rndne_f32_e32 v12, v10
	v_fma_f32 v13, 0x3fb8aa3b, v77, -v10
	v_dual_sub_f32 v10, v10, v12 :: v_dual_fmac_f32 v13, 0x32a5705f, v77
	v_cvt_i32_f32_e32 v12, v12
	s_delay_alu instid0(VALU_DEP_2) | instskip(NEXT) | instid1(VALU_DEP_1)
	v_add_f32_e32 v10, v10, v13
	v_exp_f32_e32 v10, v10
	s_waitcnt_depctr 0xfff
	v_ldexp_f32 v10, v10, v12
	s_delay_alu instid0(VALU_DEP_1) | instskip(SKIP_1) | instid1(VALU_DEP_2)
	v_cndmask_b32_e32 v10, 0, v10, vcc_lo
	v_cmp_nlt_f32_e32 vcc_lo, 0x42b17218, v77
	v_cndmask_b32_e32 v10, 0x7f800000, v10, vcc_lo
	s_delay_alu instid0(VALU_DEP_1) | instskip(NEXT) | instid1(VALU_DEP_1)
	v_add_f32_e32 v14, 1.0, v10
	v_cvt_f64_f32_e32 v[12:13], v14
	s_delay_alu instid0(VALU_DEP_1) | instskip(SKIP_1) | instid1(VALU_DEP_1)
	v_frexp_exp_i32_f64_e32 v12, v[12:13]
	v_frexp_mant_f32_e32 v13, v14
	v_cmp_gt_f32_e32 vcc_lo, 0x3f2aaaab, v13
	v_add_f32_e32 v13, -1.0, v14
	s_delay_alu instid0(VALU_DEP_1) | instskip(SKIP_1) | instid1(VALU_DEP_1)
	v_dual_sub_f32 v16, v13, v14 :: v_dual_sub_f32 v13, v10, v13
	v_subrev_co_ci_u32_e32 v12, vcc_lo, 0, v12, vcc_lo
	v_sub_nc_u32_e32 v15, 0, v12
	v_cvt_f32_i32_e32 v12, v12
	s_delay_alu instid0(VALU_DEP_2) | instskip(NEXT) | instid1(VALU_DEP_1)
	v_ldexp_f32 v14, v14, v15
	v_dual_add_f32 v16, 1.0, v16 :: v_dual_add_f32 v17, 1.0, v14
	s_delay_alu instid0(VALU_DEP_1) | instskip(NEXT) | instid1(VALU_DEP_1)
	v_add_f32_e32 v13, v13, v16
	v_ldexp_f32 v13, v13, v15
	s_delay_alu instid0(VALU_DEP_3) | instskip(NEXT) | instid1(VALU_DEP_1)
	v_dual_add_f32 v15, -1.0, v14 :: v_dual_add_f32 v16, -1.0, v17
	v_add_f32_e32 v18, 1.0, v15
	s_delay_alu instid0(VALU_DEP_2) | instskip(NEXT) | instid1(VALU_DEP_2)
	v_sub_f32_e32 v16, v14, v16
	v_sub_f32_e32 v14, v14, v18
	s_delay_alu instid0(VALU_DEP_2) | instskip(NEXT) | instid1(VALU_DEP_2)
	v_add_f32_e32 v16, v13, v16
	v_add_f32_e32 v13, v13, v14
	s_delay_alu instid0(VALU_DEP_1) | instskip(SKIP_2) | instid1(VALU_DEP_3)
	v_add_f32_e32 v19, v15, v13
	v_cmp_eq_f32_e32 vcc_lo, 0x7f800000, v10
	v_cmp_gt_f32_e64 s20, 0x33800000, v10
	v_dual_sub_f32 v15, v15, v19 :: v_dual_add_f32 v18, v17, v16
	s_delay_alu instid0(VALU_DEP_2) | instskip(NEXT) | instid1(VALU_DEP_1)
	s_or_b32 vcc_lo, s20, vcc_lo
	v_add_f32_e32 v13, v13, v15
	s_delay_alu instid0(VALU_DEP_2) | instskip(SKIP_2) | instid1(VALU_DEP_1)
	v_rcp_f32_e32 v14, v18
	s_waitcnt_depctr 0xfff
	v_mul_f32_e32 v67, v19, v14
	v_dual_sub_f32 v17, v17, v18 :: v_dual_mul_f32 v68, v18, v67
	s_delay_alu instid0(VALU_DEP_1) | instskip(NEXT) | instid1(VALU_DEP_2)
	v_add_f32_e32 v16, v16, v17
	v_fma_f32 v17, v67, v18, -v68
	s_delay_alu instid0(VALU_DEP_1) | instskip(NEXT) | instid1(VALU_DEP_1)
	v_fmac_f32_e32 v17, v67, v16
	v_add_f32_e32 v69, v68, v17
	s_delay_alu instid0(VALU_DEP_1) | instskip(NEXT) | instid1(VALU_DEP_1)
	v_dual_sub_f32 v15, v69, v68 :: v_dual_sub_f32 v70, v19, v69
	v_sub_f32_e32 v15, v15, v17
	s_delay_alu instid0(VALU_DEP_2) | instskip(NEXT) | instid1(VALU_DEP_1)
	v_sub_f32_e32 v19, v19, v70
	v_sub_f32_e32 v19, v19, v69
	s_delay_alu instid0(VALU_DEP_1) | instskip(NEXT) | instid1(VALU_DEP_1)
	v_add_f32_e32 v13, v13, v19
	v_add_f32_e32 v13, v15, v13
	s_delay_alu instid0(VALU_DEP_1) | instskip(NEXT) | instid1(VALU_DEP_1)
	v_add_f32_e32 v15, v70, v13
	v_mul_f32_e32 v17, v14, v15
	s_delay_alu instid0(VALU_DEP_1) | instskip(NEXT) | instid1(VALU_DEP_1)
	v_mul_f32_e32 v19, v18, v17
	v_fma_f32 v18, v17, v18, -v19
	s_delay_alu instid0(VALU_DEP_1) | instskip(NEXT) | instid1(VALU_DEP_1)
	v_fmac_f32_e32 v18, v17, v16
	v_add_f32_e32 v16, v19, v18
	s_delay_alu instid0(VALU_DEP_1) | instskip(SKIP_1) | instid1(VALU_DEP_2)
	v_dual_sub_f32 v68, v15, v16 :: v_dual_sub_f32 v19, v16, v19
	v_sub_f32_e32 v69, v70, v15
	v_sub_f32_e32 v15, v15, v68
	s_delay_alu instid0(VALU_DEP_1) | instskip(NEXT) | instid1(VALU_DEP_3)
	v_sub_f32_e32 v15, v15, v16
	v_dual_sub_f32 v16, v19, v18 :: v_dual_add_f32 v13, v13, v69
	s_delay_alu instid0(VALU_DEP_1) | instskip(SKIP_1) | instid1(VALU_DEP_1)
	v_add_f32_e32 v13, v13, v15
	v_add_f32_e32 v15, v67, v17
	v_dual_add_f32 v13, v16, v13 :: v_dual_sub_f32 v16, v15, v67
	s_delay_alu instid0(VALU_DEP_1) | instskip(NEXT) | instid1(VALU_DEP_1)
	v_dual_add_f32 v13, v68, v13 :: v_dual_sub_f32 v16, v17, v16
	v_mul_f32_e32 v13, v14, v13
	s_delay_alu instid0(VALU_DEP_1) | instskip(NEXT) | instid1(VALU_DEP_1)
	v_add_f32_e32 v13, v16, v13
	v_add_f32_e32 v14, v15, v13
	s_delay_alu instid0(VALU_DEP_1) | instskip(NEXT) | instid1(VALU_DEP_1)
	v_mul_f32_e32 v16, v14, v14
	v_fmaak_f32 v17, s31, v16, 0x3ecc95a3
	v_mul_f32_e32 v18, v14, v16
	s_delay_alu instid0(VALU_DEP_2) | instskip(SKIP_1) | instid1(VALU_DEP_2)
	v_fmaak_f32 v16, v16, v17, 0x3f2aaada
	v_ldexp_f32 v17, v14, 1
	v_mul_f32_e32 v16, v18, v16
	v_mul_f32_e32 v18, 0x3f317218, v12
	s_delay_alu instid0(VALU_DEP_2) | instskip(NEXT) | instid1(VALU_DEP_1)
	v_dual_sub_f32 v14, v14, v15 :: v_dual_add_f32 v15, v17, v16
	v_dual_sub_f32 v13, v13, v14 :: v_dual_sub_f32 v14, v15, v17
	s_delay_alu instid0(VALU_DEP_3) | instskip(NEXT) | instid1(VALU_DEP_2)
	v_fma_f32 v17, 0x3f317218, v12, -v18
	v_ldexp_f32 v13, v13, 1
	s_delay_alu instid0(VALU_DEP_2) | instskip(NEXT) | instid1(VALU_DEP_1)
	v_dual_sub_f32 v14, v16, v14 :: v_dual_fmac_f32 v17, 0xb102e308, v12
	v_add_f32_e32 v12, v13, v14
	s_delay_alu instid0(VALU_DEP_1) | instskip(NEXT) | instid1(VALU_DEP_1)
	v_add_f32_e32 v14, v15, v12
	v_sub_f32_e32 v15, v14, v15
	s_delay_alu instid0(VALU_DEP_1) | instskip(NEXT) | instid1(VALU_DEP_1)
	v_dual_sub_f32 v12, v12, v15 :: v_dual_add_f32 v13, v18, v17
	v_add_f32_e32 v16, v13, v14
	s_delay_alu instid0(VALU_DEP_1) | instskip(NEXT) | instid1(VALU_DEP_1)
	v_dual_sub_f32 v18, v13, v18 :: v_dual_sub_f32 v19, v16, v13
	v_dual_sub_f32 v17, v17, v18 :: v_dual_sub_f32 v14, v14, v19
	s_delay_alu instid0(VALU_DEP_1) | instskip(SKIP_1) | instid1(VALU_DEP_1)
	v_add_f32_e32 v15, v17, v12
	v_sub_f32_e32 v67, v16, v19
	v_sub_f32_e32 v13, v13, v67
	s_delay_alu instid0(VALU_DEP_1) | instskip(NEXT) | instid1(VALU_DEP_4)
	v_add_f32_e32 v13, v14, v13
	v_sub_f32_e32 v14, v15, v17
	s_delay_alu instid0(VALU_DEP_2) | instskip(NEXT) | instid1(VALU_DEP_2)
	v_add_f32_e32 v13, v15, v13
	v_sub_f32_e32 v15, v15, v14
	v_sub_f32_e32 v12, v12, v14
	s_delay_alu instid0(VALU_DEP_3) | instskip(NEXT) | instid1(VALU_DEP_1)
	v_add_f32_e32 v18, v16, v13
	v_dual_sub_f32 v14, v18, v16 :: v_dual_sub_f32 v15, v17, v15
	s_delay_alu instid0(VALU_DEP_1) | instskip(NEXT) | instid1(VALU_DEP_1)
	v_dual_sub_f32 v13, v13, v14 :: v_dual_add_f32 v12, v12, v15
	v_add_f32_e32 v12, v12, v13
	s_delay_alu instid0(VALU_DEP_1) | instskip(NEXT) | instid1(VALU_DEP_1)
	v_add_f32_e32 v12, v18, v12
	v_cndmask_b32_e32 v77, v12, v10, vcc_lo
.LBB141_56:                             ;   in Loop: Header=BB141_12 Depth=1
	s_or_b32 exec_lo, exec_lo, s21
	v_add_f32_e32 v78, s64, v11
	s_delay_alu instid0(VALU_DEP_1) | instskip(SKIP_1) | instid1(SALU_CYCLE_1)
	v_cmp_ge_f32_e32 vcc_lo, 0x41a00000, v78
	s_and_b32 s20, s75, vcc_lo
	s_and_saveexec_b32 s21, s20
	s_cbranch_execz .LBB141_58
; %bb.57:                               ;   in Loop: Header=BB141_12 Depth=1
	v_mul_f32_e32 v10, 0x3fb8aa3b, v78
	v_cmp_ngt_f32_e32 vcc_lo, 0xc2ce8ed0, v78
	s_delay_alu instid0(VALU_DEP_2) | instskip(SKIP_1) | instid1(VALU_DEP_2)
	v_rndne_f32_e32 v11, v10
	v_fma_f32 v12, 0x3fb8aa3b, v78, -v10
	v_sub_f32_e32 v10, v10, v11
	s_delay_alu instid0(VALU_DEP_2) | instskip(SKIP_1) | instid1(VALU_DEP_2)
	v_fmac_f32_e32 v12, 0x32a5705f, v78
	v_cvt_i32_f32_e32 v11, v11
	v_add_f32_e32 v10, v10, v12
	s_delay_alu instid0(VALU_DEP_1) | instskip(SKIP_2) | instid1(VALU_DEP_1)
	v_exp_f32_e32 v10, v10
	s_waitcnt_depctr 0xfff
	v_ldexp_f32 v10, v10, v11
	v_cndmask_b32_e32 v10, 0, v10, vcc_lo
	v_cmp_nlt_f32_e32 vcc_lo, 0x42b17218, v78
	s_delay_alu instid0(VALU_DEP_2) | instskip(NEXT) | instid1(VALU_DEP_1)
	v_cndmask_b32_e32 v12, 0x7f800000, v10, vcc_lo
	v_add_f32_e32 v13, 1.0, v12
	s_delay_alu instid0(VALU_DEP_1) | instskip(NEXT) | instid1(VALU_DEP_1)
	v_cvt_f64_f32_e32 v[10:11], v13
	v_frexp_exp_i32_f64_e32 v10, v[10:11]
	v_frexp_mant_f32_e32 v11, v13
	s_delay_alu instid0(VALU_DEP_1) | instskip(SKIP_1) | instid1(VALU_DEP_1)
	v_cmp_gt_f32_e32 vcc_lo, 0x3f2aaaab, v11
	v_add_f32_e32 v11, -1.0, v13
	v_sub_f32_e32 v15, v11, v13
	v_sub_f32_e32 v11, v12, v11
	s_delay_alu instid0(VALU_DEP_2) | instskip(NEXT) | instid1(VALU_DEP_1)
	v_add_f32_e32 v15, 1.0, v15
	v_add_f32_e32 v11, v11, v15
	v_cmp_gt_f32_e64 s20, 0x33800000, v12
	v_subrev_co_ci_u32_e32 v10, vcc_lo, 0, v10, vcc_lo
	v_cmp_eq_f32_e32 vcc_lo, 0x7f800000, v12
	s_delay_alu instid0(VALU_DEP_2) | instskip(SKIP_2) | instid1(VALU_DEP_2)
	v_sub_nc_u32_e32 v14, 0, v10
	v_cvt_f32_i32_e32 v10, v10
	s_or_b32 vcc_lo, s20, vcc_lo
	v_ldexp_f32 v13, v13, v14
	v_ldexp_f32 v11, v11, v14
	s_delay_alu instid0(VALU_DEP_2) | instskip(NEXT) | instid1(VALU_DEP_1)
	v_add_f32_e32 v16, 1.0, v13
	v_dual_add_f32 v14, -1.0, v13 :: v_dual_add_f32 v15, -1.0, v16
	s_delay_alu instid0(VALU_DEP_1) | instskip(NEXT) | instid1(VALU_DEP_2)
	v_add_f32_e32 v17, 1.0, v14
	v_sub_f32_e32 v15, v13, v15
	s_delay_alu instid0(VALU_DEP_2) | instskip(NEXT) | instid1(VALU_DEP_2)
	v_sub_f32_e32 v13, v13, v17
	v_add_f32_e32 v15, v11, v15
	s_delay_alu instid0(VALU_DEP_2) | instskip(NEXT) | instid1(VALU_DEP_2)
	v_add_f32_e32 v11, v11, v13
	v_add_f32_e32 v17, v16, v15
	s_delay_alu instid0(VALU_DEP_2) | instskip(NEXT) | instid1(VALU_DEP_2)
	v_add_f32_e32 v18, v14, v11
	v_rcp_f32_e32 v13, v17
	v_sub_f32_e32 v16, v16, v17
	s_delay_alu instid0(VALU_DEP_1) | instskip(SKIP_2) | instid1(VALU_DEP_1)
	v_dual_sub_f32 v14, v14, v18 :: v_dual_add_f32 v15, v15, v16
	s_waitcnt_depctr 0xfff
	v_mul_f32_e32 v19, v18, v13
	v_mul_f32_e32 v67, v17, v19
	s_delay_alu instid0(VALU_DEP_1) | instskip(NEXT) | instid1(VALU_DEP_1)
	v_fma_f32 v16, v19, v17, -v67
	v_fmac_f32_e32 v16, v19, v15
	s_delay_alu instid0(VALU_DEP_1) | instskip(NEXT) | instid1(VALU_DEP_1)
	v_add_f32_e32 v68, v67, v16
	v_sub_f32_e32 v69, v18, v68
	s_delay_alu instid0(VALU_DEP_1) | instskip(SKIP_1) | instid1(VALU_DEP_2)
	v_dual_sub_f32 v18, v18, v69 :: v_dual_add_f32 v11, v11, v14
	v_sub_f32_e32 v14, v68, v67
	v_sub_f32_e32 v18, v18, v68
	s_delay_alu instid0(VALU_DEP_1) | instskip(NEXT) | instid1(VALU_DEP_1)
	v_dual_sub_f32 v14, v14, v16 :: v_dual_add_f32 v11, v11, v18
	v_add_f32_e32 v11, v14, v11
	s_delay_alu instid0(VALU_DEP_1) | instskip(NEXT) | instid1(VALU_DEP_1)
	v_add_f32_e32 v14, v69, v11
	v_mul_f32_e32 v16, v13, v14
	v_sub_f32_e32 v68, v69, v14
	s_delay_alu instid0(VALU_DEP_2) | instskip(NEXT) | instid1(VALU_DEP_2)
	v_mul_f32_e32 v18, v17, v16
	v_add_f32_e32 v11, v11, v68
	s_delay_alu instid0(VALU_DEP_2) | instskip(NEXT) | instid1(VALU_DEP_1)
	v_fma_f32 v17, v16, v17, -v18
	v_fmac_f32_e32 v17, v16, v15
	s_delay_alu instid0(VALU_DEP_1) | instskip(NEXT) | instid1(VALU_DEP_1)
	v_add_f32_e32 v15, v18, v17
	v_sub_f32_e32 v67, v14, v15
	s_delay_alu instid0(VALU_DEP_1) | instskip(NEXT) | instid1(VALU_DEP_1)
	v_sub_f32_e32 v14, v14, v67
	v_sub_f32_e32 v14, v14, v15
	s_delay_alu instid0(VALU_DEP_1) | instskip(SKIP_2) | instid1(VALU_DEP_1)
	v_add_f32_e32 v11, v11, v14
	v_add_f32_e32 v14, v19, v16
	v_sub_f32_e32 v18, v15, v18
	v_sub_f32_e32 v15, v18, v17
	s_delay_alu instid0(VALU_DEP_1) | instskip(NEXT) | instid1(VALU_DEP_4)
	v_add_f32_e32 v11, v15, v11
	v_sub_f32_e32 v15, v14, v19
	s_delay_alu instid0(VALU_DEP_2) | instskip(NEXT) | instid1(VALU_DEP_2)
	v_add_f32_e32 v11, v67, v11
	v_sub_f32_e32 v15, v16, v15
	s_delay_alu instid0(VALU_DEP_2) | instskip(NEXT) | instid1(VALU_DEP_1)
	v_mul_f32_e32 v11, v13, v11
	v_add_f32_e32 v11, v15, v11
	s_delay_alu instid0(VALU_DEP_1) | instskip(NEXT) | instid1(VALU_DEP_1)
	v_add_f32_e32 v13, v14, v11
	v_mul_f32_e32 v15, v13, v13
	s_delay_alu instid0(VALU_DEP_1) | instskip(SKIP_1) | instid1(VALU_DEP_2)
	v_fmaak_f32 v16, s31, v15, 0x3ecc95a3
	v_mul_f32_e32 v17, v13, v15
	v_fmaak_f32 v15, v15, v16, 0x3f2aaada
	v_ldexp_f32 v16, v13, 1
	s_delay_alu instid0(VALU_DEP_2) | instskip(SKIP_1) | instid1(VALU_DEP_2)
	v_mul_f32_e32 v15, v17, v15
	v_sub_f32_e32 v13, v13, v14
	v_dual_mul_f32 v17, 0x3f317218, v10 :: v_dual_add_f32 v14, v16, v15
	s_delay_alu instid0(VALU_DEP_2) | instskip(NEXT) | instid1(VALU_DEP_2)
	v_sub_f32_e32 v11, v11, v13
	v_sub_f32_e32 v13, v14, v16
	s_delay_alu instid0(VALU_DEP_3) | instskip(NEXT) | instid1(VALU_DEP_3)
	v_fma_f32 v16, 0x3f317218, v10, -v17
	v_ldexp_f32 v11, v11, 1
	s_delay_alu instid0(VALU_DEP_2) | instskip(NEXT) | instid1(VALU_DEP_1)
	v_dual_sub_f32 v13, v15, v13 :: v_dual_fmac_f32 v16, 0xb102e308, v10
	v_dual_add_f32 v10, v11, v13 :: v_dual_add_f32 v11, v17, v16
	s_delay_alu instid0(VALU_DEP_1) | instskip(NEXT) | instid1(VALU_DEP_1)
	v_add_f32_e32 v13, v14, v10
	v_dual_add_f32 v15, v11, v13 :: v_dual_sub_f32 v14, v13, v14
	s_delay_alu instid0(VALU_DEP_1) | instskip(NEXT) | instid1(VALU_DEP_2)
	v_sub_f32_e32 v18, v15, v11
	v_dual_sub_f32 v17, v11, v17 :: v_dual_sub_f32 v10, v10, v14
	s_delay_alu instid0(VALU_DEP_1) | instskip(SKIP_1) | instid1(VALU_DEP_2)
	v_dual_sub_f32 v19, v15, v18 :: v_dual_sub_f32 v16, v16, v17
	v_sub_f32_e32 v13, v13, v18
	v_dual_sub_f32 v11, v11, v19 :: v_dual_add_f32 v14, v16, v10
	s_delay_alu instid0(VALU_DEP_1) | instskip(NEXT) | instid1(VALU_DEP_2)
	v_add_f32_e32 v11, v13, v11
	v_sub_f32_e32 v13, v14, v16
	s_delay_alu instid0(VALU_DEP_2) | instskip(NEXT) | instid1(VALU_DEP_2)
	v_add_f32_e32 v11, v14, v11
	v_sub_f32_e32 v14, v14, v13
	s_delay_alu instid0(VALU_DEP_2) | instskip(NEXT) | instid1(VALU_DEP_1)
	v_dual_sub_f32 v10, v10, v13 :: v_dual_add_f32 v17, v15, v11
	v_dual_sub_f32 v14, v16, v14 :: v_dual_sub_f32 v13, v17, v15
	s_delay_alu instid0(VALU_DEP_1) | instskip(NEXT) | instid1(VALU_DEP_1)
	v_dual_add_f32 v10, v10, v14 :: v_dual_sub_f32 v11, v11, v13
	v_add_f32_e32 v10, v10, v11
	s_delay_alu instid0(VALU_DEP_1) | instskip(NEXT) | instid1(VALU_DEP_1)
	v_add_f32_e32 v10, v17, v10
	v_cndmask_b32_e32 v78, v10, v12, vcc_lo
.LBB141_58:                             ;   in Loop: Header=BB141_12 Depth=1
	s_or_b32 exec_lo, exec_lo, s21
	v_dual_mul_f32 v67, s65, v8 :: v_dual_mul_f32 v68, s65, v7
	v_dual_mul_f32 v69, s65, v6 :: v_dual_mul_f32 v70, s65, v5
	v_dual_mul_f32 v73, s65, v4 :: v_dual_mul_f32 v74, s65, v3
	v_mul_f32_e32 v75, s65, v2
	v_mul_f32_e32 v71, s65, v9
	s_and_b32 vcc_lo, exec_lo, s76
	s_barrier
	buffer_gl0_inv
	s_cbranch_vccz .LBB141_122
; %bb.59:                               ;   in Loop: Header=BB141_12 Depth=1
	v_dual_mul_f32 v79, v9, v78 :: v_dual_mul_f32 v84, v8, v77
	v_add_co_u32 v9, s20, s49, v61
	s_delay_alu instid0(VALU_DEP_1) | instskip(SKIP_1) | instid1(VALU_DEP_1)
	v_add_co_ci_u32_e64 v10, null, s50, 0, s20
	v_add_co_u32 v11, s20, s70, v61
	v_add_co_ci_u32_e64 v12, null, s71, 0, s20
	s_delay_alu instid0(VALU_DEP_4) | instskip(NEXT) | instid1(VALU_DEP_4)
	v_add_co_u32 v80, vcc_lo, v9, v62
	v_add_co_ci_u32_e32 v81, vcc_lo, 0, v10, vcc_lo
	s_delay_alu instid0(VALU_DEP_4) | instskip(NEXT) | instid1(VALU_DEP_4)
	v_add_co_u32 v82, vcc_lo, v11, v62
	v_add_co_ci_u32_e32 v83, vcc_lo, 0, v12, vcc_lo
	v_cmp_gt_u32_e32 vcc_lo, s23, v20
	s_cmp_lg_u32 s80, 0
	v_cmp_gt_u32_e64 s21, s23, v54
	s_cselect_b32 s39, -1, 0
	s_cmp_eq_u32 s80, s78
	v_cmp_gt_u32_e64 s22, s23, v55
	s_cselect_b32 s54, -1, 0
	s_or_b32 s20, s77, vcc_lo
	v_cmp_gt_u32_e32 vcc_lo, s23, v56
	v_cmp_gt_u32_e64 s24, s23, v57
	v_cmp_gt_u32_e64 s25, s23, v58
	;; [unrolled: 1-line block ×4, first 2 shown]
	v_dual_mul_f32 v85, v7, v76 :: v_dual_mul_f32 v88, v4, v65
	v_dual_mul_f32 v86, v6, v72 :: v_dual_mul_f32 v87, v5, v66
	v_dual_mul_f32 v89, v3, v64 :: v_dual_mul_f32 v90, v2, v63
	s_mov_b32 s56, 0
	s_or_b32 s21, s77, s21
	s_or_b32 s22, s77, s22
	s_or_b32 s23, s77, vcc_lo
	s_or_b32 s24, s77, s24
	s_or_b32 s25, s77, s25
	;; [unrolled: 1-line block ×4, first 2 shown]
	s_mov_b32 s52, s56
	s_mov_b32 s40, 0
	;; [unrolled: 1-line block ×6, first 2 shown]
	s_branch .LBB141_61
.LBB141_60:                             ;   in Loop: Header=BB141_61 Depth=2
	s_or_b32 exec_lo, exec_lo, s28
	v_cndmask_b32_e64 v10, v104, v15, s11
	v_cndmask_b32_e64 v11, v103, v14, s11
	s_add_i32 s55, s55, -1
	s_add_i32 s81, s81, 8
	s_add_i32 s46, s46, s37
	v_fma_f32 v10, v10, v93, v18
	v_mul_f32_e32 v11, v11, v93
	s_add_i32 s42, s42, s36
	s_add_i32 s40, s40, s48
	;; [unrolled: 1-line block ×3, first 2 shown]
	v_cndmask_b32_e64 v10, v10, v18, s10
	v_cndmask_b32_e64 v11, v11, v93, s10
	s_cmp_eq_u32 s55, 0
	s_waitcnt lgkmcnt(0)
	s_delay_alu instid0(VALU_DEP_1) | instskip(NEXT) | instid1(VALU_DEP_1)
	v_fmac_f32_e32 v10, v12, v11
	v_fmac_f32_e32 v16, v10, v92
	s_delay_alu instid0(VALU_DEP_1) | instskip(NEXT) | instid1(VALU_DEP_1)
	v_dual_fmac_f32 v19, v16, v95 :: v_dual_fmac_f32 v74, v9, v16
	v_fmac_f32_e32 v17, v19, v96
	v_fmac_f32_e32 v75, v8, v10
	s_delay_alu instid0(VALU_DEP_2) | instskip(NEXT) | instid1(VALU_DEP_1)
	v_dual_fmac_f32 v91, v17, v98 :: v_dual_fmac_f32 v70, v7, v17
	v_dual_fmac_f32 v94, v91, v102 :: v_dual_fmac_f32 v73, v6, v19
	v_fmac_f32_e32 v69, v2, v91
	s_delay_alu instid0(VALU_DEP_2) | instskip(NEXT) | instid1(VALU_DEP_1)
	v_dual_fmac_f32 v97, v94, v100 :: v_dual_fmac_f32 v68, v3, v94
	v_fmac_f32_e32 v99, v97, v101
	v_fmac_f32_e32 v67, v4, v97
	s_delay_alu instid0(VALU_DEP_2)
	v_fmac_f32_e32 v71, v5, v99
	s_cbranch_scc1 .LBB141_122
.LBB141_61:                             ;   Parent Loop BB141_12 Depth=1
                                        ; =>  This Inner Loop Header: Depth=2
	s_lshl_b64 s[28:29], s[52:53], 2
	s_mov_b32 s41, s53
	s_add_u32 s28, s68, s28
	s_addc_u32 s29, s69, s29
	s_mov_b32 s57, s56
	global_load_b32 v91, v1, s[28:29]
	s_lshl_b64 s[28:29], s[40:41], 2
	s_mov_b32 s58, s56
	s_mov_b32 s59, s56
	;; [unrolled: 1-line block ×6, first 2 shown]
	v_add_co_u32 v10, vcc_lo, v80, s28
	v_dual_mov_b32 v2, s56 :: v_dual_mov_b32 v3, s57
	v_add_co_ci_u32_e32 v11, vcc_lo, s29, v81, vcc_lo
	v_dual_mov_b32 v4, s58 :: v_dual_mov_b32 v5, s59
	v_dual_mov_b32 v6, s60 :: v_dual_mov_b32 v7, s61
	;; [unrolled: 1-line block ×3, first 2 shown]
	v_mov_b32_e32 v12, 0
	s_and_saveexec_b32 s28, s12
	s_cbranch_execnz .LBB141_81
; %bb.62:                               ;   in Loop: Header=BB141_61 Depth=2
	s_or_b32 exec_lo, exec_lo, s28
	s_and_saveexec_b32 s28, s13
	s_cbranch_execnz .LBB141_82
.LBB141_63:                             ;   in Loop: Header=BB141_61 Depth=2
	s_or_b32 exec_lo, exec_lo, s28
	s_and_saveexec_b32 s28, s14
	s_cbranch_execnz .LBB141_83
.LBB141_64:                             ;   in Loop: Header=BB141_61 Depth=2
	s_or_b32 exec_lo, exec_lo, s28
	s_and_saveexec_b32 s28, s15
	s_cbranch_execnz .LBB141_84
.LBB141_65:                             ;   in Loop: Header=BB141_61 Depth=2
	s_or_b32 exec_lo, exec_lo, s28
	s_and_saveexec_b32 s28, s16
	s_cbranch_execnz .LBB141_85
.LBB141_66:                             ;   in Loop: Header=BB141_61 Depth=2
	s_or_b32 exec_lo, exec_lo, s28
	s_and_saveexec_b32 s28, s17
	s_cbranch_execnz .LBB141_86
.LBB141_67:                             ;   in Loop: Header=BB141_61 Depth=2
	s_or_b32 exec_lo, exec_lo, s28
	s_and_saveexec_b32 s28, s18
	s_cbranch_execnz .LBB141_87
.LBB141_68:                             ;   in Loop: Header=BB141_61 Depth=2
	s_or_b32 exec_lo, exec_lo, s28
	s_and_saveexec_b32 s28, s19
	s_cbranch_execz .LBB141_70
.LBB141_69:                             ;   in Loop: Header=BB141_61 Depth=2
	global_load_b32 v9, v[10:11], off offset:896
.LBB141_70:                             ;   in Loop: Header=BB141_61 Depth=2
	s_or_b32 exec_lo, exec_lo, s28
	s_waitcnt vmcnt(0)
	ds_store_b32 v29, v12
	ds_store_b32 v30, v3 offset:128
	ds_store_b32 v31, v4 offset:256
	;; [unrolled: 1-line block ×7, first 2 shown]
	; wave barrier
	ds_load_2addr_b32 v[18:19], v37 offset1:1
	ds_load_2addr_b32 v[16:17], v37 offset0:2 offset1:3
	ds_load_2addr_b32 v[14:15], v37 offset0:4 offset1:5
	;; [unrolled: 1-line block ×3, first 2 shown]
	s_mov_b32 s43, s53
	s_mov_b32 s84, s53
	s_lshl_b64 s[28:29], s[42:43], 2
	s_mov_b32 s85, s53
	s_mov_b32 s86, s53
	;; [unrolled: 1-line block ×7, first 2 shown]
	v_add_co_u32 v10, vcc_lo, v82, s28
	v_dual_mov_b32 v2, s84 :: v_dual_mov_b32 v3, s85
	v_add_co_ci_u32_e32 v11, vcc_lo, s29, v83, vcc_lo
	v_dual_mov_b32 v4, s86 :: v_dual_mov_b32 v5, s87
	v_dual_mov_b32 v6, s88 :: v_dual_mov_b32 v7, s89
	v_dual_mov_b32 v8, s90 :: v_dual_mov_b32 v9, s91
	v_mov_b32_e32 v92, 0
	s_and_saveexec_b32 s28, s12
	s_cbranch_execnz .LBB141_88
; %bb.71:                               ;   in Loop: Header=BB141_61 Depth=2
	s_or_b32 exec_lo, exec_lo, s28
	s_and_saveexec_b32 s28, s13
	s_cbranch_execnz .LBB141_89
.LBB141_72:                             ;   in Loop: Header=BB141_61 Depth=2
	s_or_b32 exec_lo, exec_lo, s28
	s_and_saveexec_b32 s28, s14
	s_cbranch_execnz .LBB141_90
.LBB141_73:                             ;   in Loop: Header=BB141_61 Depth=2
	s_or_b32 exec_lo, exec_lo, s28
	s_and_saveexec_b32 s28, s15
	s_cbranch_execnz .LBB141_91
.LBB141_74:                             ;   in Loop: Header=BB141_61 Depth=2
	s_or_b32 exec_lo, exec_lo, s28
	s_and_saveexec_b32 s28, s16
	s_cbranch_execnz .LBB141_92
.LBB141_75:                             ;   in Loop: Header=BB141_61 Depth=2
	s_or_b32 exec_lo, exec_lo, s28
	s_and_saveexec_b32 s28, s17
	s_cbranch_execnz .LBB141_93
.LBB141_76:                             ;   in Loop: Header=BB141_61 Depth=2
	s_or_b32 exec_lo, exec_lo, s28
	s_and_saveexec_b32 s28, s18
	s_cbranch_execnz .LBB141_94
.LBB141_77:                             ;   in Loop: Header=BB141_61 Depth=2
	s_or_b32 exec_lo, exec_lo, s28
	s_and_saveexec_b32 s28, s19
	s_cbranch_execz .LBB141_79
.LBB141_78:                             ;   in Loop: Header=BB141_61 Depth=2
	global_load_b32 v9, v[10:11], off offset:896
.LBB141_79:                             ;   in Loop: Header=BB141_61 Depth=2
	s_or_b32 exec_lo, exec_lo, s28
	s_waitcnt vmcnt(0)
	ds_store_b32 v29, v92 offset:2112
	ds_store_b32 v38, v3 offset:128
	ds_store_b32 v39, v4 offset:256
	ds_store_b32 v40, v5 offset:384
	ds_store_b32 v41, v6 offset:512
	ds_store_b32 v42, v7 offset:640
	ds_store_b32 v43, v8 offset:768
	ds_store_b32 v44, v9 offset:896
	v_add_nc_u32_e32 v4, 0x840, v37
	; wave barrier
	ds_load_2addr_b32 v[6:7], v45 offset0:2 offset1:3
	ds_load_2addr_b32 v[2:3], v45 offset0:4 offset1:5
	ds_load_2addr_b32 v[8:9], v4 offset1:1
	ds_load_2addr_b32 v[4:5], v45 offset0:6 offset1:7
	s_and_not1_b32 vcc_lo, exec_lo, s39
	s_cbranch_vccnz .LBB141_95
; %bb.80:                               ;   in Loop: Header=BB141_61 Depth=2
	v_mov_b32_e32 v10, s81
	ds_load_b64 v[10:11], v10
	s_cbranch_execz .LBB141_96
	s_branch .LBB141_99
.LBB141_81:                             ;   in Loop: Header=BB141_61 Depth=2
	global_load_b32 v12, v[10:11], off
	v_mov_b32_e32 v7, v1
	v_mov_b32_e32 v2, v1
	;; [unrolled: 1-line block ×7, first 2 shown]
	s_delay_alu instid0(VALU_DEP_2)
	v_dual_mov_b32 v8, v6 :: v_dual_mov_b32 v7, v5
	v_mov_b32_e32 v6, v4
	v_mov_b32_e32 v5, v3
	;; [unrolled: 1-line block ×5, first 2 shown]
	s_or_b32 exec_lo, exec_lo, s28
	s_and_saveexec_b32 s28, s13
	s_cbranch_execz .LBB141_63
.LBB141_82:                             ;   in Loop: Header=BB141_61 Depth=2
	global_load_b32 v3, v[10:11], off offset:128
	s_or_b32 exec_lo, exec_lo, s28
	s_and_saveexec_b32 s28, s14
	s_cbranch_execz .LBB141_64
.LBB141_83:                             ;   in Loop: Header=BB141_61 Depth=2
	global_load_b32 v4, v[10:11], off offset:256
	s_or_b32 exec_lo, exec_lo, s28
	s_and_saveexec_b32 s28, s15
	s_cbranch_execz .LBB141_65
.LBB141_84:                             ;   in Loop: Header=BB141_61 Depth=2
	global_load_b32 v5, v[10:11], off offset:384
	s_or_b32 exec_lo, exec_lo, s28
	s_and_saveexec_b32 s28, s16
	s_cbranch_execz .LBB141_66
.LBB141_85:                             ;   in Loop: Header=BB141_61 Depth=2
	global_load_b32 v6, v[10:11], off offset:512
	s_or_b32 exec_lo, exec_lo, s28
	s_and_saveexec_b32 s28, s17
	s_cbranch_execz .LBB141_67
.LBB141_86:                             ;   in Loop: Header=BB141_61 Depth=2
	global_load_b32 v7, v[10:11], off offset:640
	s_or_b32 exec_lo, exec_lo, s28
	s_and_saveexec_b32 s28, s18
	s_cbranch_execz .LBB141_68
.LBB141_87:                             ;   in Loop: Header=BB141_61 Depth=2
	global_load_b32 v8, v[10:11], off offset:768
	s_or_b32 exec_lo, exec_lo, s28
	s_and_saveexec_b32 s28, s19
	s_cbranch_execnz .LBB141_69
	s_branch .LBB141_70
.LBB141_88:                             ;   in Loop: Header=BB141_61 Depth=2
	global_load_b32 v92, v[10:11], off
	v_mov_b32_e32 v7, v1
	v_mov_b32_e32 v2, v1
	;; [unrolled: 1-line block ×7, first 2 shown]
	s_delay_alu instid0(VALU_DEP_2)
	v_dual_mov_b32 v8, v6 :: v_dual_mov_b32 v7, v5
	v_mov_b32_e32 v6, v4
	v_mov_b32_e32 v5, v3
	;; [unrolled: 1-line block ×5, first 2 shown]
	s_or_b32 exec_lo, exec_lo, s28
	s_and_saveexec_b32 s28, s13
	s_cbranch_execz .LBB141_72
.LBB141_89:                             ;   in Loop: Header=BB141_61 Depth=2
	global_load_b32 v3, v[10:11], off offset:128
	s_or_b32 exec_lo, exec_lo, s28
	s_and_saveexec_b32 s28, s14
	s_cbranch_execz .LBB141_73
.LBB141_90:                             ;   in Loop: Header=BB141_61 Depth=2
	global_load_b32 v4, v[10:11], off offset:256
	s_or_b32 exec_lo, exec_lo, s28
	s_and_saveexec_b32 s28, s15
	s_cbranch_execz .LBB141_74
.LBB141_91:                             ;   in Loop: Header=BB141_61 Depth=2
	global_load_b32 v5, v[10:11], off offset:384
	s_or_b32 exec_lo, exec_lo, s28
	s_and_saveexec_b32 s28, s16
	s_cbranch_execz .LBB141_75
.LBB141_92:                             ;   in Loop: Header=BB141_61 Depth=2
	global_load_b32 v6, v[10:11], off offset:512
	s_or_b32 exec_lo, exec_lo, s28
	s_and_saveexec_b32 s28, s17
	s_cbranch_execz .LBB141_76
.LBB141_93:                             ;   in Loop: Header=BB141_61 Depth=2
	global_load_b32 v7, v[10:11], off offset:640
	s_or_b32 exec_lo, exec_lo, s28
	s_and_saveexec_b32 s28, s18
	s_cbranch_execz .LBB141_77
.LBB141_94:                             ;   in Loop: Header=BB141_61 Depth=2
	global_load_b32 v8, v[10:11], off offset:768
	s_or_b32 exec_lo, exec_lo, s28
	s_and_saveexec_b32 s28, s19
	s_cbranch_execnz .LBB141_78
	s_branch .LBB141_79
.LBB141_95:                             ;   in Loop: Header=BB141_61 Depth=2
                                        ; implicit-def: $vgpr10
.LBB141_96:                             ;   in Loop: Header=BB141_61 Depth=2
	s_waitcnt lgkmcnt(0)
	v_mov_b32_e32 v11, 0
	s_and_not1_b32 vcc_lo, exec_lo, s33
	s_cbranch_vccnz .LBB141_98
; %bb.97:                               ;   in Loop: Header=BB141_61 Depth=2
	s_mov_b32 s47, s53
	s_delay_alu instid0(SALU_CYCLE_1) | instskip(NEXT) | instid1(SALU_CYCLE_1)
	s_lshl_b64 s[28:29], s[46:47], 2
	s_add_u32 s28, s72, s28
	s_addc_u32 s29, s73, s29
	global_load_b32 v11, v1, s[28:29]
.LBB141_98:                             ;   in Loop: Header=BB141_61 Depth=2
	v_mov_b32_e32 v10, 1.0
.LBB141_99:                             ;   in Loop: Header=BB141_61 Depth=2
	s_waitcnt lgkmcnt(15)
	v_dual_mul_f32 v97, 0x3fb8aa3b, v91 :: v_dual_mul_f32 v18, v18, v90
	s_waitcnt lgkmcnt(14)
	v_dual_mul_f32 v19, v19, v89 :: v_dual_mul_f32 v94, v16, v88
	s_waitcnt lgkmcnt(13)
	s_delay_alu instid0(VALU_DEP_2)
	v_dual_mul_f32 v15, v15, v85 :: v_dual_mul_f32 v92, v97, v64
	v_mul_f32_e32 v91, v97, v63
	v_mul_f32_e32 v98, v97, v72
	;; [unrolled: 1-line block ×3, first 2 shown]
	v_cndmask_b32_e64 v18, 0, v18, s20
	v_cmp_gt_f32_e64 s28, 0xc2fc0000, v92
	v_cmp_gt_f32_e32 vcc_lo, 0xc2fc0000, v91
	v_cndmask_b32_e64 v16, 0, v19, s21
	v_mul_f32_e32 v14, v14, v86
	s_waitcnt lgkmcnt(12)
	v_mul_f32_e32 v12, v12, v84
	v_cndmask_b32_e64 v92, 0, 0x42800000, s28
	v_cndmask_b32_e64 v95, 1.0, 0x1f800000, vcc_lo
	v_cndmask_b32_e64 v96, 1.0, 0x1f800000, s28
	v_cndmask_b32_e64 v91, 0, 0x42800000, vcc_lo
	v_cmp_gt_f32_e32 vcc_lo, 0xc2fc0000, v98
	v_fmac_f32_e32 v92, v97, v64
	s_delay_alu instid0(VALU_DEP_1) | instskip(SKIP_2) | instid1(VALU_DEP_1)
	v_exp_f32_e32 v92, v92
	s_waitcnt_depctr 0xfff
	v_dual_mul_f32 v93, v97, v65 :: v_dual_mul_f32 v92, v92, v96
	v_cmp_gt_f32_e64 s29, 0xc2fc0000, v93
	s_delay_alu instid0(VALU_DEP_2) | instskip(NEXT) | instid1(VALU_DEP_2)
	v_cndmask_b32_e64 v92, 1.0, v92, s21
	v_cndmask_b32_e64 v93, 0, 0x42800000, s29
	v_cndmask_b32_e64 v96, 1.0, 0x1f800000, s29
	s_delay_alu instid0(VALU_DEP_3) | instskip(NEXT) | instid1(VALU_DEP_3)
	v_fma_f32 v101, v92, v18, v16
	v_fmac_f32_e32 v93, v97, v65
	s_delay_alu instid0(VALU_DEP_1) | instskip(SKIP_2) | instid1(VALU_DEP_1)
	v_exp_f32_e32 v99, v93
	s_waitcnt_depctr 0xfff
	v_dual_fmac_f32 v91, v97, v63 :: v_dual_mul_f32 v96, v99, v96
	v_exp_f32_e32 v91, v91
	s_waitcnt_depctr 0xfff
	v_mul_f32_e32 v91, v91, v95
	v_cndmask_b32_e64 v95, 0, 0x42800000, vcc_lo
	s_delay_alu instid0(VALU_DEP_2) | instskip(SKIP_1) | instid1(VALU_DEP_3)
	v_cndmask_b32_e64 v93, 1.0, v91, s20
	v_mul_f32_e32 v19, v97, v66
	v_fmac_f32_e32 v95, v97, v72
	v_mul_f32_e32 v91, v97, v76
	s_delay_alu instid0(VALU_DEP_3) | instskip(NEXT) | instid1(VALU_DEP_3)
	v_cmp_gt_f32_e64 s30, 0xc2fc0000, v19
	v_exp_f32_e32 v99, v95
	v_cndmask_b32_e64 v95, 1.0, v96, s22
	s_delay_alu instid0(VALU_DEP_3) | instskip(NEXT) | instid1(VALU_DEP_3)
	v_cmp_gt_f32_e64 s28, 0xc2fc0000, v91
	v_cndmask_b32_e64 v19, 0, 0x42800000, s30
	s_delay_alu instid0(VALU_DEP_2) | instskip(NEXT) | instid1(VALU_DEP_2)
	v_cndmask_b32_e64 v91, 0, 0x42800000, s28
	v_fmac_f32_e32 v19, v97, v66
	s_delay_alu instid0(VALU_DEP_1)
	v_exp_f32_e32 v98, v19
	v_cndmask_b32_e64 v19, 0, v94, s22
	v_cndmask_b32_e64 v94, 1.0, 0x1f800000, s30
	s_waitcnt_depctr 0xfff
	v_mul_f32_e32 v94, v98, v94
	v_cndmask_b32_e64 v98, 1.0, 0x1f800000, vcc_lo
	v_cmp_gt_f32_e32 vcc_lo, 0xc2fc0000, v100
	v_mul_f32_e32 v100, v97, v78
	s_delay_alu instid0(VALU_DEP_4) | instskip(NEXT) | instid1(VALU_DEP_4)
	v_cndmask_b32_e64 v96, 1.0, v94, s23
	v_mul_f32_e32 v98, v99, v98
	v_cndmask_b32_e64 v99, 0, 0x42800000, vcc_lo
	s_delay_alu instid0(VALU_DEP_2) | instskip(SKIP_1) | instid1(VALU_DEP_3)
	v_cndmask_b32_e64 v98, 1.0, v98, s24
	v_fmac_f32_e32 v91, v97, v76
	v_fmac_f32_e32 v99, v97, v77
	s_delay_alu instid0(VALU_DEP_2)
	v_exp_f32_e32 v94, v91
	v_cndmask_b32_e64 v91, 0, v14, s24
	v_cndmask_b32_e64 v14, 1.0, 0x1f800000, s28
	v_cmp_gt_f32_e64 s28, 0xc2fc0000, v100
	v_dual_mul_f32 v17, v17, v87 :: v_dual_mul_f32 v100, v92, v93
	v_exp_f32_e32 v99, v99
	s_waitcnt_depctr 0xfff
	v_mul_f32_e32 v14, v94, v14
	v_cndmask_b32_e64 v94, 0, v15, s25
	v_cndmask_b32_e64 v15, 0, 0x42800000, s28
	;; [unrolled: 1-line block ×3, first 2 shown]
	s_delay_alu instid0(VALU_DEP_4) | instskip(NEXT) | instid1(VALU_DEP_3)
	v_cndmask_b32_e64 v102, 1.0, v14, s25
	v_dual_mul_f32 v14, v100, v95 :: v_dual_fmac_f32 v15, v97, v78
	v_fma_f32 v97, v101, v95, v19
	v_cndmask_b32_e64 v100, 1.0, 0x1f800000, vcc_lo
	s_delay_alu instid0(VALU_DEP_3) | instskip(NEXT) | instid1(VALU_DEP_4)
	v_mul_f32_e32 v14, v14, v96
	v_exp_f32_e32 v15, v15
	s_delay_alu instid0(VALU_DEP_3) | instskip(SKIP_3) | instid1(VALU_DEP_4)
	v_fma_f32 v101, v97, v96, v17
	v_cndmask_b32_e64 v97, 0, v12, s26
	v_cndmask_b32_e64 v12, 1.0, 0x1f800000, s28
	v_dual_mul_f32 v14, v14, v98 :: v_dual_mul_f32 v99, v99, v100
	v_fma_f32 v101, v101, v98, v91
	s_delay_alu instid0(VALU_DEP_2)
	v_dual_mul_f32 v13, v13, v79 :: v_dual_mul_f32 v14, v14, v102
	s_delay_alu instid0(TRANS32_DEP_1) | instid1(VALU_DEP_4)
	v_mul_f32_e32 v12, v15, v12
	s_delay_alu instid0(VALU_DEP_4) | instskip(NEXT) | instid1(VALU_DEP_4)
	v_cndmask_b32_e64 v100, 1.0, v99, s26
	v_fma_f32 v15, v101, v102, v94
	s_delay_alu instid0(VALU_DEP_4) | instskip(NEXT) | instid1(VALU_DEP_4)
	v_cndmask_b32_e64 v99, 0, v13, s27
	v_cndmask_b32_e64 v101, 1.0, v12, s27
	s_delay_alu instid0(VALU_DEP_4) | instskip(NEXT) | instid1(VALU_DEP_4)
	v_mul_f32_e32 v12, v14, v100
	v_fma_f32 v13, v15, v100, v97
	s_delay_alu instid0(VALU_DEP_2) | instskip(NEXT) | instid1(VALU_DEP_2)
	v_mul_f32_e32 v12, v12, v101
	v_fma_f32 v13, v13, v101, v99
	s_delay_alu instid0(VALU_DEP_2) | instskip(NEXT) | instid1(VALU_DEP_2)
	v_mov_b32_dpp v15, v12 row_shr:1 row_mask:0xf bank_mask:0xf
	v_mov_b32_dpp v14, v13 row_shr:1 row_mask:0xf bank_mask:0xf
	s_and_saveexec_b32 s28, s0
; %bb.100:                              ;   in Loop: Header=BB141_61 Depth=2
	s_delay_alu instid0(VALU_DEP_2) | instskip(NEXT) | instid1(VALU_DEP_1)
	v_mul_f32_e32 v15, v12, v15
	v_dual_fmac_f32 v13, v12, v14 :: v_dual_mov_b32 v12, v15
; %bb.101:                              ;   in Loop: Header=BB141_61 Depth=2
	s_or_b32 exec_lo, exec_lo, s28
	s_delay_alu instid0(VALU_DEP_1) | instskip(NEXT) | instid1(VALU_DEP_2)
	v_mov_b32_dpp v14, v12 row_shr:2 row_mask:0xf bank_mask:0xf
	v_mov_b32_dpp v15, v13 row_shr:2 row_mask:0xf bank_mask:0xf
	s_and_saveexec_b32 s28, s1
; %bb.102:                              ;   in Loop: Header=BB141_61 Depth=2
	s_delay_alu instid0(VALU_DEP_1) | instskip(NEXT) | instid1(VALU_DEP_3)
	v_fmac_f32_e32 v13, v12, v15
	v_mul_f32_e32 v12, v12, v14
; %bb.103:                              ;   in Loop: Header=BB141_61 Depth=2
	s_or_b32 exec_lo, exec_lo, s28
	s_delay_alu instid0(VALU_DEP_1) | instskip(NEXT) | instid1(VALU_DEP_3)
	v_mov_b32_dpp v14, v12 row_shr:4 row_mask:0xf bank_mask:0xf
	v_mov_b32_dpp v15, v13 row_shr:4 row_mask:0xf bank_mask:0xf
	s_and_saveexec_b32 s28, s2
; %bb.104:                              ;   in Loop: Header=BB141_61 Depth=2
	s_delay_alu instid0(VALU_DEP_1) | instskip(NEXT) | instid1(VALU_DEP_3)
	v_fmac_f32_e32 v13, v12, v15
	v_mul_f32_e32 v12, v12, v14
; %bb.105:                              ;   in Loop: Header=BB141_61 Depth=2
	s_or_b32 exec_lo, exec_lo, s28
	s_delay_alu instid0(VALU_DEP_1) | instskip(NEXT) | instid1(VALU_DEP_3)
	v_mov_b32_dpp v14, v12 row_shr:8 row_mask:0xf bank_mask:0xf
	v_mov_b32_dpp v15, v13 row_shr:8 row_mask:0xf bank_mask:0xf
	s_and_saveexec_b32 s28, s3
; %bb.106:                              ;   in Loop: Header=BB141_61 Depth=2
	s_delay_alu instid0(VALU_DEP_1) | instskip(NEXT) | instid1(VALU_DEP_3)
	v_fmac_f32_e32 v13, v12, v15
	v_mul_f32_e32 v12, v12, v14
; %bb.107:                              ;   in Loop: Header=BB141_61 Depth=2
	s_or_b32 exec_lo, exec_lo, s28
	ds_swizzle_b32 v15, v12 offset:swizzle(BROADCAST,32,15)
	ds_swizzle_b32 v14, v13 offset:swizzle(BROADCAST,32,15)
	s_and_saveexec_b32 s28, s4
	s_cbranch_execz .LBB141_109
; %bb.108:                              ;   in Loop: Header=BB141_61 Depth=2
	s_waitcnt lgkmcnt(1)
	v_mul_f32_e32 v15, v12, v15
	s_waitcnt lgkmcnt(0)
	s_delay_alu instid0(VALU_DEP_1)
	v_dual_fmac_f32 v13, v12, v14 :: v_dual_mov_b32 v12, v15
.LBB141_109:                            ;   in Loop: Header=BB141_61 Depth=2
	s_or_b32 exec_lo, exec_lo, s28
	s_and_saveexec_b32 s28, s5
	s_cbranch_execz .LBB141_111
; %bb.110:                              ;   in Loop: Header=BB141_61 Depth=2
	ds_store_b64 v46, v[12:13] offset:4224
.LBB141_111:                            ;   in Loop: Header=BB141_61 Depth=2
	s_or_b32 exec_lo, exec_lo, s28
	s_waitcnt vmcnt(0) lgkmcnt(0)
	s_waitcnt_vscnt null, 0x0
	s_barrier
	buffer_gl0_inv
	s_and_saveexec_b32 s28, s6
	s_cbranch_execz .LBB141_113
; %bb.112:                              ;   in Loop: Header=BB141_61 Depth=2
	ds_load_b64 v[14:15], v47 offset:4224
	s_waitcnt lgkmcnt(0)
	v_mov_b32_dpp v103, v14 row_shr:1 row_mask:0xf bank_mask:0xf
	v_mov_b32_dpp v104, v15 row_shr:1 row_mask:0xf bank_mask:0xf
	s_delay_alu instid0(VALU_DEP_2) | instskip(NEXT) | instid1(VALU_DEP_2)
	v_mul_f32_e32 v103, v14, v103
	v_fma_f32 v104, v14, v104, v15
	s_delay_alu instid0(VALU_DEP_2) | instskip(NEXT) | instid1(VALU_DEP_2)
	v_cndmask_b32_e64 v14, v103, v14, s7
	v_cndmask_b32_e64 v15, v104, v15, s7
	ds_store_b64 v47, v[14:15] offset:4224
.LBB141_113:                            ;   in Loop: Header=BB141_61 Depth=2
	s_or_b32 exec_lo, exec_lo, s28
	s_waitcnt lgkmcnt(0)
	s_barrier
	buffer_gl0_inv
                                        ; implicit-def: $vgpr15
	s_and_saveexec_b32 s28, s9
	s_cbranch_execz .LBB141_115
; %bb.114:                              ;   in Loop: Header=BB141_61 Depth=2
	ds_load_b64 v[14:15], v46 offset:4216
	s_waitcnt lgkmcnt(0)
	v_mul_f32_e32 v103, v12, v14
	s_delay_alu instid0(VALU_DEP_1)
	v_dual_fmac_f32 v13, v12, v15 :: v_dual_mov_b32 v12, v103
.LBB141_115:                            ;   in Loop: Header=BB141_61 Depth=2
	s_or_b32 exec_lo, exec_lo, s28
	ds_bpermute_b32 v103, v48, v12
	ds_bpermute_b32 v104, v48, v13
	s_and_saveexec_b32 s28, s8
	s_cbranch_execz .LBB141_119
; %bb.116:                              ;   in Loop: Header=BB141_61 Depth=2
	ds_load_b64 v[12:13], v1 offset:4232
	s_and_saveexec_b32 s29, s10
	s_cbranch_execz .LBB141_118
; %bb.117:                              ;   in Loop: Header=BB141_61 Depth=2
	ds_store_b64 v1, v[10:11] offset:4232
.LBB141_118:                            ;   in Loop: Header=BB141_61 Depth=2
	s_or_b32 exec_lo, exec_lo, s29
	s_waitcnt lgkmcnt(0)
	v_fmac_f32_e32 v13, v11, v12
	s_delay_alu instid0(VALU_DEP_1)
	v_dual_mul_f32 v10, v10, v12 :: v_dual_mov_b32 v11, v13
.LBB141_119:                            ;   in Loop: Header=BB141_61 Depth=2
	s_or_b32 exec_lo, exec_lo, s28
	s_waitcnt lgkmcnt(0)
	s_barrier
	buffer_gl0_inv
	ds_load_b32 v12, v1 offset:4236
	s_and_saveexec_b32 s28, s10
	s_cbranch_execz .LBB141_60
; %bb.120:                              ;   in Loop: Header=BB141_61 Depth=2
	v_mov_b32_e32 v13, s81
	s_and_not1_b32 vcc_lo, exec_lo, s54
	ds_store_b64 v13, v[10:11]
	s_cbranch_vccnz .LBB141_60
; %bb.121:                              ;   in Loop: Header=BB141_61 Depth=2
	s_mov_b32 s47, s53
	s_delay_alu instid0(SALU_CYCLE_1) | instskip(NEXT) | instid1(SALU_CYCLE_1)
	s_lshl_b64 s[58:59], s[46:47], 2
	s_add_u32 s58, s72, s58
	s_addc_u32 s59, s73, s59
	global_store_b32 v1, v11, s[58:59]
	s_branch .LBB141_60
.LBB141_122:                            ;   in Loop: Header=BB141_12 Depth=1
	s_waitcnt_vscnt null, 0x0
	s_barrier
	buffer_gl0_inv
	ds_store_2addr_b32 v37, v75, v74 offset1:1
	ds_store_2addr_b32 v37, v73, v70 offset0:2 offset1:3
	ds_store_2addr_b32 v37, v69, v68 offset0:4 offset1:5
	;; [unrolled: 1-line block ×3, first 2 shown]
	; wave barrier
	ds_load_b32 v10, v30 offset:128
	ds_load_b32 v9, v31 offset:256
	;; [unrolled: 1-line block ×7, first 2 shown]
	s_mov_b32 s39, s53
	s_delay_alu instid0(SALU_CYCLE_1) | instskip(NEXT) | instid1(SALU_CYCLE_1)
	s_lshl_b64 s[24:25], s[38:39], 2
	v_add_co_u32 v2, vcc_lo, v0, s24
	v_add_co_ci_u32_e32 v3, vcc_lo, s25, v49, vcc_lo
	s_and_saveexec_b32 s20, s12
	s_cbranch_execnz .LBB141_150
; %bb.123:                              ;   in Loop: Header=BB141_12 Depth=1
	s_or_b32 exec_lo, exec_lo, s20
	s_and_saveexec_b32 s20, s13
	s_cbranch_execnz .LBB141_151
.LBB141_124:                            ;   in Loop: Header=BB141_12 Depth=1
	s_or_b32 exec_lo, exec_lo, s20
	s_and_saveexec_b32 s20, s14
	s_cbranch_execnz .LBB141_152
.LBB141_125:                            ;   in Loop: Header=BB141_12 Depth=1
	s_or_b32 exec_lo, exec_lo, s20
	s_and_saveexec_b32 s20, s15
	s_cbranch_execnz .LBB141_153
.LBB141_126:                            ;   in Loop: Header=BB141_12 Depth=1
	s_or_b32 exec_lo, exec_lo, s20
	s_and_saveexec_b32 s20, s16
	s_cbranch_execnz .LBB141_154
.LBB141_127:                            ;   in Loop: Header=BB141_12 Depth=1
	s_or_b32 exec_lo, exec_lo, s20
	s_and_saveexec_b32 s20, s17
	s_cbranch_execnz .LBB141_155
.LBB141_128:                            ;   in Loop: Header=BB141_12 Depth=1
	s_or_b32 exec_lo, exec_lo, s20
	s_and_saveexec_b32 s20, s18
	s_cbranch_execnz .LBB141_156
.LBB141_129:                            ;   in Loop: Header=BB141_12 Depth=1
	s_or_b32 exec_lo, exec_lo, s20
	s_and_saveexec_b32 s20, s19
	s_cbranch_execz .LBB141_131
.LBB141_130:                            ;   in Loop: Header=BB141_12 Depth=1
	s_waitcnt lgkmcnt(0)
	global_store_b32 v[2:3], v4, off offset:896
.LBB141_131:                            ;   in Loop: Header=BB141_12 Depth=1
	s_or_b32 exec_lo, exec_lo, s20
	s_mov_b32 s52, s53
	s_mov_b32 s54, s53
	;; [unrolled: 1-line block ×7, first 2 shown]
	s_waitcnt lgkmcnt(6)
	v_add_co_u32 v10, vcc_lo, v50, s24
	s_waitcnt lgkmcnt(0)
	v_dual_mov_b32 v2, s52 :: v_dual_mov_b32 v3, s53
	v_add_co_ci_u32_e32 v11, vcc_lo, s25, v51, vcc_lo
	v_dual_mov_b32 v4, s54 :: v_dual_mov_b32 v5, s55
	v_dual_mov_b32 v6, s56 :: v_dual_mov_b32 v7, s57
	;; [unrolled: 1-line block ×3, first 2 shown]
	v_mov_b32_e32 v12, 0
	s_waitcnt_vscnt null, 0x0
	s_barrier
	buffer_gl0_inv
	s_and_saveexec_b32 s20, s12
	s_cbranch_execnz .LBB141_157
; %bb.132:                              ;   in Loop: Header=BB141_12 Depth=1
	s_or_b32 exec_lo, exec_lo, s20
	s_and_saveexec_b32 s20, s13
	s_cbranch_execnz .LBB141_158
.LBB141_133:                            ;   in Loop: Header=BB141_12 Depth=1
	s_or_b32 exec_lo, exec_lo, s20
	s_and_saveexec_b32 s20, s14
	s_cbranch_execnz .LBB141_159
.LBB141_134:                            ;   in Loop: Header=BB141_12 Depth=1
	s_or_b32 exec_lo, exec_lo, s20
	s_and_saveexec_b32 s20, s15
	s_cbranch_execnz .LBB141_160
.LBB141_135:                            ;   in Loop: Header=BB141_12 Depth=1
	s_or_b32 exec_lo, exec_lo, s20
	s_and_saveexec_b32 s20, s16
	s_cbranch_execnz .LBB141_161
.LBB141_136:                            ;   in Loop: Header=BB141_12 Depth=1
	s_or_b32 exec_lo, exec_lo, s20
	s_and_saveexec_b32 s20, s17
	s_cbranch_execnz .LBB141_162
.LBB141_137:                            ;   in Loop: Header=BB141_12 Depth=1
	s_or_b32 exec_lo, exec_lo, s20
	s_and_saveexec_b32 s20, s18
	s_cbranch_execnz .LBB141_163
.LBB141_138:                            ;   in Loop: Header=BB141_12 Depth=1
	s_or_b32 exec_lo, exec_lo, s20
	s_and_saveexec_b32 s20, s19
	s_cbranch_execz .LBB141_140
.LBB141_139:                            ;   in Loop: Header=BB141_12 Depth=1
	global_load_b32 v9, v[10:11], off offset:896
.LBB141_140:                            ;   in Loop: Header=BB141_12 Depth=1
	s_or_b32 exec_lo, exec_lo, s20
	s_waitcnt vmcnt(0)
	ds_store_b32 v29, v12
	ds_store_b32 v30, v3 offset:128
	ds_store_b32 v31, v4 offset:256
	;; [unrolled: 1-line block ×7, first 2 shown]
	; wave barrier
	ds_load_2addr_b32 v[2:3], v37 offset1:1
	ds_load_2addr_b32 v[4:5], v37 offset0:2 offset1:3
	ds_load_2addr_b32 v[6:7], v37 offset0:4 offset1:5
	;; [unrolled: 1-line block ×3, first 2 shown]
	s_waitcnt lgkmcnt(0)
	s_barrier
	buffer_gl0_inv
	v_dual_mul_f32 v10, 0xbfb8aa3b, v2 :: v_dual_mul_f32 v11, 0xbfb8aa3b, v3
	v_cmp_nlt_f32_e32 vcc_lo, 0x42ce8ed0, v2
	v_cmp_ngt_f32_e64 s22, 0xc2b17218, v5
	s_delay_alu instid0(VALU_DEP_3) | instskip(NEXT) | instid1(VALU_DEP_4)
	v_rndne_f32_e32 v13, v10
	v_rndne_f32_e32 v15, v11
	v_fma_f32 v16, 0xbfb8aa3b, v3, -v11
	v_mul_f32_e32 v12, 0xbfb8aa3b, v4
	v_fma_f32 v14, 0xbfb8aa3b, v2, -v10
	s_delay_alu instid0(VALU_DEP_4) | instskip(NEXT) | instid1(VALU_DEP_4)
	v_sub_f32_e32 v11, v11, v15
	v_fmac_f32_e32 v16, 0xb2a5705f, v3
	v_sub_f32_e32 v10, v10, v13
	v_cvt_i32_f32_e32 v13, v13
	v_rndne_f32_e32 v17, v12
	v_fma_f32 v18, 0xbfb8aa3b, v4, -v12
	v_add_f32_e32 v11, v11, v16
	v_mul_f32_e32 v19, 0xbfb8aa3b, v5
	v_cvt_i32_f32_e32 v15, v15
	v_sub_f32_e32 v12, v12, v17
	v_cvt_i32_f32_e32 v17, v17
	v_exp_f32_e32 v11, v11
	v_fma_f32 v16, 0xbfb8aa3b, v5, -v19
	s_delay_alu instid0(VALU_DEP_1)
	v_fmac_f32_e32 v16, 0xb2a5705f, v5
	v_fmac_f32_e32 v14, 0xb2a5705f, v2
	s_waitcnt_depctr 0xfff
	v_ldexp_f32 v11, v11, v15
	v_add_f32_e32 v10, v10, v14
	v_rndne_f32_e32 v14, v19
	s_delay_alu instid0(VALU_DEP_2) | instskip(SKIP_2) | instid1(VALU_DEP_1)
	v_exp_f32_e32 v10, v10
	s_waitcnt_depctr 0xfff
	v_ldexp_f32 v10, v10, v13
	v_cndmask_b32_e32 v10, 0, v10, vcc_lo
	v_cmp_nlt_f32_e32 vcc_lo, 0x42ce8ed0, v3
	v_dual_fmac_f32 v18, 0xb2a5705f, v4 :: v_dual_cndmask_b32 v11, 0, v11
	s_delay_alu instid0(VALU_DEP_1) | instskip(SKIP_1) | instid1(VALU_DEP_2)
	v_add_f32_e32 v12, v12, v18
	v_cmp_nlt_f32_e32 vcc_lo, 0x42ce8ed0, v4
	v_exp_f32_e32 v12, v12
	s_waitcnt_depctr 0xfff
	v_ldexp_f32 v12, v12, v17
	s_delay_alu instid0(VALU_DEP_1)
	v_cndmask_b32_e32 v12, 0, v12, vcc_lo
	v_cmp_ngt_f32_e32 vcc_lo, 0xc2b17218, v2
	v_cndmask_b32_e32 v10, 0x7f800000, v10, vcc_lo
	v_cmp_ngt_f32_e32 vcc_lo, 0xc2b17218, v3
	v_dual_cndmask_b32 v11, 0x7f800000, v11 :: v_dual_sub_f32 v18, v19, v14
	v_mul_f32_e32 v19, 0xbfb8aa3b, v6
	v_cmp_ngt_f32_e32 vcc_lo, 0xc2b17218, v4
	v_cvt_i32_f32_e32 v14, v14
	s_delay_alu instid0(VALU_DEP_4)
	v_add_f32_e32 v11, 1.0, v11
	v_add_f32_e32 v13, v18, v16
	v_rndne_f32_e32 v65, v19
	v_fma_f32 v80, 0xbfb8aa3b, v6, -v19
	v_cndmask_b32_e32 v12, 0x7f800000, v12, vcc_lo
	v_div_scale_f32 v16, null, v11, v11, v3
	s_delay_alu instid0(VALU_DEP_4) | instskip(SKIP_1) | instid1(VALU_DEP_3)
	v_sub_f32_e32 v19, v19, v65
	v_div_scale_f32 v72, s20, v3, v11, v3
	v_rcp_f32_e32 v63, v16
	v_exp_f32_e32 v13, v13
	v_fmac_f32_e32 v80, 0xb2a5705f, v6
	v_cmp_nlt_f32_e32 vcc_lo, 0x42ce8ed0, v5
	v_mul_f32_e32 v18, 0xbfb8aa3b, v7
	s_waitcnt_depctr 0xfff
	v_fma_f32 v77, -v16, v63, 1.0
	v_ldexp_f32 v13, v13, v14
	s_delay_alu instid0(VALU_DEP_2) | instskip(NEXT) | instid1(VALU_DEP_2)
	v_fmac_f32_e32 v63, v77, v63
	v_cndmask_b32_e32 v13, 0, v13, vcc_lo
	s_delay_alu instid0(VALU_DEP_2) | instskip(NEXT) | instid1(VALU_DEP_2)
	v_mul_f32_e32 v77, v72, v63
	v_cndmask_b32_e64 v13, 0x7f800000, v13, s22
	s_delay_alu instid0(VALU_DEP_2) | instskip(NEXT) | instid1(VALU_DEP_2)
	v_fma_f32 v82, -v16, v77, v72
	v_add_f32_e32 v13, 1.0, v13
	s_delay_alu instid0(VALU_DEP_2) | instskip(NEXT) | instid1(VALU_DEP_2)
	v_dual_fmac_f32 v77, v82, v63 :: v_dual_add_f32 v10, 1.0, v10
	v_div_scale_f32 v84, null, v13, v13, v5
	s_delay_alu instid0(VALU_DEP_2) | instskip(NEXT) | instid1(VALU_DEP_3)
	v_fma_f32 v16, -v16, v77, v72
	v_div_scale_f32 v15, null, v10, v10, v2
	v_div_scale_f32 v66, vcc_lo, v2, v10, v2
	v_mul_f32_e32 v72, 0xbfb8aa3b, v8
	s_delay_alu instid0(VALU_DEP_3) | instskip(SKIP_2) | instid1(VALU_DEP_1)
	v_rcp_f32_e32 v14, v15
	s_waitcnt_depctr 0xfff
	v_fma_f32 v76, -v15, v14, 1.0
	v_fmac_f32_e32 v14, v76, v14
	s_delay_alu instid0(VALU_DEP_1) | instskip(NEXT) | instid1(VALU_DEP_1)
	v_mul_f32_e32 v76, v66, v14
	v_fma_f32 v81, -v15, v76, v66
	s_delay_alu instid0(VALU_DEP_1) | instskip(SKIP_1) | instid1(VALU_DEP_1)
	v_fmac_f32_e32 v76, v81, v14
	v_rcp_f32_e32 v81, v84
	v_fma_f32 v15, -v15, v76, v66
	s_delay_alu instid0(VALU_DEP_1) | instskip(SKIP_2) | instid1(VALU_DEP_1)
	v_div_fmas_f32 v14, v15, v14, v76
	s_mov_b32 vcc_lo, s20
	v_div_fmas_f32 v15, v16, v63, v77
	v_div_fixup_f32 v3, v15, v11, v3
	v_add_f32_e32 v12, 1.0, v12
	v_rndne_f32_e32 v15, v72
	s_delay_alu instid0(TRANS32_DEP_1) | instskip(NEXT) | instid1(VALU_DEP_4)
	v_fma_f32 v11, -v84, v81, 1.0
	v_mul_f32_e32 v3, v3, v74
	s_delay_alu instid0(VALU_DEP_4) | instskip(SKIP_1) | instid1(VALU_DEP_1)
	v_div_scale_f32 v17, null, v12, v12, v4
	v_div_scale_f32 v79, s21, v4, v12, v4
	s_mov_b32 vcc_lo, s21
	s_delay_alu instid0(VALU_DEP_2) | instskip(SKIP_4) | instid1(VALU_DEP_1)
	v_rcp_f32_e32 v64, v17
	v_fmac_f32_e32 v81, v11, v81
	v_cvt_i32_f32_e32 v11, v15
	s_waitcnt_depctr 0xfff
	v_fma_f32 v78, -v17, v64, 1.0
	v_fmac_f32_e32 v64, v78, v64
	s_delay_alu instid0(VALU_DEP_1) | instskip(NEXT) | instid1(VALU_DEP_1)
	v_mul_f32_e32 v78, v79, v64
	v_fma_f32 v83, -v17, v78, v79
	s_delay_alu instid0(VALU_DEP_1) | instskip(NEXT) | instid1(VALU_DEP_1)
	v_fmac_f32_e32 v78, v83, v64
	v_fma_f32 v17, -v17, v78, v79
	s_delay_alu instid0(VALU_DEP_1) | instskip(SKIP_3) | instid1(VALU_DEP_4)
	v_div_fmas_f32 v16, v17, v64, v78
	v_add_f32_e32 v17, v19, v80
	v_div_fixup_f32 v2, v14, v10, v2
	v_cmp_nlt_f32_e32 vcc_lo, 0x42ce8ed0, v6
	v_div_fixup_f32 v4, v16, v12, v4
	s_delay_alu instid0(VALU_DEP_4)
	v_exp_f32_e32 v10, v17
	v_mul_f32_e32 v17, 0xbfb8aa3b, v9
	v_rndne_f32_e32 v66, v18
	v_fma_f32 v19, 0xbfb8aa3b, v7, -v18
	v_cvt_i32_f32_e32 v12, v65
	v_fma_f32 v16, 0xbfb8aa3b, v8, -v72
	s_delay_alu instid0(VALU_DEP_3)
	v_dual_sub_f32 v14, v18, v66 :: v_dual_fmac_f32 v19, 0xb2a5705f, v7
	v_rndne_f32_e32 v18, v17
	s_delay_alu instid0(TRANS32_DEP_1) | instid1(VALU_DEP_4)
	v_ldexp_f32 v10, v10, v12
	s_delay_alu instid0(VALU_DEP_4) | instskip(NEXT) | instid1(VALU_DEP_4)
	v_fmac_f32_e32 v16, 0xb2a5705f, v8
	v_add_f32_e32 v12, v14, v19
	v_sub_f32_e32 v14, v72, v15
	v_fma_f32 v19, 0xbfb8aa3b, v9, -v17
	v_cndmask_b32_e32 v10, 0, v10, vcc_lo
	v_cmp_ngt_f32_e32 vcc_lo, 0xc2b17218, v6
	v_exp_f32_e32 v12, v12
	v_add_f32_e32 v14, v14, v16
	v_sub_f32_e32 v16, v17, v18
	v_cvt_i32_f32_e32 v17, v66
	v_fmac_f32_e32 v19, 0xb2a5705f, v9
	v_cndmask_b32_e32 v10, 0x7f800000, v10, vcc_lo
	v_exp_f32_e32 v14, v14
	v_cmp_nlt_f32_e32 vcc_lo, 0x42ce8ed0, v7
	s_delay_alu instid0(VALU_DEP_3) | instskip(NEXT) | instid1(TRANS32_DEP_2)
	v_add_f32_e32 v16, v16, v19
	v_ldexp_f32 v12, v12, v17
	v_add_f32_e32 v10, 1.0, v10
	s_delay_alu instid0(VALU_DEP_3) | instskip(NEXT) | instid1(VALU_DEP_2)
	v_exp_f32_e32 v15, v16
	v_cndmask_b32_e32 v12, 0, v12, vcc_lo
	s_delay_alu instid0(TRANS32_DEP_2) | instskip(SKIP_3) | instid1(VALU_DEP_4)
	v_ldexp_f32 v11, v14, v11
	v_cmp_nlt_f32_e32 vcc_lo, 0x42ce8ed0, v8
	v_cvt_i32_f32_e32 v14, v18
	v_div_scale_f32 v16, null, v10, v10, v6
	v_cndmask_b32_e32 v11, 0, v11, vcc_lo
	v_cmp_ngt_f32_e32 vcc_lo, 0xc2b17218, v7
	s_delay_alu instid0(TRANS32_DEP_1) | instid1(VALU_DEP_4)
	v_ldexp_f32 v14, v15, v14
	s_delay_alu instid0(VALU_DEP_4) | instskip(SKIP_2) | instid1(VALU_DEP_2)
	v_rcp_f32_e32 v15, v16
	v_cndmask_b32_e32 v12, 0x7f800000, v12, vcc_lo
	v_cmp_ngt_f32_e32 vcc_lo, 0xc2b17218, v8
	v_dual_add_f32 v12, 1.0, v12 :: v_dual_cndmask_b32 v11, 0x7f800000, v11
	v_cmp_nlt_f32_e32 vcc_lo, 0x42ce8ed0, v9
	s_waitcnt_depctr 0xfff
	v_fma_f32 v64, -v16, v15, 1.0
	v_div_scale_f32 v17, null, v12, v12, v7
	v_cndmask_b32_e32 v14, 0, v14, vcc_lo
	v_cmp_ngt_f32_e32 vcc_lo, 0xc2b17218, v9
	v_add_f32_e32 v11, 1.0, v11
	s_delay_alu instid0(VALU_DEP_4)
	v_rcp_f32_e32 v63, v17
	v_fmac_f32_e32 v15, v64, v15
	v_div_scale_f32 v64, s20, v6, v10, v6
	v_cndmask_b32_e32 v14, 0x7f800000, v14, vcc_lo
	v_div_scale_f32 v18, null, v11, v11, v8
	v_div_scale_f32 v19, vcc_lo, v5, v13, v5
	s_delay_alu instid0(VALU_DEP_3) | instskip(NEXT) | instid1(VALU_DEP_3)
	v_add_f32_e32 v14, 1.0, v14
	v_rcp_f32_e32 v65, v18
	v_mul_f32_e32 v4, v4, v73
	s_delay_alu instid0(VALU_DEP_3) | instskip(SKIP_3) | instid1(VALU_DEP_3)
	v_mul_f32_e32 v66, v19, v81
	v_fma_f32 v73, -v17, v63, 1.0
	v_div_scale_f32 v72, null, v14, v14, v9
	v_mul_f32_e32 v77, v64, v15
	v_fmac_f32_e32 v63, v73, v63
	s_delay_alu instid0(VALU_DEP_3) | instskip(NEXT) | instid1(TRANS32_DEP_2)
	v_rcp_f32_e32 v74, v72
	v_fma_f32 v76, -v18, v65, 1.0
	v_mul_f32_e32 v2, v2, v75
	v_fma_f32 v75, -v84, v66, v19
	v_div_scale_f32 v73, s21, v7, v12, v7
	s_delay_alu instid0(VALU_DEP_4) | instskip(SKIP_1) | instid1(VALU_DEP_4)
	v_fmac_f32_e32 v65, v76, v65
	v_div_scale_f32 v76, s22, v8, v11, v8
	v_fmac_f32_e32 v66, v75, v81
	s_delay_alu instid0(TRANS32_DEP_1) | instskip(SKIP_1) | instid1(VALU_DEP_4)
	v_fma_f32 v78, -v72, v74, 1.0
	v_fma_f32 v75, -v16, v77, v64
	v_dual_mul_f32 v79, v73, v63 :: v_dual_mul_f32 v80, v76, v65
	s_delay_alu instid0(VALU_DEP_4) | instskip(NEXT) | instid1(VALU_DEP_4)
	v_fma_f32 v19, -v84, v66, v19
	v_fmac_f32_e32 v74, v78, v74
	v_div_scale_f32 v78, s23, v9, v14, v9
	v_fmac_f32_e32 v77, v75, v15
	v_fma_f32 v75, -v17, v79, v73
	v_fma_f32 v82, -v18, v80, v76
	s_delay_alu instid0(VALU_DEP_4) | instskip(SKIP_2) | instid1(VALU_DEP_4)
	v_mul_f32_e32 v83, v78, v74
	v_div_fmas_f32 v19, v19, v81, v66
	v_fma_f32 v16, -v16, v77, v64
	v_dual_fmac_f32 v79, v75, v63 :: v_dual_fmac_f32 v80, v82, v65
	s_delay_alu instid0(VALU_DEP_4)
	v_fma_f32 v64, -v72, v83, v78
	s_mov_b32 vcc_lo, s20
	v_div_fixup_f32 v5, v19, v13, v5
	v_div_fmas_f32 v15, v16, v15, v77
	v_fma_f32 v16, -v17, v79, v73
	v_fmac_f32_e32 v83, v64, v74
	v_fma_f32 v17, -v18, v80, v76
	s_mov_b32 vcc_lo, s21
	v_div_fixup_f32 v6, v15, v10, v6
	v_div_fmas_f32 v16, v16, v63, v79
	v_fma_f32 v18, -v72, v83, v78
	s_mov_b32 vcc_lo, s22
	v_mul_f32_e32 v5, v5, v70
	v_div_fmas_f32 v17, v17, v65, v80
	s_mov_b32 vcc_lo, s23
	v_div_fixup_f32 v7, v16, v12, v7
	v_div_fmas_f32 v18, v18, v74, v83
	v_mul_f32_e32 v6, v6, v69
	v_div_fixup_f32 v8, v17, v11, v8
	s_delay_alu instid0(VALU_DEP_4) | instskip(NEXT) | instid1(VALU_DEP_4)
	v_mul_f32_e32 v7, v7, v68
	v_div_fixup_f32 v9, v18, v14, v9
	s_delay_alu instid0(VALU_DEP_3) | instskip(NEXT) | instid1(VALU_DEP_2)
	v_mul_f32_e32 v8, v8, v67
	v_mul_f32_e32 v9, v9, v71
	ds_store_2addr_b32 v37, v2, v3 offset1:1
	ds_store_2addr_b32 v37, v4, v5 offset0:2 offset1:3
	ds_store_2addr_b32 v37, v6, v7 offset0:4 offset1:5
	;; [unrolled: 1-line block ×3, first 2 shown]
	; wave barrier
	ds_load_b32 v10, v30 offset:128
	ds_load_b32 v9, v31 offset:256
	;; [unrolled: 1-line block ×7, first 2 shown]
	v_add_co_u32 v2, vcc_lo, v52, s24
	v_add_co_ci_u32_e32 v3, vcc_lo, s25, v53, vcc_lo
	s_and_saveexec_b32 s20, s12
	s_cbranch_execnz .LBB141_164
; %bb.141:                              ;   in Loop: Header=BB141_12 Depth=1
	s_or_b32 exec_lo, exec_lo, s20
	s_and_saveexec_b32 s12, s13
	s_cbranch_execnz .LBB141_165
.LBB141_142:                            ;   in Loop: Header=BB141_12 Depth=1
	s_or_b32 exec_lo, exec_lo, s12
	s_and_saveexec_b32 s12, s14
	s_cbranch_execnz .LBB141_166
.LBB141_143:                            ;   in Loop: Header=BB141_12 Depth=1
	s_or_b32 exec_lo, exec_lo, s12
	s_and_saveexec_b32 s12, s15
	s_cbranch_execnz .LBB141_167
.LBB141_144:                            ;   in Loop: Header=BB141_12 Depth=1
	s_or_b32 exec_lo, exec_lo, s12
	s_and_saveexec_b32 s12, s16
	s_cbranch_execnz .LBB141_168
.LBB141_145:                            ;   in Loop: Header=BB141_12 Depth=1
	s_or_b32 exec_lo, exec_lo, s12
	s_and_saveexec_b32 s12, s17
	s_cbranch_execnz .LBB141_169
.LBB141_146:                            ;   in Loop: Header=BB141_12 Depth=1
	s_or_b32 exec_lo, exec_lo, s12
	s_and_saveexec_b32 s12, s18
	s_cbranch_execnz .LBB141_170
.LBB141_147:                            ;   in Loop: Header=BB141_12 Depth=1
	s_or_b32 exec_lo, exec_lo, s12
	s_and_saveexec_b32 s12, s19
	s_cbranch_execz .LBB141_11
	s_branch .LBB141_171
.LBB141_148:                            ;   in Loop: Header=BB141_12 Depth=1
	global_load_b32 v18, v[10:11], off offset:640
	s_or_b32 exec_lo, exec_lo, s20
	s_and_saveexec_b32 s20, s18
	s_cbranch_execz .LBB141_40
.LBB141_149:                            ;   in Loop: Header=BB141_12 Depth=1
	global_load_b32 v17, v[10:11], off offset:768
	s_or_b32 exec_lo, exec_lo, s20
	v_mov_b32_e32 v19, 0
	s_and_saveexec_b32 s20, s19
	s_cbranch_execnz .LBB141_41
	s_branch .LBB141_42
.LBB141_150:                            ;   in Loop: Header=BB141_12 Depth=1
	ds_load_b32 v11, v29
	s_waitcnt lgkmcnt(0)
	global_store_b32 v[2:3], v11, off
	s_or_b32 exec_lo, exec_lo, s20
	s_and_saveexec_b32 s20, s13
	s_cbranch_execz .LBB141_124
.LBB141_151:                            ;   in Loop: Header=BB141_12 Depth=1
	s_waitcnt lgkmcnt(6)
	global_store_b32 v[2:3], v10, off offset:128
	s_or_b32 exec_lo, exec_lo, s20
	s_and_saveexec_b32 s20, s14
	s_cbranch_execz .LBB141_125
.LBB141_152:                            ;   in Loop: Header=BB141_12 Depth=1
	s_waitcnt lgkmcnt(5)
	global_store_b32 v[2:3], v9, off offset:256
	s_or_b32 exec_lo, exec_lo, s20
	s_and_saveexec_b32 s20, s15
	s_cbranch_execz .LBB141_126
.LBB141_153:                            ;   in Loop: Header=BB141_12 Depth=1
	s_waitcnt lgkmcnt(4)
	global_store_b32 v[2:3], v8, off offset:384
	s_or_b32 exec_lo, exec_lo, s20
	s_and_saveexec_b32 s20, s16
	s_cbranch_execz .LBB141_127
.LBB141_154:                            ;   in Loop: Header=BB141_12 Depth=1
	s_waitcnt lgkmcnt(3)
	global_store_b32 v[2:3], v7, off offset:512
	s_or_b32 exec_lo, exec_lo, s20
	s_and_saveexec_b32 s20, s17
	s_cbranch_execz .LBB141_128
.LBB141_155:                            ;   in Loop: Header=BB141_12 Depth=1
	s_waitcnt lgkmcnt(2)
	global_store_b32 v[2:3], v6, off offset:640
	s_or_b32 exec_lo, exec_lo, s20
	s_and_saveexec_b32 s20, s18
	s_cbranch_execz .LBB141_129
.LBB141_156:                            ;   in Loop: Header=BB141_12 Depth=1
	s_waitcnt lgkmcnt(1)
	global_store_b32 v[2:3], v5, off offset:768
	s_or_b32 exec_lo, exec_lo, s20
	s_and_saveexec_b32 s20, s19
	s_cbranch_execnz .LBB141_130
	s_branch .LBB141_131
.LBB141_157:                            ;   in Loop: Header=BB141_12 Depth=1
	global_load_b32 v12, v[10:11], off
	v_mov_b32_e32 v7, v1
	v_mov_b32_e32 v2, v1
	;; [unrolled: 1-line block ×7, first 2 shown]
	s_delay_alu instid0(VALU_DEP_2)
	v_dual_mov_b32 v8, v6 :: v_dual_mov_b32 v7, v5
	v_mov_b32_e32 v6, v4
	v_mov_b32_e32 v5, v3
	;; [unrolled: 1-line block ×5, first 2 shown]
	s_or_b32 exec_lo, exec_lo, s20
	s_and_saveexec_b32 s20, s13
	s_cbranch_execz .LBB141_133
.LBB141_158:                            ;   in Loop: Header=BB141_12 Depth=1
	global_load_b32 v3, v[10:11], off offset:128
	s_or_b32 exec_lo, exec_lo, s20
	s_and_saveexec_b32 s20, s14
	s_cbranch_execz .LBB141_134
.LBB141_159:                            ;   in Loop: Header=BB141_12 Depth=1
	global_load_b32 v4, v[10:11], off offset:256
	s_or_b32 exec_lo, exec_lo, s20
	s_and_saveexec_b32 s20, s15
	s_cbranch_execz .LBB141_135
.LBB141_160:                            ;   in Loop: Header=BB141_12 Depth=1
	global_load_b32 v5, v[10:11], off offset:384
	s_or_b32 exec_lo, exec_lo, s20
	s_and_saveexec_b32 s20, s16
	s_cbranch_execz .LBB141_136
.LBB141_161:                            ;   in Loop: Header=BB141_12 Depth=1
	global_load_b32 v6, v[10:11], off offset:512
	s_or_b32 exec_lo, exec_lo, s20
	s_and_saveexec_b32 s20, s17
	s_cbranch_execz .LBB141_137
.LBB141_162:                            ;   in Loop: Header=BB141_12 Depth=1
	global_load_b32 v7, v[10:11], off offset:640
	s_or_b32 exec_lo, exec_lo, s20
	s_and_saveexec_b32 s20, s18
	s_cbranch_execz .LBB141_138
.LBB141_163:                            ;   in Loop: Header=BB141_12 Depth=1
	global_load_b32 v8, v[10:11], off offset:768
	s_or_b32 exec_lo, exec_lo, s20
	s_and_saveexec_b32 s20, s19
	s_cbranch_execnz .LBB141_139
	s_branch .LBB141_140
.LBB141_164:                            ;   in Loop: Header=BB141_12 Depth=1
	ds_load_b32 v11, v29
	s_waitcnt lgkmcnt(0)
	global_store_b32 v[2:3], v11, off
	s_or_b32 exec_lo, exec_lo, s20
	s_and_saveexec_b32 s12, s13
	s_cbranch_execz .LBB141_142
.LBB141_165:                            ;   in Loop: Header=BB141_12 Depth=1
	s_waitcnt lgkmcnt(6)
	global_store_b32 v[2:3], v10, off offset:128
	s_or_b32 exec_lo, exec_lo, s12
	s_and_saveexec_b32 s12, s14
	s_cbranch_execz .LBB141_143
.LBB141_166:                            ;   in Loop: Header=BB141_12 Depth=1
	s_waitcnt lgkmcnt(5)
	global_store_b32 v[2:3], v9, off offset:256
	s_or_b32 exec_lo, exec_lo, s12
	s_and_saveexec_b32 s12, s15
	s_cbranch_execz .LBB141_144
.LBB141_167:                            ;   in Loop: Header=BB141_12 Depth=1
	s_waitcnt lgkmcnt(4)
	global_store_b32 v[2:3], v8, off offset:384
	s_or_b32 exec_lo, exec_lo, s12
	s_and_saveexec_b32 s12, s16
	s_cbranch_execz .LBB141_145
.LBB141_168:                            ;   in Loop: Header=BB141_12 Depth=1
	s_waitcnt lgkmcnt(3)
	global_store_b32 v[2:3], v7, off offset:512
	s_or_b32 exec_lo, exec_lo, s12
	s_and_saveexec_b32 s12, s17
	s_cbranch_execz .LBB141_146
.LBB141_169:                            ;   in Loop: Header=BB141_12 Depth=1
	s_waitcnt lgkmcnt(2)
	global_store_b32 v[2:3], v6, off offset:640
	s_or_b32 exec_lo, exec_lo, s12
	s_and_saveexec_b32 s12, s18
	s_cbranch_execz .LBB141_147
.LBB141_170:                            ;   in Loop: Header=BB141_12 Depth=1
	s_waitcnt lgkmcnt(1)
	global_store_b32 v[2:3], v5, off offset:768
	s_or_b32 exec_lo, exec_lo, s12
	s_and_saveexec_b32 s12, s19
	s_cbranch_execz .LBB141_11
.LBB141_171:                            ;   in Loop: Header=BB141_12 Depth=1
	s_waitcnt lgkmcnt(0)
	global_store_b32 v[2:3], v4, off offset:896
	s_branch .LBB141_11
.LBB141_172:
	s_nop 0
	s_sendmsg sendmsg(MSG_DEALLOC_VGPRS)
	s_endpgm
	.section	.rodata,"a",@progbits
	.p2align	6, 0x0
	.amdhsa_kernel _Z25selective_scan_fwd_kernelI32Selective_Scan_fwd_kernel_traitsILi64ELi8ELi1ELb0ELb1ELb1ELb1ELb0EfffEEv13SSMParamsBase
		.amdhsa_group_segment_fixed_size 0
		.amdhsa_private_segment_fixed_size 0
		.amdhsa_kernarg_size 248
		.amdhsa_user_sgpr_count 14
		.amdhsa_user_sgpr_dispatch_ptr 0
		.amdhsa_user_sgpr_queue_ptr 0
		.amdhsa_user_sgpr_kernarg_segment_ptr 1
		.amdhsa_user_sgpr_dispatch_id 0
		.amdhsa_user_sgpr_private_segment_size 0
		.amdhsa_wavefront_size32 1
		.amdhsa_uses_dynamic_stack 0
		.amdhsa_enable_private_segment 0
		.amdhsa_system_sgpr_workgroup_id_x 1
		.amdhsa_system_sgpr_workgroup_id_y 1
		.amdhsa_system_sgpr_workgroup_id_z 0
		.amdhsa_system_sgpr_workgroup_info 0
		.amdhsa_system_vgpr_workitem_id 0
		.amdhsa_next_free_vgpr 105
		.amdhsa_next_free_sgpr 92
		.amdhsa_reserve_vcc 1
		.amdhsa_float_round_mode_32 0
		.amdhsa_float_round_mode_16_64 0
		.amdhsa_float_denorm_mode_32 3
		.amdhsa_float_denorm_mode_16_64 3
		.amdhsa_dx10_clamp 1
		.amdhsa_ieee_mode 1
		.amdhsa_fp16_overflow 0
		.amdhsa_workgroup_processor_mode 1
		.amdhsa_memory_ordered 1
		.amdhsa_forward_progress 0
		.amdhsa_shared_vgpr_count 0
		.amdhsa_exception_fp_ieee_invalid_op 0
		.amdhsa_exception_fp_denorm_src 0
		.amdhsa_exception_fp_ieee_div_zero 0
		.amdhsa_exception_fp_ieee_overflow 0
		.amdhsa_exception_fp_ieee_underflow 0
		.amdhsa_exception_fp_ieee_inexact 0
		.amdhsa_exception_int_div_zero 0
	.end_amdhsa_kernel
	.section	.text._Z25selective_scan_fwd_kernelI32Selective_Scan_fwd_kernel_traitsILi64ELi8ELi1ELb0ELb1ELb1ELb1ELb0EfffEEv13SSMParamsBase,"axG",@progbits,_Z25selective_scan_fwd_kernelI32Selective_Scan_fwd_kernel_traitsILi64ELi8ELi1ELb0ELb1ELb1ELb1ELb0EfffEEv13SSMParamsBase,comdat
.Lfunc_end141:
	.size	_Z25selective_scan_fwd_kernelI32Selective_Scan_fwd_kernel_traitsILi64ELi8ELi1ELb0ELb1ELb1ELb1ELb0EfffEEv13SSMParamsBase, .Lfunc_end141-_Z25selective_scan_fwd_kernelI32Selective_Scan_fwd_kernel_traitsILi64ELi8ELi1ELb0ELb1ELb1ELb1ELb0EfffEEv13SSMParamsBase
                                        ; -- End function
	.section	.AMDGPU.csdata,"",@progbits
; Kernel info:
; codeLenInByte = 14348
; NumSgprs: 94
; NumVgprs: 105
; ScratchSize: 0
; MemoryBound: 0
; FloatMode: 240
; IeeeMode: 1
; LDSByteSize: 0 bytes/workgroup (compile time only)
; SGPRBlocks: 11
; VGPRBlocks: 13
; NumSGPRsForWavesPerEU: 94
; NumVGPRsForWavesPerEU: 105
; Occupancy: 12
; WaveLimiterHint : 0
; COMPUTE_PGM_RSRC2:SCRATCH_EN: 0
; COMPUTE_PGM_RSRC2:USER_SGPR: 14
; COMPUTE_PGM_RSRC2:TRAP_HANDLER: 0
; COMPUTE_PGM_RSRC2:TGID_X_EN: 1
; COMPUTE_PGM_RSRC2:TGID_Y_EN: 1
; COMPUTE_PGM_RSRC2:TGID_Z_EN: 0
; COMPUTE_PGM_RSRC2:TIDIG_COMP_CNT: 0
	.section	.text._Z25selective_scan_fwd_kernelI32Selective_Scan_fwd_kernel_traitsILi64ELi8ELi1ELb0ELb1ELb1ELb0ELb1EfffEEv13SSMParamsBase,"axG",@progbits,_Z25selective_scan_fwd_kernelI32Selective_Scan_fwd_kernel_traitsILi64ELi8ELi1ELb0ELb1ELb1ELb0ELb1EfffEEv13SSMParamsBase,comdat
	.protected	_Z25selective_scan_fwd_kernelI32Selective_Scan_fwd_kernel_traitsILi64ELi8ELi1ELb0ELb1ELb1ELb0ELb1EfffEEv13SSMParamsBase ; -- Begin function _Z25selective_scan_fwd_kernelI32Selective_Scan_fwd_kernel_traitsILi64ELi8ELi1ELb0ELb1ELb1ELb0ELb1EfffEEv13SSMParamsBase
	.globl	_Z25selective_scan_fwd_kernelI32Selective_Scan_fwd_kernel_traitsILi64ELi8ELi1ELb0ELb1ELb1ELb0ELb1EfffEEv13SSMParamsBase
	.p2align	8
	.type	_Z25selective_scan_fwd_kernelI32Selective_Scan_fwd_kernel_traitsILi64ELi8ELi1ELb0ELb1ELb1ELb0ELb1EfffEEv13SSMParamsBase,@function
_Z25selective_scan_fwd_kernelI32Selective_Scan_fwd_kernel_traitsILi64ELi8ELi1ELb0ELb1ELb1ELb0ELb1EfffEEv13SSMParamsBase: ; @_Z25selective_scan_fwd_kernelI32Selective_Scan_fwd_kernel_traitsILi64ELi8ELi1ELb0ELb1ELb1ELb0ELb1EfffEEv13SSMParamsBase
; %bb.0:
	s_clause 0x2
	s_load_b32 s35, s[0:1], 0x18
	s_load_b128 s[4:7], s[0:1], 0xe0
	s_load_b64 s[10:11], s[0:1], 0xf0
	s_mov_b32 s12, s15
	s_ashr_i32 s15, s14, 31
	s_mov_b32 s33, 0
	s_lshl_b64 s[8:9], s[14:15], 2
	s_waitcnt lgkmcnt(0)
	s_abs_i32 s34, s35
	s_add_u32 s2, s4, s8
	v_cvt_f32_u32_e32 v1, s34
	s_addc_u32 s3, s5, s9
	s_cmp_eq_u64 s[10:11], 0
	s_delay_alu instid0(VALU_DEP_1) | instskip(SKIP_2) | instid1(VALU_DEP_1)
	v_rcp_iflag_f32_e32 v1, v1
	s_waitcnt_depctr 0xfff
	v_mul_f32_e32 v1, 0x4f7ffffe, v1
	v_cvt_u32_f32_e32 v1, v1
	s_delay_alu instid0(VALU_DEP_1)
	v_readfirstlane_b32 s36, v1
	s_cbranch_scc1 .LBB142_2
; %bb.1:
	v_mov_b32_e32 v1, 0
	s_add_u32 s4, s10, s14
	s_addc_u32 s5, s11, s15
	global_load_u8 v1, v1, s[4:5]
	s_waitcnt vmcnt(0)
	v_and_b32_e32 v1, 1, v1
	s_delay_alu instid0(VALU_DEP_1)
	v_cmp_eq_u32_e64 s33, 1, v1
.LBB142_2:
	s_load_b64 s[4:5], s[0:1], 0x20
	s_cmp_eq_u64 s[6:7], 0
	s_cbranch_scc1 .LBB142_4
; %bb.3:
	s_add_u32 s6, s6, s8
	s_addc_u32 s7, s7, s9
	s_load_b32 s14, s[6:7], 0x0
	s_waitcnt lgkmcnt(0)
	s_ashr_i32 s15, s14, 31
.LBB142_4:
	s_waitcnt lgkmcnt(0)
	s_cmp_eq_u64 s[4:5], s[14:15]
	s_cbranch_scc1 .LBB142_140
; %bb.5:
	s_load_b512 s[16:31], s[0:1], 0x88
	s_load_b64 s[10:11], s[2:3], 0x0
	s_mov_b32 s60, 0
	s_mov_b32 s61, 0
	s_waitcnt lgkmcnt(0)
	s_cmp_eq_u64 s[22:23], 0
	s_cbranch_scc1 .LBB142_7
; %bb.6:
	s_ashr_i32 s13, s12, 31
	s_delay_alu instid0(SALU_CYCLE_1) | instskip(NEXT) | instid1(SALU_CYCLE_1)
	s_lshl_b64 s[2:3], s[12:13], 2
	s_add_u32 s2, s22, s2
	s_addc_u32 s3, s23, s3
	s_load_b32 s61, s[2:3], 0x0
.LBB142_7:
	s_cmp_eq_u64 s[28:29], 0
	s_cbranch_scc1 .LBB142_9
; %bb.8:
	s_ashr_i32 s13, s12, 31
	s_delay_alu instid0(SALU_CYCLE_1) | instskip(NEXT) | instid1(SALU_CYCLE_1)
	s_lshl_b64 s[2:3], s[12:13], 2
	s_add_u32 s2, s28, s2
	s_addc_u32 s3, s29, s3
	s_load_b32 s60, s[2:3], 0x0
.LBB142_9:
	s_sub_i32 s62, s11, s10
	s_delay_alu instid0(SALU_CYCLE_1)
	s_cmp_lt_i32 s62, 1
	s_cbranch_scc1 .LBB142_140
; %bb.10:
	s_sub_i32 s2, 0, s34
	s_abs_i32 s5, s12
	s_mul_i32 s4, s2, s36
	s_clause 0x1
	s_load_b64 s[2:3], s[0:1], 0x5c
	s_load_b128 s[52:55], s[0:1], 0x4c
	s_mul_hi_u32 s4, s36, s4
	s_ashr_i32 s7, s35, 31
	s_add_i32 s36, s36, s4
	s_ashr_i32 s4, s12, 31
	s_mul_hi_u32 s6, s5, s36
	s_xor_b32 s7, s4, s7
	s_mul_i32 s8, s6, s34
	s_load_b256 s[36:43], s[0:1], 0x2c
	s_sub_i32 s4, s5, s8
	s_add_i32 s5, s6, 1
	s_sub_i32 s8, s4, s34
	s_cmp_ge_u32 s4, s34
	s_mov_b32 s35, 0
	s_cselect_b32 s5, s5, s6
	s_cselect_b32 s4, s8, s4
	s_add_i32 s6, s5, 1
	s_cmp_ge_u32 s4, s34
	s_load_b128 s[56:59], s[0:1], 0x7c
	s_cselect_b32 s4, s6, s5
	s_waitcnt lgkmcnt(0)
	s_mul_i32 s34, s10, s54
	s_xor_b32 s6, s4, s7
	s_lshl_b64 s[4:5], s[34:35], 2
	s_sub_i32 s6, s6, s7
	s_mul_i32 s34, s55, s12
	s_add_u32 s7, s24, s4
	s_addc_u32 s8, s25, s5
	s_lshl_b64 s[4:5], s[34:35], 2
	s_mul_i32 s34, s10, s2
	s_add_u32 s63, s7, s4
	s_addc_u32 s64, s8, s5
	s_lshl_b64 s[4:5], s[34:35], 2
	;; [unrolled: 4-line block ×3, first 2 shown]
	s_mul_i32 s34, s36, s12
	s_add_u32 s65, s4, s2
	s_addc_u32 s36, s5, s3
	s_load_b64 s[4:5], s[0:1], 0xc8
	s_lshl_b64 s[2:3], s[34:35], 2
	v_dual_mov_b32 v1, 0 :: v_dual_lshlrev_b32 v20, 3, v0
	s_mul_i32 s34, s10, s38
	s_add_u32 s66, s16, s2
	s_addc_u32 s59, s17, s3
	s_lshl_b64 s[2:3], s[34:35], 2
	s_mul_i32 s34, s6, s41
	s_clause 0x2
	s_load_b64 s[16:17], s[0:1], 0x6c
	s_load_b32 s71, s[0:1], 0xc
	s_load_b32 s0, s[0:1], 0x28
	s_add_u32 s7, s18, s2
	v_mbcnt_lo_u32_b32 v2, -1, 0
	v_and_b32_e32 v3, 0x100, v20
	s_addc_u32 s8, s19, s3
	s_lshl_b64 s[2:3], s[34:35], 2
	s_mul_i32 s34, s10, s42
	s_add_u32 s41, s7, s2
	s_addc_u32 s67, s8, s3
	s_lshl_b64 s[2:3], s[34:35], 2
	s_mul_i32 s34, s6, s53
	v_or_b32_e32 v21, v2, v3
	v_lshrrev_b32_e32 v4, 5, v3
	s_add_u32 s7, s20, s2
	s_addc_u32 s6, s21, s3
	s_lshl_b64 s[2:3], s[34:35], 2
	s_mul_i32 s34, s14, s56
	s_add_u32 s53, s7, s2
	s_addc_u32 s68, s6, s3
	s_lshl_b64 s[2:3], s[34:35], 2
	v_or_b32_e32 v25, 0x80, v21
	v_add_nc_u32_e32 v4, v4, v21
	v_and_b32_e32 v8, 32, v0
	s_mul_i32 s34, s57, s12
	s_waitcnt lgkmcnt(0)
	s_add_u32 s4, s4, s2
	s_addc_u32 s5, s5, s3
	s_lshl_b64 s[2:3], s[34:35], 2
	v_or_b32_e32 v22, 32, v21
	s_add_u32 s69, s4, s2
	v_or_b32_e32 v23, 64, v21
	v_or_b32_e32 v24, 0x60, v21
	;; [unrolled: 1-line block ×5, first 2 shown]
	v_lshl_add_u32 v29, v4, 2, 0
	v_lshrrev_b32_e32 v4, 5, v25
	v_or_b32_e32 v11, v2, v8
	s_addc_u32 s70, s5, s3
	s_add_i32 s2, s62, 0x7ff
	v_lshrrev_b32_e32 v5, 5, v22
	s_lshr_b32 s72, s2, 11
	s_bitcmp1_b32 s0, 0
	v_lshrrev_b32_e32 v6, 5, v23
	v_lshrrev_b32_e32 v7, 5, v24
	v_add_lshl_u32 v4, v4, v21, 2
	v_lshrrev_b32_e32 v9, 5, v26
	v_lshrrev_b32_e32 v10, 5, v27
	;; [unrolled: 1-line block ×3, first 2 shown]
	v_lshlrev_b32_e32 v13, 3, v11
	v_bfe_u32 v11, v11, 2, 27
	s_cselect_b32 s73, -1, 0
	s_cmp_gt_i32 s71, 0
	v_add_lshl_u32 v5, v5, v21, 2
	s_cselect_b32 s74, -1, 0
	s_add_i32 s0, 0, 0x840
	v_add_lshl_u32 v6, v6, v21, 2
	v_add_lshl_u32 v7, v7, v21, 2
	v_add_nc_u32_e32 v33, 0, v4
	v_add_lshl_u32 v9, v9, v21, 2
	v_add_lshl_u32 v10, v10, v21, 2
	;; [unrolled: 1-line block ×4, first 2 shown]
	v_add_nc_u32_e32 v41, s0, v4
	v_and_b32_e32 v4, 15, v2
	s_and_b32 s1, s62, 0x1ff
	v_add_nc_u32_e32 v38, s0, v5
	v_add_nc_u32_e32 v39, s0, v6
	;; [unrolled: 1-line block ×6, first 2 shown]
	s_cmp_eq_u32 s1, 0
	v_add_nc_u32_e32 v45, s0, v11
	v_cmp_ne_u32_e64 s0, 0, v4
	v_cmp_lt_u32_e64 s1, 1, v4
	v_cmp_lt_u32_e64 s2, 3, v4
	;; [unrolled: 1-line block ×3, first 2 shown]
	v_add_nc_u32_e32 v4, -1, v2
	v_add_nc_u32_e32 v30, 0, v5
	v_lshrrev_b32_e32 v5, 2, v0
	v_add_nc_u32_e32 v32, 0, v7
	v_or_b32_e32 v7, 31, v8
	v_cmp_gt_i32_e32 vcc_lo, 0, v4
	s_mul_i32 s34, s10, s16
	v_and_b32_e32 v5, 8, v5
	s_cselect_b32 s75, -1, 0
	s_lshl_b64 s[14:15], s[34:35], 2
	v_cndmask_b32_e32 v4, v4, v2, vcc_lo
	s_add_i32 s76, s72, -1
	s_mul_i32 s34, s17, s12
	v_cmp_eq_u32_e64 s5, v7, v0
	v_cmp_gt_u32_e64 s6, 2, v0
	v_cmp_gt_u32_e64 s8, 32, v0
	v_cmp_lt_u32_e64 s9, 31, v0
	v_cmp_eq_u32_e64 s10, 0, v0
	s_add_u32 s11, s30, s14
	v_lshlrev_b32_e32 v0, 2, v2
	s_addc_u32 s14, s31, s15
	s_lshl_b64 s[12:13], s[34:35], 2
	v_add_nc_u32_e32 v46, 0, v5
	v_and_b32_e32 v5, 1, v2
	s_add_u32 s11, s11, s12
	v_lshlrev_b32_e32 v48, 2, v4
	s_addc_u32 s12, s14, s13
	v_lshlrev_b32_e32 v4, 2, v3
	v_add_co_u32 v0, s11, s11, v0
	v_add_nc_u32_e32 v31, 0, v6
	v_and_b32_e32 v6, 16, v2
	v_cmp_eq_u32_e64 s7, 0, v5
	v_add_co_ci_u32_e64 v5, null, s12, 0, s11
	v_add_co_u32 v0, vcc_lo, v0, v4
	v_add_nc_u32_e32 v34, 0, v9
	v_add_nc_u32_e32 v35, 0, v10
	;; [unrolled: 1-line block ×4, first 2 shown]
	v_cmp_ne_u32_e64 s4, 0, v6
	v_add_nc_u32_e32 v47, 0, v20
	v_cmp_eq_u32_e64 s11, 0, v2
	v_add_co_ci_u32_e32 v49, vcc_lo, 0, v5, vcc_lo
	v_or_b32_e32 v50, 1, v20
	v_or_b32_e32 v51, 2, v20
	;; [unrolled: 1-line block ×7, first 2 shown]
	v_lshlrev_b32_e32 v57, 2, v2
	v_lshlrev_b32_e32 v58, 2, v3
	s_mov_b32 s31, 0x3e9b6dac
	s_add_i32 s77, 0, 0x1090
	s_mov_b32 s78, 0
	s_mov_b32 s44, 0
	s_branch .LBB142_12
.LBB142_11:                             ;   in Loop: Header=BB142_12 Depth=1
	s_or_b32 exec_lo, exec_lo, s12
	s_add_u32 s65, s65, 0x800
	s_addc_u32 s36, s36, 0
	s_add_u32 s63, s63, 0x800
	s_addc_u32 s64, s64, 0
	;; [unrolled: 2-line block ×4, first 2 shown]
	s_add_i32 s78, s78, 1
	s_delay_alu instid0(SALU_CYCLE_1)
	s_cmp_eq_u32 s78, s72
	s_cbranch_scc1 .LBB142_140
.LBB142_12:                             ; =>This Loop Header: Depth=1
                                        ;     Child Loop BB142_61 Depth 2
	v_add_co_u32 v2, s12, s63, v57
	s_delay_alu instid0(VALU_DEP_1) | instskip(SKIP_1) | instid1(VALU_DEP_2)
	v_add_co_ci_u32_e64 v3, null, s64, 0, s12
	s_lshl_b32 s38, s78, 9
	v_add_co_u32 v2, vcc_lo, v2, v58
	s_sub_i32 s23, s62, s38
	s_delay_alu instid0(VALU_DEP_2)
	v_add_co_ci_u32_e32 v3, vcc_lo, 0, v3, vcc_lo
	v_cmp_gt_u32_e64 s12, s23, v21
	s_waitcnt lgkmcnt(0)
	v_mov_b32_e32 v4, v1
	s_waitcnt_vscnt null, 0x0
	s_barrier
	buffer_gl0_inv
	s_and_saveexec_b32 s13, s12
	s_cbranch_execz .LBB142_14
; %bb.13:                               ;   in Loop: Header=BB142_12 Depth=1
	global_load_b32 v4, v[2:3], off
.LBB142_14:                             ;   in Loop: Header=BB142_12 Depth=1
	s_or_b32 exec_lo, exec_lo, s13
	v_cmp_gt_u32_e64 s13, s23, v22
	v_dual_mov_b32 v5, 0 :: v_dual_mov_b32 v6, 0
	s_delay_alu instid0(VALU_DEP_2)
	s_and_saveexec_b32 s14, s13
	s_cbranch_execz .LBB142_16
; %bb.15:                               ;   in Loop: Header=BB142_12 Depth=1
	global_load_b32 v6, v[2:3], off offset:128
.LBB142_16:                             ;   in Loop: Header=BB142_12 Depth=1
	s_or_b32 exec_lo, exec_lo, s14
	v_cmp_gt_u32_e64 s14, s23, v23
	s_delay_alu instid0(VALU_DEP_1)
	s_and_saveexec_b32 s15, s14
	s_cbranch_execz .LBB142_18
; %bb.17:                               ;   in Loop: Header=BB142_12 Depth=1
	global_load_b32 v5, v[2:3], off offset:256
.LBB142_18:                             ;   in Loop: Header=BB142_12 Depth=1
	s_or_b32 exec_lo, exec_lo, s15
	v_cmp_gt_u32_e64 s15, s23, v24
	v_dual_mov_b32 v7, 0 :: v_dual_mov_b32 v8, 0
	s_delay_alu instid0(VALU_DEP_2)
	s_and_saveexec_b32 s16, s15
	s_cbranch_execz .LBB142_20
; %bb.19:                               ;   in Loop: Header=BB142_12 Depth=1
	global_load_b32 v8, v[2:3], off offset:384
.LBB142_20:                             ;   in Loop: Header=BB142_12 Depth=1
	s_or_b32 exec_lo, exec_lo, s16
	v_cmp_gt_u32_e64 s16, s23, v25
	s_delay_alu instid0(VALU_DEP_1)
	s_and_saveexec_b32 s17, s16
	s_cbranch_execz .LBB142_22
; %bb.21:                               ;   in Loop: Header=BB142_12 Depth=1
	global_load_b32 v7, v[2:3], off offset:512
.LBB142_22:                             ;   in Loop: Header=BB142_12 Depth=1
	s_or_b32 exec_lo, exec_lo, s17
	v_cmp_gt_u32_e64 s17, s23, v26
	v_dual_mov_b32 v9, 0 :: v_dual_mov_b32 v10, 0
	s_delay_alu instid0(VALU_DEP_2)
	s_and_saveexec_b32 s18, s17
	s_cbranch_execz .LBB142_24
; %bb.23:                               ;   in Loop: Header=BB142_12 Depth=1
	global_load_b32 v10, v[2:3], off offset:640
.LBB142_24:                             ;   in Loop: Header=BB142_12 Depth=1
	s_or_b32 exec_lo, exec_lo, s18
	v_cmp_gt_u32_e64 s18, s23, v27
	s_delay_alu instid0(VALU_DEP_1)
	s_and_saveexec_b32 s19, s18
	s_cbranch_execz .LBB142_26
; %bb.25:                               ;   in Loop: Header=BB142_12 Depth=1
	global_load_b32 v9, v[2:3], off offset:768
.LBB142_26:                             ;   in Loop: Header=BB142_12 Depth=1
	s_or_b32 exec_lo, exec_lo, s19
	v_cmp_gt_u32_e64 s19, s23, v28
	v_dual_mov_b32 v12, 0 :: v_dual_mov_b32 v11, 0
	s_delay_alu instid0(VALU_DEP_2)
	s_and_saveexec_b32 s20, s19
	s_cbranch_execz .LBB142_28
; %bb.27:                               ;   in Loop: Header=BB142_12 Depth=1
	global_load_b32 v11, v[2:3], off offset:896
.LBB142_28:                             ;   in Loop: Header=BB142_12 Depth=1
	s_or_b32 exec_lo, exec_lo, s20
	s_waitcnt vmcnt(0)
	ds_store_b32 v29, v4
	ds_store_b32 v30, v6 offset:128
	ds_store_b32 v31, v5 offset:256
	ds_store_b32 v32, v8 offset:384
	ds_store_b32 v33, v7 offset:512
	ds_store_b32 v34, v10 offset:640
	ds_store_b32 v35, v9 offset:768
	ds_store_b32 v36, v11 offset:896
	; wave barrier
	ds_load_2addr_b32 v[2:3], v37 offset1:1
	ds_load_2addr_b32 v[4:5], v37 offset0:2 offset1:3
	ds_load_2addr_b32 v[6:7], v37 offset0:4 offset1:5
	;; [unrolled: 1-line block ×3, first 2 shown]
	v_add_co_u32 v10, s20, s65, v57
	s_delay_alu instid0(VALU_DEP_1) | instskip(SKIP_1) | instid1(VALU_DEP_2)
	v_add_co_ci_u32_e64 v11, null, s36, 0, s20
	s_waitcnt lgkmcnt(0)
	v_add_co_u32 v10, vcc_lo, v10, v58
	s_delay_alu instid0(VALU_DEP_2)
	v_add_co_ci_u32_e32 v11, vcc_lo, 0, v11, vcc_lo
	s_barrier
	buffer_gl0_inv
	s_and_saveexec_b32 s20, s12
	s_cbranch_execz .LBB142_30
; %bb.29:                               ;   in Loop: Header=BB142_12 Depth=1
	global_load_b32 v12, v[10:11], off
.LBB142_30:                             ;   in Loop: Header=BB142_12 Depth=1
	s_or_b32 exec_lo, exec_lo, s20
	v_dual_mov_b32 v13, 0 :: v_dual_mov_b32 v14, 0
	s_and_saveexec_b32 s20, s13
	s_cbranch_execz .LBB142_32
; %bb.31:                               ;   in Loop: Header=BB142_12 Depth=1
	global_load_b32 v14, v[10:11], off offset:128
.LBB142_32:                             ;   in Loop: Header=BB142_12 Depth=1
	s_or_b32 exec_lo, exec_lo, s20
	s_and_saveexec_b32 s20, s14
	s_cbranch_execz .LBB142_34
; %bb.33:                               ;   in Loop: Header=BB142_12 Depth=1
	global_load_b32 v13, v[10:11], off offset:256
.LBB142_34:                             ;   in Loop: Header=BB142_12 Depth=1
	s_or_b32 exec_lo, exec_lo, s20
	v_dual_mov_b32 v15, 0 :: v_dual_mov_b32 v16, 0
	s_and_saveexec_b32 s20, s15
	s_cbranch_execz .LBB142_36
; %bb.35:                               ;   in Loop: Header=BB142_12 Depth=1
	global_load_b32 v16, v[10:11], off offset:384
.LBB142_36:                             ;   in Loop: Header=BB142_12 Depth=1
	s_or_b32 exec_lo, exec_lo, s20
	s_and_saveexec_b32 s20, s16
	s_cbranch_execz .LBB142_38
; %bb.37:                               ;   in Loop: Header=BB142_12 Depth=1
	global_load_b32 v15, v[10:11], off offset:512
.LBB142_38:                             ;   in Loop: Header=BB142_12 Depth=1
	s_or_b32 exec_lo, exec_lo, s20
	v_dual_mov_b32 v17, 0 :: v_dual_mov_b32 v18, 0
	s_and_saveexec_b32 s20, s17
	s_cbranch_execnz .LBB142_130
; %bb.39:                               ;   in Loop: Header=BB142_12 Depth=1
	s_or_b32 exec_lo, exec_lo, s20
	s_and_saveexec_b32 s20, s18
	s_cbranch_execnz .LBB142_131
.LBB142_40:                             ;   in Loop: Header=BB142_12 Depth=1
	s_or_b32 exec_lo, exec_lo, s20
	v_mov_b32_e32 v19, 0
	s_and_saveexec_b32 s20, s19
	s_cbranch_execz .LBB142_42
.LBB142_41:                             ;   in Loop: Header=BB142_12 Depth=1
	global_load_b32 v19, v[10:11], off offset:896
.LBB142_42:                             ;   in Loop: Header=BB142_12 Depth=1
	s_or_b32 exec_lo, exec_lo, s20
	s_waitcnt vmcnt(0)
	ds_store_b32 v29, v12
	ds_store_b32 v30, v14 offset:128
	ds_store_b32 v31, v13 offset:256
	;; [unrolled: 1-line block ×7, first 2 shown]
	; wave barrier
	ds_load_2addr_b32 v[16:17], v37 offset1:1
	ds_load_2addr_b32 v[14:15], v37 offset0:2 offset1:3
	ds_load_2addr_b32 v[12:13], v37 offset0:4 offset1:5
	;; [unrolled: 1-line block ×3, first 2 shown]
	s_waitcnt lgkmcnt(3)
	v_add_f32_e32 v59, s60, v16
	s_delay_alu instid0(VALU_DEP_1) | instskip(SKIP_1) | instid1(SALU_CYCLE_1)
	v_cmp_ge_f32_e32 vcc_lo, 0x41a00000, v59
	s_and_b32 s20, s73, vcc_lo
	s_and_saveexec_b32 s21, s20
	s_cbranch_execz .LBB142_44
; %bb.43:                               ;   in Loop: Header=BB142_12 Depth=1
	v_mul_f32_e32 v16, 0x3fb8aa3b, v59
	v_cmp_ngt_f32_e32 vcc_lo, 0xc2ce8ed0, v59
	s_delay_alu instid0(VALU_DEP_2) | instskip(SKIP_1) | instid1(VALU_DEP_1)
	v_rndne_f32_e32 v18, v16
	v_fma_f32 v19, 0x3fb8aa3b, v59, -v16
	v_dual_sub_f32 v16, v16, v18 :: v_dual_fmac_f32 v19, 0x32a5705f, v59
	v_cvt_i32_f32_e32 v18, v18
	s_delay_alu instid0(VALU_DEP_2) | instskip(NEXT) | instid1(VALU_DEP_1)
	v_add_f32_e32 v16, v16, v19
	v_exp_f32_e32 v16, v16
	s_waitcnt_depctr 0xfff
	v_ldexp_f32 v16, v16, v18
	s_delay_alu instid0(VALU_DEP_1) | instskip(SKIP_1) | instid1(VALU_DEP_2)
	v_cndmask_b32_e32 v16, 0, v16, vcc_lo
	v_cmp_nlt_f32_e32 vcc_lo, 0x42b17218, v59
	v_cndmask_b32_e32 v16, 0x7f800000, v16, vcc_lo
	s_delay_alu instid0(VALU_DEP_1) | instskip(NEXT) | instid1(VALU_DEP_1)
	v_add_f32_e32 v59, 1.0, v16
	v_cvt_f64_f32_e32 v[18:19], v59
	s_delay_alu instid0(VALU_DEP_1) | instskip(SKIP_1) | instid1(VALU_DEP_1)
	v_frexp_exp_i32_f64_e32 v18, v[18:19]
	v_frexp_mant_f32_e32 v19, v59
	v_cmp_gt_f32_e32 vcc_lo, 0x3f2aaaab, v19
	v_add_f32_e32 v19, -1.0, v59
	s_delay_alu instid0(VALU_DEP_1) | instskip(SKIP_2) | instid1(VALU_DEP_3)
	v_sub_f32_e32 v61, v19, v59
	v_sub_f32_e32 v19, v16, v19
	v_cmp_gt_f32_e64 s20, 0x33800000, v16
	v_add_f32_e32 v61, 1.0, v61
	s_delay_alu instid0(VALU_DEP_1) | instskip(SKIP_2) | instid1(VALU_DEP_2)
	v_add_f32_e32 v19, v19, v61
	v_subrev_co_ci_u32_e32 v18, vcc_lo, 0, v18, vcc_lo
	v_cmp_eq_f32_e32 vcc_lo, 0x7f800000, v16
	v_sub_nc_u32_e32 v60, 0, v18
	v_cvt_f32_i32_e32 v18, v18
	s_or_b32 vcc_lo, s20, vcc_lo
	s_delay_alu instid0(VALU_DEP_2) | instskip(SKIP_1) | instid1(VALU_DEP_2)
	v_ldexp_f32 v59, v59, v60
	v_ldexp_f32 v19, v19, v60
	v_add_f32_e32 v62, 1.0, v59
	s_delay_alu instid0(VALU_DEP_1) | instskip(NEXT) | instid1(VALU_DEP_1)
	v_dual_add_f32 v60, -1.0, v59 :: v_dual_add_f32 v61, -1.0, v62
	v_add_f32_e32 v63, 1.0, v60
	s_delay_alu instid0(VALU_DEP_2) | instskip(NEXT) | instid1(VALU_DEP_2)
	v_sub_f32_e32 v61, v59, v61
	v_sub_f32_e32 v59, v59, v63
	s_delay_alu instid0(VALU_DEP_2) | instskip(NEXT) | instid1(VALU_DEP_2)
	v_add_f32_e32 v61, v19, v61
	v_add_f32_e32 v19, v19, v59
	s_delay_alu instid0(VALU_DEP_1) | instskip(NEXT) | instid1(VALU_DEP_1)
	v_dual_add_f32 v64, v60, v19 :: v_dual_add_f32 v63, v62, v61
	v_sub_f32_e32 v60, v60, v64
	s_delay_alu instid0(VALU_DEP_2) | instskip(SKIP_1) | instid1(VALU_DEP_1)
	v_rcp_f32_e32 v59, v63
	v_sub_f32_e32 v62, v62, v63
	v_add_f32_e32 v61, v61, v62
	s_waitcnt_depctr 0xfff
	v_mul_f32_e32 v65, v64, v59
	s_delay_alu instid0(VALU_DEP_1) | instskip(NEXT) | instid1(VALU_DEP_1)
	v_mul_f32_e32 v66, v63, v65
	v_fma_f32 v62, v65, v63, -v66
	s_delay_alu instid0(VALU_DEP_1) | instskip(NEXT) | instid1(VALU_DEP_1)
	v_fmac_f32_e32 v62, v65, v61
	v_add_f32_e32 v67, v66, v62
	s_delay_alu instid0(VALU_DEP_1) | instskip(NEXT) | instid1(VALU_DEP_1)
	v_sub_f32_e32 v68, v64, v67
	v_sub_f32_e32 v64, v64, v68
	v_add_f32_e32 v19, v19, v60
	v_sub_f32_e32 v60, v67, v66
	s_delay_alu instid0(VALU_DEP_3) | instskip(NEXT) | instid1(VALU_DEP_1)
	v_sub_f32_e32 v64, v64, v67
	v_dual_sub_f32 v60, v60, v62 :: v_dual_add_f32 v19, v19, v64
	s_delay_alu instid0(VALU_DEP_1) | instskip(NEXT) | instid1(VALU_DEP_1)
	v_add_f32_e32 v19, v60, v19
	v_add_f32_e32 v60, v68, v19
	s_delay_alu instid0(VALU_DEP_1) | instskip(NEXT) | instid1(VALU_DEP_1)
	v_mul_f32_e32 v62, v59, v60
	v_dual_sub_f32 v67, v68, v60 :: v_dual_mul_f32 v64, v63, v62
	s_delay_alu instid0(VALU_DEP_1) | instskip(NEXT) | instid1(VALU_DEP_2)
	v_add_f32_e32 v19, v19, v67
	v_fma_f32 v63, v62, v63, -v64
	s_delay_alu instid0(VALU_DEP_1) | instskip(NEXT) | instid1(VALU_DEP_1)
	v_fmac_f32_e32 v63, v62, v61
	v_add_f32_e32 v61, v64, v63
	s_delay_alu instid0(VALU_DEP_1) | instskip(NEXT) | instid1(VALU_DEP_1)
	v_sub_f32_e32 v66, v60, v61
	v_sub_f32_e32 v60, v60, v66
	s_delay_alu instid0(VALU_DEP_1) | instskip(NEXT) | instid1(VALU_DEP_1)
	v_sub_f32_e32 v60, v60, v61
	v_dual_add_f32 v19, v19, v60 :: v_dual_add_f32 v60, v65, v62
	v_sub_f32_e32 v64, v61, v64
	s_delay_alu instid0(VALU_DEP_1) | instskip(NEXT) | instid1(VALU_DEP_1)
	v_sub_f32_e32 v61, v64, v63
	v_add_f32_e32 v19, v61, v19
	s_delay_alu instid0(VALU_DEP_4) | instskip(NEXT) | instid1(VALU_DEP_2)
	v_sub_f32_e32 v61, v60, v65
	v_add_f32_e32 v19, v66, v19
	s_delay_alu instid0(VALU_DEP_2) | instskip(NEXT) | instid1(VALU_DEP_2)
	v_sub_f32_e32 v61, v62, v61
	v_mul_f32_e32 v19, v59, v19
	s_delay_alu instid0(VALU_DEP_1) | instskip(NEXT) | instid1(VALU_DEP_1)
	v_add_f32_e32 v19, v61, v19
	v_add_f32_e32 v59, v60, v19
	s_delay_alu instid0(VALU_DEP_1) | instskip(NEXT) | instid1(VALU_DEP_1)
	v_mul_f32_e32 v61, v59, v59
	v_fmaak_f32 v62, s31, v61, 0x3ecc95a3
	v_mul_f32_e32 v63, v59, v61
	s_delay_alu instid0(VALU_DEP_2) | instskip(SKIP_2) | instid1(VALU_DEP_3)
	v_fmaak_f32 v61, v61, v62, 0x3f2aaada
	v_ldexp_f32 v62, v59, 1
	v_sub_f32_e32 v59, v59, v60
	v_mul_f32_e32 v61, v63, v61
	v_mul_f32_e32 v63, 0x3f317218, v18
	s_delay_alu instid0(VALU_DEP_2) | instskip(NEXT) | instid1(VALU_DEP_1)
	v_dual_sub_f32 v19, v19, v59 :: v_dual_add_f32 v60, v62, v61
	v_ldexp_f32 v19, v19, 1
	s_delay_alu instid0(VALU_DEP_2) | instskip(NEXT) | instid1(VALU_DEP_4)
	v_sub_f32_e32 v59, v60, v62
	v_fma_f32 v62, 0x3f317218, v18, -v63
	s_delay_alu instid0(VALU_DEP_1) | instskip(NEXT) | instid1(VALU_DEP_1)
	v_dual_sub_f32 v59, v61, v59 :: v_dual_fmac_f32 v62, 0xb102e308, v18
	v_add_f32_e32 v18, v19, v59
	s_delay_alu instid0(VALU_DEP_2) | instskip(NEXT) | instid1(VALU_DEP_2)
	v_add_f32_e32 v19, v63, v62
	v_add_f32_e32 v59, v60, v18
	s_delay_alu instid0(VALU_DEP_2) | instskip(NEXT) | instid1(VALU_DEP_2)
	v_sub_f32_e32 v63, v19, v63
	v_add_f32_e32 v61, v19, v59
	v_sub_f32_e32 v60, v59, v60
	s_delay_alu instid0(VALU_DEP_3) | instskip(NEXT) | instid1(VALU_DEP_3)
	v_sub_f32_e32 v62, v62, v63
	v_sub_f32_e32 v64, v61, v19
	s_delay_alu instid0(VALU_DEP_3) | instskip(NEXT) | instid1(VALU_DEP_2)
	v_sub_f32_e32 v18, v18, v60
	v_sub_f32_e32 v65, v61, v64
	s_delay_alu instid0(VALU_DEP_2) | instskip(NEXT) | instid1(VALU_DEP_2)
	v_dual_sub_f32 v59, v59, v64 :: v_dual_add_f32 v60, v62, v18
	v_sub_f32_e32 v19, v19, v65
	s_delay_alu instid0(VALU_DEP_1) | instskip(NEXT) | instid1(VALU_DEP_3)
	v_add_f32_e32 v19, v59, v19
	v_sub_f32_e32 v59, v60, v62
	s_delay_alu instid0(VALU_DEP_2) | instskip(NEXT) | instid1(VALU_DEP_2)
	v_add_f32_e32 v19, v60, v19
	v_sub_f32_e32 v60, v60, v59
	v_sub_f32_e32 v18, v18, v59
	s_delay_alu instid0(VALU_DEP_2) | instskip(NEXT) | instid1(VALU_DEP_1)
	v_dual_add_f32 v63, v61, v19 :: v_dual_sub_f32 v60, v62, v60
	v_dual_sub_f32 v59, v63, v61 :: v_dual_add_f32 v18, v18, v60
	s_delay_alu instid0(VALU_DEP_1) | instskip(NEXT) | instid1(VALU_DEP_1)
	v_sub_f32_e32 v19, v19, v59
	v_add_f32_e32 v18, v18, v19
	s_delay_alu instid0(VALU_DEP_1) | instskip(NEXT) | instid1(VALU_DEP_1)
	v_add_f32_e32 v18, v63, v18
	v_cndmask_b32_e32 v59, v18, v16, vcc_lo
.LBB142_44:                             ;   in Loop: Header=BB142_12 Depth=1
	s_or_b32 exec_lo, exec_lo, s21
	v_add_f32_e32 v60, s60, v17
	s_delay_alu instid0(VALU_DEP_1) | instskip(SKIP_1) | instid1(SALU_CYCLE_1)
	v_cmp_ge_f32_e32 vcc_lo, 0x41a00000, v60
	s_and_b32 s20, s73, vcc_lo
	s_and_saveexec_b32 s21, s20
	s_cbranch_execz .LBB142_46
; %bb.45:                               ;   in Loop: Header=BB142_12 Depth=1
	v_mul_f32_e32 v16, 0x3fb8aa3b, v60
	v_cmp_ngt_f32_e32 vcc_lo, 0xc2ce8ed0, v60
	s_delay_alu instid0(VALU_DEP_2) | instskip(SKIP_1) | instid1(VALU_DEP_2)
	v_rndne_f32_e32 v17, v16
	v_fma_f32 v18, 0x3fb8aa3b, v60, -v16
	v_sub_f32_e32 v16, v16, v17
	s_delay_alu instid0(VALU_DEP_2) | instskip(SKIP_1) | instid1(VALU_DEP_2)
	v_fmac_f32_e32 v18, 0x32a5705f, v60
	v_cvt_i32_f32_e32 v17, v17
	v_add_f32_e32 v16, v16, v18
	s_delay_alu instid0(VALU_DEP_1) | instskip(SKIP_2) | instid1(VALU_DEP_1)
	v_exp_f32_e32 v16, v16
	s_waitcnt_depctr 0xfff
	v_ldexp_f32 v16, v16, v17
	v_cndmask_b32_e32 v16, 0, v16, vcc_lo
	v_cmp_nlt_f32_e32 vcc_lo, 0x42b17218, v60
	s_delay_alu instid0(VALU_DEP_2) | instskip(NEXT) | instid1(VALU_DEP_1)
	v_cndmask_b32_e32 v18, 0x7f800000, v16, vcc_lo
	v_add_f32_e32 v19, 1.0, v18
	s_delay_alu instid0(VALU_DEP_1) | instskip(NEXT) | instid1(VALU_DEP_1)
	v_cvt_f64_f32_e32 v[16:17], v19
	v_frexp_exp_i32_f64_e32 v16, v[16:17]
	v_frexp_mant_f32_e32 v17, v19
	s_delay_alu instid0(VALU_DEP_1) | instskip(SKIP_1) | instid1(VALU_DEP_1)
	v_cmp_gt_f32_e32 vcc_lo, 0x3f2aaaab, v17
	v_add_f32_e32 v17, -1.0, v19
	v_sub_f32_e32 v61, v17, v19
	v_sub_f32_e32 v17, v18, v17
	s_delay_alu instid0(VALU_DEP_2) | instskip(NEXT) | instid1(VALU_DEP_1)
	v_add_f32_e32 v61, 1.0, v61
	v_add_f32_e32 v17, v17, v61
	v_cmp_gt_f32_e64 s20, 0x33800000, v18
	v_subrev_co_ci_u32_e32 v16, vcc_lo, 0, v16, vcc_lo
	v_cmp_eq_f32_e32 vcc_lo, 0x7f800000, v18
	s_delay_alu instid0(VALU_DEP_2) | instskip(SKIP_2) | instid1(VALU_DEP_2)
	v_sub_nc_u32_e32 v60, 0, v16
	v_cvt_f32_i32_e32 v16, v16
	s_or_b32 vcc_lo, s20, vcc_lo
	v_ldexp_f32 v19, v19, v60
	v_ldexp_f32 v17, v17, v60
	s_delay_alu instid0(VALU_DEP_2) | instskip(NEXT) | instid1(VALU_DEP_1)
	v_add_f32_e32 v62, 1.0, v19
	v_dual_add_f32 v60, -1.0, v19 :: v_dual_add_f32 v61, -1.0, v62
	s_delay_alu instid0(VALU_DEP_1) | instskip(NEXT) | instid1(VALU_DEP_2)
	v_add_f32_e32 v63, 1.0, v60
	v_sub_f32_e32 v61, v19, v61
	s_delay_alu instid0(VALU_DEP_2) | instskip(NEXT) | instid1(VALU_DEP_2)
	v_sub_f32_e32 v19, v19, v63
	v_add_f32_e32 v61, v17, v61
	s_delay_alu instid0(VALU_DEP_2) | instskip(NEXT) | instid1(VALU_DEP_1)
	v_add_f32_e32 v17, v17, v19
	v_add_f32_e32 v64, v60, v17
	s_delay_alu instid0(VALU_DEP_1) | instskip(NEXT) | instid1(VALU_DEP_1)
	v_dual_add_f32 v63, v62, v61 :: v_dual_sub_f32 v60, v60, v64
	v_rcp_f32_e32 v19, v63
	v_sub_f32_e32 v62, v62, v63
	s_delay_alu instid0(VALU_DEP_1) | instskip(SKIP_2) | instid1(VALU_DEP_1)
	v_add_f32_e32 v61, v61, v62
	s_waitcnt_depctr 0xfff
	v_mul_f32_e32 v65, v64, v19
	v_mul_f32_e32 v66, v63, v65
	s_delay_alu instid0(VALU_DEP_1) | instskip(NEXT) | instid1(VALU_DEP_1)
	v_fma_f32 v62, v65, v63, -v66
	v_fmac_f32_e32 v62, v65, v61
	s_delay_alu instid0(VALU_DEP_1) | instskip(NEXT) | instid1(VALU_DEP_1)
	v_add_f32_e32 v67, v66, v62
	v_sub_f32_e32 v68, v64, v67
	s_delay_alu instid0(VALU_DEP_1) | instskip(SKIP_1) | instid1(VALU_DEP_2)
	v_sub_f32_e32 v64, v64, v68
	v_dual_add_f32 v17, v17, v60 :: v_dual_sub_f32 v60, v67, v66
	v_sub_f32_e32 v64, v64, v67
	s_delay_alu instid0(VALU_DEP_1) | instskip(NEXT) | instid1(VALU_DEP_1)
	v_dual_sub_f32 v60, v60, v62 :: v_dual_add_f32 v17, v17, v64
	v_add_f32_e32 v17, v60, v17
	s_delay_alu instid0(VALU_DEP_1) | instskip(NEXT) | instid1(VALU_DEP_1)
	v_add_f32_e32 v60, v68, v17
	v_mul_f32_e32 v62, v19, v60
	s_delay_alu instid0(VALU_DEP_1) | instskip(NEXT) | instid1(VALU_DEP_1)
	v_dual_sub_f32 v67, v68, v60 :: v_dual_mul_f32 v64, v63, v62
	v_add_f32_e32 v17, v17, v67
	s_delay_alu instid0(VALU_DEP_2) | instskip(NEXT) | instid1(VALU_DEP_1)
	v_fma_f32 v63, v62, v63, -v64
	v_fmac_f32_e32 v63, v62, v61
	s_delay_alu instid0(VALU_DEP_1) | instskip(NEXT) | instid1(VALU_DEP_1)
	v_add_f32_e32 v61, v64, v63
	v_sub_f32_e32 v66, v60, v61
	s_delay_alu instid0(VALU_DEP_1) | instskip(NEXT) | instid1(VALU_DEP_1)
	v_sub_f32_e32 v60, v60, v66
	v_sub_f32_e32 v60, v60, v61
	s_delay_alu instid0(VALU_DEP_1) | instskip(SKIP_2) | instid1(VALU_DEP_1)
	v_add_f32_e32 v17, v17, v60
	v_add_f32_e32 v60, v65, v62
	v_sub_f32_e32 v64, v61, v64
	v_sub_f32_e32 v61, v64, v63
	s_delay_alu instid0(VALU_DEP_1) | instskip(NEXT) | instid1(VALU_DEP_4)
	v_add_f32_e32 v17, v61, v17
	v_sub_f32_e32 v61, v60, v65
	s_delay_alu instid0(VALU_DEP_2) | instskip(NEXT) | instid1(VALU_DEP_2)
	v_add_f32_e32 v17, v66, v17
	v_sub_f32_e32 v61, v62, v61
	s_delay_alu instid0(VALU_DEP_2) | instskip(NEXT) | instid1(VALU_DEP_1)
	v_mul_f32_e32 v17, v19, v17
	v_add_f32_e32 v17, v61, v17
	s_delay_alu instid0(VALU_DEP_1) | instskip(NEXT) | instid1(VALU_DEP_1)
	v_add_f32_e32 v19, v60, v17
	v_mul_f32_e32 v61, v19, v19
	s_delay_alu instid0(VALU_DEP_1) | instskip(SKIP_1) | instid1(VALU_DEP_2)
	v_fmaak_f32 v62, s31, v61, 0x3ecc95a3
	v_mul_f32_e32 v63, v19, v61
	v_fmaak_f32 v61, v61, v62, 0x3f2aaada
	v_ldexp_f32 v62, v19, 1
	s_delay_alu instid0(VALU_DEP_2) | instskip(SKIP_1) | instid1(VALU_DEP_2)
	v_mul_f32_e32 v61, v63, v61
	v_sub_f32_e32 v19, v19, v60
	v_dual_mul_f32 v63, 0x3f317218, v16 :: v_dual_add_f32 v60, v62, v61
	s_delay_alu instid0(VALU_DEP_2) | instskip(NEXT) | instid1(VALU_DEP_2)
	v_sub_f32_e32 v17, v17, v19
	v_sub_f32_e32 v19, v60, v62
	s_delay_alu instid0(VALU_DEP_3) | instskip(NEXT) | instid1(VALU_DEP_3)
	v_fma_f32 v62, 0x3f317218, v16, -v63
	v_ldexp_f32 v17, v17, 1
	s_delay_alu instid0(VALU_DEP_2) | instskip(NEXT) | instid1(VALU_DEP_1)
	v_dual_sub_f32 v19, v61, v19 :: v_dual_fmac_f32 v62, 0xb102e308, v16
	v_dual_add_f32 v16, v17, v19 :: v_dual_add_f32 v17, v63, v62
	s_delay_alu instid0(VALU_DEP_1) | instskip(NEXT) | instid1(VALU_DEP_1)
	v_add_f32_e32 v19, v60, v16
	v_dual_add_f32 v61, v17, v19 :: v_dual_sub_f32 v60, v19, v60
	s_delay_alu instid0(VALU_DEP_1) | instskip(NEXT) | instid1(VALU_DEP_2)
	v_sub_f32_e32 v64, v61, v17
	v_dual_sub_f32 v63, v17, v63 :: v_dual_sub_f32 v16, v16, v60
	s_delay_alu instid0(VALU_DEP_1) | instskip(SKIP_1) | instid1(VALU_DEP_2)
	v_dual_sub_f32 v65, v61, v64 :: v_dual_sub_f32 v62, v62, v63
	v_sub_f32_e32 v19, v19, v64
	v_dual_sub_f32 v17, v17, v65 :: v_dual_add_f32 v60, v62, v16
	s_delay_alu instid0(VALU_DEP_1) | instskip(NEXT) | instid1(VALU_DEP_2)
	v_add_f32_e32 v17, v19, v17
	v_sub_f32_e32 v19, v60, v62
	s_delay_alu instid0(VALU_DEP_2) | instskip(NEXT) | instid1(VALU_DEP_2)
	v_add_f32_e32 v17, v60, v17
	v_sub_f32_e32 v60, v60, v19
	s_delay_alu instid0(VALU_DEP_2) | instskip(NEXT) | instid1(VALU_DEP_1)
	v_dual_sub_f32 v16, v16, v19 :: v_dual_add_f32 v63, v61, v17
	v_dual_sub_f32 v60, v62, v60 :: v_dual_sub_f32 v19, v63, v61
	s_delay_alu instid0(VALU_DEP_1) | instskip(NEXT) | instid1(VALU_DEP_1)
	v_dual_add_f32 v16, v16, v60 :: v_dual_sub_f32 v17, v17, v19
	v_add_f32_e32 v16, v16, v17
	s_delay_alu instid0(VALU_DEP_1) | instskip(NEXT) | instid1(VALU_DEP_1)
	v_add_f32_e32 v16, v63, v16
	v_cndmask_b32_e32 v60, v16, v18, vcc_lo
.LBB142_46:                             ;   in Loop: Header=BB142_12 Depth=1
	s_or_b32 exec_lo, exec_lo, s21
	s_waitcnt lgkmcnt(2)
	v_add_f32_e32 v61, s60, v14
	s_delay_alu instid0(VALU_DEP_1) | instskip(SKIP_1) | instid1(SALU_CYCLE_1)
	v_cmp_ge_f32_e32 vcc_lo, 0x41a00000, v61
	s_and_b32 s20, s73, vcc_lo
	s_and_saveexec_b32 s21, s20
	s_cbranch_execz .LBB142_48
; %bb.47:                               ;   in Loop: Header=BB142_12 Depth=1
	v_mul_f32_e32 v14, 0x3fb8aa3b, v61
	v_cmp_ngt_f32_e32 vcc_lo, 0xc2ce8ed0, v61
	s_delay_alu instid0(VALU_DEP_2) | instskip(SKIP_1) | instid1(VALU_DEP_1)
	v_rndne_f32_e32 v16, v14
	v_fma_f32 v17, 0x3fb8aa3b, v61, -v14
	v_dual_sub_f32 v14, v14, v16 :: v_dual_fmac_f32 v17, 0x32a5705f, v61
	v_cvt_i32_f32_e32 v16, v16
	s_delay_alu instid0(VALU_DEP_2) | instskip(NEXT) | instid1(VALU_DEP_1)
	v_add_f32_e32 v14, v14, v17
	v_exp_f32_e32 v14, v14
	s_waitcnt_depctr 0xfff
	v_ldexp_f32 v14, v14, v16
	s_delay_alu instid0(VALU_DEP_1) | instskip(SKIP_1) | instid1(VALU_DEP_2)
	v_cndmask_b32_e32 v14, 0, v14, vcc_lo
	v_cmp_nlt_f32_e32 vcc_lo, 0x42b17218, v61
	v_cndmask_b32_e32 v14, 0x7f800000, v14, vcc_lo
	s_delay_alu instid0(VALU_DEP_1) | instskip(NEXT) | instid1(VALU_DEP_1)
	v_add_f32_e32 v18, 1.0, v14
	v_cvt_f64_f32_e32 v[16:17], v18
	s_delay_alu instid0(VALU_DEP_1) | instskip(SKIP_1) | instid1(VALU_DEP_1)
	v_frexp_exp_i32_f64_e32 v16, v[16:17]
	v_frexp_mant_f32_e32 v17, v18
	v_cmp_gt_f32_e32 vcc_lo, 0x3f2aaaab, v17
	v_add_f32_e32 v17, -1.0, v18
	s_delay_alu instid0(VALU_DEP_1) | instskip(SKIP_1) | instid1(VALU_DEP_2)
	v_sub_f32_e32 v61, v17, v18
	v_sub_f32_e32 v17, v14, v17
	v_add_f32_e32 v61, 1.0, v61
	s_delay_alu instid0(VALU_DEP_1) | instskip(SKIP_3) | instid1(VALU_DEP_2)
	v_add_f32_e32 v17, v17, v61
	v_cmp_gt_f32_e64 s20, 0x33800000, v14
	v_subrev_co_ci_u32_e32 v16, vcc_lo, 0, v16, vcc_lo
	v_cmp_eq_f32_e32 vcc_lo, 0x7f800000, v14
	v_sub_nc_u32_e32 v19, 0, v16
	v_cvt_f32_i32_e32 v16, v16
	s_or_b32 vcc_lo, s20, vcc_lo
	s_delay_alu instid0(VALU_DEP_2) | instskip(SKIP_1) | instid1(VALU_DEP_2)
	v_ldexp_f32 v18, v18, v19
	v_ldexp_f32 v17, v17, v19
	v_add_f32_e32 v62, 1.0, v18
	v_add_f32_e32 v19, -1.0, v18
	s_delay_alu instid0(VALU_DEP_1) | instskip(NEXT) | instid1(VALU_DEP_3)
	v_add_f32_e32 v63, 1.0, v19
	v_add_f32_e32 v61, -1.0, v62
	s_delay_alu instid0(VALU_DEP_1) | instskip(NEXT) | instid1(VALU_DEP_1)
	v_sub_f32_e32 v61, v18, v61
	v_dual_sub_f32 v18, v18, v63 :: v_dual_add_f32 v61, v17, v61
	s_delay_alu instid0(VALU_DEP_1) | instskip(NEXT) | instid1(VALU_DEP_2)
	v_add_f32_e32 v63, v62, v61
	v_add_f32_e32 v17, v17, v18
	s_delay_alu instid0(VALU_DEP_2) | instskip(SKIP_1) | instid1(VALU_DEP_1)
	v_rcp_f32_e32 v18, v63
	v_sub_f32_e32 v62, v62, v63
	v_dual_add_f32 v64, v19, v17 :: v_dual_add_f32 v61, v61, v62
	s_delay_alu instid0(VALU_DEP_1) | instskip(SKIP_2) | instid1(VALU_DEP_1)
	v_sub_f32_e32 v19, v19, v64
	s_waitcnt_depctr 0xfff
	v_mul_f32_e32 v65, v64, v18
	v_mul_f32_e32 v66, v63, v65
	s_delay_alu instid0(VALU_DEP_1) | instskip(NEXT) | instid1(VALU_DEP_1)
	v_fma_f32 v62, v65, v63, -v66
	v_fmac_f32_e32 v62, v65, v61
	s_delay_alu instid0(VALU_DEP_1) | instskip(NEXT) | instid1(VALU_DEP_1)
	v_add_f32_e32 v67, v66, v62
	v_sub_f32_e32 v68, v64, v67
	s_delay_alu instid0(VALU_DEP_1) | instskip(NEXT) | instid1(VALU_DEP_1)
	v_dual_sub_f32 v64, v64, v68 :: v_dual_add_f32 v17, v17, v19
	v_dual_sub_f32 v19, v67, v66 :: v_dual_sub_f32 v64, v64, v67
	s_delay_alu instid0(VALU_DEP_1) | instskip(NEXT) | instid1(VALU_DEP_2)
	v_sub_f32_e32 v19, v19, v62
	v_add_f32_e32 v17, v17, v64
	s_delay_alu instid0(VALU_DEP_1) | instskip(NEXT) | instid1(VALU_DEP_1)
	v_add_f32_e32 v17, v19, v17
	v_add_f32_e32 v19, v68, v17
	s_delay_alu instid0(VALU_DEP_1) | instskip(NEXT) | instid1(VALU_DEP_1)
	v_mul_f32_e32 v62, v18, v19
	v_dual_sub_f32 v67, v68, v19 :: v_dual_mul_f32 v64, v63, v62
	s_delay_alu instid0(VALU_DEP_1) | instskip(NEXT) | instid1(VALU_DEP_2)
	v_add_f32_e32 v17, v17, v67
	v_fma_f32 v63, v62, v63, -v64
	s_delay_alu instid0(VALU_DEP_1) | instskip(NEXT) | instid1(VALU_DEP_1)
	v_fmac_f32_e32 v63, v62, v61
	v_add_f32_e32 v61, v64, v63
	s_delay_alu instid0(VALU_DEP_1) | instskip(NEXT) | instid1(VALU_DEP_1)
	v_sub_f32_e32 v66, v19, v61
	v_dual_sub_f32 v64, v61, v64 :: v_dual_sub_f32 v19, v19, v66
	s_delay_alu instid0(VALU_DEP_1) | instskip(NEXT) | instid1(VALU_DEP_2)
	v_sub_f32_e32 v19, v19, v61
	v_sub_f32_e32 v61, v64, v63
	s_delay_alu instid0(VALU_DEP_2) | instskip(SKIP_1) | instid1(VALU_DEP_2)
	v_add_f32_e32 v17, v17, v19
	v_add_f32_e32 v19, v65, v62
	;; [unrolled: 1-line block ×3, first 2 shown]
	s_delay_alu instid0(VALU_DEP_2) | instskip(NEXT) | instid1(VALU_DEP_2)
	v_sub_f32_e32 v61, v19, v65
	v_add_f32_e32 v17, v66, v17
	s_delay_alu instid0(VALU_DEP_2) | instskip(NEXT) | instid1(VALU_DEP_2)
	v_sub_f32_e32 v61, v62, v61
	v_mul_f32_e32 v17, v18, v17
	s_delay_alu instid0(VALU_DEP_1) | instskip(NEXT) | instid1(VALU_DEP_1)
	v_add_f32_e32 v17, v61, v17
	v_add_f32_e32 v18, v19, v17
	s_delay_alu instid0(VALU_DEP_1) | instskip(NEXT) | instid1(VALU_DEP_1)
	v_mul_f32_e32 v61, v18, v18
	v_fmaak_f32 v62, s31, v61, 0x3ecc95a3
	v_mul_f32_e32 v63, v18, v61
	s_delay_alu instid0(VALU_DEP_2) | instskip(SKIP_1) | instid1(VALU_DEP_2)
	v_fmaak_f32 v61, v61, v62, 0x3f2aaada
	v_ldexp_f32 v62, v18, 1
	v_dual_sub_f32 v18, v18, v19 :: v_dual_mul_f32 v61, v63, v61
	v_mul_f32_e32 v63, 0x3f317218, v16
	s_delay_alu instid0(VALU_DEP_2) | instskip(NEXT) | instid1(VALU_DEP_3)
	v_sub_f32_e32 v17, v17, v18
	v_add_f32_e32 v19, v62, v61
	s_delay_alu instid0(VALU_DEP_2) | instskip(NEXT) | instid1(VALU_DEP_2)
	v_ldexp_f32 v17, v17, 1
	v_sub_f32_e32 v18, v19, v62
	v_fma_f32 v62, 0x3f317218, v16, -v63
	s_delay_alu instid0(VALU_DEP_2) | instskip(NEXT) | instid1(VALU_DEP_2)
	v_sub_f32_e32 v18, v61, v18
	v_fmac_f32_e32 v62, 0xb102e308, v16
	s_delay_alu instid0(VALU_DEP_2) | instskip(NEXT) | instid1(VALU_DEP_2)
	v_add_f32_e32 v16, v17, v18
	v_add_f32_e32 v17, v63, v62
	s_delay_alu instid0(VALU_DEP_1) | instskip(NEXT) | instid1(VALU_DEP_1)
	v_dual_add_f32 v18, v19, v16 :: v_dual_sub_f32 v63, v17, v63
	v_add_f32_e32 v61, v17, v18
	v_sub_f32_e32 v19, v18, v19
	s_delay_alu instid0(VALU_DEP_3) | instskip(NEXT) | instid1(VALU_DEP_3)
	v_sub_f32_e32 v62, v62, v63
	v_sub_f32_e32 v64, v61, v17
	s_delay_alu instid0(VALU_DEP_1) | instskip(SKIP_1) | instid1(VALU_DEP_2)
	v_dual_sub_f32 v16, v16, v19 :: v_dual_sub_f32 v65, v61, v64
	v_sub_f32_e32 v18, v18, v64
	v_add_f32_e32 v19, v62, v16
	s_delay_alu instid0(VALU_DEP_3) | instskip(NEXT) | instid1(VALU_DEP_1)
	v_sub_f32_e32 v17, v17, v65
	v_dual_add_f32 v17, v18, v17 :: v_dual_sub_f32 v18, v19, v62
	s_delay_alu instid0(VALU_DEP_1) | instskip(NEXT) | instid1(VALU_DEP_2)
	v_add_f32_e32 v17, v19, v17
	v_sub_f32_e32 v19, v19, v18
	s_delay_alu instid0(VALU_DEP_2) | instskip(NEXT) | instid1(VALU_DEP_1)
	v_dual_sub_f32 v16, v16, v18 :: v_dual_add_f32 v63, v61, v17
	v_dual_sub_f32 v19, v62, v19 :: v_dual_sub_f32 v18, v63, v61
	s_delay_alu instid0(VALU_DEP_1) | instskip(NEXT) | instid1(VALU_DEP_1)
	v_dual_add_f32 v16, v16, v19 :: v_dual_sub_f32 v17, v17, v18
	v_add_f32_e32 v16, v16, v17
	s_delay_alu instid0(VALU_DEP_1) | instskip(NEXT) | instid1(VALU_DEP_1)
	v_add_f32_e32 v16, v63, v16
	v_cndmask_b32_e32 v61, v16, v14, vcc_lo
.LBB142_48:                             ;   in Loop: Header=BB142_12 Depth=1
	s_or_b32 exec_lo, exec_lo, s21
	v_add_f32_e32 v62, s60, v15
	s_delay_alu instid0(VALU_DEP_1) | instskip(SKIP_1) | instid1(SALU_CYCLE_1)
	v_cmp_ge_f32_e32 vcc_lo, 0x41a00000, v62
	s_and_b32 s20, s73, vcc_lo
	s_and_saveexec_b32 s21, s20
	s_cbranch_execz .LBB142_50
; %bb.49:                               ;   in Loop: Header=BB142_12 Depth=1
	v_mul_f32_e32 v14, 0x3fb8aa3b, v62
	v_cmp_ngt_f32_e32 vcc_lo, 0xc2ce8ed0, v62
	s_delay_alu instid0(VALU_DEP_2) | instskip(SKIP_1) | instid1(VALU_DEP_2)
	v_rndne_f32_e32 v15, v14
	v_fma_f32 v16, 0x3fb8aa3b, v62, -v14
	v_sub_f32_e32 v14, v14, v15
	s_delay_alu instid0(VALU_DEP_2) | instskip(SKIP_1) | instid1(VALU_DEP_2)
	v_fmac_f32_e32 v16, 0x32a5705f, v62
	v_cvt_i32_f32_e32 v15, v15
	v_add_f32_e32 v14, v14, v16
	s_delay_alu instid0(VALU_DEP_1) | instskip(SKIP_2) | instid1(VALU_DEP_1)
	v_exp_f32_e32 v14, v14
	s_waitcnt_depctr 0xfff
	v_ldexp_f32 v14, v14, v15
	v_cndmask_b32_e32 v14, 0, v14, vcc_lo
	v_cmp_nlt_f32_e32 vcc_lo, 0x42b17218, v62
	s_delay_alu instid0(VALU_DEP_2) | instskip(NEXT) | instid1(VALU_DEP_1)
	v_cndmask_b32_e32 v16, 0x7f800000, v14, vcc_lo
	v_add_f32_e32 v17, 1.0, v16
	s_delay_alu instid0(VALU_DEP_1) | instskip(NEXT) | instid1(VALU_DEP_1)
	v_cvt_f64_f32_e32 v[14:15], v17
	v_frexp_exp_i32_f64_e32 v14, v[14:15]
	v_frexp_mant_f32_e32 v15, v17
	s_delay_alu instid0(VALU_DEP_1) | instskip(SKIP_1) | instid1(VALU_DEP_1)
	v_cmp_gt_f32_e32 vcc_lo, 0x3f2aaaab, v15
	v_add_f32_e32 v15, -1.0, v17
	v_sub_f32_e32 v19, v15, v17
	v_sub_f32_e32 v15, v16, v15
	s_delay_alu instid0(VALU_DEP_2) | instskip(NEXT) | instid1(VALU_DEP_1)
	v_add_f32_e32 v19, 1.0, v19
	v_add_f32_e32 v15, v15, v19
	v_cmp_gt_f32_e64 s20, 0x33800000, v16
	v_subrev_co_ci_u32_e32 v14, vcc_lo, 0, v14, vcc_lo
	v_cmp_eq_f32_e32 vcc_lo, 0x7f800000, v16
	s_delay_alu instid0(VALU_DEP_2) | instskip(SKIP_2) | instid1(VALU_DEP_2)
	v_sub_nc_u32_e32 v18, 0, v14
	v_cvt_f32_i32_e32 v14, v14
	s_or_b32 vcc_lo, s20, vcc_lo
	v_ldexp_f32 v17, v17, v18
	v_ldexp_f32 v15, v15, v18
	s_delay_alu instid0(VALU_DEP_2) | instskip(NEXT) | instid1(VALU_DEP_1)
	v_add_f32_e32 v62, 1.0, v17
	v_dual_add_f32 v18, -1.0, v17 :: v_dual_add_f32 v19, -1.0, v62
	s_delay_alu instid0(VALU_DEP_1) | instskip(NEXT) | instid1(VALU_DEP_2)
	v_add_f32_e32 v63, 1.0, v18
	v_sub_f32_e32 v19, v17, v19
	s_delay_alu instid0(VALU_DEP_2) | instskip(NEXT) | instid1(VALU_DEP_2)
	v_sub_f32_e32 v17, v17, v63
	v_add_f32_e32 v19, v15, v19
	s_delay_alu instid0(VALU_DEP_2) | instskip(NEXT) | instid1(VALU_DEP_1)
	v_add_f32_e32 v15, v15, v17
	v_add_f32_e32 v64, v18, v15
	s_delay_alu instid0(VALU_DEP_1) | instskip(NEXT) | instid1(VALU_DEP_4)
	v_sub_f32_e32 v18, v18, v64
	v_add_f32_e32 v63, v62, v19
	s_delay_alu instid0(VALU_DEP_1) | instskip(NEXT) | instid1(VALU_DEP_2)
	v_rcp_f32_e32 v17, v63
	v_dual_sub_f32 v62, v62, v63 :: v_dual_add_f32 v15, v15, v18
	s_delay_alu instid0(VALU_DEP_1) | instskip(SKIP_2) | instid1(VALU_DEP_1)
	v_add_f32_e32 v19, v19, v62
	s_waitcnt_depctr 0xfff
	v_mul_f32_e32 v65, v64, v17
	v_mul_f32_e32 v66, v63, v65
	s_delay_alu instid0(VALU_DEP_1) | instskip(NEXT) | instid1(VALU_DEP_1)
	v_fma_f32 v62, v65, v63, -v66
	v_fmac_f32_e32 v62, v65, v19
	s_delay_alu instid0(VALU_DEP_1) | instskip(NEXT) | instid1(VALU_DEP_1)
	v_add_f32_e32 v67, v66, v62
	v_sub_f32_e32 v68, v64, v67
	v_sub_f32_e32 v18, v67, v66
	s_delay_alu instid0(VALU_DEP_2) | instskip(NEXT) | instid1(VALU_DEP_1)
	v_sub_f32_e32 v64, v64, v68
	v_sub_f32_e32 v64, v64, v67
	s_delay_alu instid0(VALU_DEP_1) | instskip(NEXT) | instid1(VALU_DEP_1)
	v_dual_sub_f32 v18, v18, v62 :: v_dual_add_f32 v15, v15, v64
	v_add_f32_e32 v15, v18, v15
	s_delay_alu instid0(VALU_DEP_1) | instskip(NEXT) | instid1(VALU_DEP_1)
	v_add_f32_e32 v18, v68, v15
	v_mul_f32_e32 v62, v17, v18
	v_sub_f32_e32 v67, v68, v18
	s_delay_alu instid0(VALU_DEP_2) | instskip(NEXT) | instid1(VALU_DEP_2)
	v_mul_f32_e32 v64, v63, v62
	v_add_f32_e32 v15, v15, v67
	s_delay_alu instid0(VALU_DEP_2) | instskip(NEXT) | instid1(VALU_DEP_1)
	v_fma_f32 v63, v62, v63, -v64
	v_fmac_f32_e32 v63, v62, v19
	s_delay_alu instid0(VALU_DEP_1) | instskip(NEXT) | instid1(VALU_DEP_1)
	v_add_f32_e32 v19, v64, v63
	v_sub_f32_e32 v66, v18, v19
	s_delay_alu instid0(VALU_DEP_1) | instskip(NEXT) | instid1(VALU_DEP_1)
	v_sub_f32_e32 v18, v18, v66
	v_sub_f32_e32 v18, v18, v19
	s_delay_alu instid0(VALU_DEP_1) | instskip(SKIP_2) | instid1(VALU_DEP_1)
	v_add_f32_e32 v15, v15, v18
	v_add_f32_e32 v18, v65, v62
	v_sub_f32_e32 v64, v19, v64
	v_sub_f32_e32 v19, v64, v63
	s_delay_alu instid0(VALU_DEP_1) | instskip(NEXT) | instid1(VALU_DEP_4)
	v_add_f32_e32 v15, v19, v15
	v_sub_f32_e32 v19, v18, v65
	s_delay_alu instid0(VALU_DEP_2) | instskip(NEXT) | instid1(VALU_DEP_2)
	v_add_f32_e32 v15, v66, v15
	v_sub_f32_e32 v19, v62, v19
	s_delay_alu instid0(VALU_DEP_2) | instskip(NEXT) | instid1(VALU_DEP_1)
	v_mul_f32_e32 v15, v17, v15
	v_add_f32_e32 v15, v19, v15
	s_delay_alu instid0(VALU_DEP_1) | instskip(NEXT) | instid1(VALU_DEP_1)
	v_add_f32_e32 v17, v18, v15
	v_mul_f32_e32 v19, v17, v17
	s_delay_alu instid0(VALU_DEP_1) | instskip(SKIP_1) | instid1(VALU_DEP_2)
	v_fmaak_f32 v62, s31, v19, 0x3ecc95a3
	v_mul_f32_e32 v63, v17, v19
	v_fmaak_f32 v19, v19, v62, 0x3f2aaada
	v_ldexp_f32 v62, v17, 1
	v_sub_f32_e32 v17, v17, v18
	s_delay_alu instid0(VALU_DEP_3) | instskip(SKIP_1) | instid1(VALU_DEP_2)
	v_mul_f32_e32 v19, v63, v19
	v_mul_f32_e32 v63, 0x3f317218, v14
	v_dual_sub_f32 v15, v15, v17 :: v_dual_add_f32 v18, v62, v19
	s_delay_alu instid0(VALU_DEP_1) | instskip(NEXT) | instid1(VALU_DEP_2)
	v_ldexp_f32 v15, v15, 1
	v_sub_f32_e32 v17, v18, v62
	s_delay_alu instid0(VALU_DEP_4) | instskip(NEXT) | instid1(VALU_DEP_1)
	v_fma_f32 v62, 0x3f317218, v14, -v63
	v_dual_sub_f32 v17, v19, v17 :: v_dual_fmac_f32 v62, 0xb102e308, v14
	s_delay_alu instid0(VALU_DEP_1) | instskip(NEXT) | instid1(VALU_DEP_1)
	v_add_f32_e32 v14, v15, v17
	v_add_f32_e32 v17, v18, v14
	s_delay_alu instid0(VALU_DEP_1) | instskip(NEXT) | instid1(VALU_DEP_1)
	v_sub_f32_e32 v18, v17, v18
	v_sub_f32_e32 v14, v14, v18
	v_add_f32_e32 v15, v63, v62
	s_delay_alu instid0(VALU_DEP_1) | instskip(SKIP_1) | instid1(VALU_DEP_2)
	v_add_f32_e32 v19, v15, v17
	v_sub_f32_e32 v63, v15, v63
	v_sub_f32_e32 v64, v19, v15
	s_delay_alu instid0(VALU_DEP_1) | instskip(NEXT) | instid1(VALU_DEP_1)
	v_dual_sub_f32 v62, v62, v63 :: v_dual_sub_f32 v65, v19, v64
	v_dual_sub_f32 v17, v17, v64 :: v_dual_add_f32 v18, v62, v14
	s_delay_alu instid0(VALU_DEP_2) | instskip(NEXT) | instid1(VALU_DEP_1)
	v_sub_f32_e32 v15, v15, v65
	v_add_f32_e32 v15, v17, v15
	s_delay_alu instid0(VALU_DEP_3) | instskip(NEXT) | instid1(VALU_DEP_2)
	v_sub_f32_e32 v17, v18, v62
	v_add_f32_e32 v15, v18, v15
	s_delay_alu instid0(VALU_DEP_2) | instskip(NEXT) | instid1(VALU_DEP_2)
	v_sub_f32_e32 v18, v18, v17
	v_dual_sub_f32 v14, v14, v17 :: v_dual_add_f32 v63, v19, v15
	s_delay_alu instid0(VALU_DEP_1) | instskip(NEXT) | instid1(VALU_DEP_1)
	v_dual_sub_f32 v18, v62, v18 :: v_dual_sub_f32 v17, v63, v19
	v_dual_add_f32 v14, v14, v18 :: v_dual_sub_f32 v15, v15, v17
	s_delay_alu instid0(VALU_DEP_1) | instskip(NEXT) | instid1(VALU_DEP_1)
	v_add_f32_e32 v14, v14, v15
	v_add_f32_e32 v14, v63, v14
	s_delay_alu instid0(VALU_DEP_1)
	v_cndmask_b32_e32 v62, v14, v16, vcc_lo
.LBB142_50:                             ;   in Loop: Header=BB142_12 Depth=1
	s_or_b32 exec_lo, exec_lo, s21
	s_waitcnt lgkmcnt(1)
	v_add_f32_e32 v63, s60, v12
	s_delay_alu instid0(VALU_DEP_1) | instskip(SKIP_1) | instid1(SALU_CYCLE_1)
	v_cmp_ge_f32_e32 vcc_lo, 0x41a00000, v63
	s_and_b32 s20, s73, vcc_lo
	s_and_saveexec_b32 s21, s20
	s_cbranch_execz .LBB142_52
; %bb.51:                               ;   in Loop: Header=BB142_12 Depth=1
	v_mul_f32_e32 v12, 0x3fb8aa3b, v63
	v_cmp_ngt_f32_e32 vcc_lo, 0xc2ce8ed0, v63
	s_delay_alu instid0(VALU_DEP_2) | instskip(SKIP_1) | instid1(VALU_DEP_1)
	v_rndne_f32_e32 v14, v12
	v_fma_f32 v15, 0x3fb8aa3b, v63, -v12
	v_dual_sub_f32 v12, v12, v14 :: v_dual_fmac_f32 v15, 0x32a5705f, v63
	v_cvt_i32_f32_e32 v14, v14
	s_delay_alu instid0(VALU_DEP_2) | instskip(NEXT) | instid1(VALU_DEP_1)
	v_add_f32_e32 v12, v12, v15
	v_exp_f32_e32 v12, v12
	s_waitcnt_depctr 0xfff
	v_ldexp_f32 v12, v12, v14
	s_delay_alu instid0(VALU_DEP_1) | instskip(SKIP_1) | instid1(VALU_DEP_2)
	v_cndmask_b32_e32 v12, 0, v12, vcc_lo
	v_cmp_nlt_f32_e32 vcc_lo, 0x42b17218, v63
	v_cndmask_b32_e32 v12, 0x7f800000, v12, vcc_lo
	s_delay_alu instid0(VALU_DEP_1) | instskip(NEXT) | instid1(VALU_DEP_1)
	v_add_f32_e32 v16, 1.0, v12
	v_cvt_f64_f32_e32 v[14:15], v16
	s_delay_alu instid0(VALU_DEP_1) | instskip(SKIP_1) | instid1(VALU_DEP_1)
	v_frexp_exp_i32_f64_e32 v14, v[14:15]
	v_frexp_mant_f32_e32 v15, v16
	v_cmp_gt_f32_e32 vcc_lo, 0x3f2aaaab, v15
	v_add_f32_e32 v15, -1.0, v16
	s_delay_alu instid0(VALU_DEP_1) | instskip(SKIP_1) | instid1(VALU_DEP_1)
	v_dual_sub_f32 v18, v15, v16 :: v_dual_sub_f32 v15, v12, v15
	v_subrev_co_ci_u32_e32 v14, vcc_lo, 0, v14, vcc_lo
	v_sub_nc_u32_e32 v17, 0, v14
	v_cvt_f32_i32_e32 v14, v14
	s_delay_alu instid0(VALU_DEP_2) | instskip(NEXT) | instid1(VALU_DEP_1)
	v_ldexp_f32 v16, v16, v17
	v_dual_add_f32 v18, 1.0, v18 :: v_dual_add_f32 v19, 1.0, v16
	s_delay_alu instid0(VALU_DEP_1) | instskip(NEXT) | instid1(VALU_DEP_1)
	v_add_f32_e32 v15, v15, v18
	v_ldexp_f32 v15, v15, v17
	s_delay_alu instid0(VALU_DEP_3) | instskip(NEXT) | instid1(VALU_DEP_1)
	v_dual_add_f32 v17, -1.0, v16 :: v_dual_add_f32 v18, -1.0, v19
	v_dual_add_f32 v63, 1.0, v17 :: v_dual_sub_f32 v18, v16, v18
	v_cmp_eq_f32_e32 vcc_lo, 0x7f800000, v12
	v_cmp_gt_f32_e64 s20, 0x33800000, v12
	s_delay_alu instid0(VALU_DEP_3) | instskip(NEXT) | instid1(VALU_DEP_4)
	v_add_f32_e32 v18, v15, v18
	v_sub_f32_e32 v16, v16, v63
	s_delay_alu instid0(VALU_DEP_3) | instskip(NEXT) | instid1(VALU_DEP_2)
	s_or_b32 vcc_lo, s20, vcc_lo
	v_add_f32_e32 v63, v19, v18
	s_delay_alu instid0(VALU_DEP_2) | instskip(NEXT) | instid1(VALU_DEP_2)
	v_add_f32_e32 v15, v15, v16
	v_rcp_f32_e32 v16, v63
	s_delay_alu instid0(VALU_DEP_1) | instskip(SKIP_1) | instid1(VALU_DEP_2)
	v_add_f32_e32 v64, v17, v15
	v_sub_f32_e32 v19, v19, v63
	v_sub_f32_e32 v17, v17, v64
	s_delay_alu instid0(VALU_DEP_1) | instskip(SKIP_2) | instid1(VALU_DEP_1)
	v_add_f32_e32 v15, v15, v17
	s_waitcnt_depctr 0xfff
	v_dual_mul_f32 v65, v64, v16 :: v_dual_add_f32 v18, v18, v19
	v_mul_f32_e32 v66, v63, v65
	s_delay_alu instid0(VALU_DEP_1) | instskip(NEXT) | instid1(VALU_DEP_1)
	v_fma_f32 v19, v65, v63, -v66
	v_fmac_f32_e32 v19, v65, v18
	s_delay_alu instid0(VALU_DEP_1) | instskip(NEXT) | instid1(VALU_DEP_1)
	v_add_f32_e32 v67, v66, v19
	v_dual_sub_f32 v68, v64, v67 :: v_dual_sub_f32 v17, v67, v66
	s_delay_alu instid0(VALU_DEP_1) | instskip(NEXT) | instid1(VALU_DEP_1)
	v_dual_sub_f32 v64, v64, v68 :: v_dual_sub_f32 v17, v17, v19
	v_sub_f32_e32 v64, v64, v67
	s_delay_alu instid0(VALU_DEP_1) | instskip(NEXT) | instid1(VALU_DEP_1)
	v_add_f32_e32 v15, v15, v64
	v_add_f32_e32 v15, v17, v15
	s_delay_alu instid0(VALU_DEP_1) | instskip(NEXT) | instid1(VALU_DEP_1)
	v_add_f32_e32 v17, v68, v15
	v_mul_f32_e32 v19, v16, v17
	s_delay_alu instid0(VALU_DEP_1) | instskip(NEXT) | instid1(VALU_DEP_1)
	v_dual_sub_f32 v67, v68, v17 :: v_dual_mul_f32 v64, v63, v19
	v_fma_f32 v63, v19, v63, -v64
	s_delay_alu instid0(VALU_DEP_1) | instskip(NEXT) | instid1(VALU_DEP_1)
	v_fmac_f32_e32 v63, v19, v18
	v_add_f32_e32 v18, v64, v63
	s_delay_alu instid0(VALU_DEP_1) | instskip(NEXT) | instid1(VALU_DEP_1)
	v_sub_f32_e32 v66, v17, v18
	v_dual_sub_f32 v17, v17, v66 :: v_dual_sub_f32 v64, v18, v64
	v_add_f32_e32 v15, v15, v67
	s_delay_alu instid0(VALU_DEP_2) | instskip(NEXT) | instid1(VALU_DEP_1)
	v_dual_sub_f32 v17, v17, v18 :: v_dual_sub_f32 v18, v64, v63
	v_add_f32_e32 v15, v15, v17
	v_add_f32_e32 v17, v65, v19
	s_delay_alu instid0(VALU_DEP_1) | instskip(NEXT) | instid1(VALU_DEP_1)
	v_dual_add_f32 v15, v18, v15 :: v_dual_sub_f32 v18, v17, v65
	v_dual_add_f32 v15, v66, v15 :: v_dual_sub_f32 v18, v19, v18
	s_delay_alu instid0(VALU_DEP_1) | instskip(NEXT) | instid1(VALU_DEP_1)
	v_mul_f32_e32 v15, v16, v15
	v_add_f32_e32 v15, v18, v15
	s_delay_alu instid0(VALU_DEP_1) | instskip(NEXT) | instid1(VALU_DEP_1)
	v_add_f32_e32 v16, v17, v15
	v_mul_f32_e32 v18, v16, v16
	s_delay_alu instid0(VALU_DEP_1) | instskip(NEXT) | instid1(VALU_DEP_1)
	v_fmaak_f32 v19, s31, v18, 0x3ecc95a3
	v_dual_mul_f32 v63, v16, v18 :: v_dual_fmaak_f32 v18, v18, v19, 0x3f2aaada
	v_ldexp_f32 v19, v16, 1
	s_delay_alu instid0(VALU_DEP_2) | instskip(NEXT) | instid1(VALU_DEP_1)
	v_mul_f32_e32 v18, v63, v18
	v_dual_sub_f32 v16, v16, v17 :: v_dual_add_f32 v17, v19, v18
	s_delay_alu instid0(VALU_DEP_1) | instskip(NEXT) | instid1(VALU_DEP_1)
	v_dual_sub_f32 v15, v15, v16 :: v_dual_sub_f32 v16, v17, v19
	v_ldexp_f32 v15, v15, 1
	s_delay_alu instid0(VALU_DEP_2) | instskip(NEXT) | instid1(VALU_DEP_1)
	v_dual_sub_f32 v16, v18, v16 :: v_dual_mul_f32 v63, 0x3f317218, v14
	v_fma_f32 v19, 0x3f317218, v14, -v63
	s_delay_alu instid0(VALU_DEP_1) | instskip(NEXT) | instid1(VALU_DEP_1)
	v_dual_fmac_f32 v19, 0xb102e308, v14 :: v_dual_add_f32 v14, v15, v16
	v_dual_add_f32 v15, v63, v19 :: v_dual_add_f32 v16, v17, v14
	s_delay_alu instid0(VALU_DEP_1) | instskip(NEXT) | instid1(VALU_DEP_2)
	v_sub_f32_e32 v63, v15, v63
	v_add_f32_e32 v18, v15, v16
	s_delay_alu instid0(VALU_DEP_2) | instskip(NEXT) | instid1(VALU_DEP_2)
	v_sub_f32_e32 v19, v19, v63
	v_dual_sub_f32 v64, v18, v15 :: v_dual_sub_f32 v17, v16, v17
	s_delay_alu instid0(VALU_DEP_1) | instskip(NEXT) | instid1(VALU_DEP_2)
	v_sub_f32_e32 v16, v16, v64
	v_sub_f32_e32 v14, v14, v17
	s_delay_alu instid0(VALU_DEP_1) | instskip(SKIP_1) | instid1(VALU_DEP_1)
	v_add_f32_e32 v17, v19, v14
	v_sub_f32_e32 v65, v18, v64
	v_sub_f32_e32 v15, v15, v65
	s_delay_alu instid0(VALU_DEP_1) | instskip(NEXT) | instid1(VALU_DEP_4)
	v_add_f32_e32 v15, v16, v15
	v_sub_f32_e32 v16, v17, v19
	s_delay_alu instid0(VALU_DEP_2) | instskip(NEXT) | instid1(VALU_DEP_2)
	v_add_f32_e32 v15, v17, v15
	v_sub_f32_e32 v17, v17, v16
	v_sub_f32_e32 v14, v14, v16
	s_delay_alu instid0(VALU_DEP_3) | instskip(NEXT) | instid1(VALU_DEP_3)
	v_add_f32_e32 v63, v18, v15
	v_sub_f32_e32 v17, v19, v17
	s_delay_alu instid0(VALU_DEP_2) | instskip(NEXT) | instid1(VALU_DEP_1)
	v_sub_f32_e32 v16, v63, v18
	v_dual_add_f32 v14, v14, v17 :: v_dual_sub_f32 v15, v15, v16
	s_delay_alu instid0(VALU_DEP_1) | instskip(NEXT) | instid1(VALU_DEP_1)
	v_add_f32_e32 v14, v14, v15
	v_add_f32_e32 v14, v63, v14
	s_delay_alu instid0(VALU_DEP_1)
	v_cndmask_b32_e32 v63, v14, v12, vcc_lo
.LBB142_52:                             ;   in Loop: Header=BB142_12 Depth=1
	s_or_b32 exec_lo, exec_lo, s21
	v_add_f32_e32 v64, s60, v13
	s_delay_alu instid0(VALU_DEP_1) | instskip(SKIP_1) | instid1(SALU_CYCLE_1)
	v_cmp_ge_f32_e32 vcc_lo, 0x41a00000, v64
	s_and_b32 s20, s73, vcc_lo
	s_and_saveexec_b32 s21, s20
	s_cbranch_execz .LBB142_54
; %bb.53:                               ;   in Loop: Header=BB142_12 Depth=1
	v_mul_f32_e32 v12, 0x3fb8aa3b, v64
	v_cmp_ngt_f32_e32 vcc_lo, 0xc2ce8ed0, v64
	s_delay_alu instid0(VALU_DEP_2) | instskip(SKIP_1) | instid1(VALU_DEP_2)
	v_rndne_f32_e32 v13, v12
	v_fma_f32 v14, 0x3fb8aa3b, v64, -v12
	v_sub_f32_e32 v12, v12, v13
	s_delay_alu instid0(VALU_DEP_2) | instskip(SKIP_1) | instid1(VALU_DEP_2)
	v_fmac_f32_e32 v14, 0x32a5705f, v64
	v_cvt_i32_f32_e32 v13, v13
	v_add_f32_e32 v12, v12, v14
	s_delay_alu instid0(VALU_DEP_1) | instskip(SKIP_2) | instid1(VALU_DEP_1)
	v_exp_f32_e32 v12, v12
	s_waitcnt_depctr 0xfff
	v_ldexp_f32 v12, v12, v13
	v_cndmask_b32_e32 v12, 0, v12, vcc_lo
	v_cmp_nlt_f32_e32 vcc_lo, 0x42b17218, v64
	s_delay_alu instid0(VALU_DEP_2) | instskip(NEXT) | instid1(VALU_DEP_1)
	v_cndmask_b32_e32 v14, 0x7f800000, v12, vcc_lo
	v_add_f32_e32 v15, 1.0, v14
	s_delay_alu instid0(VALU_DEP_1) | instskip(NEXT) | instid1(VALU_DEP_1)
	v_cvt_f64_f32_e32 v[12:13], v15
	v_frexp_exp_i32_f64_e32 v12, v[12:13]
	v_frexp_mant_f32_e32 v13, v15
	s_delay_alu instid0(VALU_DEP_1) | instskip(SKIP_1) | instid1(VALU_DEP_1)
	v_cmp_gt_f32_e32 vcc_lo, 0x3f2aaaab, v13
	v_add_f32_e32 v13, -1.0, v15
	v_sub_f32_e32 v17, v13, v15
	v_sub_f32_e32 v13, v14, v13
	s_delay_alu instid0(VALU_DEP_2) | instskip(NEXT) | instid1(VALU_DEP_1)
	v_add_f32_e32 v17, 1.0, v17
	v_add_f32_e32 v13, v13, v17
	v_cmp_gt_f32_e64 s20, 0x33800000, v14
	v_subrev_co_ci_u32_e32 v12, vcc_lo, 0, v12, vcc_lo
	v_cmp_eq_f32_e32 vcc_lo, 0x7f800000, v14
	s_delay_alu instid0(VALU_DEP_2) | instskip(SKIP_2) | instid1(VALU_DEP_2)
	v_sub_nc_u32_e32 v16, 0, v12
	v_cvt_f32_i32_e32 v12, v12
	s_or_b32 vcc_lo, s20, vcc_lo
	v_ldexp_f32 v15, v15, v16
	v_ldexp_f32 v13, v13, v16
	s_delay_alu instid0(VALU_DEP_2) | instskip(NEXT) | instid1(VALU_DEP_1)
	v_add_f32_e32 v18, 1.0, v15
	v_dual_add_f32 v16, -1.0, v15 :: v_dual_add_f32 v17, -1.0, v18
	s_delay_alu instid0(VALU_DEP_1) | instskip(NEXT) | instid1(VALU_DEP_2)
	v_add_f32_e32 v19, 1.0, v16
	v_sub_f32_e32 v17, v15, v17
	s_delay_alu instid0(VALU_DEP_2) | instskip(NEXT) | instid1(VALU_DEP_2)
	v_sub_f32_e32 v15, v15, v19
	v_add_f32_e32 v17, v13, v17
	s_delay_alu instid0(VALU_DEP_2) | instskip(NEXT) | instid1(VALU_DEP_1)
	v_add_f32_e32 v13, v13, v15
	v_add_f32_e32 v64, v16, v13
	s_delay_alu instid0(VALU_DEP_1) | instskip(NEXT) | instid1(VALU_DEP_1)
	v_dual_add_f32 v19, v18, v17 :: v_dual_sub_f32 v16, v16, v64
	v_rcp_f32_e32 v15, v19
	v_sub_f32_e32 v18, v18, v19
	s_delay_alu instid0(VALU_DEP_1) | instskip(SKIP_2) | instid1(VALU_DEP_1)
	v_add_f32_e32 v17, v17, v18
	s_waitcnt_depctr 0xfff
	v_mul_f32_e32 v65, v64, v15
	v_mul_f32_e32 v66, v19, v65
	s_delay_alu instid0(VALU_DEP_1) | instskip(NEXT) | instid1(VALU_DEP_1)
	v_fma_f32 v18, v65, v19, -v66
	v_fmac_f32_e32 v18, v65, v17
	s_delay_alu instid0(VALU_DEP_1) | instskip(NEXT) | instid1(VALU_DEP_1)
	v_add_f32_e32 v67, v66, v18
	v_sub_f32_e32 v68, v64, v67
	s_delay_alu instid0(VALU_DEP_1) | instskip(SKIP_1) | instid1(VALU_DEP_2)
	v_sub_f32_e32 v64, v64, v68
	v_dual_add_f32 v13, v13, v16 :: v_dual_sub_f32 v16, v67, v66
	v_sub_f32_e32 v64, v64, v67
	s_delay_alu instid0(VALU_DEP_1) | instskip(NEXT) | instid1(VALU_DEP_1)
	v_dual_sub_f32 v16, v16, v18 :: v_dual_add_f32 v13, v13, v64
	v_add_f32_e32 v13, v16, v13
	s_delay_alu instid0(VALU_DEP_1) | instskip(NEXT) | instid1(VALU_DEP_1)
	v_add_f32_e32 v16, v68, v13
	v_mul_f32_e32 v18, v15, v16
	s_delay_alu instid0(VALU_DEP_1) | instskip(NEXT) | instid1(VALU_DEP_1)
	v_dual_sub_f32 v67, v68, v16 :: v_dual_mul_f32 v64, v19, v18
	v_add_f32_e32 v13, v13, v67
	s_delay_alu instid0(VALU_DEP_2) | instskip(NEXT) | instid1(VALU_DEP_1)
	v_fma_f32 v19, v18, v19, -v64
	v_fmac_f32_e32 v19, v18, v17
	s_delay_alu instid0(VALU_DEP_1) | instskip(NEXT) | instid1(VALU_DEP_1)
	v_add_f32_e32 v17, v64, v19
	v_sub_f32_e32 v66, v16, v17
	s_delay_alu instid0(VALU_DEP_1) | instskip(NEXT) | instid1(VALU_DEP_1)
	v_sub_f32_e32 v16, v16, v66
	v_sub_f32_e32 v16, v16, v17
	s_delay_alu instid0(VALU_DEP_1) | instskip(SKIP_2) | instid1(VALU_DEP_1)
	v_add_f32_e32 v13, v13, v16
	v_add_f32_e32 v16, v65, v18
	v_sub_f32_e32 v64, v17, v64
	v_sub_f32_e32 v17, v64, v19
	s_delay_alu instid0(VALU_DEP_1) | instskip(NEXT) | instid1(VALU_DEP_4)
	v_add_f32_e32 v13, v17, v13
	v_sub_f32_e32 v17, v16, v65
	s_delay_alu instid0(VALU_DEP_2) | instskip(NEXT) | instid1(VALU_DEP_2)
	v_add_f32_e32 v13, v66, v13
	v_sub_f32_e32 v17, v18, v17
	s_delay_alu instid0(VALU_DEP_2) | instskip(NEXT) | instid1(VALU_DEP_1)
	v_mul_f32_e32 v13, v15, v13
	v_add_f32_e32 v13, v17, v13
	s_delay_alu instid0(VALU_DEP_1) | instskip(NEXT) | instid1(VALU_DEP_1)
	v_add_f32_e32 v15, v16, v13
	v_mul_f32_e32 v17, v15, v15
	s_delay_alu instid0(VALU_DEP_1) | instskip(SKIP_1) | instid1(VALU_DEP_2)
	v_fmaak_f32 v18, s31, v17, 0x3ecc95a3
	v_mul_f32_e32 v19, v15, v17
	v_fmaak_f32 v17, v17, v18, 0x3f2aaada
	v_ldexp_f32 v18, v15, 1
	s_delay_alu instid0(VALU_DEP_2) | instskip(SKIP_1) | instid1(VALU_DEP_2)
	v_mul_f32_e32 v17, v19, v17
	v_sub_f32_e32 v15, v15, v16
	v_dual_mul_f32 v19, 0x3f317218, v12 :: v_dual_add_f32 v16, v18, v17
	s_delay_alu instid0(VALU_DEP_2) | instskip(NEXT) | instid1(VALU_DEP_2)
	v_sub_f32_e32 v13, v13, v15
	v_sub_f32_e32 v15, v16, v18
	s_delay_alu instid0(VALU_DEP_3) | instskip(NEXT) | instid1(VALU_DEP_3)
	v_fma_f32 v18, 0x3f317218, v12, -v19
	v_ldexp_f32 v13, v13, 1
	s_delay_alu instid0(VALU_DEP_2) | instskip(NEXT) | instid1(VALU_DEP_1)
	v_dual_sub_f32 v15, v17, v15 :: v_dual_fmac_f32 v18, 0xb102e308, v12
	v_dual_add_f32 v12, v13, v15 :: v_dual_add_f32 v13, v19, v18
	s_delay_alu instid0(VALU_DEP_1) | instskip(NEXT) | instid1(VALU_DEP_1)
	v_add_f32_e32 v15, v16, v12
	v_dual_add_f32 v17, v13, v15 :: v_dual_sub_f32 v16, v15, v16
	s_delay_alu instid0(VALU_DEP_1) | instskip(NEXT) | instid1(VALU_DEP_2)
	v_sub_f32_e32 v64, v17, v13
	v_dual_sub_f32 v19, v13, v19 :: v_dual_sub_f32 v12, v12, v16
	s_delay_alu instid0(VALU_DEP_1) | instskip(SKIP_1) | instid1(VALU_DEP_2)
	v_dual_sub_f32 v65, v17, v64 :: v_dual_sub_f32 v18, v18, v19
	v_sub_f32_e32 v15, v15, v64
	v_dual_sub_f32 v13, v13, v65 :: v_dual_add_f32 v16, v18, v12
	s_delay_alu instid0(VALU_DEP_1) | instskip(NEXT) | instid1(VALU_DEP_2)
	v_add_f32_e32 v13, v15, v13
	v_sub_f32_e32 v15, v16, v18
	s_delay_alu instid0(VALU_DEP_2) | instskip(NEXT) | instid1(VALU_DEP_2)
	v_add_f32_e32 v13, v16, v13
	v_sub_f32_e32 v16, v16, v15
	s_delay_alu instid0(VALU_DEP_2) | instskip(NEXT) | instid1(VALU_DEP_1)
	v_dual_sub_f32 v12, v12, v15 :: v_dual_add_f32 v19, v17, v13
	v_dual_sub_f32 v16, v18, v16 :: v_dual_sub_f32 v15, v19, v17
	s_delay_alu instid0(VALU_DEP_1) | instskip(NEXT) | instid1(VALU_DEP_1)
	v_dual_add_f32 v12, v12, v16 :: v_dual_sub_f32 v13, v13, v15
	v_add_f32_e32 v12, v12, v13
	s_delay_alu instid0(VALU_DEP_1) | instskip(NEXT) | instid1(VALU_DEP_1)
	v_add_f32_e32 v12, v19, v12
	v_cndmask_b32_e32 v64, v12, v14, vcc_lo
.LBB142_54:                             ;   in Loop: Header=BB142_12 Depth=1
	s_or_b32 exec_lo, exec_lo, s21
	s_waitcnt lgkmcnt(0)
	v_add_f32_e32 v65, s60, v10
	s_delay_alu instid0(VALU_DEP_1) | instskip(SKIP_1) | instid1(SALU_CYCLE_1)
	v_cmp_ge_f32_e32 vcc_lo, 0x41a00000, v65
	s_and_b32 s20, s73, vcc_lo
	s_and_saveexec_b32 s21, s20
	s_cbranch_execz .LBB142_56
; %bb.55:                               ;   in Loop: Header=BB142_12 Depth=1
	v_mul_f32_e32 v10, 0x3fb8aa3b, v65
	v_cmp_ngt_f32_e32 vcc_lo, 0xc2ce8ed0, v65
	s_delay_alu instid0(VALU_DEP_2) | instskip(SKIP_1) | instid1(VALU_DEP_1)
	v_rndne_f32_e32 v12, v10
	v_fma_f32 v13, 0x3fb8aa3b, v65, -v10
	v_dual_sub_f32 v10, v10, v12 :: v_dual_fmac_f32 v13, 0x32a5705f, v65
	v_cvt_i32_f32_e32 v12, v12
	s_delay_alu instid0(VALU_DEP_2) | instskip(NEXT) | instid1(VALU_DEP_1)
	v_add_f32_e32 v10, v10, v13
	v_exp_f32_e32 v10, v10
	s_waitcnt_depctr 0xfff
	v_ldexp_f32 v10, v10, v12
	s_delay_alu instid0(VALU_DEP_1) | instskip(SKIP_1) | instid1(VALU_DEP_2)
	v_cndmask_b32_e32 v10, 0, v10, vcc_lo
	v_cmp_nlt_f32_e32 vcc_lo, 0x42b17218, v65
	v_cndmask_b32_e32 v10, 0x7f800000, v10, vcc_lo
	s_delay_alu instid0(VALU_DEP_1) | instskip(NEXT) | instid1(VALU_DEP_1)
	v_add_f32_e32 v14, 1.0, v10
	v_cvt_f64_f32_e32 v[12:13], v14
	s_delay_alu instid0(VALU_DEP_1) | instskip(SKIP_1) | instid1(VALU_DEP_1)
	v_frexp_exp_i32_f64_e32 v12, v[12:13]
	v_frexp_mant_f32_e32 v13, v14
	v_cmp_gt_f32_e32 vcc_lo, 0x3f2aaaab, v13
	v_add_f32_e32 v13, -1.0, v14
	s_delay_alu instid0(VALU_DEP_1) | instskip(SKIP_1) | instid1(VALU_DEP_1)
	v_dual_sub_f32 v16, v13, v14 :: v_dual_sub_f32 v13, v10, v13
	v_subrev_co_ci_u32_e32 v12, vcc_lo, 0, v12, vcc_lo
	v_sub_nc_u32_e32 v15, 0, v12
	v_cvt_f32_i32_e32 v12, v12
	s_delay_alu instid0(VALU_DEP_2) | instskip(NEXT) | instid1(VALU_DEP_1)
	v_ldexp_f32 v14, v14, v15
	v_dual_add_f32 v16, 1.0, v16 :: v_dual_add_f32 v17, 1.0, v14
	s_delay_alu instid0(VALU_DEP_1) | instskip(NEXT) | instid1(VALU_DEP_1)
	v_add_f32_e32 v13, v13, v16
	v_ldexp_f32 v13, v13, v15
	s_delay_alu instid0(VALU_DEP_3) | instskip(NEXT) | instid1(VALU_DEP_1)
	v_dual_add_f32 v15, -1.0, v14 :: v_dual_add_f32 v16, -1.0, v17
	v_add_f32_e32 v18, 1.0, v15
	s_delay_alu instid0(VALU_DEP_2) | instskip(NEXT) | instid1(VALU_DEP_2)
	v_sub_f32_e32 v16, v14, v16
	v_sub_f32_e32 v14, v14, v18
	s_delay_alu instid0(VALU_DEP_2) | instskip(NEXT) | instid1(VALU_DEP_2)
	v_add_f32_e32 v16, v13, v16
	v_add_f32_e32 v13, v13, v14
	s_delay_alu instid0(VALU_DEP_1) | instskip(SKIP_2) | instid1(VALU_DEP_3)
	v_add_f32_e32 v19, v15, v13
	v_cmp_eq_f32_e32 vcc_lo, 0x7f800000, v10
	v_cmp_gt_f32_e64 s20, 0x33800000, v10
	v_dual_sub_f32 v15, v15, v19 :: v_dual_add_f32 v18, v17, v16
	s_delay_alu instid0(VALU_DEP_2) | instskip(NEXT) | instid1(VALU_DEP_1)
	s_or_b32 vcc_lo, s20, vcc_lo
	v_add_f32_e32 v13, v13, v15
	s_delay_alu instid0(VALU_DEP_2) | instskip(SKIP_2) | instid1(VALU_DEP_1)
	v_rcp_f32_e32 v14, v18
	s_waitcnt_depctr 0xfff
	v_mul_f32_e32 v65, v19, v14
	v_dual_sub_f32 v17, v17, v18 :: v_dual_mul_f32 v66, v18, v65
	s_delay_alu instid0(VALU_DEP_1) | instskip(NEXT) | instid1(VALU_DEP_2)
	v_add_f32_e32 v16, v16, v17
	v_fma_f32 v17, v65, v18, -v66
	s_delay_alu instid0(VALU_DEP_1) | instskip(NEXT) | instid1(VALU_DEP_1)
	v_fmac_f32_e32 v17, v65, v16
	v_add_f32_e32 v67, v66, v17
	s_delay_alu instid0(VALU_DEP_1) | instskip(SKIP_1) | instid1(VALU_DEP_2)
	v_sub_f32_e32 v15, v67, v66
	v_sub_f32_e32 v68, v19, v67
	;; [unrolled: 1-line block ×3, first 2 shown]
	s_delay_alu instid0(VALU_DEP_2) | instskip(NEXT) | instid1(VALU_DEP_1)
	v_sub_f32_e32 v19, v19, v68
	v_sub_f32_e32 v19, v19, v67
	s_delay_alu instid0(VALU_DEP_1) | instskip(NEXT) | instid1(VALU_DEP_1)
	v_add_f32_e32 v13, v13, v19
	v_add_f32_e32 v13, v15, v13
	s_delay_alu instid0(VALU_DEP_1) | instskip(NEXT) | instid1(VALU_DEP_1)
	v_add_f32_e32 v15, v68, v13
	v_mul_f32_e32 v17, v14, v15
	s_delay_alu instid0(VALU_DEP_1) | instskip(SKIP_1) | instid1(VALU_DEP_2)
	v_mul_f32_e32 v19, v18, v17
	v_sub_f32_e32 v67, v68, v15
	v_fma_f32 v18, v17, v18, -v19
	s_delay_alu instid0(VALU_DEP_2) | instskip(NEXT) | instid1(VALU_DEP_2)
	v_add_f32_e32 v13, v13, v67
	v_fmac_f32_e32 v18, v17, v16
	s_delay_alu instid0(VALU_DEP_1) | instskip(NEXT) | instid1(VALU_DEP_1)
	v_add_f32_e32 v16, v19, v18
	v_sub_f32_e32 v66, v15, v16
	s_delay_alu instid0(VALU_DEP_1) | instskip(NEXT) | instid1(VALU_DEP_1)
	v_sub_f32_e32 v15, v15, v66
	v_sub_f32_e32 v15, v15, v16
	s_delay_alu instid0(VALU_DEP_1) | instskip(SKIP_2) | instid1(VALU_DEP_1)
	v_add_f32_e32 v13, v13, v15
	v_add_f32_e32 v15, v65, v17
	v_sub_f32_e32 v19, v16, v19
	v_sub_f32_e32 v16, v19, v18
	s_delay_alu instid0(VALU_DEP_1) | instskip(NEXT) | instid1(VALU_DEP_4)
	v_add_f32_e32 v13, v16, v13
	v_sub_f32_e32 v16, v15, v65
	s_delay_alu instid0(VALU_DEP_1) | instskip(NEXT) | instid1(VALU_DEP_1)
	v_dual_add_f32 v13, v66, v13 :: v_dual_sub_f32 v16, v17, v16
	v_mul_f32_e32 v13, v14, v13
	s_delay_alu instid0(VALU_DEP_1) | instskip(NEXT) | instid1(VALU_DEP_1)
	v_add_f32_e32 v13, v16, v13
	v_add_f32_e32 v14, v15, v13
	s_delay_alu instid0(VALU_DEP_1) | instskip(NEXT) | instid1(VALU_DEP_1)
	v_mul_f32_e32 v16, v14, v14
	v_fmaak_f32 v17, s31, v16, 0x3ecc95a3
	v_mul_f32_e32 v18, v14, v16
	s_delay_alu instid0(VALU_DEP_2) | instskip(SKIP_1) | instid1(VALU_DEP_2)
	v_fmaak_f32 v16, v16, v17, 0x3f2aaada
	v_ldexp_f32 v17, v14, 1
	v_mul_f32_e32 v16, v18, v16
	v_mul_f32_e32 v18, 0x3f317218, v12
	s_delay_alu instid0(VALU_DEP_2) | instskip(NEXT) | instid1(VALU_DEP_1)
	v_dual_sub_f32 v14, v14, v15 :: v_dual_add_f32 v15, v17, v16
	v_dual_sub_f32 v13, v13, v14 :: v_dual_sub_f32 v14, v15, v17
	s_delay_alu instid0(VALU_DEP_3) | instskip(NEXT) | instid1(VALU_DEP_2)
	v_fma_f32 v17, 0x3f317218, v12, -v18
	v_ldexp_f32 v13, v13, 1
	s_delay_alu instid0(VALU_DEP_2) | instskip(NEXT) | instid1(VALU_DEP_1)
	v_dual_sub_f32 v14, v16, v14 :: v_dual_fmac_f32 v17, 0xb102e308, v12
	v_add_f32_e32 v12, v13, v14
	s_delay_alu instid0(VALU_DEP_1) | instskip(NEXT) | instid1(VALU_DEP_1)
	v_add_f32_e32 v14, v15, v12
	v_sub_f32_e32 v15, v14, v15
	s_delay_alu instid0(VALU_DEP_1) | instskip(NEXT) | instid1(VALU_DEP_1)
	v_dual_sub_f32 v12, v12, v15 :: v_dual_add_f32 v13, v18, v17
	v_add_f32_e32 v16, v13, v14
	s_delay_alu instid0(VALU_DEP_1) | instskip(NEXT) | instid1(VALU_DEP_1)
	v_dual_sub_f32 v18, v13, v18 :: v_dual_sub_f32 v19, v16, v13
	v_dual_sub_f32 v17, v17, v18 :: v_dual_sub_f32 v14, v14, v19
	s_delay_alu instid0(VALU_DEP_1) | instskip(SKIP_1) | instid1(VALU_DEP_1)
	v_add_f32_e32 v15, v17, v12
	v_sub_f32_e32 v65, v16, v19
	v_sub_f32_e32 v13, v13, v65
	s_delay_alu instid0(VALU_DEP_1) | instskip(NEXT) | instid1(VALU_DEP_4)
	v_add_f32_e32 v13, v14, v13
	v_sub_f32_e32 v14, v15, v17
	s_delay_alu instid0(VALU_DEP_2) | instskip(NEXT) | instid1(VALU_DEP_2)
	v_add_f32_e32 v13, v15, v13
	v_sub_f32_e32 v15, v15, v14
	v_sub_f32_e32 v12, v12, v14
	s_delay_alu instid0(VALU_DEP_3) | instskip(NEXT) | instid1(VALU_DEP_1)
	v_add_f32_e32 v18, v16, v13
	v_dual_sub_f32 v14, v18, v16 :: v_dual_sub_f32 v15, v17, v15
	s_delay_alu instid0(VALU_DEP_1) | instskip(NEXT) | instid1(VALU_DEP_1)
	v_dual_sub_f32 v13, v13, v14 :: v_dual_add_f32 v12, v12, v15
	v_add_f32_e32 v12, v12, v13
	s_delay_alu instid0(VALU_DEP_1) | instskip(NEXT) | instid1(VALU_DEP_1)
	v_add_f32_e32 v12, v18, v12
	v_cndmask_b32_e32 v65, v12, v10, vcc_lo
.LBB142_56:                             ;   in Loop: Header=BB142_12 Depth=1
	s_or_b32 exec_lo, exec_lo, s21
	v_add_f32_e32 v74, s60, v11
	s_delay_alu instid0(VALU_DEP_1) | instskip(SKIP_1) | instid1(SALU_CYCLE_1)
	v_cmp_ge_f32_e32 vcc_lo, 0x41a00000, v74
	s_and_b32 s20, s73, vcc_lo
	s_and_saveexec_b32 s21, s20
	s_cbranch_execz .LBB142_58
; %bb.57:                               ;   in Loop: Header=BB142_12 Depth=1
	v_mul_f32_e32 v10, 0x3fb8aa3b, v74
	v_cmp_ngt_f32_e32 vcc_lo, 0xc2ce8ed0, v74
	s_delay_alu instid0(VALU_DEP_2) | instskip(SKIP_1) | instid1(VALU_DEP_2)
	v_rndne_f32_e32 v11, v10
	v_fma_f32 v12, 0x3fb8aa3b, v74, -v10
	v_sub_f32_e32 v10, v10, v11
	s_delay_alu instid0(VALU_DEP_2) | instskip(SKIP_1) | instid1(VALU_DEP_2)
	v_fmac_f32_e32 v12, 0x32a5705f, v74
	v_cvt_i32_f32_e32 v11, v11
	v_add_f32_e32 v10, v10, v12
	s_delay_alu instid0(VALU_DEP_1) | instskip(SKIP_2) | instid1(VALU_DEP_1)
	v_exp_f32_e32 v10, v10
	s_waitcnt_depctr 0xfff
	v_ldexp_f32 v10, v10, v11
	v_cndmask_b32_e32 v10, 0, v10, vcc_lo
	v_cmp_nlt_f32_e32 vcc_lo, 0x42b17218, v74
	s_delay_alu instid0(VALU_DEP_2) | instskip(NEXT) | instid1(VALU_DEP_1)
	v_cndmask_b32_e32 v12, 0x7f800000, v10, vcc_lo
	v_add_f32_e32 v13, 1.0, v12
	s_delay_alu instid0(VALU_DEP_1) | instskip(NEXT) | instid1(VALU_DEP_1)
	v_cvt_f64_f32_e32 v[10:11], v13
	v_frexp_exp_i32_f64_e32 v10, v[10:11]
	v_frexp_mant_f32_e32 v11, v13
	s_delay_alu instid0(VALU_DEP_1) | instskip(SKIP_1) | instid1(VALU_DEP_1)
	v_cmp_gt_f32_e32 vcc_lo, 0x3f2aaaab, v11
	v_add_f32_e32 v11, -1.0, v13
	v_sub_f32_e32 v15, v11, v13
	v_sub_f32_e32 v11, v12, v11
	s_delay_alu instid0(VALU_DEP_2) | instskip(NEXT) | instid1(VALU_DEP_1)
	v_add_f32_e32 v15, 1.0, v15
	v_add_f32_e32 v11, v11, v15
	v_cmp_gt_f32_e64 s20, 0x33800000, v12
	v_subrev_co_ci_u32_e32 v10, vcc_lo, 0, v10, vcc_lo
	v_cmp_eq_f32_e32 vcc_lo, 0x7f800000, v12
	s_delay_alu instid0(VALU_DEP_2) | instskip(SKIP_2) | instid1(VALU_DEP_2)
	v_sub_nc_u32_e32 v14, 0, v10
	v_cvt_f32_i32_e32 v10, v10
	s_or_b32 vcc_lo, s20, vcc_lo
	v_ldexp_f32 v13, v13, v14
	v_ldexp_f32 v11, v11, v14
	s_delay_alu instid0(VALU_DEP_2) | instskip(NEXT) | instid1(VALU_DEP_1)
	v_add_f32_e32 v16, 1.0, v13
	v_dual_add_f32 v14, -1.0, v13 :: v_dual_add_f32 v15, -1.0, v16
	s_delay_alu instid0(VALU_DEP_1) | instskip(NEXT) | instid1(VALU_DEP_2)
	v_add_f32_e32 v17, 1.0, v14
	v_sub_f32_e32 v15, v13, v15
	s_delay_alu instid0(VALU_DEP_2) | instskip(NEXT) | instid1(VALU_DEP_2)
	v_sub_f32_e32 v13, v13, v17
	v_add_f32_e32 v15, v11, v15
	s_delay_alu instid0(VALU_DEP_2) | instskip(NEXT) | instid1(VALU_DEP_1)
	v_add_f32_e32 v11, v11, v13
	v_add_f32_e32 v18, v14, v11
	s_delay_alu instid0(VALU_DEP_1) | instskip(NEXT) | instid1(VALU_DEP_1)
	v_dual_add_f32 v17, v16, v15 :: v_dual_sub_f32 v14, v14, v18
	v_rcp_f32_e32 v13, v17
	v_sub_f32_e32 v16, v16, v17
	s_delay_alu instid0(VALU_DEP_1) | instskip(SKIP_2) | instid1(VALU_DEP_1)
	v_add_f32_e32 v15, v15, v16
	s_waitcnt_depctr 0xfff
	v_mul_f32_e32 v19, v18, v13
	v_dual_mul_f32 v66, v17, v19 :: v_dual_add_f32 v11, v11, v14
	s_delay_alu instid0(VALU_DEP_1) | instskip(NEXT) | instid1(VALU_DEP_1)
	v_fma_f32 v16, v19, v17, -v66
	v_fmac_f32_e32 v16, v19, v15
	s_delay_alu instid0(VALU_DEP_1) | instskip(NEXT) | instid1(VALU_DEP_1)
	v_add_f32_e32 v67, v66, v16
	v_sub_f32_e32 v68, v18, v67
	v_sub_f32_e32 v14, v67, v66
	s_delay_alu instid0(VALU_DEP_2) | instskip(NEXT) | instid1(VALU_DEP_1)
	v_sub_f32_e32 v18, v18, v68
	v_sub_f32_e32 v18, v18, v67
	s_delay_alu instid0(VALU_DEP_1) | instskip(NEXT) | instid1(VALU_DEP_1)
	v_dual_sub_f32 v14, v14, v16 :: v_dual_add_f32 v11, v11, v18
	v_add_f32_e32 v11, v14, v11
	s_delay_alu instid0(VALU_DEP_1) | instskip(NEXT) | instid1(VALU_DEP_1)
	v_add_f32_e32 v14, v68, v11
	v_mul_f32_e32 v16, v13, v14
	s_delay_alu instid0(VALU_DEP_1) | instskip(NEXT) | instid1(VALU_DEP_1)
	v_dual_sub_f32 v67, v68, v14 :: v_dual_mul_f32 v18, v17, v16
	v_add_f32_e32 v11, v11, v67
	s_delay_alu instid0(VALU_DEP_2) | instskip(NEXT) | instid1(VALU_DEP_1)
	v_fma_f32 v17, v16, v17, -v18
	v_fmac_f32_e32 v17, v16, v15
	s_delay_alu instid0(VALU_DEP_1) | instskip(NEXT) | instid1(VALU_DEP_1)
	v_add_f32_e32 v15, v18, v17
	v_sub_f32_e32 v66, v14, v15
	s_delay_alu instid0(VALU_DEP_1) | instskip(NEXT) | instid1(VALU_DEP_1)
	v_sub_f32_e32 v14, v14, v66
	v_sub_f32_e32 v14, v14, v15
	s_delay_alu instid0(VALU_DEP_1) | instskip(SKIP_2) | instid1(VALU_DEP_1)
	v_add_f32_e32 v11, v11, v14
	v_add_f32_e32 v14, v19, v16
	v_sub_f32_e32 v18, v15, v18
	v_sub_f32_e32 v15, v18, v17
	s_delay_alu instid0(VALU_DEP_1) | instskip(NEXT) | instid1(VALU_DEP_4)
	v_add_f32_e32 v11, v15, v11
	v_sub_f32_e32 v15, v14, v19
	s_delay_alu instid0(VALU_DEP_2) | instskip(NEXT) | instid1(VALU_DEP_2)
	v_add_f32_e32 v11, v66, v11
	v_sub_f32_e32 v15, v16, v15
	s_delay_alu instid0(VALU_DEP_2) | instskip(NEXT) | instid1(VALU_DEP_1)
	v_mul_f32_e32 v11, v13, v11
	v_add_f32_e32 v11, v15, v11
	s_delay_alu instid0(VALU_DEP_1) | instskip(NEXT) | instid1(VALU_DEP_1)
	v_add_f32_e32 v13, v14, v11
	v_mul_f32_e32 v15, v13, v13
	s_delay_alu instid0(VALU_DEP_1) | instskip(SKIP_1) | instid1(VALU_DEP_2)
	v_fmaak_f32 v16, s31, v15, 0x3ecc95a3
	v_mul_f32_e32 v17, v13, v15
	v_fmaak_f32 v15, v15, v16, 0x3f2aaada
	v_ldexp_f32 v16, v13, 1
	v_sub_f32_e32 v13, v13, v14
	s_delay_alu instid0(VALU_DEP_3) | instskip(SKIP_1) | instid1(VALU_DEP_2)
	v_mul_f32_e32 v15, v17, v15
	v_mul_f32_e32 v17, 0x3f317218, v10
	v_dual_sub_f32 v11, v11, v13 :: v_dual_add_f32 v14, v16, v15
	s_delay_alu instid0(VALU_DEP_1) | instskip(NEXT) | instid1(VALU_DEP_2)
	v_ldexp_f32 v11, v11, 1
	v_sub_f32_e32 v13, v14, v16
	s_delay_alu instid0(VALU_DEP_4) | instskip(NEXT) | instid1(VALU_DEP_1)
	v_fma_f32 v16, 0x3f317218, v10, -v17
	v_dual_sub_f32 v13, v15, v13 :: v_dual_fmac_f32 v16, 0xb102e308, v10
	s_delay_alu instid0(VALU_DEP_1) | instskip(NEXT) | instid1(VALU_DEP_1)
	v_dual_add_f32 v10, v11, v13 :: v_dual_add_f32 v11, v17, v16
	v_add_f32_e32 v13, v14, v10
	s_delay_alu instid0(VALU_DEP_2) | instskip(NEXT) | instid1(VALU_DEP_2)
	v_sub_f32_e32 v17, v11, v17
	v_dual_add_f32 v15, v11, v13 :: v_dual_sub_f32 v14, v13, v14
	s_delay_alu instid0(VALU_DEP_2) | instskip(NEXT) | instid1(VALU_DEP_2)
	v_sub_f32_e32 v16, v16, v17
	v_sub_f32_e32 v18, v15, v11
	s_delay_alu instid0(VALU_DEP_3) | instskip(NEXT) | instid1(VALU_DEP_2)
	v_sub_f32_e32 v10, v10, v14
	v_sub_f32_e32 v19, v15, v18
	;; [unrolled: 1-line block ×3, first 2 shown]
	s_delay_alu instid0(VALU_DEP_2) | instskip(NEXT) | instid1(VALU_DEP_1)
	v_dual_add_f32 v14, v16, v10 :: v_dual_sub_f32 v11, v11, v19
	v_add_f32_e32 v11, v13, v11
	s_delay_alu instid0(VALU_DEP_2) | instskip(NEXT) | instid1(VALU_DEP_2)
	v_sub_f32_e32 v13, v14, v16
	v_add_f32_e32 v11, v14, v11
	s_delay_alu instid0(VALU_DEP_2) | instskip(NEXT) | instid1(VALU_DEP_2)
	v_sub_f32_e32 v14, v14, v13
	v_dual_sub_f32 v10, v10, v13 :: v_dual_add_f32 v17, v15, v11
	s_delay_alu instid0(VALU_DEP_1) | instskip(NEXT) | instid1(VALU_DEP_1)
	v_dual_sub_f32 v14, v16, v14 :: v_dual_sub_f32 v13, v17, v15
	v_dual_add_f32 v10, v10, v14 :: v_dual_sub_f32 v11, v11, v13
	s_delay_alu instid0(VALU_DEP_1) | instskip(NEXT) | instid1(VALU_DEP_1)
	v_add_f32_e32 v10, v10, v11
	v_add_f32_e32 v10, v17, v10
	s_delay_alu instid0(VALU_DEP_1)
	v_cndmask_b32_e32 v74, v10, v12, vcc_lo
.LBB142_58:                             ;   in Loop: Header=BB142_12 Depth=1
	s_or_b32 exec_lo, exec_lo, s21
	v_dual_mul_f32 v66, s61, v8 :: v_dual_mul_f32 v67, s61, v7
	v_dual_mul_f32 v68, s61, v6 :: v_dual_mul_f32 v69, s61, v5
	;; [unrolled: 1-line block ×4, first 2 shown]
	s_and_b32 vcc_lo, exec_lo, s74
	s_barrier
	buffer_gl0_inv
	s_cbranch_vccz .LBB142_122
; %bb.59:                               ;   in Loop: Header=BB142_12 Depth=1
	v_dual_mul_f32 v75, v9, v74 :: v_dual_mul_f32 v80, v8, v65
	v_add_co_u32 v9, s20, s41, v57
	s_delay_alu instid0(VALU_DEP_1) | instskip(SKIP_1) | instid1(VALU_DEP_1)
	v_add_co_ci_u32_e64 v10, null, s67, 0, s20
	v_add_co_u32 v11, s20, s53, v57
	v_add_co_ci_u32_e64 v12, null, s68, 0, s20
	s_delay_alu instid0(VALU_DEP_4) | instskip(NEXT) | instid1(VALU_DEP_4)
	v_add_co_u32 v76, vcc_lo, v9, v58
	v_add_co_ci_u32_e32 v77, vcc_lo, 0, v10, vcc_lo
	s_delay_alu instid0(VALU_DEP_4) | instskip(NEXT) | instid1(VALU_DEP_4)
	v_add_co_u32 v78, vcc_lo, v11, v58
	v_add_co_ci_u32_e32 v79, vcc_lo, 0, v12, vcc_lo
	v_cmp_gt_u32_e32 vcc_lo, s23, v20
	s_cmp_lg_u32 s78, 0
	v_cmp_gt_u32_e64 s21, s23, v50
	s_cselect_b32 s39, -1, 0
	s_cmp_eq_u32 s78, s76
	v_cmp_gt_u32_e64 s22, s23, v51
	s_cselect_b32 s79, -1, 0
	s_or_b32 s20, s75, vcc_lo
	v_cmp_gt_u32_e32 vcc_lo, s23, v52
	v_cmp_gt_u32_e64 s24, s23, v53
	v_cmp_gt_u32_e64 s25, s23, v54
	;; [unrolled: 1-line block ×4, first 2 shown]
	v_dual_mul_f32 v81, v7, v64 :: v_dual_mul_f32 v82, v6, v63
	v_dual_mul_f32 v83, v5, v62 :: v_dual_mul_f32 v84, v4, v61
	;; [unrolled: 1-line block ×3, first 2 shown]
	s_or_b32 s21, s75, s21
	s_or_b32 s22, s75, s22
	s_or_b32 s23, s75, vcc_lo
	s_or_b32 s24, s75, s24
	s_or_b32 s25, s75, s25
	;; [unrolled: 1-line block ×4, first 2 shown]
	s_mov_b32 s34, s44
	s_mov_b32 s42, 0
	;; [unrolled: 1-line block ×6, first 2 shown]
	s_branch .LBB142_61
.LBB142_60:                             ;   in Loop: Header=BB142_61 Depth=2
	s_or_b32 exec_lo, exec_lo, s28
	v_cndmask_b32_e64 v10, v100, v15, s11
	v_cndmask_b32_e64 v11, v99, v14, s11
	s_add_i32 s80, s80, -1
	s_add_i32 s81, s81, 8
	s_add_i32 s56, s56, s58
	v_fma_f32 v10, v10, v89, v18
	v_mul_f32_e32 v11, v11, v89
	s_add_i32 s54, s54, s52
	s_add_i32 s42, s42, s40
	;; [unrolled: 1-line block ×3, first 2 shown]
	v_cndmask_b32_e64 v10, v10, v18, s10
	v_cndmask_b32_e64 v11, v11, v89, s10
	s_cmp_eq_u32 s80, 0
	s_waitcnt lgkmcnt(0)
	s_delay_alu instid0(VALU_DEP_1) | instskip(NEXT) | instid1(VALU_DEP_1)
	v_fmac_f32_e32 v10, v12, v11
	v_fmac_f32_e32 v16, v10, v88
	s_delay_alu instid0(VALU_DEP_1) | instskip(NEXT) | instid1(VALU_DEP_1)
	v_dual_fmac_f32 v19, v16, v91 :: v_dual_fmac_f32 v72, v9, v16
	v_fmac_f32_e32 v17, v19, v92
	v_fmac_f32_e32 v73, v8, v10
	s_delay_alu instid0(VALU_DEP_2) | instskip(SKIP_1) | instid1(VALU_DEP_2)
	v_fmac_f32_e32 v87, v17, v94
	v_fmac_f32_e32 v69, v7, v17
	;; [unrolled: 1-line block ×5, first 2 shown]
	s_delay_alu instid0(VALU_DEP_3) | instskip(NEXT) | instid1(VALU_DEP_1)
	v_fmac_f32_e32 v93, v90, v96
	v_dual_fmac_f32 v67, v3, v90 :: v_dual_fmac_f32 v66, v4, v93
	v_fmac_f32_e32 v95, v93, v97
	s_delay_alu instid0(VALU_DEP_1)
	v_fmac_f32_e32 v71, v5, v95
	s_cbranch_scc1 .LBB142_122
.LBB142_61:                             ;   Parent Loop BB142_12 Depth=1
                                        ; =>  This Inner Loop Header: Depth=2
	s_lshl_b64 s[28:29], s[34:35], 2
	s_mov_b32 s43, s35
	s_add_u32 s28, s66, s28
	s_addc_u32 s29, s59, s29
	s_mov_b32 s45, s44
	global_load_b32 v87, v1, s[28:29]
	s_lshl_b64 s[28:29], s[42:43], 2
	s_mov_b32 s46, s44
	s_mov_b32 s47, s44
	;; [unrolled: 1-line block ×6, first 2 shown]
	v_add_co_u32 v10, vcc_lo, v76, s28
	v_dual_mov_b32 v2, s44 :: v_dual_mov_b32 v3, s45
	v_add_co_ci_u32_e32 v11, vcc_lo, s29, v77, vcc_lo
	v_dual_mov_b32 v4, s46 :: v_dual_mov_b32 v5, s47
	v_dual_mov_b32 v6, s48 :: v_dual_mov_b32 v7, s49
	;; [unrolled: 1-line block ×3, first 2 shown]
	v_mov_b32_e32 v12, 0
	s_and_saveexec_b32 s28, s12
	s_cbranch_execnz .LBB142_81
; %bb.62:                               ;   in Loop: Header=BB142_61 Depth=2
	s_or_b32 exec_lo, exec_lo, s28
	s_and_saveexec_b32 s28, s13
	s_cbranch_execnz .LBB142_82
.LBB142_63:                             ;   in Loop: Header=BB142_61 Depth=2
	s_or_b32 exec_lo, exec_lo, s28
	s_and_saveexec_b32 s28, s14
	s_cbranch_execnz .LBB142_83
.LBB142_64:                             ;   in Loop: Header=BB142_61 Depth=2
	s_or_b32 exec_lo, exec_lo, s28
	s_and_saveexec_b32 s28, s15
	s_cbranch_execnz .LBB142_84
.LBB142_65:                             ;   in Loop: Header=BB142_61 Depth=2
	s_or_b32 exec_lo, exec_lo, s28
	s_and_saveexec_b32 s28, s16
	s_cbranch_execnz .LBB142_85
.LBB142_66:                             ;   in Loop: Header=BB142_61 Depth=2
	s_or_b32 exec_lo, exec_lo, s28
	s_and_saveexec_b32 s28, s17
	s_cbranch_execnz .LBB142_86
.LBB142_67:                             ;   in Loop: Header=BB142_61 Depth=2
	s_or_b32 exec_lo, exec_lo, s28
	s_and_saveexec_b32 s28, s18
	s_cbranch_execnz .LBB142_87
.LBB142_68:                             ;   in Loop: Header=BB142_61 Depth=2
	s_or_b32 exec_lo, exec_lo, s28
	s_and_saveexec_b32 s28, s19
	s_cbranch_execz .LBB142_70
.LBB142_69:                             ;   in Loop: Header=BB142_61 Depth=2
	global_load_b32 v9, v[10:11], off offset:896
.LBB142_70:                             ;   in Loop: Header=BB142_61 Depth=2
	s_or_b32 exec_lo, exec_lo, s28
	s_waitcnt vmcnt(0)
	ds_store_b32 v29, v12
	ds_store_b32 v30, v3 offset:128
	ds_store_b32 v31, v4 offset:256
	ds_store_b32 v32, v5 offset:384
	ds_store_b32 v33, v6 offset:512
	ds_store_b32 v34, v7 offset:640
	ds_store_b32 v35, v8 offset:768
	ds_store_b32 v36, v9 offset:896
	; wave barrier
	ds_load_2addr_b32 v[18:19], v37 offset1:1
	ds_load_2addr_b32 v[16:17], v37 offset0:2 offset1:3
	ds_load_2addr_b32 v[14:15], v37 offset0:4 offset1:5
	;; [unrolled: 1-line block ×3, first 2 shown]
	s_mov_b32 s55, s35
	s_mov_b32 s84, s35
	s_lshl_b64 s[28:29], s[54:55], 2
	s_mov_b32 s85, s35
	s_mov_b32 s86, s35
	;; [unrolled: 1-line block ×7, first 2 shown]
	v_add_co_u32 v10, vcc_lo, v78, s28
	v_dual_mov_b32 v2, s84 :: v_dual_mov_b32 v3, s85
	v_add_co_ci_u32_e32 v11, vcc_lo, s29, v79, vcc_lo
	v_dual_mov_b32 v4, s86 :: v_dual_mov_b32 v5, s87
	v_dual_mov_b32 v6, s88 :: v_dual_mov_b32 v7, s89
	;; [unrolled: 1-line block ×3, first 2 shown]
	v_mov_b32_e32 v88, 0
	s_and_saveexec_b32 s28, s12
	s_cbranch_execnz .LBB142_88
; %bb.71:                               ;   in Loop: Header=BB142_61 Depth=2
	s_or_b32 exec_lo, exec_lo, s28
	s_and_saveexec_b32 s28, s13
	s_cbranch_execnz .LBB142_89
.LBB142_72:                             ;   in Loop: Header=BB142_61 Depth=2
	s_or_b32 exec_lo, exec_lo, s28
	s_and_saveexec_b32 s28, s14
	s_cbranch_execnz .LBB142_90
.LBB142_73:                             ;   in Loop: Header=BB142_61 Depth=2
	s_or_b32 exec_lo, exec_lo, s28
	s_and_saveexec_b32 s28, s15
	s_cbranch_execnz .LBB142_91
.LBB142_74:                             ;   in Loop: Header=BB142_61 Depth=2
	s_or_b32 exec_lo, exec_lo, s28
	s_and_saveexec_b32 s28, s16
	s_cbranch_execnz .LBB142_92
.LBB142_75:                             ;   in Loop: Header=BB142_61 Depth=2
	s_or_b32 exec_lo, exec_lo, s28
	s_and_saveexec_b32 s28, s17
	s_cbranch_execnz .LBB142_93
.LBB142_76:                             ;   in Loop: Header=BB142_61 Depth=2
	s_or_b32 exec_lo, exec_lo, s28
	s_and_saveexec_b32 s28, s18
	s_cbranch_execnz .LBB142_94
.LBB142_77:                             ;   in Loop: Header=BB142_61 Depth=2
	s_or_b32 exec_lo, exec_lo, s28
	s_and_saveexec_b32 s28, s19
	s_cbranch_execz .LBB142_79
.LBB142_78:                             ;   in Loop: Header=BB142_61 Depth=2
	global_load_b32 v9, v[10:11], off offset:896
.LBB142_79:                             ;   in Loop: Header=BB142_61 Depth=2
	s_or_b32 exec_lo, exec_lo, s28
	s_waitcnt vmcnt(0)
	ds_store_b32 v29, v88 offset:2112
	ds_store_b32 v38, v3 offset:128
	;; [unrolled: 1-line block ×8, first 2 shown]
	v_add_nc_u32_e32 v4, 0x840, v37
	; wave barrier
	ds_load_2addr_b32 v[6:7], v45 offset0:2 offset1:3
	ds_load_2addr_b32 v[2:3], v45 offset0:4 offset1:5
	ds_load_2addr_b32 v[8:9], v4 offset1:1
	ds_load_2addr_b32 v[4:5], v45 offset0:6 offset1:7
	s_and_not1_b32 vcc_lo, exec_lo, s39
	s_cbranch_vccnz .LBB142_95
; %bb.80:                               ;   in Loop: Header=BB142_61 Depth=2
	v_mov_b32_e32 v10, s81
	ds_load_b64 v[10:11], v10
	s_cbranch_execz .LBB142_96
	s_branch .LBB142_99
.LBB142_81:                             ;   in Loop: Header=BB142_61 Depth=2
	global_load_b32 v12, v[10:11], off
	v_mov_b32_e32 v7, v1
	v_mov_b32_e32 v2, v1
	;; [unrolled: 1-line block ×7, first 2 shown]
	s_delay_alu instid0(VALU_DEP_2)
	v_dual_mov_b32 v8, v6 :: v_dual_mov_b32 v7, v5
	v_mov_b32_e32 v6, v4
	v_mov_b32_e32 v5, v3
	;; [unrolled: 1-line block ×5, first 2 shown]
	s_or_b32 exec_lo, exec_lo, s28
	s_and_saveexec_b32 s28, s13
	s_cbranch_execz .LBB142_63
.LBB142_82:                             ;   in Loop: Header=BB142_61 Depth=2
	global_load_b32 v3, v[10:11], off offset:128
	s_or_b32 exec_lo, exec_lo, s28
	s_and_saveexec_b32 s28, s14
	s_cbranch_execz .LBB142_64
.LBB142_83:                             ;   in Loop: Header=BB142_61 Depth=2
	global_load_b32 v4, v[10:11], off offset:256
	s_or_b32 exec_lo, exec_lo, s28
	s_and_saveexec_b32 s28, s15
	s_cbranch_execz .LBB142_65
.LBB142_84:                             ;   in Loop: Header=BB142_61 Depth=2
	global_load_b32 v5, v[10:11], off offset:384
	s_or_b32 exec_lo, exec_lo, s28
	s_and_saveexec_b32 s28, s16
	s_cbranch_execz .LBB142_66
.LBB142_85:                             ;   in Loop: Header=BB142_61 Depth=2
	global_load_b32 v6, v[10:11], off offset:512
	s_or_b32 exec_lo, exec_lo, s28
	s_and_saveexec_b32 s28, s17
	s_cbranch_execz .LBB142_67
.LBB142_86:                             ;   in Loop: Header=BB142_61 Depth=2
	global_load_b32 v7, v[10:11], off offset:640
	s_or_b32 exec_lo, exec_lo, s28
	s_and_saveexec_b32 s28, s18
	s_cbranch_execz .LBB142_68
.LBB142_87:                             ;   in Loop: Header=BB142_61 Depth=2
	global_load_b32 v8, v[10:11], off offset:768
	s_or_b32 exec_lo, exec_lo, s28
	s_and_saveexec_b32 s28, s19
	s_cbranch_execnz .LBB142_69
	s_branch .LBB142_70
.LBB142_88:                             ;   in Loop: Header=BB142_61 Depth=2
	global_load_b32 v88, v[10:11], off
	v_mov_b32_e32 v7, v1
	v_mov_b32_e32 v2, v1
	;; [unrolled: 1-line block ×7, first 2 shown]
	s_delay_alu instid0(VALU_DEP_2)
	v_dual_mov_b32 v8, v6 :: v_dual_mov_b32 v7, v5
	v_mov_b32_e32 v6, v4
	v_mov_b32_e32 v5, v3
	;; [unrolled: 1-line block ×5, first 2 shown]
	s_or_b32 exec_lo, exec_lo, s28
	s_and_saveexec_b32 s28, s13
	s_cbranch_execz .LBB142_72
.LBB142_89:                             ;   in Loop: Header=BB142_61 Depth=2
	global_load_b32 v3, v[10:11], off offset:128
	s_or_b32 exec_lo, exec_lo, s28
	s_and_saveexec_b32 s28, s14
	s_cbranch_execz .LBB142_73
.LBB142_90:                             ;   in Loop: Header=BB142_61 Depth=2
	global_load_b32 v4, v[10:11], off offset:256
	s_or_b32 exec_lo, exec_lo, s28
	s_and_saveexec_b32 s28, s15
	s_cbranch_execz .LBB142_74
.LBB142_91:                             ;   in Loop: Header=BB142_61 Depth=2
	global_load_b32 v5, v[10:11], off offset:384
	s_or_b32 exec_lo, exec_lo, s28
	s_and_saveexec_b32 s28, s16
	s_cbranch_execz .LBB142_75
.LBB142_92:                             ;   in Loop: Header=BB142_61 Depth=2
	global_load_b32 v6, v[10:11], off offset:512
	s_or_b32 exec_lo, exec_lo, s28
	s_and_saveexec_b32 s28, s17
	s_cbranch_execz .LBB142_76
.LBB142_93:                             ;   in Loop: Header=BB142_61 Depth=2
	global_load_b32 v7, v[10:11], off offset:640
	s_or_b32 exec_lo, exec_lo, s28
	s_and_saveexec_b32 s28, s18
	s_cbranch_execz .LBB142_77
.LBB142_94:                             ;   in Loop: Header=BB142_61 Depth=2
	global_load_b32 v8, v[10:11], off offset:768
	s_or_b32 exec_lo, exec_lo, s28
	s_and_saveexec_b32 s28, s19
	s_cbranch_execnz .LBB142_78
	s_branch .LBB142_79
.LBB142_95:                             ;   in Loop: Header=BB142_61 Depth=2
                                        ; implicit-def: $vgpr10
.LBB142_96:                             ;   in Loop: Header=BB142_61 Depth=2
	s_waitcnt lgkmcnt(0)
	v_mov_b32_e32 v11, 0
	s_and_not1_b32 vcc_lo, exec_lo, s33
	s_cbranch_vccnz .LBB142_98
; %bb.97:                               ;   in Loop: Header=BB142_61 Depth=2
	s_mov_b32 s57, s35
	s_delay_alu instid0(SALU_CYCLE_1) | instskip(NEXT) | instid1(SALU_CYCLE_1)
	s_lshl_b64 s[28:29], s[56:57], 2
	s_add_u32 s28, s69, s28
	s_addc_u32 s29, s70, s29
	global_load_b32 v11, v1, s[28:29]
.LBB142_98:                             ;   in Loop: Header=BB142_61 Depth=2
	v_mov_b32_e32 v10, 1.0
.LBB142_99:                             ;   in Loop: Header=BB142_61 Depth=2
	s_waitcnt lgkmcnt(15)
	v_dual_mul_f32 v93, 0x3fb8aa3b, v87 :: v_dual_mul_f32 v18, v18, v86
	s_waitcnt lgkmcnt(14)
	v_dual_mul_f32 v19, v19, v85 :: v_dual_mul_f32 v90, v16, v84
	s_waitcnt lgkmcnt(13)
	s_delay_alu instid0(VALU_DEP_2)
	v_dual_mul_f32 v15, v15, v81 :: v_dual_mul_f32 v88, v93, v60
	v_mul_f32_e32 v87, v93, v59
	v_mul_f32_e32 v94, v93, v63
	;; [unrolled: 1-line block ×3, first 2 shown]
	v_cndmask_b32_e64 v18, 0, v18, s20
	v_cmp_gt_f32_e64 s28, 0xc2fc0000, v88
	v_cmp_gt_f32_e32 vcc_lo, 0xc2fc0000, v87
	v_cndmask_b32_e64 v16, 0, v19, s21
	v_mul_f32_e32 v14, v14, v82
	s_waitcnt lgkmcnt(12)
	v_mul_f32_e32 v12, v12, v80
	v_cndmask_b32_e64 v88, 0, 0x42800000, s28
	v_cndmask_b32_e64 v91, 1.0, 0x1f800000, vcc_lo
	v_cndmask_b32_e64 v92, 1.0, 0x1f800000, s28
	v_cndmask_b32_e64 v87, 0, 0x42800000, vcc_lo
	v_cmp_gt_f32_e32 vcc_lo, 0xc2fc0000, v94
	v_fmac_f32_e32 v88, v93, v60
	s_delay_alu instid0(VALU_DEP_1) | instskip(SKIP_2) | instid1(VALU_DEP_1)
	v_exp_f32_e32 v88, v88
	s_waitcnt_depctr 0xfff
	v_dual_mul_f32 v89, v93, v61 :: v_dual_mul_f32 v88, v88, v92
	v_cmp_gt_f32_e64 s29, 0xc2fc0000, v89
	s_delay_alu instid0(VALU_DEP_2) | instskip(NEXT) | instid1(VALU_DEP_2)
	v_cndmask_b32_e64 v88, 1.0, v88, s21
	v_cndmask_b32_e64 v89, 0, 0x42800000, s29
	v_cndmask_b32_e64 v92, 1.0, 0x1f800000, s29
	s_delay_alu instid0(VALU_DEP_3) | instskip(NEXT) | instid1(VALU_DEP_3)
	v_fma_f32 v97, v88, v18, v16
	v_fmac_f32_e32 v89, v93, v61
	s_delay_alu instid0(VALU_DEP_1) | instskip(SKIP_2) | instid1(VALU_DEP_1)
	v_exp_f32_e32 v95, v89
	s_waitcnt_depctr 0xfff
	v_dual_fmac_f32 v87, v93, v59 :: v_dual_mul_f32 v92, v95, v92
	v_exp_f32_e32 v87, v87
	s_waitcnt_depctr 0xfff
	v_mul_f32_e32 v87, v87, v91
	v_cndmask_b32_e64 v91, 0, 0x42800000, vcc_lo
	s_delay_alu instid0(VALU_DEP_2) | instskip(SKIP_1) | instid1(VALU_DEP_3)
	v_cndmask_b32_e64 v89, 1.0, v87, s20
	v_mul_f32_e32 v19, v93, v62
	v_fmac_f32_e32 v91, v93, v63
	v_mul_f32_e32 v87, v93, v64
	s_delay_alu instid0(VALU_DEP_3) | instskip(NEXT) | instid1(VALU_DEP_3)
	v_cmp_gt_f32_e64 s30, 0xc2fc0000, v19
	v_exp_f32_e32 v95, v91
	v_cndmask_b32_e64 v91, 1.0, v92, s22
	s_delay_alu instid0(VALU_DEP_3) | instskip(NEXT) | instid1(VALU_DEP_3)
	v_cmp_gt_f32_e64 s28, 0xc2fc0000, v87
	v_cndmask_b32_e64 v19, 0, 0x42800000, s30
	s_delay_alu instid0(VALU_DEP_2) | instskip(NEXT) | instid1(VALU_DEP_2)
	v_cndmask_b32_e64 v87, 0, 0x42800000, s28
	v_fmac_f32_e32 v19, v93, v62
	s_delay_alu instid0(VALU_DEP_1)
	v_exp_f32_e32 v94, v19
	v_cndmask_b32_e64 v19, 0, v90, s22
	v_cndmask_b32_e64 v90, 1.0, 0x1f800000, s30
	s_waitcnt_depctr 0xfff
	v_mul_f32_e32 v90, v94, v90
	v_cndmask_b32_e64 v94, 1.0, 0x1f800000, vcc_lo
	v_cmp_gt_f32_e32 vcc_lo, 0xc2fc0000, v96
	v_mul_f32_e32 v96, v93, v74
	s_delay_alu instid0(VALU_DEP_4) | instskip(NEXT) | instid1(VALU_DEP_4)
	v_cndmask_b32_e64 v92, 1.0, v90, s23
	v_mul_f32_e32 v94, v95, v94
	v_cndmask_b32_e64 v95, 0, 0x42800000, vcc_lo
	s_delay_alu instid0(VALU_DEP_2) | instskip(SKIP_1) | instid1(VALU_DEP_3)
	v_cndmask_b32_e64 v94, 1.0, v94, s24
	v_fmac_f32_e32 v87, v93, v64
	v_fmac_f32_e32 v95, v93, v65
	s_delay_alu instid0(VALU_DEP_2)
	v_exp_f32_e32 v90, v87
	v_cndmask_b32_e64 v87, 0, v14, s24
	v_cndmask_b32_e64 v14, 1.0, 0x1f800000, s28
	v_cmp_gt_f32_e64 s28, 0xc2fc0000, v96
	v_dual_mul_f32 v17, v17, v83 :: v_dual_mul_f32 v96, v88, v89
	v_exp_f32_e32 v95, v95
	s_waitcnt_depctr 0xfff
	v_mul_f32_e32 v14, v90, v14
	v_cndmask_b32_e64 v90, 0, v15, s25
	v_cndmask_b32_e64 v15, 0, 0x42800000, s28
	;; [unrolled: 1-line block ×3, first 2 shown]
	s_delay_alu instid0(VALU_DEP_4) | instskip(NEXT) | instid1(VALU_DEP_3)
	v_cndmask_b32_e64 v98, 1.0, v14, s25
	v_dual_mul_f32 v14, v96, v91 :: v_dual_fmac_f32 v15, v93, v74
	v_fma_f32 v93, v97, v91, v19
	v_cndmask_b32_e64 v96, 1.0, 0x1f800000, vcc_lo
	s_delay_alu instid0(VALU_DEP_3) | instskip(NEXT) | instid1(VALU_DEP_4)
	v_mul_f32_e32 v14, v14, v92
	v_exp_f32_e32 v15, v15
	s_delay_alu instid0(VALU_DEP_3) | instskip(SKIP_3) | instid1(VALU_DEP_4)
	v_fma_f32 v97, v93, v92, v17
	v_cndmask_b32_e64 v93, 0, v12, s26
	v_cndmask_b32_e64 v12, 1.0, 0x1f800000, s28
	v_dual_mul_f32 v14, v14, v94 :: v_dual_mul_f32 v95, v95, v96
	v_fma_f32 v97, v97, v94, v87
	s_delay_alu instid0(VALU_DEP_2)
	v_dual_mul_f32 v13, v13, v75 :: v_dual_mul_f32 v14, v14, v98
	s_delay_alu instid0(TRANS32_DEP_1) | instid1(VALU_DEP_4)
	v_mul_f32_e32 v12, v15, v12
	s_delay_alu instid0(VALU_DEP_4) | instskip(NEXT) | instid1(VALU_DEP_4)
	v_cndmask_b32_e64 v96, 1.0, v95, s26
	v_fma_f32 v15, v97, v98, v90
	s_delay_alu instid0(VALU_DEP_4) | instskip(NEXT) | instid1(VALU_DEP_4)
	v_cndmask_b32_e64 v95, 0, v13, s27
	v_cndmask_b32_e64 v97, 1.0, v12, s27
	s_delay_alu instid0(VALU_DEP_4) | instskip(NEXT) | instid1(VALU_DEP_4)
	v_mul_f32_e32 v12, v14, v96
	v_fma_f32 v13, v15, v96, v93
	s_delay_alu instid0(VALU_DEP_2) | instskip(NEXT) | instid1(VALU_DEP_2)
	v_mul_f32_e32 v12, v12, v97
	v_fma_f32 v13, v13, v97, v95
	s_delay_alu instid0(VALU_DEP_2) | instskip(NEXT) | instid1(VALU_DEP_2)
	v_mov_b32_dpp v15, v12 row_shr:1 row_mask:0xf bank_mask:0xf
	v_mov_b32_dpp v14, v13 row_shr:1 row_mask:0xf bank_mask:0xf
	s_and_saveexec_b32 s28, s0
; %bb.100:                              ;   in Loop: Header=BB142_61 Depth=2
	s_delay_alu instid0(VALU_DEP_2) | instskip(NEXT) | instid1(VALU_DEP_1)
	v_mul_f32_e32 v15, v12, v15
	v_dual_fmac_f32 v13, v12, v14 :: v_dual_mov_b32 v12, v15
; %bb.101:                              ;   in Loop: Header=BB142_61 Depth=2
	s_or_b32 exec_lo, exec_lo, s28
	s_delay_alu instid0(VALU_DEP_1) | instskip(NEXT) | instid1(VALU_DEP_2)
	v_mov_b32_dpp v14, v12 row_shr:2 row_mask:0xf bank_mask:0xf
	v_mov_b32_dpp v15, v13 row_shr:2 row_mask:0xf bank_mask:0xf
	s_and_saveexec_b32 s28, s1
; %bb.102:                              ;   in Loop: Header=BB142_61 Depth=2
	s_delay_alu instid0(VALU_DEP_1) | instskip(NEXT) | instid1(VALU_DEP_3)
	v_fmac_f32_e32 v13, v12, v15
	v_mul_f32_e32 v12, v12, v14
; %bb.103:                              ;   in Loop: Header=BB142_61 Depth=2
	s_or_b32 exec_lo, exec_lo, s28
	s_delay_alu instid0(VALU_DEP_1) | instskip(NEXT) | instid1(VALU_DEP_3)
	v_mov_b32_dpp v14, v12 row_shr:4 row_mask:0xf bank_mask:0xf
	v_mov_b32_dpp v15, v13 row_shr:4 row_mask:0xf bank_mask:0xf
	s_and_saveexec_b32 s28, s2
; %bb.104:                              ;   in Loop: Header=BB142_61 Depth=2
	s_delay_alu instid0(VALU_DEP_1) | instskip(NEXT) | instid1(VALU_DEP_3)
	v_fmac_f32_e32 v13, v12, v15
	v_mul_f32_e32 v12, v12, v14
; %bb.105:                              ;   in Loop: Header=BB142_61 Depth=2
	s_or_b32 exec_lo, exec_lo, s28
	s_delay_alu instid0(VALU_DEP_1) | instskip(NEXT) | instid1(VALU_DEP_3)
	v_mov_b32_dpp v14, v12 row_shr:8 row_mask:0xf bank_mask:0xf
	v_mov_b32_dpp v15, v13 row_shr:8 row_mask:0xf bank_mask:0xf
	s_and_saveexec_b32 s28, s3
; %bb.106:                              ;   in Loop: Header=BB142_61 Depth=2
	s_delay_alu instid0(VALU_DEP_1) | instskip(NEXT) | instid1(VALU_DEP_3)
	v_fmac_f32_e32 v13, v12, v15
	v_mul_f32_e32 v12, v12, v14
; %bb.107:                              ;   in Loop: Header=BB142_61 Depth=2
	s_or_b32 exec_lo, exec_lo, s28
	ds_swizzle_b32 v15, v12 offset:swizzle(BROADCAST,32,15)
	ds_swizzle_b32 v14, v13 offset:swizzle(BROADCAST,32,15)
	s_and_saveexec_b32 s28, s4
	s_cbranch_execz .LBB142_109
; %bb.108:                              ;   in Loop: Header=BB142_61 Depth=2
	s_waitcnt lgkmcnt(1)
	v_mul_f32_e32 v15, v12, v15
	s_waitcnt lgkmcnt(0)
	s_delay_alu instid0(VALU_DEP_1)
	v_dual_fmac_f32 v13, v12, v14 :: v_dual_mov_b32 v12, v15
.LBB142_109:                            ;   in Loop: Header=BB142_61 Depth=2
	s_or_b32 exec_lo, exec_lo, s28
	s_and_saveexec_b32 s28, s5
	s_cbranch_execz .LBB142_111
; %bb.110:                              ;   in Loop: Header=BB142_61 Depth=2
	ds_store_b64 v46, v[12:13] offset:4224
.LBB142_111:                            ;   in Loop: Header=BB142_61 Depth=2
	s_or_b32 exec_lo, exec_lo, s28
	s_waitcnt vmcnt(0) lgkmcnt(0)
	s_waitcnt_vscnt null, 0x0
	s_barrier
	buffer_gl0_inv
	s_and_saveexec_b32 s28, s6
	s_cbranch_execz .LBB142_113
; %bb.112:                              ;   in Loop: Header=BB142_61 Depth=2
	ds_load_b64 v[14:15], v47 offset:4224
	s_waitcnt lgkmcnt(0)
	v_mov_b32_dpp v99, v14 row_shr:1 row_mask:0xf bank_mask:0xf
	v_mov_b32_dpp v100, v15 row_shr:1 row_mask:0xf bank_mask:0xf
	s_delay_alu instid0(VALU_DEP_2) | instskip(NEXT) | instid1(VALU_DEP_2)
	v_mul_f32_e32 v99, v14, v99
	v_fma_f32 v100, v14, v100, v15
	s_delay_alu instid0(VALU_DEP_2) | instskip(NEXT) | instid1(VALU_DEP_2)
	v_cndmask_b32_e64 v14, v99, v14, s7
	v_cndmask_b32_e64 v15, v100, v15, s7
	ds_store_b64 v47, v[14:15] offset:4224
.LBB142_113:                            ;   in Loop: Header=BB142_61 Depth=2
	s_or_b32 exec_lo, exec_lo, s28
	s_waitcnt lgkmcnt(0)
	s_barrier
	buffer_gl0_inv
                                        ; implicit-def: $vgpr15
	s_and_saveexec_b32 s28, s9
	s_cbranch_execz .LBB142_115
; %bb.114:                              ;   in Loop: Header=BB142_61 Depth=2
	ds_load_b64 v[14:15], v46 offset:4216
	s_waitcnt lgkmcnt(0)
	v_mul_f32_e32 v99, v12, v14
	s_delay_alu instid0(VALU_DEP_1)
	v_dual_fmac_f32 v13, v12, v15 :: v_dual_mov_b32 v12, v99
.LBB142_115:                            ;   in Loop: Header=BB142_61 Depth=2
	s_or_b32 exec_lo, exec_lo, s28
	ds_bpermute_b32 v99, v48, v12
	ds_bpermute_b32 v100, v48, v13
	s_and_saveexec_b32 s28, s8
	s_cbranch_execz .LBB142_119
; %bb.116:                              ;   in Loop: Header=BB142_61 Depth=2
	ds_load_b64 v[12:13], v1 offset:4232
	s_and_saveexec_b32 s29, s10
	s_cbranch_execz .LBB142_118
; %bb.117:                              ;   in Loop: Header=BB142_61 Depth=2
	ds_store_b64 v1, v[10:11] offset:4232
.LBB142_118:                            ;   in Loop: Header=BB142_61 Depth=2
	s_or_b32 exec_lo, exec_lo, s29
	s_waitcnt lgkmcnt(0)
	v_fmac_f32_e32 v13, v11, v12
	s_delay_alu instid0(VALU_DEP_1)
	v_dual_mul_f32 v10, v10, v12 :: v_dual_mov_b32 v11, v13
.LBB142_119:                            ;   in Loop: Header=BB142_61 Depth=2
	s_or_b32 exec_lo, exec_lo, s28
	s_waitcnt lgkmcnt(0)
	s_barrier
	buffer_gl0_inv
	ds_load_b32 v12, v1 offset:4236
	s_and_saveexec_b32 s28, s10
	s_cbranch_execz .LBB142_60
; %bb.120:                              ;   in Loop: Header=BB142_61 Depth=2
	v_mov_b32_e32 v13, s81
	s_and_not1_b32 vcc_lo, exec_lo, s79
	ds_store_b64 v13, v[10:11]
	s_cbranch_vccnz .LBB142_60
; %bb.121:                              ;   in Loop: Header=BB142_61 Depth=2
	s_mov_b32 s57, s35
	s_delay_alu instid0(SALU_CYCLE_1) | instskip(NEXT) | instid1(SALU_CYCLE_1)
	s_lshl_b64 s[46:47], s[56:57], 2
	s_add_u32 s46, s69, s46
	s_addc_u32 s47, s70, s47
	global_store_b32 v1, v11, s[46:47]
	s_branch .LBB142_60
.LBB142_122:                            ;   in Loop: Header=BB142_12 Depth=1
	s_waitcnt_vscnt null, 0x0
	s_barrier
	buffer_gl0_inv
	ds_store_2addr_b32 v37, v73, v72 offset1:1
	ds_store_2addr_b32 v37, v70, v69 offset0:2 offset1:3
	ds_store_2addr_b32 v37, v68, v67 offset0:4 offset1:5
	;; [unrolled: 1-line block ×3, first 2 shown]
	; wave barrier
	ds_load_b32 v10, v30 offset:128
	ds_load_b32 v9, v31 offset:256
	;; [unrolled: 1-line block ×7, first 2 shown]
	s_mov_b32 s39, s35
	s_delay_alu instid0(SALU_CYCLE_1) | instskip(NEXT) | instid1(SALU_CYCLE_1)
	s_lshl_b64 s[20:21], s[38:39], 2
	v_add_co_u32 v2, vcc_lo, v0, s20
	v_add_co_ci_u32_e32 v3, vcc_lo, s21, v49, vcc_lo
	s_and_saveexec_b32 s20, s12
	s_cbranch_execnz .LBB142_132
; %bb.123:                              ;   in Loop: Header=BB142_12 Depth=1
	s_or_b32 exec_lo, exec_lo, s20
	s_and_saveexec_b32 s12, s13
	s_cbranch_execnz .LBB142_133
.LBB142_124:                            ;   in Loop: Header=BB142_12 Depth=1
	s_or_b32 exec_lo, exec_lo, s12
	s_and_saveexec_b32 s12, s14
	s_cbranch_execnz .LBB142_134
.LBB142_125:                            ;   in Loop: Header=BB142_12 Depth=1
	s_or_b32 exec_lo, exec_lo, s12
	s_and_saveexec_b32 s12, s15
	s_cbranch_execnz .LBB142_135
.LBB142_126:                            ;   in Loop: Header=BB142_12 Depth=1
	s_or_b32 exec_lo, exec_lo, s12
	s_and_saveexec_b32 s12, s16
	s_cbranch_execnz .LBB142_136
.LBB142_127:                            ;   in Loop: Header=BB142_12 Depth=1
	s_or_b32 exec_lo, exec_lo, s12
	s_and_saveexec_b32 s12, s17
	s_cbranch_execnz .LBB142_137
.LBB142_128:                            ;   in Loop: Header=BB142_12 Depth=1
	s_or_b32 exec_lo, exec_lo, s12
	s_and_saveexec_b32 s12, s18
	s_cbranch_execnz .LBB142_138
.LBB142_129:                            ;   in Loop: Header=BB142_12 Depth=1
	s_or_b32 exec_lo, exec_lo, s12
	s_and_saveexec_b32 s12, s19
	s_cbranch_execz .LBB142_11
	s_branch .LBB142_139
.LBB142_130:                            ;   in Loop: Header=BB142_12 Depth=1
	global_load_b32 v18, v[10:11], off offset:640
	s_or_b32 exec_lo, exec_lo, s20
	s_and_saveexec_b32 s20, s18
	s_cbranch_execz .LBB142_40
.LBB142_131:                            ;   in Loop: Header=BB142_12 Depth=1
	global_load_b32 v17, v[10:11], off offset:768
	s_or_b32 exec_lo, exec_lo, s20
	v_mov_b32_e32 v19, 0
	s_and_saveexec_b32 s20, s19
	s_cbranch_execnz .LBB142_41
	s_branch .LBB142_42
.LBB142_132:                            ;   in Loop: Header=BB142_12 Depth=1
	ds_load_b32 v11, v29
	s_waitcnt lgkmcnt(0)
	global_store_b32 v[2:3], v11, off
	s_or_b32 exec_lo, exec_lo, s20
	s_and_saveexec_b32 s12, s13
	s_cbranch_execz .LBB142_124
.LBB142_133:                            ;   in Loop: Header=BB142_12 Depth=1
	s_waitcnt lgkmcnt(6)
	global_store_b32 v[2:3], v10, off offset:128
	s_or_b32 exec_lo, exec_lo, s12
	s_and_saveexec_b32 s12, s14
	s_cbranch_execz .LBB142_125
.LBB142_134:                            ;   in Loop: Header=BB142_12 Depth=1
	s_waitcnt lgkmcnt(5)
	global_store_b32 v[2:3], v9, off offset:256
	s_or_b32 exec_lo, exec_lo, s12
	s_and_saveexec_b32 s12, s15
	s_cbranch_execz .LBB142_126
.LBB142_135:                            ;   in Loop: Header=BB142_12 Depth=1
	s_waitcnt lgkmcnt(4)
	global_store_b32 v[2:3], v8, off offset:384
	s_or_b32 exec_lo, exec_lo, s12
	s_and_saveexec_b32 s12, s16
	s_cbranch_execz .LBB142_127
.LBB142_136:                            ;   in Loop: Header=BB142_12 Depth=1
	s_waitcnt lgkmcnt(3)
	global_store_b32 v[2:3], v7, off offset:512
	s_or_b32 exec_lo, exec_lo, s12
	s_and_saveexec_b32 s12, s17
	s_cbranch_execz .LBB142_128
.LBB142_137:                            ;   in Loop: Header=BB142_12 Depth=1
	s_waitcnt lgkmcnt(2)
	global_store_b32 v[2:3], v6, off offset:640
	s_or_b32 exec_lo, exec_lo, s12
	s_and_saveexec_b32 s12, s18
	s_cbranch_execz .LBB142_129
.LBB142_138:                            ;   in Loop: Header=BB142_12 Depth=1
	s_waitcnt lgkmcnt(1)
	global_store_b32 v[2:3], v5, off offset:768
	s_or_b32 exec_lo, exec_lo, s12
	s_and_saveexec_b32 s12, s19
	s_cbranch_execz .LBB142_11
.LBB142_139:                            ;   in Loop: Header=BB142_12 Depth=1
	s_waitcnt lgkmcnt(0)
	global_store_b32 v[2:3], v4, off offset:896
	s_branch .LBB142_11
.LBB142_140:
	s_nop 0
	s_sendmsg sendmsg(MSG_DEALLOC_VGPRS)
	s_endpgm
	.section	.rodata,"a",@progbits
	.p2align	6, 0x0
	.amdhsa_kernel _Z25selective_scan_fwd_kernelI32Selective_Scan_fwd_kernel_traitsILi64ELi8ELi1ELb0ELb1ELb1ELb0ELb1EfffEEv13SSMParamsBase
		.amdhsa_group_segment_fixed_size 0
		.amdhsa_private_segment_fixed_size 0
		.amdhsa_kernarg_size 248
		.amdhsa_user_sgpr_count 14
		.amdhsa_user_sgpr_dispatch_ptr 0
		.amdhsa_user_sgpr_queue_ptr 0
		.amdhsa_user_sgpr_kernarg_segment_ptr 1
		.amdhsa_user_sgpr_dispatch_id 0
		.amdhsa_user_sgpr_private_segment_size 0
		.amdhsa_wavefront_size32 1
		.amdhsa_uses_dynamic_stack 0
		.amdhsa_enable_private_segment 0
		.amdhsa_system_sgpr_workgroup_id_x 1
		.amdhsa_system_sgpr_workgroup_id_y 1
		.amdhsa_system_sgpr_workgroup_id_z 0
		.amdhsa_system_sgpr_workgroup_info 0
		.amdhsa_system_vgpr_workitem_id 0
		.amdhsa_next_free_vgpr 101
		.amdhsa_next_free_sgpr 92
		.amdhsa_reserve_vcc 1
		.amdhsa_float_round_mode_32 0
		.amdhsa_float_round_mode_16_64 0
		.amdhsa_float_denorm_mode_32 3
		.amdhsa_float_denorm_mode_16_64 3
		.amdhsa_dx10_clamp 1
		.amdhsa_ieee_mode 1
		.amdhsa_fp16_overflow 0
		.amdhsa_workgroup_processor_mode 1
		.amdhsa_memory_ordered 1
		.amdhsa_forward_progress 0
		.amdhsa_shared_vgpr_count 0
		.amdhsa_exception_fp_ieee_invalid_op 0
		.amdhsa_exception_fp_denorm_src 0
		.amdhsa_exception_fp_ieee_div_zero 0
		.amdhsa_exception_fp_ieee_overflow 0
		.amdhsa_exception_fp_ieee_underflow 0
		.amdhsa_exception_fp_ieee_inexact 0
		.amdhsa_exception_int_div_zero 0
	.end_amdhsa_kernel
	.section	.text._Z25selective_scan_fwd_kernelI32Selective_Scan_fwd_kernel_traitsILi64ELi8ELi1ELb0ELb1ELb1ELb0ELb1EfffEEv13SSMParamsBase,"axG",@progbits,_Z25selective_scan_fwd_kernelI32Selective_Scan_fwd_kernel_traitsILi64ELi8ELi1ELb0ELb1ELb1ELb0ELb1EfffEEv13SSMParamsBase,comdat
.Lfunc_end142:
	.size	_Z25selective_scan_fwd_kernelI32Selective_Scan_fwd_kernel_traitsILi64ELi8ELi1ELb0ELb1ELb1ELb0ELb1EfffEEv13SSMParamsBase, .Lfunc_end142-_Z25selective_scan_fwd_kernelI32Selective_Scan_fwd_kernel_traitsILi64ELi8ELi1ELb0ELb1ELb1ELb0ELb1EfffEEv13SSMParamsBase
                                        ; -- End function
	.section	.AMDGPU.csdata,"",@progbits
; Kernel info:
; codeLenInByte = 11764
; NumSgprs: 94
; NumVgprs: 101
; ScratchSize: 0
; MemoryBound: 0
; FloatMode: 240
; IeeeMode: 1
; LDSByteSize: 0 bytes/workgroup (compile time only)
; SGPRBlocks: 11
; VGPRBlocks: 12
; NumSGPRsForWavesPerEU: 94
; NumVGPRsForWavesPerEU: 101
; Occupancy: 12
; WaveLimiterHint : 1
; COMPUTE_PGM_RSRC2:SCRATCH_EN: 0
; COMPUTE_PGM_RSRC2:USER_SGPR: 14
; COMPUTE_PGM_RSRC2:TRAP_HANDLER: 0
; COMPUTE_PGM_RSRC2:TGID_X_EN: 1
; COMPUTE_PGM_RSRC2:TGID_Y_EN: 1
; COMPUTE_PGM_RSRC2:TGID_Z_EN: 0
; COMPUTE_PGM_RSRC2:TIDIG_COMP_CNT: 0
	.section	.text._Z25selective_scan_fwd_kernelI32Selective_Scan_fwd_kernel_traitsILi64ELi8ELi1ELb0ELb1ELb1ELb0ELb0EfffEEv13SSMParamsBase,"axG",@progbits,_Z25selective_scan_fwd_kernelI32Selective_Scan_fwd_kernel_traitsILi64ELi8ELi1ELb0ELb1ELb1ELb0ELb0EfffEEv13SSMParamsBase,comdat
	.protected	_Z25selective_scan_fwd_kernelI32Selective_Scan_fwd_kernel_traitsILi64ELi8ELi1ELb0ELb1ELb1ELb0ELb0EfffEEv13SSMParamsBase ; -- Begin function _Z25selective_scan_fwd_kernelI32Selective_Scan_fwd_kernel_traitsILi64ELi8ELi1ELb0ELb1ELb1ELb0ELb0EfffEEv13SSMParamsBase
	.globl	_Z25selective_scan_fwd_kernelI32Selective_Scan_fwd_kernel_traitsILi64ELi8ELi1ELb0ELb1ELb1ELb0ELb0EfffEEv13SSMParamsBase
	.p2align	8
	.type	_Z25selective_scan_fwd_kernelI32Selective_Scan_fwd_kernel_traitsILi64ELi8ELi1ELb0ELb1ELb1ELb0ELb0EfffEEv13SSMParamsBase,@function
_Z25selective_scan_fwd_kernelI32Selective_Scan_fwd_kernel_traitsILi64ELi8ELi1ELb0ELb1ELb1ELb0ELb0EfffEEv13SSMParamsBase: ; @_Z25selective_scan_fwd_kernelI32Selective_Scan_fwd_kernel_traitsILi64ELi8ELi1ELb0ELb1ELb1ELb0ELb0EfffEEv13SSMParamsBase
; %bb.0:
	s_clause 0x1
	s_load_b32 s9, s[0:1], 0x18
	s_load_b128 s[4:7], s[0:1], 0xe8
	s_mov_b32 s12, s15
	s_mov_b32 s33, 0
	s_waitcnt lgkmcnt(0)
	s_abs_i32 s8, s9
	s_cmp_eq_u64 s[6:7], 0
	v_cvt_f32_u32_e32 v1, s8
	s_delay_alu instid0(VALU_DEP_1) | instskip(SKIP_2) | instid1(VALU_DEP_1)
	v_rcp_iflag_f32_e32 v1, v1
	s_waitcnt_depctr 0xfff
	v_mul_f32_e32 v1, 0x4f7ffffe, v1
	v_cvt_u32_f32_e32 v1, v1
	s_delay_alu instid0(VALU_DEP_1)
	v_readfirstlane_b32 s10, v1
	s_cbranch_scc1 .LBB143_2
; %bb.1:
	v_mov_b32_e32 v1, 0
	s_ashr_i32 s3, s14, 31
	s_add_u32 s2, s6, s14
	s_addc_u32 s3, s7, s3
	global_load_u8 v1, v1, s[2:3]
	s_waitcnt vmcnt(0)
	v_and_b32_e32 v1, 1, v1
	s_delay_alu instid0(VALU_DEP_1)
	v_cmp_eq_u32_e64 s33, 1, v1
.LBB143_2:
	s_load_b64 s[6:7], s[0:1], 0x20
	s_cmp_eq_u64 s[4:5], 0
	s_cbranch_scc1 .LBB143_4
; %bb.3:
	s_ashr_i32 s15, s14, 31
	s_delay_alu instid0(SALU_CYCLE_1) | instskip(NEXT) | instid1(SALU_CYCLE_1)
	s_lshl_b64 s[2:3], s[14:15], 2
	s_add_u32 s2, s4, s2
	s_addc_u32 s3, s5, s3
	s_load_b32 s2, s[2:3], 0x0
	s_waitcnt lgkmcnt(0)
	s_ashr_i32 s3, s2, 31
	s_delay_alu instid0(SALU_CYCLE_1)
	s_cmp_eq_u64 s[6:7], s[2:3]
	s_cbranch_scc0 .LBB143_5
	s_branch .LBB143_140
.LBB143_4:
	s_mov_b32 s2, s14
	s_delay_alu instid0(SALU_CYCLE_1)
	s_ashr_i32 s3, s2, 31
	s_waitcnt lgkmcnt(0)
	s_cmp_eq_u64 s[6:7], s[2:3]
	s_cbranch_scc1 .LBB143_140
.LBB143_5:
	s_clause 0x1
	s_load_b512 s[16:31], s[0:1], 0x88
	s_load_b64 s[34:35], s[0:1], 0x8
	s_mov_b32 s62, 0
	s_mov_b32 s63, 0
	s_waitcnt lgkmcnt(0)
	s_cmp_eq_u64 s[22:23], 0
	s_cbranch_scc1 .LBB143_7
; %bb.6:
	s_ashr_i32 s13, s12, 31
	s_delay_alu instid0(SALU_CYCLE_1) | instskip(NEXT) | instid1(SALU_CYCLE_1)
	s_lshl_b64 s[4:5], s[12:13], 2
	s_add_u32 s4, s22, s4
	s_addc_u32 s5, s23, s5
	s_load_b32 s63, s[4:5], 0x0
.LBB143_7:
	s_cmp_eq_u64 s[28:29], 0
	s_cbranch_scc1 .LBB143_9
; %bb.8:
	s_ashr_i32 s13, s12, 31
	s_delay_alu instid0(SALU_CYCLE_1) | instskip(NEXT) | instid1(SALU_CYCLE_1)
	s_lshl_b64 s[4:5], s[12:13], 2
	s_add_u32 s4, s28, s4
	s_addc_u32 s5, s29, s5
	s_load_b32 s62, s[4:5], 0x0
.LBB143_9:
	s_cmp_lt_i32 s34, 1
	s_cbranch_scc1 .LBB143_140
; %bb.10:
	s_sub_i32 s3, 0, s8
	s_clause 0x1
	s_load_b64 s[4:5], s[0:1], 0x5c
	s_load_b128 s[52:55], s[0:1], 0x4c
	s_mul_i32 s3, s3, s10
	s_abs_i32 s6, s12
	s_mul_hi_u32 s3, s10, s3
	s_ashr_i32 s9, s9, 31
	s_add_i32 s10, s10, s3
	s_ashr_i32 s3, s12, 31
	s_mul_hi_u32 s7, s6, s10
	s_xor_b32 s3, s3, s9
	s_mul_i32 s10, s7, s8
	s_add_i32 s9, s7, 1
	s_sub_i32 s6, s6, s10
	s_load_b256 s[36:43], s[0:1], 0x2c
	s_sub_i32 s10, s6, s8
	s_cmp_ge_u32 s6, s8
	s_mov_b32 s61, 0
	s_cselect_b32 s7, s9, s7
	s_cselect_b32 s6, s10, s6
	s_add_i32 s9, s7, 1
	s_cmp_ge_u32 s6, s8
	s_waitcnt lgkmcnt(0)
	s_mul_i32 s60, s54, s14
	s_cselect_b32 s6, s9, s7
	s_clause 0x1
	s_load_b128 s[56:59], s[0:1], 0x7c
	s_load_b64 s[10:11], s[0:1], 0x6c
	s_xor_b32 s8, s6, s3
	s_lshl_b64 s[6:7], s[60:61], 2
	s_sub_i32 s3, s8, s3
	s_mul_i32 s60, s55, s12
	s_add_u32 s8, s24, s6
	s_addc_u32 s9, s25, s7
	s_lshl_b64 s[6:7], s[60:61], 2
	s_mul_i32 s60, s4, s14
	s_add_u32 s64, s8, s6
	s_addc_u32 s65, s9, s7
	s_lshl_b64 s[6:7], s[60:61], 2
	;; [unrolled: 4-line block ×3, first 2 shown]
	s_mul_i32 s60, s36, s12
	s_add_u32 s66, s6, s4
	s_addc_u32 s36, s7, s5
	s_load_b64 s[6:7], s[0:1], 0xc8
	s_lshl_b64 s[4:5], s[60:61], 2
	v_dual_mov_b32 v1, 0 :: v_dual_lshlrev_b32 v20, 3, v0
	s_mul_i32 s60, s38, s14
	s_add_u32 s67, s16, s4
	s_waitcnt lgkmcnt(0)
	s_addc_u32 s59, s17, s5
	s_lshl_b64 s[4:5], s[60:61], 2
	s_mul_i32 s60, s3, s41
	s_load_b32 s0, s[0:1], 0x28
	s_add_u32 s8, s18, s4
	v_mbcnt_lo_u32_b32 v2, -1, 0
	v_and_b32_e32 v3, 0x100, v20
	s_addc_u32 s9, s19, s5
	s_lshl_b64 s[4:5], s[60:61], 2
	s_mul_i32 s60, s42, s14
	s_add_u32 s41, s8, s4
	s_addc_u32 s68, s9, s5
	s_lshl_b64 s[4:5], s[60:61], 2
	s_mul_i32 s60, s3, s53
	v_or_b32_e32 v21, v2, v3
	v_lshrrev_b32_e32 v4, 5, v3
	s_add_u32 s8, s20, s4
	s_addc_u32 s3, s21, s5
	s_lshl_b64 s[4:5], s[60:61], 2
	s_mul_i32 s60, s2, s56
	s_add_u32 s53, s8, s4
	s_addc_u32 s69, s3, s5
	s_lshl_b64 s[2:3], s[60:61], 2
	v_or_b32_e32 v25, 0x80, v21
	v_add_nc_u32_e32 v4, v4, v21
	v_and_b32_e32 v8, 32, v0
	s_mul_i32 s60, s57, s12
	s_add_u32 s4, s6, s2
	s_addc_u32 s5, s7, s3
	s_lshl_b64 s[2:3], s[60:61], 2
	v_or_b32_e32 v22, 32, v21
	s_add_u32 s70, s4, s2
	v_or_b32_e32 v23, 64, v21
	v_or_b32_e32 v24, 0x60, v21
	;; [unrolled: 1-line block ×5, first 2 shown]
	v_lshl_add_u32 v29, v4, 2, 0
	v_lshrrev_b32_e32 v4, 5, v25
	v_or_b32_e32 v11, v2, v8
	s_addc_u32 s71, s5, s3
	s_add_i32 s2, s34, 0x7ff
	v_lshrrev_b32_e32 v5, 5, v22
	s_lshr_b32 s72, s2, 11
	s_waitcnt lgkmcnt(0)
	s_bitcmp1_b32 s0, 0
	v_lshrrev_b32_e32 v6, 5, v23
	v_lshrrev_b32_e32 v7, 5, v24
	v_add_lshl_u32 v4, v4, v21, 2
	v_lshrrev_b32_e32 v9, 5, v26
	v_lshrrev_b32_e32 v10, 5, v27
	;; [unrolled: 1-line block ×3, first 2 shown]
	v_lshlrev_b32_e32 v13, 3, v11
	v_bfe_u32 v11, v11, 2, 27
	s_cselect_b32 s73, -1, 0
	s_cmp_gt_i32 s35, 0
	v_add_lshl_u32 v5, v5, v21, 2
	s_cselect_b32 s74, -1, 0
	s_add_i32 s0, 0, 0x840
	v_add_lshl_u32 v6, v6, v21, 2
	v_add_lshl_u32 v7, v7, v21, 2
	v_add_nc_u32_e32 v33, 0, v4
	v_add_lshl_u32 v9, v9, v21, 2
	v_add_lshl_u32 v10, v10, v21, 2
	;; [unrolled: 1-line block ×4, first 2 shown]
	v_add_nc_u32_e32 v41, s0, v4
	v_and_b32_e32 v4, 15, v2
	s_and_b32 s1, s34, 0x1ff
	v_add_nc_u32_e32 v38, s0, v5
	v_add_nc_u32_e32 v39, s0, v6
	;; [unrolled: 1-line block ×6, first 2 shown]
	s_cmp_eq_u32 s1, 0
	v_add_nc_u32_e32 v45, s0, v11
	v_cmp_ne_u32_e64 s0, 0, v4
	v_cmp_lt_u32_e64 s1, 1, v4
	v_cmp_lt_u32_e64 s2, 3, v4
	v_cmp_lt_u32_e64 s3, 7, v4
	v_add_nc_u32_e32 v4, -1, v2
	v_add_nc_u32_e32 v30, 0, v5
	v_lshrrev_b32_e32 v5, 2, v0
	v_add_nc_u32_e32 v32, 0, v7
	v_or_b32_e32 v7, 31, v8
	v_cmp_gt_i32_e32 vcc_lo, 0, v4
	s_mul_i32 s60, s10, s14
	v_and_b32_e32 v5, 8, v5
	s_cselect_b32 s75, -1, 0
	s_lshl_b64 s[14:15], s[60:61], 2
	v_cndmask_b32_e32 v4, v4, v2, vcc_lo
	s_add_i32 s76, s72, -1
	s_mul_i32 s60, s11, s12
	v_cmp_eq_u32_e64 s5, v7, v0
	v_cmp_gt_u32_e64 s6, 2, v0
	v_cmp_gt_u32_e64 s8, 32, v0
	v_cmp_lt_u32_e64 s9, 31, v0
	v_cmp_eq_u32_e64 s10, 0, v0
	s_add_u32 s14, s30, s14
	v_lshlrev_b32_e32 v0, 2, v2
	s_addc_u32 s11, s31, s15
	s_lshl_b64 s[12:13], s[60:61], 2
	v_add_nc_u32_e32 v46, 0, v5
	v_and_b32_e32 v5, 1, v2
	s_add_u32 s12, s14, s12
	v_lshlrev_b32_e32 v48, 2, v4
	s_addc_u32 s11, s11, s13
	v_lshlrev_b32_e32 v4, 2, v3
	v_add_co_u32 v0, s12, s12, v0
	v_add_nc_u32_e32 v31, 0, v6
	v_and_b32_e32 v6, 16, v2
	v_cmp_eq_u32_e64 s7, 0, v5
	v_add_co_ci_u32_e64 v5, null, s11, 0, s12
	v_add_co_u32 v0, vcc_lo, v0, v4
	v_add_nc_u32_e32 v34, 0, v9
	v_add_nc_u32_e32 v35, 0, v10
	;; [unrolled: 1-line block ×4, first 2 shown]
	v_cmp_ne_u32_e64 s4, 0, v6
	v_add_nc_u32_e32 v47, 0, v20
	v_cmp_eq_u32_e64 s11, 0, v2
	v_add_co_ci_u32_e32 v49, vcc_lo, 0, v5, vcc_lo
	v_or_b32_e32 v50, 1, v20
	v_or_b32_e32 v51, 2, v20
	;; [unrolled: 1-line block ×7, first 2 shown]
	v_lshlrev_b32_e32 v57, 2, v2
	v_lshlrev_b32_e32 v58, 2, v3
	s_mov_b32 s31, 0x3e9b6dac
	s_add_i32 s77, 0, 0x1090
	s_mov_b32 s78, 0
	s_mov_b32 s44, 0
	s_branch .LBB143_12
.LBB143_11:                             ;   in Loop: Header=BB143_12 Depth=1
	s_or_b32 exec_lo, exec_lo, s12
	s_add_u32 s66, s66, 0x800
	s_addc_u32 s36, s36, 0
	s_add_u32 s64, s64, 0x800
	s_addc_u32 s65, s65, 0
	;; [unrolled: 2-line block ×4, first 2 shown]
	s_add_i32 s78, s78, 1
	s_delay_alu instid0(SALU_CYCLE_1)
	s_cmp_eq_u32 s78, s72
	s_cbranch_scc1 .LBB143_140
.LBB143_12:                             ; =>This Loop Header: Depth=1
                                        ;     Child Loop BB143_61 Depth 2
	v_add_co_u32 v2, s12, s64, v57
	s_delay_alu instid0(VALU_DEP_1) | instskip(SKIP_1) | instid1(VALU_DEP_2)
	v_add_co_ci_u32_e64 v3, null, s65, 0, s12
	s_lshl_b32 s38, s78, 9
	v_add_co_u32 v2, vcc_lo, v2, v58
	s_sub_i32 s23, s34, s38
	s_delay_alu instid0(VALU_DEP_2)
	v_add_co_ci_u32_e32 v3, vcc_lo, 0, v3, vcc_lo
	v_cmp_gt_u32_e64 s12, s23, v21
	s_waitcnt lgkmcnt(0)
	v_mov_b32_e32 v4, v1
	s_waitcnt_vscnt null, 0x0
	s_barrier
	buffer_gl0_inv
	s_and_saveexec_b32 s13, s12
	s_cbranch_execz .LBB143_14
; %bb.13:                               ;   in Loop: Header=BB143_12 Depth=1
	global_load_b32 v4, v[2:3], off
.LBB143_14:                             ;   in Loop: Header=BB143_12 Depth=1
	s_or_b32 exec_lo, exec_lo, s13
	v_cmp_gt_u32_e64 s13, s23, v22
	v_dual_mov_b32 v5, 0 :: v_dual_mov_b32 v6, 0
	s_delay_alu instid0(VALU_DEP_2)
	s_and_saveexec_b32 s14, s13
	s_cbranch_execz .LBB143_16
; %bb.15:                               ;   in Loop: Header=BB143_12 Depth=1
	global_load_b32 v6, v[2:3], off offset:128
.LBB143_16:                             ;   in Loop: Header=BB143_12 Depth=1
	s_or_b32 exec_lo, exec_lo, s14
	v_cmp_gt_u32_e64 s14, s23, v23
	s_delay_alu instid0(VALU_DEP_1)
	s_and_saveexec_b32 s15, s14
	s_cbranch_execz .LBB143_18
; %bb.17:                               ;   in Loop: Header=BB143_12 Depth=1
	global_load_b32 v5, v[2:3], off offset:256
.LBB143_18:                             ;   in Loop: Header=BB143_12 Depth=1
	s_or_b32 exec_lo, exec_lo, s15
	v_cmp_gt_u32_e64 s15, s23, v24
	v_dual_mov_b32 v7, 0 :: v_dual_mov_b32 v8, 0
	s_delay_alu instid0(VALU_DEP_2)
	s_and_saveexec_b32 s16, s15
	s_cbranch_execz .LBB143_20
; %bb.19:                               ;   in Loop: Header=BB143_12 Depth=1
	global_load_b32 v8, v[2:3], off offset:384
.LBB143_20:                             ;   in Loop: Header=BB143_12 Depth=1
	s_or_b32 exec_lo, exec_lo, s16
	v_cmp_gt_u32_e64 s16, s23, v25
	s_delay_alu instid0(VALU_DEP_1)
	s_and_saveexec_b32 s17, s16
	s_cbranch_execz .LBB143_22
; %bb.21:                               ;   in Loop: Header=BB143_12 Depth=1
	global_load_b32 v7, v[2:3], off offset:512
.LBB143_22:                             ;   in Loop: Header=BB143_12 Depth=1
	;; [unrolled: 17-line block ×3, first 2 shown]
	s_or_b32 exec_lo, exec_lo, s19
	v_cmp_gt_u32_e64 s19, s23, v28
	v_dual_mov_b32 v12, 0 :: v_dual_mov_b32 v11, 0
	s_delay_alu instid0(VALU_DEP_2)
	s_and_saveexec_b32 s20, s19
	s_cbranch_execz .LBB143_28
; %bb.27:                               ;   in Loop: Header=BB143_12 Depth=1
	global_load_b32 v11, v[2:3], off offset:896
.LBB143_28:                             ;   in Loop: Header=BB143_12 Depth=1
	s_or_b32 exec_lo, exec_lo, s20
	s_waitcnt vmcnt(0)
	ds_store_b32 v29, v4
	ds_store_b32 v30, v6 offset:128
	ds_store_b32 v31, v5 offset:256
	;; [unrolled: 1-line block ×7, first 2 shown]
	; wave barrier
	ds_load_2addr_b32 v[2:3], v37 offset1:1
	ds_load_2addr_b32 v[4:5], v37 offset0:2 offset1:3
	ds_load_2addr_b32 v[6:7], v37 offset0:4 offset1:5
	;; [unrolled: 1-line block ×3, first 2 shown]
	v_add_co_u32 v10, s20, s66, v57
	s_delay_alu instid0(VALU_DEP_1) | instskip(SKIP_1) | instid1(VALU_DEP_2)
	v_add_co_ci_u32_e64 v11, null, s36, 0, s20
	s_waitcnt lgkmcnt(0)
	v_add_co_u32 v10, vcc_lo, v10, v58
	s_delay_alu instid0(VALU_DEP_2)
	v_add_co_ci_u32_e32 v11, vcc_lo, 0, v11, vcc_lo
	s_barrier
	buffer_gl0_inv
	s_and_saveexec_b32 s20, s12
	s_cbranch_execz .LBB143_30
; %bb.29:                               ;   in Loop: Header=BB143_12 Depth=1
	global_load_b32 v12, v[10:11], off
.LBB143_30:                             ;   in Loop: Header=BB143_12 Depth=1
	s_or_b32 exec_lo, exec_lo, s20
	v_dual_mov_b32 v13, 0 :: v_dual_mov_b32 v14, 0
	s_and_saveexec_b32 s20, s13
	s_cbranch_execz .LBB143_32
; %bb.31:                               ;   in Loop: Header=BB143_12 Depth=1
	global_load_b32 v14, v[10:11], off offset:128
.LBB143_32:                             ;   in Loop: Header=BB143_12 Depth=1
	s_or_b32 exec_lo, exec_lo, s20
	s_and_saveexec_b32 s20, s14
	s_cbranch_execz .LBB143_34
; %bb.33:                               ;   in Loop: Header=BB143_12 Depth=1
	global_load_b32 v13, v[10:11], off offset:256
.LBB143_34:                             ;   in Loop: Header=BB143_12 Depth=1
	s_or_b32 exec_lo, exec_lo, s20
	v_dual_mov_b32 v15, 0 :: v_dual_mov_b32 v16, 0
	s_and_saveexec_b32 s20, s15
	s_cbranch_execz .LBB143_36
; %bb.35:                               ;   in Loop: Header=BB143_12 Depth=1
	global_load_b32 v16, v[10:11], off offset:384
.LBB143_36:                             ;   in Loop: Header=BB143_12 Depth=1
	s_or_b32 exec_lo, exec_lo, s20
	s_and_saveexec_b32 s20, s16
	s_cbranch_execz .LBB143_38
; %bb.37:                               ;   in Loop: Header=BB143_12 Depth=1
	global_load_b32 v15, v[10:11], off offset:512
.LBB143_38:                             ;   in Loop: Header=BB143_12 Depth=1
	s_or_b32 exec_lo, exec_lo, s20
	v_dual_mov_b32 v17, 0 :: v_dual_mov_b32 v18, 0
	s_and_saveexec_b32 s20, s17
	s_cbranch_execnz .LBB143_130
; %bb.39:                               ;   in Loop: Header=BB143_12 Depth=1
	s_or_b32 exec_lo, exec_lo, s20
	s_and_saveexec_b32 s20, s18
	s_cbranch_execnz .LBB143_131
.LBB143_40:                             ;   in Loop: Header=BB143_12 Depth=1
	s_or_b32 exec_lo, exec_lo, s20
	v_mov_b32_e32 v19, 0
	s_and_saveexec_b32 s20, s19
	s_cbranch_execz .LBB143_42
.LBB143_41:                             ;   in Loop: Header=BB143_12 Depth=1
	global_load_b32 v19, v[10:11], off offset:896
.LBB143_42:                             ;   in Loop: Header=BB143_12 Depth=1
	s_or_b32 exec_lo, exec_lo, s20
	s_waitcnt vmcnt(0)
	ds_store_b32 v29, v12
	ds_store_b32 v30, v14 offset:128
	ds_store_b32 v31, v13 offset:256
	;; [unrolled: 1-line block ×7, first 2 shown]
	; wave barrier
	ds_load_2addr_b32 v[16:17], v37 offset1:1
	ds_load_2addr_b32 v[14:15], v37 offset0:2 offset1:3
	ds_load_2addr_b32 v[12:13], v37 offset0:4 offset1:5
	;; [unrolled: 1-line block ×3, first 2 shown]
	s_waitcnt lgkmcnt(3)
	v_add_f32_e32 v59, s62, v16
	s_delay_alu instid0(VALU_DEP_1) | instskip(SKIP_1) | instid1(SALU_CYCLE_1)
	v_cmp_ge_f32_e32 vcc_lo, 0x41a00000, v59
	s_and_b32 s20, s73, vcc_lo
	s_and_saveexec_b32 s21, s20
	s_cbranch_execz .LBB143_44
; %bb.43:                               ;   in Loop: Header=BB143_12 Depth=1
	v_mul_f32_e32 v16, 0x3fb8aa3b, v59
	v_cmp_ngt_f32_e32 vcc_lo, 0xc2ce8ed0, v59
	s_delay_alu instid0(VALU_DEP_2) | instskip(SKIP_1) | instid1(VALU_DEP_1)
	v_rndne_f32_e32 v18, v16
	v_fma_f32 v19, 0x3fb8aa3b, v59, -v16
	v_dual_sub_f32 v16, v16, v18 :: v_dual_fmac_f32 v19, 0x32a5705f, v59
	v_cvt_i32_f32_e32 v18, v18
	s_delay_alu instid0(VALU_DEP_2) | instskip(NEXT) | instid1(VALU_DEP_1)
	v_add_f32_e32 v16, v16, v19
	v_exp_f32_e32 v16, v16
	s_waitcnt_depctr 0xfff
	v_ldexp_f32 v16, v16, v18
	s_delay_alu instid0(VALU_DEP_1) | instskip(SKIP_1) | instid1(VALU_DEP_2)
	v_cndmask_b32_e32 v16, 0, v16, vcc_lo
	v_cmp_nlt_f32_e32 vcc_lo, 0x42b17218, v59
	v_cndmask_b32_e32 v16, 0x7f800000, v16, vcc_lo
	s_delay_alu instid0(VALU_DEP_1) | instskip(NEXT) | instid1(VALU_DEP_1)
	v_add_f32_e32 v59, 1.0, v16
	v_cvt_f64_f32_e32 v[18:19], v59
	s_delay_alu instid0(VALU_DEP_1) | instskip(SKIP_1) | instid1(VALU_DEP_1)
	v_frexp_exp_i32_f64_e32 v18, v[18:19]
	v_frexp_mant_f32_e32 v19, v59
	v_cmp_gt_f32_e32 vcc_lo, 0x3f2aaaab, v19
	v_add_f32_e32 v19, -1.0, v59
	s_delay_alu instid0(VALU_DEP_1) | instskip(SKIP_2) | instid1(VALU_DEP_3)
	v_sub_f32_e32 v61, v19, v59
	v_sub_f32_e32 v19, v16, v19
	v_cmp_gt_f32_e64 s20, 0x33800000, v16
	v_add_f32_e32 v61, 1.0, v61
	s_delay_alu instid0(VALU_DEP_1) | instskip(SKIP_2) | instid1(VALU_DEP_2)
	v_add_f32_e32 v19, v19, v61
	v_subrev_co_ci_u32_e32 v18, vcc_lo, 0, v18, vcc_lo
	v_cmp_eq_f32_e32 vcc_lo, 0x7f800000, v16
	v_sub_nc_u32_e32 v60, 0, v18
	v_cvt_f32_i32_e32 v18, v18
	s_or_b32 vcc_lo, s20, vcc_lo
	s_delay_alu instid0(VALU_DEP_2) | instskip(SKIP_1) | instid1(VALU_DEP_2)
	v_ldexp_f32 v59, v59, v60
	v_ldexp_f32 v19, v19, v60
	v_add_f32_e32 v62, 1.0, v59
	s_delay_alu instid0(VALU_DEP_1) | instskip(NEXT) | instid1(VALU_DEP_1)
	v_dual_add_f32 v60, -1.0, v59 :: v_dual_add_f32 v61, -1.0, v62
	v_add_f32_e32 v63, 1.0, v60
	s_delay_alu instid0(VALU_DEP_2) | instskip(NEXT) | instid1(VALU_DEP_2)
	v_sub_f32_e32 v61, v59, v61
	v_sub_f32_e32 v59, v59, v63
	s_delay_alu instid0(VALU_DEP_2) | instskip(NEXT) | instid1(VALU_DEP_2)
	v_add_f32_e32 v61, v19, v61
	v_add_f32_e32 v19, v19, v59
	s_delay_alu instid0(VALU_DEP_1) | instskip(NEXT) | instid1(VALU_DEP_1)
	v_dual_add_f32 v64, v60, v19 :: v_dual_add_f32 v63, v62, v61
	v_sub_f32_e32 v60, v60, v64
	s_delay_alu instid0(VALU_DEP_2) | instskip(SKIP_1) | instid1(VALU_DEP_1)
	v_rcp_f32_e32 v59, v63
	v_sub_f32_e32 v62, v62, v63
	v_add_f32_e32 v61, v61, v62
	s_waitcnt_depctr 0xfff
	v_mul_f32_e32 v65, v64, v59
	s_delay_alu instid0(VALU_DEP_1) | instskip(NEXT) | instid1(VALU_DEP_1)
	v_mul_f32_e32 v66, v63, v65
	v_fma_f32 v62, v65, v63, -v66
	s_delay_alu instid0(VALU_DEP_1) | instskip(NEXT) | instid1(VALU_DEP_1)
	v_fmac_f32_e32 v62, v65, v61
	v_add_f32_e32 v67, v66, v62
	s_delay_alu instid0(VALU_DEP_1) | instskip(NEXT) | instid1(VALU_DEP_1)
	v_sub_f32_e32 v68, v64, v67
	v_sub_f32_e32 v64, v64, v68
	v_add_f32_e32 v19, v19, v60
	v_sub_f32_e32 v60, v67, v66
	s_delay_alu instid0(VALU_DEP_3) | instskip(NEXT) | instid1(VALU_DEP_1)
	v_sub_f32_e32 v64, v64, v67
	v_dual_sub_f32 v60, v60, v62 :: v_dual_add_f32 v19, v19, v64
	s_delay_alu instid0(VALU_DEP_1) | instskip(NEXT) | instid1(VALU_DEP_1)
	v_add_f32_e32 v19, v60, v19
	v_add_f32_e32 v60, v68, v19
	s_delay_alu instid0(VALU_DEP_1) | instskip(NEXT) | instid1(VALU_DEP_1)
	v_mul_f32_e32 v62, v59, v60
	v_dual_sub_f32 v67, v68, v60 :: v_dual_mul_f32 v64, v63, v62
	s_delay_alu instid0(VALU_DEP_1) | instskip(NEXT) | instid1(VALU_DEP_2)
	v_add_f32_e32 v19, v19, v67
	v_fma_f32 v63, v62, v63, -v64
	s_delay_alu instid0(VALU_DEP_1) | instskip(NEXT) | instid1(VALU_DEP_1)
	v_fmac_f32_e32 v63, v62, v61
	v_add_f32_e32 v61, v64, v63
	s_delay_alu instid0(VALU_DEP_1) | instskip(NEXT) | instid1(VALU_DEP_1)
	v_sub_f32_e32 v66, v60, v61
	v_sub_f32_e32 v60, v60, v66
	s_delay_alu instid0(VALU_DEP_1) | instskip(NEXT) | instid1(VALU_DEP_1)
	v_sub_f32_e32 v60, v60, v61
	v_dual_add_f32 v19, v19, v60 :: v_dual_add_f32 v60, v65, v62
	v_sub_f32_e32 v64, v61, v64
	s_delay_alu instid0(VALU_DEP_1) | instskip(NEXT) | instid1(VALU_DEP_1)
	v_sub_f32_e32 v61, v64, v63
	v_add_f32_e32 v19, v61, v19
	s_delay_alu instid0(VALU_DEP_4) | instskip(NEXT) | instid1(VALU_DEP_2)
	v_sub_f32_e32 v61, v60, v65
	v_add_f32_e32 v19, v66, v19
	s_delay_alu instid0(VALU_DEP_2) | instskip(NEXT) | instid1(VALU_DEP_2)
	v_sub_f32_e32 v61, v62, v61
	v_mul_f32_e32 v19, v59, v19
	s_delay_alu instid0(VALU_DEP_1) | instskip(NEXT) | instid1(VALU_DEP_1)
	v_add_f32_e32 v19, v61, v19
	v_add_f32_e32 v59, v60, v19
	s_delay_alu instid0(VALU_DEP_1) | instskip(NEXT) | instid1(VALU_DEP_1)
	v_mul_f32_e32 v61, v59, v59
	v_fmaak_f32 v62, s31, v61, 0x3ecc95a3
	v_mul_f32_e32 v63, v59, v61
	s_delay_alu instid0(VALU_DEP_2) | instskip(SKIP_2) | instid1(VALU_DEP_3)
	v_fmaak_f32 v61, v61, v62, 0x3f2aaada
	v_ldexp_f32 v62, v59, 1
	v_sub_f32_e32 v59, v59, v60
	v_mul_f32_e32 v61, v63, v61
	v_mul_f32_e32 v63, 0x3f317218, v18
	s_delay_alu instid0(VALU_DEP_2) | instskip(NEXT) | instid1(VALU_DEP_1)
	v_dual_sub_f32 v19, v19, v59 :: v_dual_add_f32 v60, v62, v61
	v_ldexp_f32 v19, v19, 1
	s_delay_alu instid0(VALU_DEP_2) | instskip(NEXT) | instid1(VALU_DEP_4)
	v_sub_f32_e32 v59, v60, v62
	v_fma_f32 v62, 0x3f317218, v18, -v63
	s_delay_alu instid0(VALU_DEP_1) | instskip(NEXT) | instid1(VALU_DEP_1)
	v_dual_sub_f32 v59, v61, v59 :: v_dual_fmac_f32 v62, 0xb102e308, v18
	v_add_f32_e32 v18, v19, v59
	s_delay_alu instid0(VALU_DEP_2) | instskip(NEXT) | instid1(VALU_DEP_2)
	v_add_f32_e32 v19, v63, v62
	v_add_f32_e32 v59, v60, v18
	s_delay_alu instid0(VALU_DEP_2) | instskip(NEXT) | instid1(VALU_DEP_2)
	v_sub_f32_e32 v63, v19, v63
	v_add_f32_e32 v61, v19, v59
	v_sub_f32_e32 v60, v59, v60
	s_delay_alu instid0(VALU_DEP_3) | instskip(NEXT) | instid1(VALU_DEP_3)
	v_sub_f32_e32 v62, v62, v63
	v_sub_f32_e32 v64, v61, v19
	s_delay_alu instid0(VALU_DEP_3) | instskip(NEXT) | instid1(VALU_DEP_2)
	v_sub_f32_e32 v18, v18, v60
	v_sub_f32_e32 v65, v61, v64
	s_delay_alu instid0(VALU_DEP_2) | instskip(NEXT) | instid1(VALU_DEP_2)
	v_dual_sub_f32 v59, v59, v64 :: v_dual_add_f32 v60, v62, v18
	v_sub_f32_e32 v19, v19, v65
	s_delay_alu instid0(VALU_DEP_1) | instskip(NEXT) | instid1(VALU_DEP_3)
	v_add_f32_e32 v19, v59, v19
	v_sub_f32_e32 v59, v60, v62
	s_delay_alu instid0(VALU_DEP_2) | instskip(NEXT) | instid1(VALU_DEP_2)
	v_add_f32_e32 v19, v60, v19
	v_sub_f32_e32 v60, v60, v59
	v_sub_f32_e32 v18, v18, v59
	s_delay_alu instid0(VALU_DEP_2) | instskip(NEXT) | instid1(VALU_DEP_1)
	v_dual_add_f32 v63, v61, v19 :: v_dual_sub_f32 v60, v62, v60
	v_dual_sub_f32 v59, v63, v61 :: v_dual_add_f32 v18, v18, v60
	s_delay_alu instid0(VALU_DEP_1) | instskip(NEXT) | instid1(VALU_DEP_1)
	v_sub_f32_e32 v19, v19, v59
	v_add_f32_e32 v18, v18, v19
	s_delay_alu instid0(VALU_DEP_1) | instskip(NEXT) | instid1(VALU_DEP_1)
	v_add_f32_e32 v18, v63, v18
	v_cndmask_b32_e32 v59, v18, v16, vcc_lo
.LBB143_44:                             ;   in Loop: Header=BB143_12 Depth=1
	s_or_b32 exec_lo, exec_lo, s21
	v_add_f32_e32 v60, s62, v17
	s_delay_alu instid0(VALU_DEP_1) | instskip(SKIP_1) | instid1(SALU_CYCLE_1)
	v_cmp_ge_f32_e32 vcc_lo, 0x41a00000, v60
	s_and_b32 s20, s73, vcc_lo
	s_and_saveexec_b32 s21, s20
	s_cbranch_execz .LBB143_46
; %bb.45:                               ;   in Loop: Header=BB143_12 Depth=1
	v_mul_f32_e32 v16, 0x3fb8aa3b, v60
	v_cmp_ngt_f32_e32 vcc_lo, 0xc2ce8ed0, v60
	s_delay_alu instid0(VALU_DEP_2) | instskip(SKIP_1) | instid1(VALU_DEP_2)
	v_rndne_f32_e32 v17, v16
	v_fma_f32 v18, 0x3fb8aa3b, v60, -v16
	v_sub_f32_e32 v16, v16, v17
	s_delay_alu instid0(VALU_DEP_2) | instskip(SKIP_1) | instid1(VALU_DEP_2)
	v_fmac_f32_e32 v18, 0x32a5705f, v60
	v_cvt_i32_f32_e32 v17, v17
	v_add_f32_e32 v16, v16, v18
	s_delay_alu instid0(VALU_DEP_1) | instskip(SKIP_2) | instid1(VALU_DEP_1)
	v_exp_f32_e32 v16, v16
	s_waitcnt_depctr 0xfff
	v_ldexp_f32 v16, v16, v17
	v_cndmask_b32_e32 v16, 0, v16, vcc_lo
	v_cmp_nlt_f32_e32 vcc_lo, 0x42b17218, v60
	s_delay_alu instid0(VALU_DEP_2) | instskip(NEXT) | instid1(VALU_DEP_1)
	v_cndmask_b32_e32 v18, 0x7f800000, v16, vcc_lo
	v_add_f32_e32 v19, 1.0, v18
	s_delay_alu instid0(VALU_DEP_1) | instskip(NEXT) | instid1(VALU_DEP_1)
	v_cvt_f64_f32_e32 v[16:17], v19
	v_frexp_exp_i32_f64_e32 v16, v[16:17]
	v_frexp_mant_f32_e32 v17, v19
	s_delay_alu instid0(VALU_DEP_1) | instskip(SKIP_1) | instid1(VALU_DEP_1)
	v_cmp_gt_f32_e32 vcc_lo, 0x3f2aaaab, v17
	v_add_f32_e32 v17, -1.0, v19
	v_sub_f32_e32 v61, v17, v19
	v_sub_f32_e32 v17, v18, v17
	s_delay_alu instid0(VALU_DEP_2) | instskip(NEXT) | instid1(VALU_DEP_1)
	v_add_f32_e32 v61, 1.0, v61
	v_add_f32_e32 v17, v17, v61
	v_cmp_gt_f32_e64 s20, 0x33800000, v18
	v_subrev_co_ci_u32_e32 v16, vcc_lo, 0, v16, vcc_lo
	v_cmp_eq_f32_e32 vcc_lo, 0x7f800000, v18
	s_delay_alu instid0(VALU_DEP_2) | instskip(SKIP_2) | instid1(VALU_DEP_2)
	v_sub_nc_u32_e32 v60, 0, v16
	v_cvt_f32_i32_e32 v16, v16
	s_or_b32 vcc_lo, s20, vcc_lo
	v_ldexp_f32 v19, v19, v60
	v_ldexp_f32 v17, v17, v60
	s_delay_alu instid0(VALU_DEP_2) | instskip(NEXT) | instid1(VALU_DEP_1)
	v_add_f32_e32 v62, 1.0, v19
	v_dual_add_f32 v60, -1.0, v19 :: v_dual_add_f32 v61, -1.0, v62
	s_delay_alu instid0(VALU_DEP_1) | instskip(NEXT) | instid1(VALU_DEP_2)
	v_add_f32_e32 v63, 1.0, v60
	v_sub_f32_e32 v61, v19, v61
	s_delay_alu instid0(VALU_DEP_2) | instskip(NEXT) | instid1(VALU_DEP_2)
	v_sub_f32_e32 v19, v19, v63
	v_add_f32_e32 v61, v17, v61
	s_delay_alu instid0(VALU_DEP_2) | instskip(NEXT) | instid1(VALU_DEP_1)
	v_add_f32_e32 v17, v17, v19
	v_add_f32_e32 v64, v60, v17
	s_delay_alu instid0(VALU_DEP_1) | instskip(NEXT) | instid1(VALU_DEP_1)
	v_dual_add_f32 v63, v62, v61 :: v_dual_sub_f32 v60, v60, v64
	v_rcp_f32_e32 v19, v63
	v_sub_f32_e32 v62, v62, v63
	s_delay_alu instid0(VALU_DEP_1) | instskip(SKIP_2) | instid1(VALU_DEP_1)
	v_add_f32_e32 v61, v61, v62
	s_waitcnt_depctr 0xfff
	v_mul_f32_e32 v65, v64, v19
	v_mul_f32_e32 v66, v63, v65
	s_delay_alu instid0(VALU_DEP_1) | instskip(NEXT) | instid1(VALU_DEP_1)
	v_fma_f32 v62, v65, v63, -v66
	v_fmac_f32_e32 v62, v65, v61
	s_delay_alu instid0(VALU_DEP_1) | instskip(NEXT) | instid1(VALU_DEP_1)
	v_add_f32_e32 v67, v66, v62
	v_sub_f32_e32 v68, v64, v67
	s_delay_alu instid0(VALU_DEP_1) | instskip(SKIP_1) | instid1(VALU_DEP_2)
	v_sub_f32_e32 v64, v64, v68
	v_dual_add_f32 v17, v17, v60 :: v_dual_sub_f32 v60, v67, v66
	v_sub_f32_e32 v64, v64, v67
	s_delay_alu instid0(VALU_DEP_1) | instskip(NEXT) | instid1(VALU_DEP_1)
	v_dual_sub_f32 v60, v60, v62 :: v_dual_add_f32 v17, v17, v64
	v_add_f32_e32 v17, v60, v17
	s_delay_alu instid0(VALU_DEP_1) | instskip(NEXT) | instid1(VALU_DEP_1)
	v_add_f32_e32 v60, v68, v17
	v_mul_f32_e32 v62, v19, v60
	s_delay_alu instid0(VALU_DEP_1) | instskip(NEXT) | instid1(VALU_DEP_1)
	v_dual_sub_f32 v67, v68, v60 :: v_dual_mul_f32 v64, v63, v62
	v_add_f32_e32 v17, v17, v67
	s_delay_alu instid0(VALU_DEP_2) | instskip(NEXT) | instid1(VALU_DEP_1)
	v_fma_f32 v63, v62, v63, -v64
	v_fmac_f32_e32 v63, v62, v61
	s_delay_alu instid0(VALU_DEP_1) | instskip(NEXT) | instid1(VALU_DEP_1)
	v_add_f32_e32 v61, v64, v63
	v_sub_f32_e32 v66, v60, v61
	s_delay_alu instid0(VALU_DEP_1) | instskip(NEXT) | instid1(VALU_DEP_1)
	v_sub_f32_e32 v60, v60, v66
	v_sub_f32_e32 v60, v60, v61
	s_delay_alu instid0(VALU_DEP_1) | instskip(SKIP_2) | instid1(VALU_DEP_1)
	v_add_f32_e32 v17, v17, v60
	v_add_f32_e32 v60, v65, v62
	v_sub_f32_e32 v64, v61, v64
	v_sub_f32_e32 v61, v64, v63
	s_delay_alu instid0(VALU_DEP_1) | instskip(NEXT) | instid1(VALU_DEP_4)
	v_add_f32_e32 v17, v61, v17
	v_sub_f32_e32 v61, v60, v65
	s_delay_alu instid0(VALU_DEP_2) | instskip(NEXT) | instid1(VALU_DEP_2)
	v_add_f32_e32 v17, v66, v17
	v_sub_f32_e32 v61, v62, v61
	s_delay_alu instid0(VALU_DEP_2) | instskip(NEXT) | instid1(VALU_DEP_1)
	v_mul_f32_e32 v17, v19, v17
	v_add_f32_e32 v17, v61, v17
	s_delay_alu instid0(VALU_DEP_1) | instskip(NEXT) | instid1(VALU_DEP_1)
	v_add_f32_e32 v19, v60, v17
	v_mul_f32_e32 v61, v19, v19
	s_delay_alu instid0(VALU_DEP_1) | instskip(SKIP_1) | instid1(VALU_DEP_2)
	v_fmaak_f32 v62, s31, v61, 0x3ecc95a3
	v_mul_f32_e32 v63, v19, v61
	v_fmaak_f32 v61, v61, v62, 0x3f2aaada
	v_ldexp_f32 v62, v19, 1
	s_delay_alu instid0(VALU_DEP_2) | instskip(SKIP_1) | instid1(VALU_DEP_2)
	v_mul_f32_e32 v61, v63, v61
	v_sub_f32_e32 v19, v19, v60
	v_dual_mul_f32 v63, 0x3f317218, v16 :: v_dual_add_f32 v60, v62, v61
	s_delay_alu instid0(VALU_DEP_2) | instskip(NEXT) | instid1(VALU_DEP_2)
	v_sub_f32_e32 v17, v17, v19
	v_sub_f32_e32 v19, v60, v62
	s_delay_alu instid0(VALU_DEP_3) | instskip(NEXT) | instid1(VALU_DEP_3)
	v_fma_f32 v62, 0x3f317218, v16, -v63
	v_ldexp_f32 v17, v17, 1
	s_delay_alu instid0(VALU_DEP_2) | instskip(NEXT) | instid1(VALU_DEP_1)
	v_dual_sub_f32 v19, v61, v19 :: v_dual_fmac_f32 v62, 0xb102e308, v16
	v_dual_add_f32 v16, v17, v19 :: v_dual_add_f32 v17, v63, v62
	s_delay_alu instid0(VALU_DEP_1) | instskip(NEXT) | instid1(VALU_DEP_1)
	v_add_f32_e32 v19, v60, v16
	v_dual_add_f32 v61, v17, v19 :: v_dual_sub_f32 v60, v19, v60
	s_delay_alu instid0(VALU_DEP_1) | instskip(NEXT) | instid1(VALU_DEP_2)
	v_sub_f32_e32 v64, v61, v17
	v_dual_sub_f32 v63, v17, v63 :: v_dual_sub_f32 v16, v16, v60
	s_delay_alu instid0(VALU_DEP_1) | instskip(SKIP_1) | instid1(VALU_DEP_2)
	v_dual_sub_f32 v65, v61, v64 :: v_dual_sub_f32 v62, v62, v63
	v_sub_f32_e32 v19, v19, v64
	v_dual_sub_f32 v17, v17, v65 :: v_dual_add_f32 v60, v62, v16
	s_delay_alu instid0(VALU_DEP_1) | instskip(NEXT) | instid1(VALU_DEP_2)
	v_add_f32_e32 v17, v19, v17
	v_sub_f32_e32 v19, v60, v62
	s_delay_alu instid0(VALU_DEP_2) | instskip(NEXT) | instid1(VALU_DEP_2)
	v_add_f32_e32 v17, v60, v17
	v_sub_f32_e32 v60, v60, v19
	s_delay_alu instid0(VALU_DEP_2) | instskip(NEXT) | instid1(VALU_DEP_1)
	v_dual_sub_f32 v16, v16, v19 :: v_dual_add_f32 v63, v61, v17
	v_dual_sub_f32 v60, v62, v60 :: v_dual_sub_f32 v19, v63, v61
	s_delay_alu instid0(VALU_DEP_1) | instskip(NEXT) | instid1(VALU_DEP_1)
	v_dual_add_f32 v16, v16, v60 :: v_dual_sub_f32 v17, v17, v19
	v_add_f32_e32 v16, v16, v17
	s_delay_alu instid0(VALU_DEP_1) | instskip(NEXT) | instid1(VALU_DEP_1)
	v_add_f32_e32 v16, v63, v16
	v_cndmask_b32_e32 v60, v16, v18, vcc_lo
.LBB143_46:                             ;   in Loop: Header=BB143_12 Depth=1
	s_or_b32 exec_lo, exec_lo, s21
	s_waitcnt lgkmcnt(2)
	v_add_f32_e32 v61, s62, v14
	s_delay_alu instid0(VALU_DEP_1) | instskip(SKIP_1) | instid1(SALU_CYCLE_1)
	v_cmp_ge_f32_e32 vcc_lo, 0x41a00000, v61
	s_and_b32 s20, s73, vcc_lo
	s_and_saveexec_b32 s21, s20
	s_cbranch_execz .LBB143_48
; %bb.47:                               ;   in Loop: Header=BB143_12 Depth=1
	v_mul_f32_e32 v14, 0x3fb8aa3b, v61
	v_cmp_ngt_f32_e32 vcc_lo, 0xc2ce8ed0, v61
	s_delay_alu instid0(VALU_DEP_2) | instskip(SKIP_1) | instid1(VALU_DEP_1)
	v_rndne_f32_e32 v16, v14
	v_fma_f32 v17, 0x3fb8aa3b, v61, -v14
	v_dual_sub_f32 v14, v14, v16 :: v_dual_fmac_f32 v17, 0x32a5705f, v61
	v_cvt_i32_f32_e32 v16, v16
	s_delay_alu instid0(VALU_DEP_2) | instskip(NEXT) | instid1(VALU_DEP_1)
	v_add_f32_e32 v14, v14, v17
	v_exp_f32_e32 v14, v14
	s_waitcnt_depctr 0xfff
	v_ldexp_f32 v14, v14, v16
	s_delay_alu instid0(VALU_DEP_1) | instskip(SKIP_1) | instid1(VALU_DEP_2)
	v_cndmask_b32_e32 v14, 0, v14, vcc_lo
	v_cmp_nlt_f32_e32 vcc_lo, 0x42b17218, v61
	v_cndmask_b32_e32 v14, 0x7f800000, v14, vcc_lo
	s_delay_alu instid0(VALU_DEP_1) | instskip(NEXT) | instid1(VALU_DEP_1)
	v_add_f32_e32 v18, 1.0, v14
	v_cvt_f64_f32_e32 v[16:17], v18
	s_delay_alu instid0(VALU_DEP_1) | instskip(SKIP_1) | instid1(VALU_DEP_1)
	v_frexp_exp_i32_f64_e32 v16, v[16:17]
	v_frexp_mant_f32_e32 v17, v18
	v_cmp_gt_f32_e32 vcc_lo, 0x3f2aaaab, v17
	v_add_f32_e32 v17, -1.0, v18
	s_delay_alu instid0(VALU_DEP_1) | instskip(SKIP_1) | instid1(VALU_DEP_2)
	v_sub_f32_e32 v61, v17, v18
	v_sub_f32_e32 v17, v14, v17
	v_add_f32_e32 v61, 1.0, v61
	s_delay_alu instid0(VALU_DEP_1) | instskip(SKIP_3) | instid1(VALU_DEP_2)
	v_add_f32_e32 v17, v17, v61
	v_cmp_gt_f32_e64 s20, 0x33800000, v14
	v_subrev_co_ci_u32_e32 v16, vcc_lo, 0, v16, vcc_lo
	v_cmp_eq_f32_e32 vcc_lo, 0x7f800000, v14
	v_sub_nc_u32_e32 v19, 0, v16
	v_cvt_f32_i32_e32 v16, v16
	s_or_b32 vcc_lo, s20, vcc_lo
	s_delay_alu instid0(VALU_DEP_2) | instskip(SKIP_1) | instid1(VALU_DEP_2)
	v_ldexp_f32 v18, v18, v19
	v_ldexp_f32 v17, v17, v19
	v_add_f32_e32 v62, 1.0, v18
	v_add_f32_e32 v19, -1.0, v18
	s_delay_alu instid0(VALU_DEP_1) | instskip(NEXT) | instid1(VALU_DEP_3)
	v_add_f32_e32 v63, 1.0, v19
	v_add_f32_e32 v61, -1.0, v62
	s_delay_alu instid0(VALU_DEP_1) | instskip(NEXT) | instid1(VALU_DEP_1)
	v_sub_f32_e32 v61, v18, v61
	v_dual_sub_f32 v18, v18, v63 :: v_dual_add_f32 v61, v17, v61
	s_delay_alu instid0(VALU_DEP_1) | instskip(NEXT) | instid1(VALU_DEP_2)
	v_add_f32_e32 v63, v62, v61
	v_add_f32_e32 v17, v17, v18
	s_delay_alu instid0(VALU_DEP_2) | instskip(SKIP_1) | instid1(VALU_DEP_1)
	v_rcp_f32_e32 v18, v63
	v_sub_f32_e32 v62, v62, v63
	v_dual_add_f32 v64, v19, v17 :: v_dual_add_f32 v61, v61, v62
	s_delay_alu instid0(VALU_DEP_1) | instskip(SKIP_2) | instid1(VALU_DEP_1)
	v_sub_f32_e32 v19, v19, v64
	s_waitcnt_depctr 0xfff
	v_mul_f32_e32 v65, v64, v18
	v_mul_f32_e32 v66, v63, v65
	s_delay_alu instid0(VALU_DEP_1) | instskip(NEXT) | instid1(VALU_DEP_1)
	v_fma_f32 v62, v65, v63, -v66
	v_fmac_f32_e32 v62, v65, v61
	s_delay_alu instid0(VALU_DEP_1) | instskip(NEXT) | instid1(VALU_DEP_1)
	v_add_f32_e32 v67, v66, v62
	v_sub_f32_e32 v68, v64, v67
	s_delay_alu instid0(VALU_DEP_1) | instskip(NEXT) | instid1(VALU_DEP_1)
	v_dual_sub_f32 v64, v64, v68 :: v_dual_add_f32 v17, v17, v19
	v_dual_sub_f32 v19, v67, v66 :: v_dual_sub_f32 v64, v64, v67
	s_delay_alu instid0(VALU_DEP_1) | instskip(NEXT) | instid1(VALU_DEP_2)
	v_sub_f32_e32 v19, v19, v62
	v_add_f32_e32 v17, v17, v64
	s_delay_alu instid0(VALU_DEP_1) | instskip(NEXT) | instid1(VALU_DEP_1)
	v_add_f32_e32 v17, v19, v17
	v_add_f32_e32 v19, v68, v17
	s_delay_alu instid0(VALU_DEP_1) | instskip(NEXT) | instid1(VALU_DEP_1)
	v_mul_f32_e32 v62, v18, v19
	v_dual_sub_f32 v67, v68, v19 :: v_dual_mul_f32 v64, v63, v62
	s_delay_alu instid0(VALU_DEP_1) | instskip(NEXT) | instid1(VALU_DEP_2)
	v_add_f32_e32 v17, v17, v67
	v_fma_f32 v63, v62, v63, -v64
	s_delay_alu instid0(VALU_DEP_1) | instskip(NEXT) | instid1(VALU_DEP_1)
	v_fmac_f32_e32 v63, v62, v61
	v_add_f32_e32 v61, v64, v63
	s_delay_alu instid0(VALU_DEP_1) | instskip(NEXT) | instid1(VALU_DEP_1)
	v_sub_f32_e32 v66, v19, v61
	v_dual_sub_f32 v64, v61, v64 :: v_dual_sub_f32 v19, v19, v66
	s_delay_alu instid0(VALU_DEP_1) | instskip(NEXT) | instid1(VALU_DEP_2)
	v_sub_f32_e32 v19, v19, v61
	v_sub_f32_e32 v61, v64, v63
	s_delay_alu instid0(VALU_DEP_2) | instskip(SKIP_1) | instid1(VALU_DEP_2)
	v_add_f32_e32 v17, v17, v19
	v_add_f32_e32 v19, v65, v62
	;; [unrolled: 1-line block ×3, first 2 shown]
	s_delay_alu instid0(VALU_DEP_2) | instskip(NEXT) | instid1(VALU_DEP_2)
	v_sub_f32_e32 v61, v19, v65
	v_add_f32_e32 v17, v66, v17
	s_delay_alu instid0(VALU_DEP_2) | instskip(NEXT) | instid1(VALU_DEP_2)
	v_sub_f32_e32 v61, v62, v61
	v_mul_f32_e32 v17, v18, v17
	s_delay_alu instid0(VALU_DEP_1) | instskip(NEXT) | instid1(VALU_DEP_1)
	v_add_f32_e32 v17, v61, v17
	v_add_f32_e32 v18, v19, v17
	s_delay_alu instid0(VALU_DEP_1) | instskip(NEXT) | instid1(VALU_DEP_1)
	v_mul_f32_e32 v61, v18, v18
	v_fmaak_f32 v62, s31, v61, 0x3ecc95a3
	v_mul_f32_e32 v63, v18, v61
	s_delay_alu instid0(VALU_DEP_2) | instskip(SKIP_1) | instid1(VALU_DEP_2)
	v_fmaak_f32 v61, v61, v62, 0x3f2aaada
	v_ldexp_f32 v62, v18, 1
	v_dual_sub_f32 v18, v18, v19 :: v_dual_mul_f32 v61, v63, v61
	v_mul_f32_e32 v63, 0x3f317218, v16
	s_delay_alu instid0(VALU_DEP_2) | instskip(NEXT) | instid1(VALU_DEP_3)
	v_sub_f32_e32 v17, v17, v18
	v_add_f32_e32 v19, v62, v61
	s_delay_alu instid0(VALU_DEP_2) | instskip(NEXT) | instid1(VALU_DEP_2)
	v_ldexp_f32 v17, v17, 1
	v_sub_f32_e32 v18, v19, v62
	v_fma_f32 v62, 0x3f317218, v16, -v63
	s_delay_alu instid0(VALU_DEP_2) | instskip(NEXT) | instid1(VALU_DEP_2)
	v_sub_f32_e32 v18, v61, v18
	v_fmac_f32_e32 v62, 0xb102e308, v16
	s_delay_alu instid0(VALU_DEP_2) | instskip(NEXT) | instid1(VALU_DEP_2)
	v_add_f32_e32 v16, v17, v18
	v_add_f32_e32 v17, v63, v62
	s_delay_alu instid0(VALU_DEP_1) | instskip(NEXT) | instid1(VALU_DEP_1)
	v_dual_add_f32 v18, v19, v16 :: v_dual_sub_f32 v63, v17, v63
	v_add_f32_e32 v61, v17, v18
	v_sub_f32_e32 v19, v18, v19
	s_delay_alu instid0(VALU_DEP_3) | instskip(NEXT) | instid1(VALU_DEP_3)
	v_sub_f32_e32 v62, v62, v63
	v_sub_f32_e32 v64, v61, v17
	s_delay_alu instid0(VALU_DEP_1) | instskip(SKIP_1) | instid1(VALU_DEP_2)
	v_dual_sub_f32 v16, v16, v19 :: v_dual_sub_f32 v65, v61, v64
	v_sub_f32_e32 v18, v18, v64
	v_add_f32_e32 v19, v62, v16
	s_delay_alu instid0(VALU_DEP_3) | instskip(NEXT) | instid1(VALU_DEP_1)
	v_sub_f32_e32 v17, v17, v65
	v_dual_add_f32 v17, v18, v17 :: v_dual_sub_f32 v18, v19, v62
	s_delay_alu instid0(VALU_DEP_1) | instskip(NEXT) | instid1(VALU_DEP_2)
	v_add_f32_e32 v17, v19, v17
	v_sub_f32_e32 v19, v19, v18
	s_delay_alu instid0(VALU_DEP_2) | instskip(NEXT) | instid1(VALU_DEP_1)
	v_dual_sub_f32 v16, v16, v18 :: v_dual_add_f32 v63, v61, v17
	v_dual_sub_f32 v19, v62, v19 :: v_dual_sub_f32 v18, v63, v61
	s_delay_alu instid0(VALU_DEP_1) | instskip(NEXT) | instid1(VALU_DEP_1)
	v_dual_add_f32 v16, v16, v19 :: v_dual_sub_f32 v17, v17, v18
	v_add_f32_e32 v16, v16, v17
	s_delay_alu instid0(VALU_DEP_1) | instskip(NEXT) | instid1(VALU_DEP_1)
	v_add_f32_e32 v16, v63, v16
	v_cndmask_b32_e32 v61, v16, v14, vcc_lo
.LBB143_48:                             ;   in Loop: Header=BB143_12 Depth=1
	s_or_b32 exec_lo, exec_lo, s21
	v_add_f32_e32 v62, s62, v15
	s_delay_alu instid0(VALU_DEP_1) | instskip(SKIP_1) | instid1(SALU_CYCLE_1)
	v_cmp_ge_f32_e32 vcc_lo, 0x41a00000, v62
	s_and_b32 s20, s73, vcc_lo
	s_and_saveexec_b32 s21, s20
	s_cbranch_execz .LBB143_50
; %bb.49:                               ;   in Loop: Header=BB143_12 Depth=1
	v_mul_f32_e32 v14, 0x3fb8aa3b, v62
	v_cmp_ngt_f32_e32 vcc_lo, 0xc2ce8ed0, v62
	s_delay_alu instid0(VALU_DEP_2) | instskip(SKIP_1) | instid1(VALU_DEP_2)
	v_rndne_f32_e32 v15, v14
	v_fma_f32 v16, 0x3fb8aa3b, v62, -v14
	v_sub_f32_e32 v14, v14, v15
	s_delay_alu instid0(VALU_DEP_2) | instskip(SKIP_1) | instid1(VALU_DEP_2)
	v_fmac_f32_e32 v16, 0x32a5705f, v62
	v_cvt_i32_f32_e32 v15, v15
	v_add_f32_e32 v14, v14, v16
	s_delay_alu instid0(VALU_DEP_1) | instskip(SKIP_2) | instid1(VALU_DEP_1)
	v_exp_f32_e32 v14, v14
	s_waitcnt_depctr 0xfff
	v_ldexp_f32 v14, v14, v15
	v_cndmask_b32_e32 v14, 0, v14, vcc_lo
	v_cmp_nlt_f32_e32 vcc_lo, 0x42b17218, v62
	s_delay_alu instid0(VALU_DEP_2) | instskip(NEXT) | instid1(VALU_DEP_1)
	v_cndmask_b32_e32 v16, 0x7f800000, v14, vcc_lo
	v_add_f32_e32 v17, 1.0, v16
	s_delay_alu instid0(VALU_DEP_1) | instskip(NEXT) | instid1(VALU_DEP_1)
	v_cvt_f64_f32_e32 v[14:15], v17
	v_frexp_exp_i32_f64_e32 v14, v[14:15]
	v_frexp_mant_f32_e32 v15, v17
	s_delay_alu instid0(VALU_DEP_1) | instskip(SKIP_1) | instid1(VALU_DEP_1)
	v_cmp_gt_f32_e32 vcc_lo, 0x3f2aaaab, v15
	v_add_f32_e32 v15, -1.0, v17
	v_sub_f32_e32 v19, v15, v17
	v_sub_f32_e32 v15, v16, v15
	s_delay_alu instid0(VALU_DEP_2) | instskip(NEXT) | instid1(VALU_DEP_1)
	v_add_f32_e32 v19, 1.0, v19
	v_add_f32_e32 v15, v15, v19
	v_cmp_gt_f32_e64 s20, 0x33800000, v16
	v_subrev_co_ci_u32_e32 v14, vcc_lo, 0, v14, vcc_lo
	v_cmp_eq_f32_e32 vcc_lo, 0x7f800000, v16
	s_delay_alu instid0(VALU_DEP_2) | instskip(SKIP_2) | instid1(VALU_DEP_2)
	v_sub_nc_u32_e32 v18, 0, v14
	v_cvt_f32_i32_e32 v14, v14
	s_or_b32 vcc_lo, s20, vcc_lo
	v_ldexp_f32 v17, v17, v18
	v_ldexp_f32 v15, v15, v18
	s_delay_alu instid0(VALU_DEP_2) | instskip(NEXT) | instid1(VALU_DEP_1)
	v_add_f32_e32 v62, 1.0, v17
	v_dual_add_f32 v18, -1.0, v17 :: v_dual_add_f32 v19, -1.0, v62
	s_delay_alu instid0(VALU_DEP_1) | instskip(NEXT) | instid1(VALU_DEP_2)
	v_add_f32_e32 v63, 1.0, v18
	v_sub_f32_e32 v19, v17, v19
	s_delay_alu instid0(VALU_DEP_2) | instskip(NEXT) | instid1(VALU_DEP_2)
	v_sub_f32_e32 v17, v17, v63
	v_add_f32_e32 v19, v15, v19
	s_delay_alu instid0(VALU_DEP_2) | instskip(NEXT) | instid1(VALU_DEP_1)
	v_add_f32_e32 v15, v15, v17
	v_add_f32_e32 v64, v18, v15
	s_delay_alu instid0(VALU_DEP_1) | instskip(NEXT) | instid1(VALU_DEP_4)
	v_sub_f32_e32 v18, v18, v64
	v_add_f32_e32 v63, v62, v19
	s_delay_alu instid0(VALU_DEP_1) | instskip(NEXT) | instid1(VALU_DEP_2)
	v_rcp_f32_e32 v17, v63
	v_dual_sub_f32 v62, v62, v63 :: v_dual_add_f32 v15, v15, v18
	s_delay_alu instid0(VALU_DEP_1) | instskip(SKIP_2) | instid1(VALU_DEP_1)
	v_add_f32_e32 v19, v19, v62
	s_waitcnt_depctr 0xfff
	v_mul_f32_e32 v65, v64, v17
	v_mul_f32_e32 v66, v63, v65
	s_delay_alu instid0(VALU_DEP_1) | instskip(NEXT) | instid1(VALU_DEP_1)
	v_fma_f32 v62, v65, v63, -v66
	v_fmac_f32_e32 v62, v65, v19
	s_delay_alu instid0(VALU_DEP_1) | instskip(NEXT) | instid1(VALU_DEP_1)
	v_add_f32_e32 v67, v66, v62
	v_sub_f32_e32 v68, v64, v67
	v_sub_f32_e32 v18, v67, v66
	s_delay_alu instid0(VALU_DEP_2) | instskip(NEXT) | instid1(VALU_DEP_1)
	v_sub_f32_e32 v64, v64, v68
	v_sub_f32_e32 v64, v64, v67
	s_delay_alu instid0(VALU_DEP_1) | instskip(NEXT) | instid1(VALU_DEP_1)
	v_dual_sub_f32 v18, v18, v62 :: v_dual_add_f32 v15, v15, v64
	v_add_f32_e32 v15, v18, v15
	s_delay_alu instid0(VALU_DEP_1) | instskip(NEXT) | instid1(VALU_DEP_1)
	v_add_f32_e32 v18, v68, v15
	v_mul_f32_e32 v62, v17, v18
	v_sub_f32_e32 v67, v68, v18
	s_delay_alu instid0(VALU_DEP_2) | instskip(NEXT) | instid1(VALU_DEP_2)
	v_mul_f32_e32 v64, v63, v62
	v_add_f32_e32 v15, v15, v67
	s_delay_alu instid0(VALU_DEP_2) | instskip(NEXT) | instid1(VALU_DEP_1)
	v_fma_f32 v63, v62, v63, -v64
	v_fmac_f32_e32 v63, v62, v19
	s_delay_alu instid0(VALU_DEP_1) | instskip(NEXT) | instid1(VALU_DEP_1)
	v_add_f32_e32 v19, v64, v63
	v_sub_f32_e32 v66, v18, v19
	s_delay_alu instid0(VALU_DEP_1) | instskip(NEXT) | instid1(VALU_DEP_1)
	v_sub_f32_e32 v18, v18, v66
	v_sub_f32_e32 v18, v18, v19
	s_delay_alu instid0(VALU_DEP_1) | instskip(SKIP_2) | instid1(VALU_DEP_1)
	v_add_f32_e32 v15, v15, v18
	v_add_f32_e32 v18, v65, v62
	v_sub_f32_e32 v64, v19, v64
	v_sub_f32_e32 v19, v64, v63
	s_delay_alu instid0(VALU_DEP_1) | instskip(NEXT) | instid1(VALU_DEP_4)
	v_add_f32_e32 v15, v19, v15
	v_sub_f32_e32 v19, v18, v65
	s_delay_alu instid0(VALU_DEP_2) | instskip(NEXT) | instid1(VALU_DEP_2)
	v_add_f32_e32 v15, v66, v15
	v_sub_f32_e32 v19, v62, v19
	s_delay_alu instid0(VALU_DEP_2) | instskip(NEXT) | instid1(VALU_DEP_1)
	v_mul_f32_e32 v15, v17, v15
	v_add_f32_e32 v15, v19, v15
	s_delay_alu instid0(VALU_DEP_1) | instskip(NEXT) | instid1(VALU_DEP_1)
	v_add_f32_e32 v17, v18, v15
	v_mul_f32_e32 v19, v17, v17
	s_delay_alu instid0(VALU_DEP_1) | instskip(SKIP_1) | instid1(VALU_DEP_2)
	v_fmaak_f32 v62, s31, v19, 0x3ecc95a3
	v_mul_f32_e32 v63, v17, v19
	v_fmaak_f32 v19, v19, v62, 0x3f2aaada
	v_ldexp_f32 v62, v17, 1
	v_sub_f32_e32 v17, v17, v18
	s_delay_alu instid0(VALU_DEP_3) | instskip(SKIP_1) | instid1(VALU_DEP_2)
	v_mul_f32_e32 v19, v63, v19
	v_mul_f32_e32 v63, 0x3f317218, v14
	v_dual_sub_f32 v15, v15, v17 :: v_dual_add_f32 v18, v62, v19
	s_delay_alu instid0(VALU_DEP_1) | instskip(NEXT) | instid1(VALU_DEP_2)
	v_ldexp_f32 v15, v15, 1
	v_sub_f32_e32 v17, v18, v62
	s_delay_alu instid0(VALU_DEP_4) | instskip(NEXT) | instid1(VALU_DEP_1)
	v_fma_f32 v62, 0x3f317218, v14, -v63
	v_dual_sub_f32 v17, v19, v17 :: v_dual_fmac_f32 v62, 0xb102e308, v14
	s_delay_alu instid0(VALU_DEP_1) | instskip(NEXT) | instid1(VALU_DEP_1)
	v_add_f32_e32 v14, v15, v17
	v_add_f32_e32 v17, v18, v14
	s_delay_alu instid0(VALU_DEP_1) | instskip(NEXT) | instid1(VALU_DEP_1)
	v_sub_f32_e32 v18, v17, v18
	v_sub_f32_e32 v14, v14, v18
	v_add_f32_e32 v15, v63, v62
	s_delay_alu instid0(VALU_DEP_1) | instskip(SKIP_1) | instid1(VALU_DEP_2)
	v_add_f32_e32 v19, v15, v17
	v_sub_f32_e32 v63, v15, v63
	v_sub_f32_e32 v64, v19, v15
	s_delay_alu instid0(VALU_DEP_1) | instskip(NEXT) | instid1(VALU_DEP_1)
	v_dual_sub_f32 v62, v62, v63 :: v_dual_sub_f32 v65, v19, v64
	v_dual_sub_f32 v17, v17, v64 :: v_dual_add_f32 v18, v62, v14
	s_delay_alu instid0(VALU_DEP_2) | instskip(NEXT) | instid1(VALU_DEP_1)
	v_sub_f32_e32 v15, v15, v65
	v_add_f32_e32 v15, v17, v15
	s_delay_alu instid0(VALU_DEP_3) | instskip(NEXT) | instid1(VALU_DEP_2)
	v_sub_f32_e32 v17, v18, v62
	v_add_f32_e32 v15, v18, v15
	s_delay_alu instid0(VALU_DEP_2) | instskip(NEXT) | instid1(VALU_DEP_2)
	v_sub_f32_e32 v18, v18, v17
	v_dual_sub_f32 v14, v14, v17 :: v_dual_add_f32 v63, v19, v15
	s_delay_alu instid0(VALU_DEP_1) | instskip(NEXT) | instid1(VALU_DEP_1)
	v_dual_sub_f32 v18, v62, v18 :: v_dual_sub_f32 v17, v63, v19
	v_dual_add_f32 v14, v14, v18 :: v_dual_sub_f32 v15, v15, v17
	s_delay_alu instid0(VALU_DEP_1) | instskip(NEXT) | instid1(VALU_DEP_1)
	v_add_f32_e32 v14, v14, v15
	v_add_f32_e32 v14, v63, v14
	s_delay_alu instid0(VALU_DEP_1)
	v_cndmask_b32_e32 v62, v14, v16, vcc_lo
.LBB143_50:                             ;   in Loop: Header=BB143_12 Depth=1
	s_or_b32 exec_lo, exec_lo, s21
	s_waitcnt lgkmcnt(1)
	v_add_f32_e32 v63, s62, v12
	s_delay_alu instid0(VALU_DEP_1) | instskip(SKIP_1) | instid1(SALU_CYCLE_1)
	v_cmp_ge_f32_e32 vcc_lo, 0x41a00000, v63
	s_and_b32 s20, s73, vcc_lo
	s_and_saveexec_b32 s21, s20
	s_cbranch_execz .LBB143_52
; %bb.51:                               ;   in Loop: Header=BB143_12 Depth=1
	v_mul_f32_e32 v12, 0x3fb8aa3b, v63
	v_cmp_ngt_f32_e32 vcc_lo, 0xc2ce8ed0, v63
	s_delay_alu instid0(VALU_DEP_2) | instskip(SKIP_1) | instid1(VALU_DEP_1)
	v_rndne_f32_e32 v14, v12
	v_fma_f32 v15, 0x3fb8aa3b, v63, -v12
	v_dual_sub_f32 v12, v12, v14 :: v_dual_fmac_f32 v15, 0x32a5705f, v63
	v_cvt_i32_f32_e32 v14, v14
	s_delay_alu instid0(VALU_DEP_2) | instskip(NEXT) | instid1(VALU_DEP_1)
	v_add_f32_e32 v12, v12, v15
	v_exp_f32_e32 v12, v12
	s_waitcnt_depctr 0xfff
	v_ldexp_f32 v12, v12, v14
	s_delay_alu instid0(VALU_DEP_1) | instskip(SKIP_1) | instid1(VALU_DEP_2)
	v_cndmask_b32_e32 v12, 0, v12, vcc_lo
	v_cmp_nlt_f32_e32 vcc_lo, 0x42b17218, v63
	v_cndmask_b32_e32 v12, 0x7f800000, v12, vcc_lo
	s_delay_alu instid0(VALU_DEP_1) | instskip(NEXT) | instid1(VALU_DEP_1)
	v_add_f32_e32 v16, 1.0, v12
	v_cvt_f64_f32_e32 v[14:15], v16
	s_delay_alu instid0(VALU_DEP_1) | instskip(SKIP_1) | instid1(VALU_DEP_1)
	v_frexp_exp_i32_f64_e32 v14, v[14:15]
	v_frexp_mant_f32_e32 v15, v16
	v_cmp_gt_f32_e32 vcc_lo, 0x3f2aaaab, v15
	v_add_f32_e32 v15, -1.0, v16
	s_delay_alu instid0(VALU_DEP_1) | instskip(SKIP_1) | instid1(VALU_DEP_1)
	v_dual_sub_f32 v18, v15, v16 :: v_dual_sub_f32 v15, v12, v15
	v_subrev_co_ci_u32_e32 v14, vcc_lo, 0, v14, vcc_lo
	v_sub_nc_u32_e32 v17, 0, v14
	v_cvt_f32_i32_e32 v14, v14
	s_delay_alu instid0(VALU_DEP_2) | instskip(NEXT) | instid1(VALU_DEP_1)
	v_ldexp_f32 v16, v16, v17
	v_dual_add_f32 v18, 1.0, v18 :: v_dual_add_f32 v19, 1.0, v16
	s_delay_alu instid0(VALU_DEP_1) | instskip(NEXT) | instid1(VALU_DEP_1)
	v_add_f32_e32 v15, v15, v18
	v_ldexp_f32 v15, v15, v17
	s_delay_alu instid0(VALU_DEP_3) | instskip(NEXT) | instid1(VALU_DEP_1)
	v_dual_add_f32 v17, -1.0, v16 :: v_dual_add_f32 v18, -1.0, v19
	v_dual_add_f32 v63, 1.0, v17 :: v_dual_sub_f32 v18, v16, v18
	v_cmp_eq_f32_e32 vcc_lo, 0x7f800000, v12
	v_cmp_gt_f32_e64 s20, 0x33800000, v12
	s_delay_alu instid0(VALU_DEP_3) | instskip(NEXT) | instid1(VALU_DEP_4)
	v_add_f32_e32 v18, v15, v18
	v_sub_f32_e32 v16, v16, v63
	s_delay_alu instid0(VALU_DEP_3) | instskip(NEXT) | instid1(VALU_DEP_2)
	s_or_b32 vcc_lo, s20, vcc_lo
	v_add_f32_e32 v63, v19, v18
	s_delay_alu instid0(VALU_DEP_2) | instskip(NEXT) | instid1(VALU_DEP_2)
	v_add_f32_e32 v15, v15, v16
	v_rcp_f32_e32 v16, v63
	s_delay_alu instid0(VALU_DEP_1) | instskip(SKIP_1) | instid1(VALU_DEP_2)
	v_add_f32_e32 v64, v17, v15
	v_sub_f32_e32 v19, v19, v63
	v_sub_f32_e32 v17, v17, v64
	s_delay_alu instid0(VALU_DEP_1) | instskip(SKIP_2) | instid1(VALU_DEP_1)
	v_add_f32_e32 v15, v15, v17
	s_waitcnt_depctr 0xfff
	v_dual_mul_f32 v65, v64, v16 :: v_dual_add_f32 v18, v18, v19
	v_mul_f32_e32 v66, v63, v65
	s_delay_alu instid0(VALU_DEP_1) | instskip(NEXT) | instid1(VALU_DEP_1)
	v_fma_f32 v19, v65, v63, -v66
	v_fmac_f32_e32 v19, v65, v18
	s_delay_alu instid0(VALU_DEP_1) | instskip(NEXT) | instid1(VALU_DEP_1)
	v_add_f32_e32 v67, v66, v19
	v_dual_sub_f32 v68, v64, v67 :: v_dual_sub_f32 v17, v67, v66
	s_delay_alu instid0(VALU_DEP_1) | instskip(NEXT) | instid1(VALU_DEP_1)
	v_dual_sub_f32 v64, v64, v68 :: v_dual_sub_f32 v17, v17, v19
	v_sub_f32_e32 v64, v64, v67
	s_delay_alu instid0(VALU_DEP_1) | instskip(NEXT) | instid1(VALU_DEP_1)
	v_add_f32_e32 v15, v15, v64
	v_add_f32_e32 v15, v17, v15
	s_delay_alu instid0(VALU_DEP_1) | instskip(NEXT) | instid1(VALU_DEP_1)
	v_add_f32_e32 v17, v68, v15
	v_mul_f32_e32 v19, v16, v17
	s_delay_alu instid0(VALU_DEP_1) | instskip(NEXT) | instid1(VALU_DEP_1)
	v_dual_sub_f32 v67, v68, v17 :: v_dual_mul_f32 v64, v63, v19
	v_fma_f32 v63, v19, v63, -v64
	s_delay_alu instid0(VALU_DEP_1) | instskip(NEXT) | instid1(VALU_DEP_1)
	v_fmac_f32_e32 v63, v19, v18
	v_add_f32_e32 v18, v64, v63
	s_delay_alu instid0(VALU_DEP_1) | instskip(NEXT) | instid1(VALU_DEP_1)
	v_sub_f32_e32 v66, v17, v18
	v_dual_sub_f32 v17, v17, v66 :: v_dual_sub_f32 v64, v18, v64
	v_add_f32_e32 v15, v15, v67
	s_delay_alu instid0(VALU_DEP_2) | instskip(NEXT) | instid1(VALU_DEP_1)
	v_dual_sub_f32 v17, v17, v18 :: v_dual_sub_f32 v18, v64, v63
	v_add_f32_e32 v15, v15, v17
	v_add_f32_e32 v17, v65, v19
	s_delay_alu instid0(VALU_DEP_1) | instskip(NEXT) | instid1(VALU_DEP_1)
	v_dual_add_f32 v15, v18, v15 :: v_dual_sub_f32 v18, v17, v65
	v_dual_add_f32 v15, v66, v15 :: v_dual_sub_f32 v18, v19, v18
	s_delay_alu instid0(VALU_DEP_1) | instskip(NEXT) | instid1(VALU_DEP_1)
	v_mul_f32_e32 v15, v16, v15
	v_add_f32_e32 v15, v18, v15
	s_delay_alu instid0(VALU_DEP_1) | instskip(NEXT) | instid1(VALU_DEP_1)
	v_add_f32_e32 v16, v17, v15
	v_mul_f32_e32 v18, v16, v16
	s_delay_alu instid0(VALU_DEP_1) | instskip(NEXT) | instid1(VALU_DEP_1)
	v_fmaak_f32 v19, s31, v18, 0x3ecc95a3
	v_dual_mul_f32 v63, v16, v18 :: v_dual_fmaak_f32 v18, v18, v19, 0x3f2aaada
	v_ldexp_f32 v19, v16, 1
	s_delay_alu instid0(VALU_DEP_2) | instskip(NEXT) | instid1(VALU_DEP_1)
	v_mul_f32_e32 v18, v63, v18
	v_dual_sub_f32 v16, v16, v17 :: v_dual_add_f32 v17, v19, v18
	s_delay_alu instid0(VALU_DEP_1) | instskip(NEXT) | instid1(VALU_DEP_1)
	v_dual_sub_f32 v15, v15, v16 :: v_dual_sub_f32 v16, v17, v19
	v_ldexp_f32 v15, v15, 1
	s_delay_alu instid0(VALU_DEP_2) | instskip(NEXT) | instid1(VALU_DEP_1)
	v_dual_sub_f32 v16, v18, v16 :: v_dual_mul_f32 v63, 0x3f317218, v14
	v_fma_f32 v19, 0x3f317218, v14, -v63
	s_delay_alu instid0(VALU_DEP_1) | instskip(NEXT) | instid1(VALU_DEP_1)
	v_dual_fmac_f32 v19, 0xb102e308, v14 :: v_dual_add_f32 v14, v15, v16
	v_dual_add_f32 v15, v63, v19 :: v_dual_add_f32 v16, v17, v14
	s_delay_alu instid0(VALU_DEP_1) | instskip(NEXT) | instid1(VALU_DEP_2)
	v_sub_f32_e32 v63, v15, v63
	v_add_f32_e32 v18, v15, v16
	s_delay_alu instid0(VALU_DEP_2) | instskip(NEXT) | instid1(VALU_DEP_2)
	v_sub_f32_e32 v19, v19, v63
	v_dual_sub_f32 v64, v18, v15 :: v_dual_sub_f32 v17, v16, v17
	s_delay_alu instid0(VALU_DEP_1) | instskip(NEXT) | instid1(VALU_DEP_2)
	v_sub_f32_e32 v16, v16, v64
	v_sub_f32_e32 v14, v14, v17
	s_delay_alu instid0(VALU_DEP_1) | instskip(SKIP_1) | instid1(VALU_DEP_1)
	v_add_f32_e32 v17, v19, v14
	v_sub_f32_e32 v65, v18, v64
	v_sub_f32_e32 v15, v15, v65
	s_delay_alu instid0(VALU_DEP_1) | instskip(NEXT) | instid1(VALU_DEP_4)
	v_add_f32_e32 v15, v16, v15
	v_sub_f32_e32 v16, v17, v19
	s_delay_alu instid0(VALU_DEP_2) | instskip(NEXT) | instid1(VALU_DEP_2)
	v_add_f32_e32 v15, v17, v15
	v_sub_f32_e32 v17, v17, v16
	v_sub_f32_e32 v14, v14, v16
	s_delay_alu instid0(VALU_DEP_3) | instskip(NEXT) | instid1(VALU_DEP_3)
	v_add_f32_e32 v63, v18, v15
	v_sub_f32_e32 v17, v19, v17
	s_delay_alu instid0(VALU_DEP_2) | instskip(NEXT) | instid1(VALU_DEP_1)
	v_sub_f32_e32 v16, v63, v18
	v_dual_add_f32 v14, v14, v17 :: v_dual_sub_f32 v15, v15, v16
	s_delay_alu instid0(VALU_DEP_1) | instskip(NEXT) | instid1(VALU_DEP_1)
	v_add_f32_e32 v14, v14, v15
	v_add_f32_e32 v14, v63, v14
	s_delay_alu instid0(VALU_DEP_1)
	v_cndmask_b32_e32 v63, v14, v12, vcc_lo
.LBB143_52:                             ;   in Loop: Header=BB143_12 Depth=1
	s_or_b32 exec_lo, exec_lo, s21
	v_add_f32_e32 v64, s62, v13
	s_delay_alu instid0(VALU_DEP_1) | instskip(SKIP_1) | instid1(SALU_CYCLE_1)
	v_cmp_ge_f32_e32 vcc_lo, 0x41a00000, v64
	s_and_b32 s20, s73, vcc_lo
	s_and_saveexec_b32 s21, s20
	s_cbranch_execz .LBB143_54
; %bb.53:                               ;   in Loop: Header=BB143_12 Depth=1
	v_mul_f32_e32 v12, 0x3fb8aa3b, v64
	v_cmp_ngt_f32_e32 vcc_lo, 0xc2ce8ed0, v64
	s_delay_alu instid0(VALU_DEP_2) | instskip(SKIP_1) | instid1(VALU_DEP_2)
	v_rndne_f32_e32 v13, v12
	v_fma_f32 v14, 0x3fb8aa3b, v64, -v12
	v_sub_f32_e32 v12, v12, v13
	s_delay_alu instid0(VALU_DEP_2) | instskip(SKIP_1) | instid1(VALU_DEP_2)
	v_fmac_f32_e32 v14, 0x32a5705f, v64
	v_cvt_i32_f32_e32 v13, v13
	v_add_f32_e32 v12, v12, v14
	s_delay_alu instid0(VALU_DEP_1) | instskip(SKIP_2) | instid1(VALU_DEP_1)
	v_exp_f32_e32 v12, v12
	s_waitcnt_depctr 0xfff
	v_ldexp_f32 v12, v12, v13
	v_cndmask_b32_e32 v12, 0, v12, vcc_lo
	v_cmp_nlt_f32_e32 vcc_lo, 0x42b17218, v64
	s_delay_alu instid0(VALU_DEP_2) | instskip(NEXT) | instid1(VALU_DEP_1)
	v_cndmask_b32_e32 v14, 0x7f800000, v12, vcc_lo
	v_add_f32_e32 v15, 1.0, v14
	s_delay_alu instid0(VALU_DEP_1) | instskip(NEXT) | instid1(VALU_DEP_1)
	v_cvt_f64_f32_e32 v[12:13], v15
	v_frexp_exp_i32_f64_e32 v12, v[12:13]
	v_frexp_mant_f32_e32 v13, v15
	s_delay_alu instid0(VALU_DEP_1) | instskip(SKIP_1) | instid1(VALU_DEP_1)
	v_cmp_gt_f32_e32 vcc_lo, 0x3f2aaaab, v13
	v_add_f32_e32 v13, -1.0, v15
	v_sub_f32_e32 v17, v13, v15
	v_sub_f32_e32 v13, v14, v13
	s_delay_alu instid0(VALU_DEP_2) | instskip(NEXT) | instid1(VALU_DEP_1)
	v_add_f32_e32 v17, 1.0, v17
	v_add_f32_e32 v13, v13, v17
	v_cmp_gt_f32_e64 s20, 0x33800000, v14
	v_subrev_co_ci_u32_e32 v12, vcc_lo, 0, v12, vcc_lo
	v_cmp_eq_f32_e32 vcc_lo, 0x7f800000, v14
	s_delay_alu instid0(VALU_DEP_2) | instskip(SKIP_2) | instid1(VALU_DEP_2)
	v_sub_nc_u32_e32 v16, 0, v12
	v_cvt_f32_i32_e32 v12, v12
	s_or_b32 vcc_lo, s20, vcc_lo
	v_ldexp_f32 v15, v15, v16
	v_ldexp_f32 v13, v13, v16
	s_delay_alu instid0(VALU_DEP_2) | instskip(NEXT) | instid1(VALU_DEP_1)
	v_add_f32_e32 v18, 1.0, v15
	v_dual_add_f32 v16, -1.0, v15 :: v_dual_add_f32 v17, -1.0, v18
	s_delay_alu instid0(VALU_DEP_1) | instskip(NEXT) | instid1(VALU_DEP_2)
	v_add_f32_e32 v19, 1.0, v16
	v_sub_f32_e32 v17, v15, v17
	s_delay_alu instid0(VALU_DEP_2) | instskip(NEXT) | instid1(VALU_DEP_2)
	v_sub_f32_e32 v15, v15, v19
	v_add_f32_e32 v17, v13, v17
	s_delay_alu instid0(VALU_DEP_2) | instskip(NEXT) | instid1(VALU_DEP_1)
	v_add_f32_e32 v13, v13, v15
	v_add_f32_e32 v64, v16, v13
	s_delay_alu instid0(VALU_DEP_1) | instskip(NEXT) | instid1(VALU_DEP_1)
	v_dual_add_f32 v19, v18, v17 :: v_dual_sub_f32 v16, v16, v64
	v_rcp_f32_e32 v15, v19
	v_sub_f32_e32 v18, v18, v19
	s_delay_alu instid0(VALU_DEP_1) | instskip(SKIP_2) | instid1(VALU_DEP_1)
	v_add_f32_e32 v17, v17, v18
	s_waitcnt_depctr 0xfff
	v_mul_f32_e32 v65, v64, v15
	v_mul_f32_e32 v66, v19, v65
	s_delay_alu instid0(VALU_DEP_1) | instskip(NEXT) | instid1(VALU_DEP_1)
	v_fma_f32 v18, v65, v19, -v66
	v_fmac_f32_e32 v18, v65, v17
	s_delay_alu instid0(VALU_DEP_1) | instskip(NEXT) | instid1(VALU_DEP_1)
	v_add_f32_e32 v67, v66, v18
	v_sub_f32_e32 v68, v64, v67
	s_delay_alu instid0(VALU_DEP_1) | instskip(SKIP_1) | instid1(VALU_DEP_2)
	v_sub_f32_e32 v64, v64, v68
	v_dual_add_f32 v13, v13, v16 :: v_dual_sub_f32 v16, v67, v66
	v_sub_f32_e32 v64, v64, v67
	s_delay_alu instid0(VALU_DEP_1) | instskip(NEXT) | instid1(VALU_DEP_1)
	v_dual_sub_f32 v16, v16, v18 :: v_dual_add_f32 v13, v13, v64
	v_add_f32_e32 v13, v16, v13
	s_delay_alu instid0(VALU_DEP_1) | instskip(NEXT) | instid1(VALU_DEP_1)
	v_add_f32_e32 v16, v68, v13
	v_mul_f32_e32 v18, v15, v16
	s_delay_alu instid0(VALU_DEP_1) | instskip(NEXT) | instid1(VALU_DEP_1)
	v_dual_sub_f32 v67, v68, v16 :: v_dual_mul_f32 v64, v19, v18
	v_add_f32_e32 v13, v13, v67
	s_delay_alu instid0(VALU_DEP_2) | instskip(NEXT) | instid1(VALU_DEP_1)
	v_fma_f32 v19, v18, v19, -v64
	v_fmac_f32_e32 v19, v18, v17
	s_delay_alu instid0(VALU_DEP_1) | instskip(NEXT) | instid1(VALU_DEP_1)
	v_add_f32_e32 v17, v64, v19
	v_sub_f32_e32 v66, v16, v17
	s_delay_alu instid0(VALU_DEP_1) | instskip(NEXT) | instid1(VALU_DEP_1)
	v_sub_f32_e32 v16, v16, v66
	v_sub_f32_e32 v16, v16, v17
	s_delay_alu instid0(VALU_DEP_1) | instskip(SKIP_2) | instid1(VALU_DEP_1)
	v_add_f32_e32 v13, v13, v16
	v_add_f32_e32 v16, v65, v18
	v_sub_f32_e32 v64, v17, v64
	v_sub_f32_e32 v17, v64, v19
	s_delay_alu instid0(VALU_DEP_1) | instskip(NEXT) | instid1(VALU_DEP_4)
	v_add_f32_e32 v13, v17, v13
	v_sub_f32_e32 v17, v16, v65
	s_delay_alu instid0(VALU_DEP_2) | instskip(NEXT) | instid1(VALU_DEP_2)
	v_add_f32_e32 v13, v66, v13
	v_sub_f32_e32 v17, v18, v17
	s_delay_alu instid0(VALU_DEP_2) | instskip(NEXT) | instid1(VALU_DEP_1)
	v_mul_f32_e32 v13, v15, v13
	v_add_f32_e32 v13, v17, v13
	s_delay_alu instid0(VALU_DEP_1) | instskip(NEXT) | instid1(VALU_DEP_1)
	v_add_f32_e32 v15, v16, v13
	v_mul_f32_e32 v17, v15, v15
	s_delay_alu instid0(VALU_DEP_1) | instskip(SKIP_1) | instid1(VALU_DEP_2)
	v_fmaak_f32 v18, s31, v17, 0x3ecc95a3
	v_mul_f32_e32 v19, v15, v17
	v_fmaak_f32 v17, v17, v18, 0x3f2aaada
	v_ldexp_f32 v18, v15, 1
	s_delay_alu instid0(VALU_DEP_2) | instskip(SKIP_1) | instid1(VALU_DEP_2)
	v_mul_f32_e32 v17, v19, v17
	v_sub_f32_e32 v15, v15, v16
	v_dual_mul_f32 v19, 0x3f317218, v12 :: v_dual_add_f32 v16, v18, v17
	s_delay_alu instid0(VALU_DEP_2) | instskip(NEXT) | instid1(VALU_DEP_2)
	v_sub_f32_e32 v13, v13, v15
	v_sub_f32_e32 v15, v16, v18
	s_delay_alu instid0(VALU_DEP_3) | instskip(NEXT) | instid1(VALU_DEP_3)
	v_fma_f32 v18, 0x3f317218, v12, -v19
	v_ldexp_f32 v13, v13, 1
	s_delay_alu instid0(VALU_DEP_2) | instskip(NEXT) | instid1(VALU_DEP_1)
	v_dual_sub_f32 v15, v17, v15 :: v_dual_fmac_f32 v18, 0xb102e308, v12
	v_dual_add_f32 v12, v13, v15 :: v_dual_add_f32 v13, v19, v18
	s_delay_alu instid0(VALU_DEP_1) | instskip(NEXT) | instid1(VALU_DEP_1)
	v_add_f32_e32 v15, v16, v12
	v_dual_add_f32 v17, v13, v15 :: v_dual_sub_f32 v16, v15, v16
	s_delay_alu instid0(VALU_DEP_1) | instskip(NEXT) | instid1(VALU_DEP_2)
	v_sub_f32_e32 v64, v17, v13
	v_dual_sub_f32 v19, v13, v19 :: v_dual_sub_f32 v12, v12, v16
	s_delay_alu instid0(VALU_DEP_1) | instskip(SKIP_1) | instid1(VALU_DEP_2)
	v_dual_sub_f32 v65, v17, v64 :: v_dual_sub_f32 v18, v18, v19
	v_sub_f32_e32 v15, v15, v64
	v_dual_sub_f32 v13, v13, v65 :: v_dual_add_f32 v16, v18, v12
	s_delay_alu instid0(VALU_DEP_1) | instskip(NEXT) | instid1(VALU_DEP_2)
	v_add_f32_e32 v13, v15, v13
	v_sub_f32_e32 v15, v16, v18
	s_delay_alu instid0(VALU_DEP_2) | instskip(NEXT) | instid1(VALU_DEP_2)
	v_add_f32_e32 v13, v16, v13
	v_sub_f32_e32 v16, v16, v15
	s_delay_alu instid0(VALU_DEP_2) | instskip(NEXT) | instid1(VALU_DEP_1)
	v_dual_sub_f32 v12, v12, v15 :: v_dual_add_f32 v19, v17, v13
	v_dual_sub_f32 v16, v18, v16 :: v_dual_sub_f32 v15, v19, v17
	s_delay_alu instid0(VALU_DEP_1) | instskip(NEXT) | instid1(VALU_DEP_1)
	v_dual_add_f32 v12, v12, v16 :: v_dual_sub_f32 v13, v13, v15
	v_add_f32_e32 v12, v12, v13
	s_delay_alu instid0(VALU_DEP_1) | instskip(NEXT) | instid1(VALU_DEP_1)
	v_add_f32_e32 v12, v19, v12
	v_cndmask_b32_e32 v64, v12, v14, vcc_lo
.LBB143_54:                             ;   in Loop: Header=BB143_12 Depth=1
	s_or_b32 exec_lo, exec_lo, s21
	s_waitcnt lgkmcnt(0)
	v_add_f32_e32 v65, s62, v10
	s_delay_alu instid0(VALU_DEP_1) | instskip(SKIP_1) | instid1(SALU_CYCLE_1)
	v_cmp_ge_f32_e32 vcc_lo, 0x41a00000, v65
	s_and_b32 s20, s73, vcc_lo
	s_and_saveexec_b32 s21, s20
	s_cbranch_execz .LBB143_56
; %bb.55:                               ;   in Loop: Header=BB143_12 Depth=1
	v_mul_f32_e32 v10, 0x3fb8aa3b, v65
	v_cmp_ngt_f32_e32 vcc_lo, 0xc2ce8ed0, v65
	s_delay_alu instid0(VALU_DEP_2) | instskip(SKIP_1) | instid1(VALU_DEP_1)
	v_rndne_f32_e32 v12, v10
	v_fma_f32 v13, 0x3fb8aa3b, v65, -v10
	v_dual_sub_f32 v10, v10, v12 :: v_dual_fmac_f32 v13, 0x32a5705f, v65
	v_cvt_i32_f32_e32 v12, v12
	s_delay_alu instid0(VALU_DEP_2) | instskip(NEXT) | instid1(VALU_DEP_1)
	v_add_f32_e32 v10, v10, v13
	v_exp_f32_e32 v10, v10
	s_waitcnt_depctr 0xfff
	v_ldexp_f32 v10, v10, v12
	s_delay_alu instid0(VALU_DEP_1) | instskip(SKIP_1) | instid1(VALU_DEP_2)
	v_cndmask_b32_e32 v10, 0, v10, vcc_lo
	v_cmp_nlt_f32_e32 vcc_lo, 0x42b17218, v65
	v_cndmask_b32_e32 v10, 0x7f800000, v10, vcc_lo
	s_delay_alu instid0(VALU_DEP_1) | instskip(NEXT) | instid1(VALU_DEP_1)
	v_add_f32_e32 v14, 1.0, v10
	v_cvt_f64_f32_e32 v[12:13], v14
	s_delay_alu instid0(VALU_DEP_1) | instskip(SKIP_1) | instid1(VALU_DEP_1)
	v_frexp_exp_i32_f64_e32 v12, v[12:13]
	v_frexp_mant_f32_e32 v13, v14
	v_cmp_gt_f32_e32 vcc_lo, 0x3f2aaaab, v13
	v_add_f32_e32 v13, -1.0, v14
	s_delay_alu instid0(VALU_DEP_1) | instskip(SKIP_1) | instid1(VALU_DEP_1)
	v_dual_sub_f32 v16, v13, v14 :: v_dual_sub_f32 v13, v10, v13
	v_subrev_co_ci_u32_e32 v12, vcc_lo, 0, v12, vcc_lo
	v_sub_nc_u32_e32 v15, 0, v12
	v_cvt_f32_i32_e32 v12, v12
	s_delay_alu instid0(VALU_DEP_2) | instskip(NEXT) | instid1(VALU_DEP_1)
	v_ldexp_f32 v14, v14, v15
	v_dual_add_f32 v16, 1.0, v16 :: v_dual_add_f32 v17, 1.0, v14
	s_delay_alu instid0(VALU_DEP_1) | instskip(NEXT) | instid1(VALU_DEP_1)
	v_add_f32_e32 v13, v13, v16
	v_ldexp_f32 v13, v13, v15
	s_delay_alu instid0(VALU_DEP_3) | instskip(NEXT) | instid1(VALU_DEP_1)
	v_dual_add_f32 v15, -1.0, v14 :: v_dual_add_f32 v16, -1.0, v17
	v_add_f32_e32 v18, 1.0, v15
	s_delay_alu instid0(VALU_DEP_2) | instskip(NEXT) | instid1(VALU_DEP_2)
	v_sub_f32_e32 v16, v14, v16
	v_sub_f32_e32 v14, v14, v18
	s_delay_alu instid0(VALU_DEP_2) | instskip(NEXT) | instid1(VALU_DEP_2)
	v_add_f32_e32 v16, v13, v16
	v_add_f32_e32 v13, v13, v14
	s_delay_alu instid0(VALU_DEP_1) | instskip(SKIP_2) | instid1(VALU_DEP_3)
	v_add_f32_e32 v19, v15, v13
	v_cmp_eq_f32_e32 vcc_lo, 0x7f800000, v10
	v_cmp_gt_f32_e64 s20, 0x33800000, v10
	v_dual_sub_f32 v15, v15, v19 :: v_dual_add_f32 v18, v17, v16
	s_delay_alu instid0(VALU_DEP_2) | instskip(NEXT) | instid1(VALU_DEP_1)
	s_or_b32 vcc_lo, s20, vcc_lo
	v_add_f32_e32 v13, v13, v15
	s_delay_alu instid0(VALU_DEP_2) | instskip(SKIP_2) | instid1(VALU_DEP_1)
	v_rcp_f32_e32 v14, v18
	s_waitcnt_depctr 0xfff
	v_mul_f32_e32 v65, v19, v14
	v_dual_sub_f32 v17, v17, v18 :: v_dual_mul_f32 v66, v18, v65
	s_delay_alu instid0(VALU_DEP_1) | instskip(NEXT) | instid1(VALU_DEP_2)
	v_add_f32_e32 v16, v16, v17
	v_fma_f32 v17, v65, v18, -v66
	s_delay_alu instid0(VALU_DEP_1) | instskip(NEXT) | instid1(VALU_DEP_1)
	v_fmac_f32_e32 v17, v65, v16
	v_add_f32_e32 v67, v66, v17
	s_delay_alu instid0(VALU_DEP_1) | instskip(SKIP_1) | instid1(VALU_DEP_2)
	v_sub_f32_e32 v15, v67, v66
	v_sub_f32_e32 v68, v19, v67
	;; [unrolled: 1-line block ×3, first 2 shown]
	s_delay_alu instid0(VALU_DEP_2) | instskip(NEXT) | instid1(VALU_DEP_1)
	v_sub_f32_e32 v19, v19, v68
	v_sub_f32_e32 v19, v19, v67
	s_delay_alu instid0(VALU_DEP_1) | instskip(NEXT) | instid1(VALU_DEP_1)
	v_add_f32_e32 v13, v13, v19
	v_add_f32_e32 v13, v15, v13
	s_delay_alu instid0(VALU_DEP_1) | instskip(NEXT) | instid1(VALU_DEP_1)
	v_add_f32_e32 v15, v68, v13
	v_mul_f32_e32 v17, v14, v15
	s_delay_alu instid0(VALU_DEP_1) | instskip(SKIP_1) | instid1(VALU_DEP_2)
	v_mul_f32_e32 v19, v18, v17
	v_sub_f32_e32 v67, v68, v15
	v_fma_f32 v18, v17, v18, -v19
	s_delay_alu instid0(VALU_DEP_2) | instskip(NEXT) | instid1(VALU_DEP_2)
	v_add_f32_e32 v13, v13, v67
	v_fmac_f32_e32 v18, v17, v16
	s_delay_alu instid0(VALU_DEP_1) | instskip(NEXT) | instid1(VALU_DEP_1)
	v_add_f32_e32 v16, v19, v18
	v_sub_f32_e32 v66, v15, v16
	s_delay_alu instid0(VALU_DEP_1) | instskip(NEXT) | instid1(VALU_DEP_1)
	v_sub_f32_e32 v15, v15, v66
	v_sub_f32_e32 v15, v15, v16
	s_delay_alu instid0(VALU_DEP_1) | instskip(SKIP_2) | instid1(VALU_DEP_1)
	v_add_f32_e32 v13, v13, v15
	v_add_f32_e32 v15, v65, v17
	v_sub_f32_e32 v19, v16, v19
	v_sub_f32_e32 v16, v19, v18
	s_delay_alu instid0(VALU_DEP_1) | instskip(NEXT) | instid1(VALU_DEP_4)
	v_add_f32_e32 v13, v16, v13
	v_sub_f32_e32 v16, v15, v65
	s_delay_alu instid0(VALU_DEP_1) | instskip(NEXT) | instid1(VALU_DEP_1)
	v_dual_add_f32 v13, v66, v13 :: v_dual_sub_f32 v16, v17, v16
	v_mul_f32_e32 v13, v14, v13
	s_delay_alu instid0(VALU_DEP_1) | instskip(NEXT) | instid1(VALU_DEP_1)
	v_add_f32_e32 v13, v16, v13
	v_add_f32_e32 v14, v15, v13
	s_delay_alu instid0(VALU_DEP_1) | instskip(NEXT) | instid1(VALU_DEP_1)
	v_mul_f32_e32 v16, v14, v14
	v_fmaak_f32 v17, s31, v16, 0x3ecc95a3
	v_mul_f32_e32 v18, v14, v16
	s_delay_alu instid0(VALU_DEP_2) | instskip(SKIP_1) | instid1(VALU_DEP_2)
	v_fmaak_f32 v16, v16, v17, 0x3f2aaada
	v_ldexp_f32 v17, v14, 1
	v_mul_f32_e32 v16, v18, v16
	v_mul_f32_e32 v18, 0x3f317218, v12
	s_delay_alu instid0(VALU_DEP_2) | instskip(NEXT) | instid1(VALU_DEP_1)
	v_dual_sub_f32 v14, v14, v15 :: v_dual_add_f32 v15, v17, v16
	v_dual_sub_f32 v13, v13, v14 :: v_dual_sub_f32 v14, v15, v17
	s_delay_alu instid0(VALU_DEP_3) | instskip(NEXT) | instid1(VALU_DEP_2)
	v_fma_f32 v17, 0x3f317218, v12, -v18
	v_ldexp_f32 v13, v13, 1
	s_delay_alu instid0(VALU_DEP_2) | instskip(NEXT) | instid1(VALU_DEP_1)
	v_dual_sub_f32 v14, v16, v14 :: v_dual_fmac_f32 v17, 0xb102e308, v12
	v_add_f32_e32 v12, v13, v14
	s_delay_alu instid0(VALU_DEP_1) | instskip(NEXT) | instid1(VALU_DEP_1)
	v_add_f32_e32 v14, v15, v12
	v_sub_f32_e32 v15, v14, v15
	s_delay_alu instid0(VALU_DEP_1) | instskip(NEXT) | instid1(VALU_DEP_1)
	v_dual_sub_f32 v12, v12, v15 :: v_dual_add_f32 v13, v18, v17
	v_add_f32_e32 v16, v13, v14
	s_delay_alu instid0(VALU_DEP_1) | instskip(NEXT) | instid1(VALU_DEP_1)
	v_dual_sub_f32 v18, v13, v18 :: v_dual_sub_f32 v19, v16, v13
	v_dual_sub_f32 v17, v17, v18 :: v_dual_sub_f32 v14, v14, v19
	s_delay_alu instid0(VALU_DEP_1) | instskip(SKIP_1) | instid1(VALU_DEP_1)
	v_add_f32_e32 v15, v17, v12
	v_sub_f32_e32 v65, v16, v19
	v_sub_f32_e32 v13, v13, v65
	s_delay_alu instid0(VALU_DEP_1) | instskip(NEXT) | instid1(VALU_DEP_4)
	v_add_f32_e32 v13, v14, v13
	v_sub_f32_e32 v14, v15, v17
	s_delay_alu instid0(VALU_DEP_2) | instskip(NEXT) | instid1(VALU_DEP_2)
	v_add_f32_e32 v13, v15, v13
	v_sub_f32_e32 v15, v15, v14
	v_sub_f32_e32 v12, v12, v14
	s_delay_alu instid0(VALU_DEP_3) | instskip(NEXT) | instid1(VALU_DEP_1)
	v_add_f32_e32 v18, v16, v13
	v_dual_sub_f32 v14, v18, v16 :: v_dual_sub_f32 v15, v17, v15
	s_delay_alu instid0(VALU_DEP_1) | instskip(NEXT) | instid1(VALU_DEP_1)
	v_dual_sub_f32 v13, v13, v14 :: v_dual_add_f32 v12, v12, v15
	v_add_f32_e32 v12, v12, v13
	s_delay_alu instid0(VALU_DEP_1) | instskip(NEXT) | instid1(VALU_DEP_1)
	v_add_f32_e32 v12, v18, v12
	v_cndmask_b32_e32 v65, v12, v10, vcc_lo
.LBB143_56:                             ;   in Loop: Header=BB143_12 Depth=1
	s_or_b32 exec_lo, exec_lo, s21
	v_add_f32_e32 v74, s62, v11
	s_delay_alu instid0(VALU_DEP_1) | instskip(SKIP_1) | instid1(SALU_CYCLE_1)
	v_cmp_ge_f32_e32 vcc_lo, 0x41a00000, v74
	s_and_b32 s20, s73, vcc_lo
	s_and_saveexec_b32 s21, s20
	s_cbranch_execz .LBB143_58
; %bb.57:                               ;   in Loop: Header=BB143_12 Depth=1
	v_mul_f32_e32 v10, 0x3fb8aa3b, v74
	v_cmp_ngt_f32_e32 vcc_lo, 0xc2ce8ed0, v74
	s_delay_alu instid0(VALU_DEP_2) | instskip(SKIP_1) | instid1(VALU_DEP_2)
	v_rndne_f32_e32 v11, v10
	v_fma_f32 v12, 0x3fb8aa3b, v74, -v10
	v_sub_f32_e32 v10, v10, v11
	s_delay_alu instid0(VALU_DEP_2) | instskip(SKIP_1) | instid1(VALU_DEP_2)
	v_fmac_f32_e32 v12, 0x32a5705f, v74
	v_cvt_i32_f32_e32 v11, v11
	v_add_f32_e32 v10, v10, v12
	s_delay_alu instid0(VALU_DEP_1) | instskip(SKIP_2) | instid1(VALU_DEP_1)
	v_exp_f32_e32 v10, v10
	s_waitcnt_depctr 0xfff
	v_ldexp_f32 v10, v10, v11
	v_cndmask_b32_e32 v10, 0, v10, vcc_lo
	v_cmp_nlt_f32_e32 vcc_lo, 0x42b17218, v74
	s_delay_alu instid0(VALU_DEP_2) | instskip(NEXT) | instid1(VALU_DEP_1)
	v_cndmask_b32_e32 v12, 0x7f800000, v10, vcc_lo
	v_add_f32_e32 v13, 1.0, v12
	s_delay_alu instid0(VALU_DEP_1) | instskip(NEXT) | instid1(VALU_DEP_1)
	v_cvt_f64_f32_e32 v[10:11], v13
	v_frexp_exp_i32_f64_e32 v10, v[10:11]
	v_frexp_mant_f32_e32 v11, v13
	s_delay_alu instid0(VALU_DEP_1) | instskip(SKIP_1) | instid1(VALU_DEP_1)
	v_cmp_gt_f32_e32 vcc_lo, 0x3f2aaaab, v11
	v_add_f32_e32 v11, -1.0, v13
	v_sub_f32_e32 v15, v11, v13
	v_sub_f32_e32 v11, v12, v11
	s_delay_alu instid0(VALU_DEP_2) | instskip(NEXT) | instid1(VALU_DEP_1)
	v_add_f32_e32 v15, 1.0, v15
	v_add_f32_e32 v11, v11, v15
	v_cmp_gt_f32_e64 s20, 0x33800000, v12
	v_subrev_co_ci_u32_e32 v10, vcc_lo, 0, v10, vcc_lo
	v_cmp_eq_f32_e32 vcc_lo, 0x7f800000, v12
	s_delay_alu instid0(VALU_DEP_2) | instskip(SKIP_2) | instid1(VALU_DEP_2)
	v_sub_nc_u32_e32 v14, 0, v10
	v_cvt_f32_i32_e32 v10, v10
	s_or_b32 vcc_lo, s20, vcc_lo
	v_ldexp_f32 v13, v13, v14
	v_ldexp_f32 v11, v11, v14
	s_delay_alu instid0(VALU_DEP_2) | instskip(NEXT) | instid1(VALU_DEP_1)
	v_add_f32_e32 v16, 1.0, v13
	v_dual_add_f32 v14, -1.0, v13 :: v_dual_add_f32 v15, -1.0, v16
	s_delay_alu instid0(VALU_DEP_1) | instskip(NEXT) | instid1(VALU_DEP_2)
	v_add_f32_e32 v17, 1.0, v14
	v_sub_f32_e32 v15, v13, v15
	s_delay_alu instid0(VALU_DEP_2) | instskip(NEXT) | instid1(VALU_DEP_2)
	v_sub_f32_e32 v13, v13, v17
	v_add_f32_e32 v15, v11, v15
	s_delay_alu instid0(VALU_DEP_2) | instskip(NEXT) | instid1(VALU_DEP_1)
	v_add_f32_e32 v11, v11, v13
	v_add_f32_e32 v18, v14, v11
	s_delay_alu instid0(VALU_DEP_1) | instskip(NEXT) | instid1(VALU_DEP_1)
	v_dual_add_f32 v17, v16, v15 :: v_dual_sub_f32 v14, v14, v18
	v_rcp_f32_e32 v13, v17
	v_sub_f32_e32 v16, v16, v17
	s_delay_alu instid0(VALU_DEP_1) | instskip(SKIP_2) | instid1(VALU_DEP_1)
	v_add_f32_e32 v15, v15, v16
	s_waitcnt_depctr 0xfff
	v_mul_f32_e32 v19, v18, v13
	v_dual_mul_f32 v66, v17, v19 :: v_dual_add_f32 v11, v11, v14
	s_delay_alu instid0(VALU_DEP_1) | instskip(NEXT) | instid1(VALU_DEP_1)
	v_fma_f32 v16, v19, v17, -v66
	v_fmac_f32_e32 v16, v19, v15
	s_delay_alu instid0(VALU_DEP_1) | instskip(NEXT) | instid1(VALU_DEP_1)
	v_add_f32_e32 v67, v66, v16
	v_sub_f32_e32 v68, v18, v67
	v_sub_f32_e32 v14, v67, v66
	s_delay_alu instid0(VALU_DEP_2) | instskip(NEXT) | instid1(VALU_DEP_1)
	v_sub_f32_e32 v18, v18, v68
	v_sub_f32_e32 v18, v18, v67
	s_delay_alu instid0(VALU_DEP_1) | instskip(NEXT) | instid1(VALU_DEP_1)
	v_dual_sub_f32 v14, v14, v16 :: v_dual_add_f32 v11, v11, v18
	v_add_f32_e32 v11, v14, v11
	s_delay_alu instid0(VALU_DEP_1) | instskip(NEXT) | instid1(VALU_DEP_1)
	v_add_f32_e32 v14, v68, v11
	v_mul_f32_e32 v16, v13, v14
	s_delay_alu instid0(VALU_DEP_1) | instskip(NEXT) | instid1(VALU_DEP_1)
	v_dual_sub_f32 v67, v68, v14 :: v_dual_mul_f32 v18, v17, v16
	v_add_f32_e32 v11, v11, v67
	s_delay_alu instid0(VALU_DEP_2) | instskip(NEXT) | instid1(VALU_DEP_1)
	v_fma_f32 v17, v16, v17, -v18
	v_fmac_f32_e32 v17, v16, v15
	s_delay_alu instid0(VALU_DEP_1) | instskip(NEXT) | instid1(VALU_DEP_1)
	v_add_f32_e32 v15, v18, v17
	v_sub_f32_e32 v66, v14, v15
	s_delay_alu instid0(VALU_DEP_1) | instskip(NEXT) | instid1(VALU_DEP_1)
	v_sub_f32_e32 v14, v14, v66
	v_sub_f32_e32 v14, v14, v15
	s_delay_alu instid0(VALU_DEP_1) | instskip(SKIP_2) | instid1(VALU_DEP_1)
	v_add_f32_e32 v11, v11, v14
	v_add_f32_e32 v14, v19, v16
	v_sub_f32_e32 v18, v15, v18
	v_sub_f32_e32 v15, v18, v17
	s_delay_alu instid0(VALU_DEP_1) | instskip(NEXT) | instid1(VALU_DEP_4)
	v_add_f32_e32 v11, v15, v11
	v_sub_f32_e32 v15, v14, v19
	s_delay_alu instid0(VALU_DEP_2) | instskip(NEXT) | instid1(VALU_DEP_2)
	v_add_f32_e32 v11, v66, v11
	v_sub_f32_e32 v15, v16, v15
	s_delay_alu instid0(VALU_DEP_2) | instskip(NEXT) | instid1(VALU_DEP_1)
	v_mul_f32_e32 v11, v13, v11
	v_add_f32_e32 v11, v15, v11
	s_delay_alu instid0(VALU_DEP_1) | instskip(NEXT) | instid1(VALU_DEP_1)
	v_add_f32_e32 v13, v14, v11
	v_mul_f32_e32 v15, v13, v13
	s_delay_alu instid0(VALU_DEP_1) | instskip(SKIP_1) | instid1(VALU_DEP_2)
	v_fmaak_f32 v16, s31, v15, 0x3ecc95a3
	v_mul_f32_e32 v17, v13, v15
	v_fmaak_f32 v15, v15, v16, 0x3f2aaada
	v_ldexp_f32 v16, v13, 1
	v_sub_f32_e32 v13, v13, v14
	s_delay_alu instid0(VALU_DEP_3) | instskip(SKIP_1) | instid1(VALU_DEP_2)
	v_mul_f32_e32 v15, v17, v15
	v_mul_f32_e32 v17, 0x3f317218, v10
	v_dual_sub_f32 v11, v11, v13 :: v_dual_add_f32 v14, v16, v15
	s_delay_alu instid0(VALU_DEP_1) | instskip(NEXT) | instid1(VALU_DEP_2)
	v_ldexp_f32 v11, v11, 1
	v_sub_f32_e32 v13, v14, v16
	s_delay_alu instid0(VALU_DEP_4) | instskip(NEXT) | instid1(VALU_DEP_1)
	v_fma_f32 v16, 0x3f317218, v10, -v17
	v_dual_sub_f32 v13, v15, v13 :: v_dual_fmac_f32 v16, 0xb102e308, v10
	s_delay_alu instid0(VALU_DEP_1) | instskip(NEXT) | instid1(VALU_DEP_1)
	v_dual_add_f32 v10, v11, v13 :: v_dual_add_f32 v11, v17, v16
	v_add_f32_e32 v13, v14, v10
	s_delay_alu instid0(VALU_DEP_2) | instskip(NEXT) | instid1(VALU_DEP_2)
	v_sub_f32_e32 v17, v11, v17
	v_dual_add_f32 v15, v11, v13 :: v_dual_sub_f32 v14, v13, v14
	s_delay_alu instid0(VALU_DEP_2) | instskip(NEXT) | instid1(VALU_DEP_2)
	v_sub_f32_e32 v16, v16, v17
	v_sub_f32_e32 v18, v15, v11
	s_delay_alu instid0(VALU_DEP_3) | instskip(NEXT) | instid1(VALU_DEP_2)
	v_sub_f32_e32 v10, v10, v14
	v_sub_f32_e32 v19, v15, v18
	;; [unrolled: 1-line block ×3, first 2 shown]
	s_delay_alu instid0(VALU_DEP_2) | instskip(NEXT) | instid1(VALU_DEP_1)
	v_dual_add_f32 v14, v16, v10 :: v_dual_sub_f32 v11, v11, v19
	v_add_f32_e32 v11, v13, v11
	s_delay_alu instid0(VALU_DEP_2) | instskip(NEXT) | instid1(VALU_DEP_2)
	v_sub_f32_e32 v13, v14, v16
	v_add_f32_e32 v11, v14, v11
	s_delay_alu instid0(VALU_DEP_2) | instskip(NEXT) | instid1(VALU_DEP_2)
	v_sub_f32_e32 v14, v14, v13
	v_dual_sub_f32 v10, v10, v13 :: v_dual_add_f32 v17, v15, v11
	s_delay_alu instid0(VALU_DEP_1) | instskip(NEXT) | instid1(VALU_DEP_1)
	v_dual_sub_f32 v14, v16, v14 :: v_dual_sub_f32 v13, v17, v15
	v_dual_add_f32 v10, v10, v14 :: v_dual_sub_f32 v11, v11, v13
	s_delay_alu instid0(VALU_DEP_1) | instskip(NEXT) | instid1(VALU_DEP_1)
	v_add_f32_e32 v10, v10, v11
	v_add_f32_e32 v10, v17, v10
	s_delay_alu instid0(VALU_DEP_1)
	v_cndmask_b32_e32 v74, v10, v12, vcc_lo
.LBB143_58:                             ;   in Loop: Header=BB143_12 Depth=1
	s_or_b32 exec_lo, exec_lo, s21
	v_dual_mul_f32 v66, s63, v8 :: v_dual_mul_f32 v67, s63, v7
	v_dual_mul_f32 v68, s63, v6 :: v_dual_mul_f32 v69, s63, v5
	;; [unrolled: 1-line block ×4, first 2 shown]
	s_and_b32 vcc_lo, exec_lo, s74
	s_barrier
	buffer_gl0_inv
	s_cbranch_vccz .LBB143_122
; %bb.59:                               ;   in Loop: Header=BB143_12 Depth=1
	v_dual_mul_f32 v75, v9, v74 :: v_dual_mul_f32 v80, v8, v65
	v_add_co_u32 v9, s20, s41, v57
	s_delay_alu instid0(VALU_DEP_1) | instskip(SKIP_1) | instid1(VALU_DEP_1)
	v_add_co_ci_u32_e64 v10, null, s68, 0, s20
	v_add_co_u32 v11, s20, s53, v57
	v_add_co_ci_u32_e64 v12, null, s69, 0, s20
	s_delay_alu instid0(VALU_DEP_4) | instskip(NEXT) | instid1(VALU_DEP_4)
	v_add_co_u32 v76, vcc_lo, v9, v58
	v_add_co_ci_u32_e32 v77, vcc_lo, 0, v10, vcc_lo
	s_delay_alu instid0(VALU_DEP_4) | instskip(NEXT) | instid1(VALU_DEP_4)
	v_add_co_u32 v78, vcc_lo, v11, v58
	v_add_co_ci_u32_e32 v79, vcc_lo, 0, v12, vcc_lo
	v_cmp_gt_u32_e32 vcc_lo, s23, v20
	s_cmp_lg_u32 s78, 0
	v_cmp_gt_u32_e64 s21, s23, v50
	s_cselect_b32 s39, -1, 0
	s_cmp_eq_u32 s78, s76
	v_cmp_gt_u32_e64 s22, s23, v51
	s_cselect_b32 s79, -1, 0
	s_or_b32 s20, s75, vcc_lo
	v_cmp_gt_u32_e32 vcc_lo, s23, v52
	v_cmp_gt_u32_e64 s24, s23, v53
	v_cmp_gt_u32_e64 s25, s23, v54
	;; [unrolled: 1-line block ×4, first 2 shown]
	v_dual_mul_f32 v81, v7, v64 :: v_dual_mul_f32 v82, v6, v63
	v_dual_mul_f32 v83, v5, v62 :: v_dual_mul_f32 v84, v4, v61
	;; [unrolled: 1-line block ×3, first 2 shown]
	s_or_b32 s21, s75, s21
	s_or_b32 s22, s75, s22
	s_or_b32 s23, s75, vcc_lo
	s_or_b32 s24, s75, s24
	s_or_b32 s25, s75, s25
	;; [unrolled: 1-line block ×4, first 2 shown]
	s_mov_b32 s60, s44
	s_mov_b32 s42, 0
	;; [unrolled: 1-line block ×6, first 2 shown]
	s_branch .LBB143_61
.LBB143_60:                             ;   in Loop: Header=BB143_61 Depth=2
	s_or_b32 exec_lo, exec_lo, s28
	v_cndmask_b32_e64 v10, v100, v15, s11
	v_cndmask_b32_e64 v11, v99, v14, s11
	s_add_i32 s80, s80, -1
	s_add_i32 s81, s81, 8
	s_add_i32 s56, s56, s58
	v_fma_f32 v10, v10, v89, v18
	v_mul_f32_e32 v11, v11, v89
	s_add_i32 s54, s54, s52
	s_add_i32 s42, s42, s40
	;; [unrolled: 1-line block ×3, first 2 shown]
	v_cndmask_b32_e64 v10, v10, v18, s10
	v_cndmask_b32_e64 v11, v11, v89, s10
	s_cmp_eq_u32 s80, 0
	s_waitcnt lgkmcnt(0)
	s_delay_alu instid0(VALU_DEP_1) | instskip(NEXT) | instid1(VALU_DEP_1)
	v_fmac_f32_e32 v10, v12, v11
	v_fmac_f32_e32 v16, v10, v88
	s_delay_alu instid0(VALU_DEP_1) | instskip(NEXT) | instid1(VALU_DEP_1)
	v_dual_fmac_f32 v19, v16, v91 :: v_dual_fmac_f32 v72, v9, v16
	v_fmac_f32_e32 v17, v19, v92
	v_fmac_f32_e32 v73, v8, v10
	s_delay_alu instid0(VALU_DEP_2) | instskip(SKIP_1) | instid1(VALU_DEP_2)
	v_fmac_f32_e32 v87, v17, v94
	v_fmac_f32_e32 v69, v7, v17
	;; [unrolled: 1-line block ×5, first 2 shown]
	s_delay_alu instid0(VALU_DEP_3) | instskip(NEXT) | instid1(VALU_DEP_1)
	v_fmac_f32_e32 v93, v90, v96
	v_dual_fmac_f32 v67, v3, v90 :: v_dual_fmac_f32 v66, v4, v93
	v_fmac_f32_e32 v95, v93, v97
	s_delay_alu instid0(VALU_DEP_1)
	v_fmac_f32_e32 v71, v5, v95
	s_cbranch_scc1 .LBB143_122
.LBB143_61:                             ;   Parent Loop BB143_12 Depth=1
                                        ; =>  This Inner Loop Header: Depth=2
	s_lshl_b64 s[28:29], s[60:61], 2
	s_mov_b32 s43, s61
	s_add_u32 s28, s67, s28
	s_addc_u32 s29, s59, s29
	s_mov_b32 s45, s44
	global_load_b32 v87, v1, s[28:29]
	s_lshl_b64 s[28:29], s[42:43], 2
	s_mov_b32 s46, s44
	s_mov_b32 s47, s44
	;; [unrolled: 1-line block ×6, first 2 shown]
	v_add_co_u32 v10, vcc_lo, v76, s28
	v_dual_mov_b32 v2, s44 :: v_dual_mov_b32 v3, s45
	v_add_co_ci_u32_e32 v11, vcc_lo, s29, v77, vcc_lo
	v_dual_mov_b32 v4, s46 :: v_dual_mov_b32 v5, s47
	v_dual_mov_b32 v6, s48 :: v_dual_mov_b32 v7, s49
	;; [unrolled: 1-line block ×3, first 2 shown]
	v_mov_b32_e32 v12, 0
	s_and_saveexec_b32 s28, s12
	s_cbranch_execnz .LBB143_81
; %bb.62:                               ;   in Loop: Header=BB143_61 Depth=2
	s_or_b32 exec_lo, exec_lo, s28
	s_and_saveexec_b32 s28, s13
	s_cbranch_execnz .LBB143_82
.LBB143_63:                             ;   in Loop: Header=BB143_61 Depth=2
	s_or_b32 exec_lo, exec_lo, s28
	s_and_saveexec_b32 s28, s14
	s_cbranch_execnz .LBB143_83
.LBB143_64:                             ;   in Loop: Header=BB143_61 Depth=2
	s_or_b32 exec_lo, exec_lo, s28
	s_and_saveexec_b32 s28, s15
	s_cbranch_execnz .LBB143_84
.LBB143_65:                             ;   in Loop: Header=BB143_61 Depth=2
	s_or_b32 exec_lo, exec_lo, s28
	s_and_saveexec_b32 s28, s16
	s_cbranch_execnz .LBB143_85
.LBB143_66:                             ;   in Loop: Header=BB143_61 Depth=2
	s_or_b32 exec_lo, exec_lo, s28
	s_and_saveexec_b32 s28, s17
	s_cbranch_execnz .LBB143_86
.LBB143_67:                             ;   in Loop: Header=BB143_61 Depth=2
	s_or_b32 exec_lo, exec_lo, s28
	s_and_saveexec_b32 s28, s18
	s_cbranch_execnz .LBB143_87
.LBB143_68:                             ;   in Loop: Header=BB143_61 Depth=2
	s_or_b32 exec_lo, exec_lo, s28
	s_and_saveexec_b32 s28, s19
	s_cbranch_execz .LBB143_70
.LBB143_69:                             ;   in Loop: Header=BB143_61 Depth=2
	global_load_b32 v9, v[10:11], off offset:896
.LBB143_70:                             ;   in Loop: Header=BB143_61 Depth=2
	s_or_b32 exec_lo, exec_lo, s28
	s_waitcnt vmcnt(0)
	ds_store_b32 v29, v12
	ds_store_b32 v30, v3 offset:128
	ds_store_b32 v31, v4 offset:256
	;; [unrolled: 1-line block ×7, first 2 shown]
	; wave barrier
	ds_load_2addr_b32 v[18:19], v37 offset1:1
	ds_load_2addr_b32 v[16:17], v37 offset0:2 offset1:3
	ds_load_2addr_b32 v[14:15], v37 offset0:4 offset1:5
	;; [unrolled: 1-line block ×3, first 2 shown]
	s_mov_b32 s55, s61
	s_mov_b32 s84, s61
	s_lshl_b64 s[28:29], s[54:55], 2
	s_mov_b32 s85, s61
	s_mov_b32 s86, s61
	;; [unrolled: 1-line block ×7, first 2 shown]
	v_add_co_u32 v10, vcc_lo, v78, s28
	v_dual_mov_b32 v2, s84 :: v_dual_mov_b32 v3, s85
	v_add_co_ci_u32_e32 v11, vcc_lo, s29, v79, vcc_lo
	v_dual_mov_b32 v4, s86 :: v_dual_mov_b32 v5, s87
	v_dual_mov_b32 v6, s88 :: v_dual_mov_b32 v7, s89
	;; [unrolled: 1-line block ×3, first 2 shown]
	v_mov_b32_e32 v88, 0
	s_and_saveexec_b32 s28, s12
	s_cbranch_execnz .LBB143_88
; %bb.71:                               ;   in Loop: Header=BB143_61 Depth=2
	s_or_b32 exec_lo, exec_lo, s28
	s_and_saveexec_b32 s28, s13
	s_cbranch_execnz .LBB143_89
.LBB143_72:                             ;   in Loop: Header=BB143_61 Depth=2
	s_or_b32 exec_lo, exec_lo, s28
	s_and_saveexec_b32 s28, s14
	s_cbranch_execnz .LBB143_90
.LBB143_73:                             ;   in Loop: Header=BB143_61 Depth=2
	s_or_b32 exec_lo, exec_lo, s28
	s_and_saveexec_b32 s28, s15
	s_cbranch_execnz .LBB143_91
.LBB143_74:                             ;   in Loop: Header=BB143_61 Depth=2
	s_or_b32 exec_lo, exec_lo, s28
	s_and_saveexec_b32 s28, s16
	s_cbranch_execnz .LBB143_92
.LBB143_75:                             ;   in Loop: Header=BB143_61 Depth=2
	s_or_b32 exec_lo, exec_lo, s28
	s_and_saveexec_b32 s28, s17
	s_cbranch_execnz .LBB143_93
.LBB143_76:                             ;   in Loop: Header=BB143_61 Depth=2
	s_or_b32 exec_lo, exec_lo, s28
	s_and_saveexec_b32 s28, s18
	s_cbranch_execnz .LBB143_94
.LBB143_77:                             ;   in Loop: Header=BB143_61 Depth=2
	s_or_b32 exec_lo, exec_lo, s28
	s_and_saveexec_b32 s28, s19
	s_cbranch_execz .LBB143_79
.LBB143_78:                             ;   in Loop: Header=BB143_61 Depth=2
	global_load_b32 v9, v[10:11], off offset:896
.LBB143_79:                             ;   in Loop: Header=BB143_61 Depth=2
	s_or_b32 exec_lo, exec_lo, s28
	s_waitcnt vmcnt(0)
	ds_store_b32 v29, v88 offset:2112
	ds_store_b32 v38, v3 offset:128
	ds_store_b32 v39, v4 offset:256
	ds_store_b32 v40, v5 offset:384
	ds_store_b32 v41, v6 offset:512
	ds_store_b32 v42, v7 offset:640
	ds_store_b32 v43, v8 offset:768
	ds_store_b32 v44, v9 offset:896
	v_add_nc_u32_e32 v4, 0x840, v37
	; wave barrier
	ds_load_2addr_b32 v[6:7], v45 offset0:2 offset1:3
	ds_load_2addr_b32 v[2:3], v45 offset0:4 offset1:5
	ds_load_2addr_b32 v[8:9], v4 offset1:1
	ds_load_2addr_b32 v[4:5], v45 offset0:6 offset1:7
	s_and_not1_b32 vcc_lo, exec_lo, s39
	s_cbranch_vccnz .LBB143_95
; %bb.80:                               ;   in Loop: Header=BB143_61 Depth=2
	v_mov_b32_e32 v10, s81
	ds_load_b64 v[10:11], v10
	s_cbranch_execz .LBB143_96
	s_branch .LBB143_99
.LBB143_81:                             ;   in Loop: Header=BB143_61 Depth=2
	global_load_b32 v12, v[10:11], off
	v_mov_b32_e32 v7, v1
	v_mov_b32_e32 v2, v1
	;; [unrolled: 1-line block ×7, first 2 shown]
	s_delay_alu instid0(VALU_DEP_2)
	v_dual_mov_b32 v8, v6 :: v_dual_mov_b32 v7, v5
	v_mov_b32_e32 v6, v4
	v_mov_b32_e32 v5, v3
	;; [unrolled: 1-line block ×5, first 2 shown]
	s_or_b32 exec_lo, exec_lo, s28
	s_and_saveexec_b32 s28, s13
	s_cbranch_execz .LBB143_63
.LBB143_82:                             ;   in Loop: Header=BB143_61 Depth=2
	global_load_b32 v3, v[10:11], off offset:128
	s_or_b32 exec_lo, exec_lo, s28
	s_and_saveexec_b32 s28, s14
	s_cbranch_execz .LBB143_64
.LBB143_83:                             ;   in Loop: Header=BB143_61 Depth=2
	global_load_b32 v4, v[10:11], off offset:256
	s_or_b32 exec_lo, exec_lo, s28
	s_and_saveexec_b32 s28, s15
	s_cbranch_execz .LBB143_65
.LBB143_84:                             ;   in Loop: Header=BB143_61 Depth=2
	global_load_b32 v5, v[10:11], off offset:384
	s_or_b32 exec_lo, exec_lo, s28
	s_and_saveexec_b32 s28, s16
	s_cbranch_execz .LBB143_66
.LBB143_85:                             ;   in Loop: Header=BB143_61 Depth=2
	global_load_b32 v6, v[10:11], off offset:512
	s_or_b32 exec_lo, exec_lo, s28
	s_and_saveexec_b32 s28, s17
	s_cbranch_execz .LBB143_67
.LBB143_86:                             ;   in Loop: Header=BB143_61 Depth=2
	global_load_b32 v7, v[10:11], off offset:640
	s_or_b32 exec_lo, exec_lo, s28
	s_and_saveexec_b32 s28, s18
	s_cbranch_execz .LBB143_68
.LBB143_87:                             ;   in Loop: Header=BB143_61 Depth=2
	global_load_b32 v8, v[10:11], off offset:768
	s_or_b32 exec_lo, exec_lo, s28
	s_and_saveexec_b32 s28, s19
	s_cbranch_execnz .LBB143_69
	s_branch .LBB143_70
.LBB143_88:                             ;   in Loop: Header=BB143_61 Depth=2
	global_load_b32 v88, v[10:11], off
	v_mov_b32_e32 v7, v1
	v_mov_b32_e32 v2, v1
	;; [unrolled: 1-line block ×7, first 2 shown]
	s_delay_alu instid0(VALU_DEP_2)
	v_dual_mov_b32 v8, v6 :: v_dual_mov_b32 v7, v5
	v_mov_b32_e32 v6, v4
	v_mov_b32_e32 v5, v3
	;; [unrolled: 1-line block ×5, first 2 shown]
	s_or_b32 exec_lo, exec_lo, s28
	s_and_saveexec_b32 s28, s13
	s_cbranch_execz .LBB143_72
.LBB143_89:                             ;   in Loop: Header=BB143_61 Depth=2
	global_load_b32 v3, v[10:11], off offset:128
	s_or_b32 exec_lo, exec_lo, s28
	s_and_saveexec_b32 s28, s14
	s_cbranch_execz .LBB143_73
.LBB143_90:                             ;   in Loop: Header=BB143_61 Depth=2
	global_load_b32 v4, v[10:11], off offset:256
	s_or_b32 exec_lo, exec_lo, s28
	s_and_saveexec_b32 s28, s15
	s_cbranch_execz .LBB143_74
.LBB143_91:                             ;   in Loop: Header=BB143_61 Depth=2
	global_load_b32 v5, v[10:11], off offset:384
	s_or_b32 exec_lo, exec_lo, s28
	s_and_saveexec_b32 s28, s16
	s_cbranch_execz .LBB143_75
.LBB143_92:                             ;   in Loop: Header=BB143_61 Depth=2
	global_load_b32 v6, v[10:11], off offset:512
	s_or_b32 exec_lo, exec_lo, s28
	s_and_saveexec_b32 s28, s17
	s_cbranch_execz .LBB143_76
.LBB143_93:                             ;   in Loop: Header=BB143_61 Depth=2
	global_load_b32 v7, v[10:11], off offset:640
	s_or_b32 exec_lo, exec_lo, s28
	s_and_saveexec_b32 s28, s18
	s_cbranch_execz .LBB143_77
.LBB143_94:                             ;   in Loop: Header=BB143_61 Depth=2
	global_load_b32 v8, v[10:11], off offset:768
	s_or_b32 exec_lo, exec_lo, s28
	s_and_saveexec_b32 s28, s19
	s_cbranch_execnz .LBB143_78
	s_branch .LBB143_79
.LBB143_95:                             ;   in Loop: Header=BB143_61 Depth=2
                                        ; implicit-def: $vgpr10
.LBB143_96:                             ;   in Loop: Header=BB143_61 Depth=2
	s_waitcnt lgkmcnt(0)
	v_mov_b32_e32 v11, 0
	s_and_not1_b32 vcc_lo, exec_lo, s33
	s_cbranch_vccnz .LBB143_98
; %bb.97:                               ;   in Loop: Header=BB143_61 Depth=2
	s_mov_b32 s57, s61
	s_delay_alu instid0(SALU_CYCLE_1) | instskip(NEXT) | instid1(SALU_CYCLE_1)
	s_lshl_b64 s[28:29], s[56:57], 2
	s_add_u32 s28, s70, s28
	s_addc_u32 s29, s71, s29
	global_load_b32 v11, v1, s[28:29]
.LBB143_98:                             ;   in Loop: Header=BB143_61 Depth=2
	v_mov_b32_e32 v10, 1.0
.LBB143_99:                             ;   in Loop: Header=BB143_61 Depth=2
	s_waitcnt lgkmcnt(15)
	v_dual_mul_f32 v93, 0x3fb8aa3b, v87 :: v_dual_mul_f32 v18, v18, v86
	s_waitcnt lgkmcnt(14)
	v_dual_mul_f32 v19, v19, v85 :: v_dual_mul_f32 v90, v16, v84
	s_waitcnt lgkmcnt(13)
	s_delay_alu instid0(VALU_DEP_2)
	v_dual_mul_f32 v15, v15, v81 :: v_dual_mul_f32 v88, v93, v60
	v_mul_f32_e32 v87, v93, v59
	v_mul_f32_e32 v94, v93, v63
	;; [unrolled: 1-line block ×3, first 2 shown]
	v_cndmask_b32_e64 v18, 0, v18, s20
	v_cmp_gt_f32_e64 s28, 0xc2fc0000, v88
	v_cmp_gt_f32_e32 vcc_lo, 0xc2fc0000, v87
	v_cndmask_b32_e64 v16, 0, v19, s21
	v_mul_f32_e32 v14, v14, v82
	s_waitcnt lgkmcnt(12)
	v_mul_f32_e32 v12, v12, v80
	v_cndmask_b32_e64 v88, 0, 0x42800000, s28
	v_cndmask_b32_e64 v91, 1.0, 0x1f800000, vcc_lo
	v_cndmask_b32_e64 v92, 1.0, 0x1f800000, s28
	v_cndmask_b32_e64 v87, 0, 0x42800000, vcc_lo
	v_cmp_gt_f32_e32 vcc_lo, 0xc2fc0000, v94
	v_fmac_f32_e32 v88, v93, v60
	s_delay_alu instid0(VALU_DEP_1) | instskip(SKIP_2) | instid1(VALU_DEP_1)
	v_exp_f32_e32 v88, v88
	s_waitcnt_depctr 0xfff
	v_dual_mul_f32 v89, v93, v61 :: v_dual_mul_f32 v88, v88, v92
	v_cmp_gt_f32_e64 s29, 0xc2fc0000, v89
	s_delay_alu instid0(VALU_DEP_2) | instskip(NEXT) | instid1(VALU_DEP_2)
	v_cndmask_b32_e64 v88, 1.0, v88, s21
	v_cndmask_b32_e64 v89, 0, 0x42800000, s29
	v_cndmask_b32_e64 v92, 1.0, 0x1f800000, s29
	s_delay_alu instid0(VALU_DEP_3) | instskip(NEXT) | instid1(VALU_DEP_3)
	v_fma_f32 v97, v88, v18, v16
	v_fmac_f32_e32 v89, v93, v61
	s_delay_alu instid0(VALU_DEP_1) | instskip(SKIP_2) | instid1(VALU_DEP_1)
	v_exp_f32_e32 v95, v89
	s_waitcnt_depctr 0xfff
	v_dual_fmac_f32 v87, v93, v59 :: v_dual_mul_f32 v92, v95, v92
	v_exp_f32_e32 v87, v87
	s_waitcnt_depctr 0xfff
	v_mul_f32_e32 v87, v87, v91
	v_cndmask_b32_e64 v91, 0, 0x42800000, vcc_lo
	s_delay_alu instid0(VALU_DEP_2) | instskip(SKIP_1) | instid1(VALU_DEP_3)
	v_cndmask_b32_e64 v89, 1.0, v87, s20
	v_mul_f32_e32 v19, v93, v62
	v_fmac_f32_e32 v91, v93, v63
	v_mul_f32_e32 v87, v93, v64
	s_delay_alu instid0(VALU_DEP_3) | instskip(NEXT) | instid1(VALU_DEP_3)
	v_cmp_gt_f32_e64 s30, 0xc2fc0000, v19
	v_exp_f32_e32 v95, v91
	v_cndmask_b32_e64 v91, 1.0, v92, s22
	s_delay_alu instid0(VALU_DEP_3) | instskip(NEXT) | instid1(VALU_DEP_3)
	v_cmp_gt_f32_e64 s28, 0xc2fc0000, v87
	v_cndmask_b32_e64 v19, 0, 0x42800000, s30
	s_delay_alu instid0(VALU_DEP_2) | instskip(NEXT) | instid1(VALU_DEP_2)
	v_cndmask_b32_e64 v87, 0, 0x42800000, s28
	v_fmac_f32_e32 v19, v93, v62
	s_delay_alu instid0(VALU_DEP_1)
	v_exp_f32_e32 v94, v19
	v_cndmask_b32_e64 v19, 0, v90, s22
	v_cndmask_b32_e64 v90, 1.0, 0x1f800000, s30
	s_waitcnt_depctr 0xfff
	v_mul_f32_e32 v90, v94, v90
	v_cndmask_b32_e64 v94, 1.0, 0x1f800000, vcc_lo
	v_cmp_gt_f32_e32 vcc_lo, 0xc2fc0000, v96
	v_mul_f32_e32 v96, v93, v74
	s_delay_alu instid0(VALU_DEP_4) | instskip(NEXT) | instid1(VALU_DEP_4)
	v_cndmask_b32_e64 v92, 1.0, v90, s23
	v_mul_f32_e32 v94, v95, v94
	v_cndmask_b32_e64 v95, 0, 0x42800000, vcc_lo
	s_delay_alu instid0(VALU_DEP_2) | instskip(SKIP_1) | instid1(VALU_DEP_3)
	v_cndmask_b32_e64 v94, 1.0, v94, s24
	v_fmac_f32_e32 v87, v93, v64
	v_fmac_f32_e32 v95, v93, v65
	s_delay_alu instid0(VALU_DEP_2)
	v_exp_f32_e32 v90, v87
	v_cndmask_b32_e64 v87, 0, v14, s24
	v_cndmask_b32_e64 v14, 1.0, 0x1f800000, s28
	v_cmp_gt_f32_e64 s28, 0xc2fc0000, v96
	v_dual_mul_f32 v17, v17, v83 :: v_dual_mul_f32 v96, v88, v89
	v_exp_f32_e32 v95, v95
	s_waitcnt_depctr 0xfff
	v_mul_f32_e32 v14, v90, v14
	v_cndmask_b32_e64 v90, 0, v15, s25
	v_cndmask_b32_e64 v15, 0, 0x42800000, s28
	;; [unrolled: 1-line block ×3, first 2 shown]
	s_delay_alu instid0(VALU_DEP_4) | instskip(NEXT) | instid1(VALU_DEP_3)
	v_cndmask_b32_e64 v98, 1.0, v14, s25
	v_dual_mul_f32 v14, v96, v91 :: v_dual_fmac_f32 v15, v93, v74
	v_fma_f32 v93, v97, v91, v19
	v_cndmask_b32_e64 v96, 1.0, 0x1f800000, vcc_lo
	s_delay_alu instid0(VALU_DEP_3) | instskip(NEXT) | instid1(VALU_DEP_4)
	v_mul_f32_e32 v14, v14, v92
	v_exp_f32_e32 v15, v15
	s_delay_alu instid0(VALU_DEP_3) | instskip(SKIP_3) | instid1(VALU_DEP_4)
	v_fma_f32 v97, v93, v92, v17
	v_cndmask_b32_e64 v93, 0, v12, s26
	v_cndmask_b32_e64 v12, 1.0, 0x1f800000, s28
	v_dual_mul_f32 v14, v14, v94 :: v_dual_mul_f32 v95, v95, v96
	v_fma_f32 v97, v97, v94, v87
	s_delay_alu instid0(VALU_DEP_2)
	v_dual_mul_f32 v13, v13, v75 :: v_dual_mul_f32 v14, v14, v98
	s_delay_alu instid0(TRANS32_DEP_1) | instid1(VALU_DEP_4)
	v_mul_f32_e32 v12, v15, v12
	s_delay_alu instid0(VALU_DEP_4) | instskip(NEXT) | instid1(VALU_DEP_4)
	v_cndmask_b32_e64 v96, 1.0, v95, s26
	v_fma_f32 v15, v97, v98, v90
	s_delay_alu instid0(VALU_DEP_4) | instskip(NEXT) | instid1(VALU_DEP_4)
	v_cndmask_b32_e64 v95, 0, v13, s27
	v_cndmask_b32_e64 v97, 1.0, v12, s27
	s_delay_alu instid0(VALU_DEP_4) | instskip(NEXT) | instid1(VALU_DEP_4)
	v_mul_f32_e32 v12, v14, v96
	v_fma_f32 v13, v15, v96, v93
	s_delay_alu instid0(VALU_DEP_2) | instskip(NEXT) | instid1(VALU_DEP_2)
	v_mul_f32_e32 v12, v12, v97
	v_fma_f32 v13, v13, v97, v95
	s_delay_alu instid0(VALU_DEP_2) | instskip(NEXT) | instid1(VALU_DEP_2)
	v_mov_b32_dpp v15, v12 row_shr:1 row_mask:0xf bank_mask:0xf
	v_mov_b32_dpp v14, v13 row_shr:1 row_mask:0xf bank_mask:0xf
	s_and_saveexec_b32 s28, s0
; %bb.100:                              ;   in Loop: Header=BB143_61 Depth=2
	s_delay_alu instid0(VALU_DEP_2) | instskip(NEXT) | instid1(VALU_DEP_1)
	v_mul_f32_e32 v15, v12, v15
	v_dual_fmac_f32 v13, v12, v14 :: v_dual_mov_b32 v12, v15
; %bb.101:                              ;   in Loop: Header=BB143_61 Depth=2
	s_or_b32 exec_lo, exec_lo, s28
	s_delay_alu instid0(VALU_DEP_1) | instskip(NEXT) | instid1(VALU_DEP_2)
	v_mov_b32_dpp v14, v12 row_shr:2 row_mask:0xf bank_mask:0xf
	v_mov_b32_dpp v15, v13 row_shr:2 row_mask:0xf bank_mask:0xf
	s_and_saveexec_b32 s28, s1
; %bb.102:                              ;   in Loop: Header=BB143_61 Depth=2
	s_delay_alu instid0(VALU_DEP_1) | instskip(NEXT) | instid1(VALU_DEP_3)
	v_fmac_f32_e32 v13, v12, v15
	v_mul_f32_e32 v12, v12, v14
; %bb.103:                              ;   in Loop: Header=BB143_61 Depth=2
	s_or_b32 exec_lo, exec_lo, s28
	s_delay_alu instid0(VALU_DEP_1) | instskip(NEXT) | instid1(VALU_DEP_3)
	v_mov_b32_dpp v14, v12 row_shr:4 row_mask:0xf bank_mask:0xf
	v_mov_b32_dpp v15, v13 row_shr:4 row_mask:0xf bank_mask:0xf
	s_and_saveexec_b32 s28, s2
; %bb.104:                              ;   in Loop: Header=BB143_61 Depth=2
	s_delay_alu instid0(VALU_DEP_1) | instskip(NEXT) | instid1(VALU_DEP_3)
	v_fmac_f32_e32 v13, v12, v15
	v_mul_f32_e32 v12, v12, v14
; %bb.105:                              ;   in Loop: Header=BB143_61 Depth=2
	s_or_b32 exec_lo, exec_lo, s28
	s_delay_alu instid0(VALU_DEP_1) | instskip(NEXT) | instid1(VALU_DEP_3)
	v_mov_b32_dpp v14, v12 row_shr:8 row_mask:0xf bank_mask:0xf
	v_mov_b32_dpp v15, v13 row_shr:8 row_mask:0xf bank_mask:0xf
	s_and_saveexec_b32 s28, s3
; %bb.106:                              ;   in Loop: Header=BB143_61 Depth=2
	s_delay_alu instid0(VALU_DEP_1) | instskip(NEXT) | instid1(VALU_DEP_3)
	v_fmac_f32_e32 v13, v12, v15
	v_mul_f32_e32 v12, v12, v14
; %bb.107:                              ;   in Loop: Header=BB143_61 Depth=2
	s_or_b32 exec_lo, exec_lo, s28
	ds_swizzle_b32 v15, v12 offset:swizzle(BROADCAST,32,15)
	ds_swizzle_b32 v14, v13 offset:swizzle(BROADCAST,32,15)
	s_and_saveexec_b32 s28, s4
	s_cbranch_execz .LBB143_109
; %bb.108:                              ;   in Loop: Header=BB143_61 Depth=2
	s_waitcnt lgkmcnt(1)
	v_mul_f32_e32 v15, v12, v15
	s_waitcnt lgkmcnt(0)
	s_delay_alu instid0(VALU_DEP_1)
	v_dual_fmac_f32 v13, v12, v14 :: v_dual_mov_b32 v12, v15
.LBB143_109:                            ;   in Loop: Header=BB143_61 Depth=2
	s_or_b32 exec_lo, exec_lo, s28
	s_and_saveexec_b32 s28, s5
	s_cbranch_execz .LBB143_111
; %bb.110:                              ;   in Loop: Header=BB143_61 Depth=2
	ds_store_b64 v46, v[12:13] offset:4224
.LBB143_111:                            ;   in Loop: Header=BB143_61 Depth=2
	s_or_b32 exec_lo, exec_lo, s28
	s_waitcnt vmcnt(0) lgkmcnt(0)
	s_waitcnt_vscnt null, 0x0
	s_barrier
	buffer_gl0_inv
	s_and_saveexec_b32 s28, s6
	s_cbranch_execz .LBB143_113
; %bb.112:                              ;   in Loop: Header=BB143_61 Depth=2
	ds_load_b64 v[14:15], v47 offset:4224
	s_waitcnt lgkmcnt(0)
	v_mov_b32_dpp v99, v14 row_shr:1 row_mask:0xf bank_mask:0xf
	v_mov_b32_dpp v100, v15 row_shr:1 row_mask:0xf bank_mask:0xf
	s_delay_alu instid0(VALU_DEP_2) | instskip(NEXT) | instid1(VALU_DEP_2)
	v_mul_f32_e32 v99, v14, v99
	v_fma_f32 v100, v14, v100, v15
	s_delay_alu instid0(VALU_DEP_2) | instskip(NEXT) | instid1(VALU_DEP_2)
	v_cndmask_b32_e64 v14, v99, v14, s7
	v_cndmask_b32_e64 v15, v100, v15, s7
	ds_store_b64 v47, v[14:15] offset:4224
.LBB143_113:                            ;   in Loop: Header=BB143_61 Depth=2
	s_or_b32 exec_lo, exec_lo, s28
	s_waitcnt lgkmcnt(0)
	s_barrier
	buffer_gl0_inv
                                        ; implicit-def: $vgpr15
	s_and_saveexec_b32 s28, s9
	s_cbranch_execz .LBB143_115
; %bb.114:                              ;   in Loop: Header=BB143_61 Depth=2
	ds_load_b64 v[14:15], v46 offset:4216
	s_waitcnt lgkmcnt(0)
	v_mul_f32_e32 v99, v12, v14
	s_delay_alu instid0(VALU_DEP_1)
	v_dual_fmac_f32 v13, v12, v15 :: v_dual_mov_b32 v12, v99
.LBB143_115:                            ;   in Loop: Header=BB143_61 Depth=2
	s_or_b32 exec_lo, exec_lo, s28
	ds_bpermute_b32 v99, v48, v12
	ds_bpermute_b32 v100, v48, v13
	s_and_saveexec_b32 s28, s8
	s_cbranch_execz .LBB143_119
; %bb.116:                              ;   in Loop: Header=BB143_61 Depth=2
	ds_load_b64 v[12:13], v1 offset:4232
	s_and_saveexec_b32 s29, s10
	s_cbranch_execz .LBB143_118
; %bb.117:                              ;   in Loop: Header=BB143_61 Depth=2
	ds_store_b64 v1, v[10:11] offset:4232
.LBB143_118:                            ;   in Loop: Header=BB143_61 Depth=2
	s_or_b32 exec_lo, exec_lo, s29
	s_waitcnt lgkmcnt(0)
	v_fmac_f32_e32 v13, v11, v12
	s_delay_alu instid0(VALU_DEP_1)
	v_dual_mul_f32 v10, v10, v12 :: v_dual_mov_b32 v11, v13
.LBB143_119:                            ;   in Loop: Header=BB143_61 Depth=2
	s_or_b32 exec_lo, exec_lo, s28
	s_waitcnt lgkmcnt(0)
	s_barrier
	buffer_gl0_inv
	ds_load_b32 v12, v1 offset:4236
	s_and_saveexec_b32 s28, s10
	s_cbranch_execz .LBB143_60
; %bb.120:                              ;   in Loop: Header=BB143_61 Depth=2
	v_mov_b32_e32 v13, s81
	s_and_not1_b32 vcc_lo, exec_lo, s79
	ds_store_b64 v13, v[10:11]
	s_cbranch_vccnz .LBB143_60
; %bb.121:                              ;   in Loop: Header=BB143_61 Depth=2
	s_mov_b32 s57, s61
	s_delay_alu instid0(SALU_CYCLE_1) | instskip(NEXT) | instid1(SALU_CYCLE_1)
	s_lshl_b64 s[46:47], s[56:57], 2
	s_add_u32 s46, s70, s46
	s_addc_u32 s47, s71, s47
	global_store_b32 v1, v11, s[46:47]
	s_branch .LBB143_60
.LBB143_122:                            ;   in Loop: Header=BB143_12 Depth=1
	s_waitcnt_vscnt null, 0x0
	s_barrier
	buffer_gl0_inv
	ds_store_2addr_b32 v37, v73, v72 offset1:1
	ds_store_2addr_b32 v37, v70, v69 offset0:2 offset1:3
	ds_store_2addr_b32 v37, v68, v67 offset0:4 offset1:5
	;; [unrolled: 1-line block ×3, first 2 shown]
	; wave barrier
	ds_load_b32 v10, v30 offset:128
	ds_load_b32 v9, v31 offset:256
	ds_load_b32 v8, v32 offset:384
	ds_load_b32 v7, v33 offset:512
	ds_load_b32 v6, v34 offset:640
	ds_load_b32 v5, v35 offset:768
	ds_load_b32 v4, v36 offset:896
	s_mov_b32 s39, s61
	s_delay_alu instid0(SALU_CYCLE_1) | instskip(NEXT) | instid1(SALU_CYCLE_1)
	s_lshl_b64 s[20:21], s[38:39], 2
	v_add_co_u32 v2, vcc_lo, v0, s20
	v_add_co_ci_u32_e32 v3, vcc_lo, s21, v49, vcc_lo
	s_and_saveexec_b32 s20, s12
	s_cbranch_execnz .LBB143_132
; %bb.123:                              ;   in Loop: Header=BB143_12 Depth=1
	s_or_b32 exec_lo, exec_lo, s20
	s_and_saveexec_b32 s12, s13
	s_cbranch_execnz .LBB143_133
.LBB143_124:                            ;   in Loop: Header=BB143_12 Depth=1
	s_or_b32 exec_lo, exec_lo, s12
	s_and_saveexec_b32 s12, s14
	s_cbranch_execnz .LBB143_134
.LBB143_125:                            ;   in Loop: Header=BB143_12 Depth=1
	s_or_b32 exec_lo, exec_lo, s12
	s_and_saveexec_b32 s12, s15
	s_cbranch_execnz .LBB143_135
.LBB143_126:                            ;   in Loop: Header=BB143_12 Depth=1
	s_or_b32 exec_lo, exec_lo, s12
	s_and_saveexec_b32 s12, s16
	s_cbranch_execnz .LBB143_136
.LBB143_127:                            ;   in Loop: Header=BB143_12 Depth=1
	s_or_b32 exec_lo, exec_lo, s12
	s_and_saveexec_b32 s12, s17
	s_cbranch_execnz .LBB143_137
.LBB143_128:                            ;   in Loop: Header=BB143_12 Depth=1
	s_or_b32 exec_lo, exec_lo, s12
	s_and_saveexec_b32 s12, s18
	s_cbranch_execnz .LBB143_138
.LBB143_129:                            ;   in Loop: Header=BB143_12 Depth=1
	s_or_b32 exec_lo, exec_lo, s12
	s_and_saveexec_b32 s12, s19
	s_cbranch_execz .LBB143_11
	s_branch .LBB143_139
.LBB143_130:                            ;   in Loop: Header=BB143_12 Depth=1
	global_load_b32 v18, v[10:11], off offset:640
	s_or_b32 exec_lo, exec_lo, s20
	s_and_saveexec_b32 s20, s18
	s_cbranch_execz .LBB143_40
.LBB143_131:                            ;   in Loop: Header=BB143_12 Depth=1
	global_load_b32 v17, v[10:11], off offset:768
	s_or_b32 exec_lo, exec_lo, s20
	v_mov_b32_e32 v19, 0
	s_and_saveexec_b32 s20, s19
	s_cbranch_execnz .LBB143_41
	s_branch .LBB143_42
.LBB143_132:                            ;   in Loop: Header=BB143_12 Depth=1
	ds_load_b32 v11, v29
	s_waitcnt lgkmcnt(0)
	global_store_b32 v[2:3], v11, off
	s_or_b32 exec_lo, exec_lo, s20
	s_and_saveexec_b32 s12, s13
	s_cbranch_execz .LBB143_124
.LBB143_133:                            ;   in Loop: Header=BB143_12 Depth=1
	s_waitcnt lgkmcnt(6)
	global_store_b32 v[2:3], v10, off offset:128
	s_or_b32 exec_lo, exec_lo, s12
	s_and_saveexec_b32 s12, s14
	s_cbranch_execz .LBB143_125
.LBB143_134:                            ;   in Loop: Header=BB143_12 Depth=1
	s_waitcnt lgkmcnt(5)
	global_store_b32 v[2:3], v9, off offset:256
	s_or_b32 exec_lo, exec_lo, s12
	s_and_saveexec_b32 s12, s15
	s_cbranch_execz .LBB143_126
.LBB143_135:                            ;   in Loop: Header=BB143_12 Depth=1
	s_waitcnt lgkmcnt(4)
	global_store_b32 v[2:3], v8, off offset:384
	s_or_b32 exec_lo, exec_lo, s12
	s_and_saveexec_b32 s12, s16
	s_cbranch_execz .LBB143_127
.LBB143_136:                            ;   in Loop: Header=BB143_12 Depth=1
	s_waitcnt lgkmcnt(3)
	global_store_b32 v[2:3], v7, off offset:512
	s_or_b32 exec_lo, exec_lo, s12
	s_and_saveexec_b32 s12, s17
	s_cbranch_execz .LBB143_128
.LBB143_137:                            ;   in Loop: Header=BB143_12 Depth=1
	s_waitcnt lgkmcnt(2)
	global_store_b32 v[2:3], v6, off offset:640
	s_or_b32 exec_lo, exec_lo, s12
	s_and_saveexec_b32 s12, s18
	s_cbranch_execz .LBB143_129
.LBB143_138:                            ;   in Loop: Header=BB143_12 Depth=1
	s_waitcnt lgkmcnt(1)
	global_store_b32 v[2:3], v5, off offset:768
	s_or_b32 exec_lo, exec_lo, s12
	s_and_saveexec_b32 s12, s19
	s_cbranch_execz .LBB143_11
.LBB143_139:                            ;   in Loop: Header=BB143_12 Depth=1
	s_waitcnt lgkmcnt(0)
	global_store_b32 v[2:3], v4, off offset:896
	s_branch .LBB143_11
.LBB143_140:
	s_nop 0
	s_sendmsg sendmsg(MSG_DEALLOC_VGPRS)
	s_endpgm
	.section	.rodata,"a",@progbits
	.p2align	6, 0x0
	.amdhsa_kernel _Z25selective_scan_fwd_kernelI32Selective_Scan_fwd_kernel_traitsILi64ELi8ELi1ELb0ELb1ELb1ELb0ELb0EfffEEv13SSMParamsBase
		.amdhsa_group_segment_fixed_size 0
		.amdhsa_private_segment_fixed_size 0
		.amdhsa_kernarg_size 248
		.amdhsa_user_sgpr_count 14
		.amdhsa_user_sgpr_dispatch_ptr 0
		.amdhsa_user_sgpr_queue_ptr 0
		.amdhsa_user_sgpr_kernarg_segment_ptr 1
		.amdhsa_user_sgpr_dispatch_id 0
		.amdhsa_user_sgpr_private_segment_size 0
		.amdhsa_wavefront_size32 1
		.amdhsa_uses_dynamic_stack 0
		.amdhsa_enable_private_segment 0
		.amdhsa_system_sgpr_workgroup_id_x 1
		.amdhsa_system_sgpr_workgroup_id_y 1
		.amdhsa_system_sgpr_workgroup_id_z 0
		.amdhsa_system_sgpr_workgroup_info 0
		.amdhsa_system_vgpr_workitem_id 0
		.amdhsa_next_free_vgpr 101
		.amdhsa_next_free_sgpr 92
		.amdhsa_reserve_vcc 1
		.amdhsa_float_round_mode_32 0
		.amdhsa_float_round_mode_16_64 0
		.amdhsa_float_denorm_mode_32 3
		.amdhsa_float_denorm_mode_16_64 3
		.amdhsa_dx10_clamp 1
		.amdhsa_ieee_mode 1
		.amdhsa_fp16_overflow 0
		.amdhsa_workgroup_processor_mode 1
		.amdhsa_memory_ordered 1
		.amdhsa_forward_progress 0
		.amdhsa_shared_vgpr_count 0
		.amdhsa_exception_fp_ieee_invalid_op 0
		.amdhsa_exception_fp_denorm_src 0
		.amdhsa_exception_fp_ieee_div_zero 0
		.amdhsa_exception_fp_ieee_overflow 0
		.amdhsa_exception_fp_ieee_underflow 0
		.amdhsa_exception_fp_ieee_inexact 0
		.amdhsa_exception_int_div_zero 0
	.end_amdhsa_kernel
	.section	.text._Z25selective_scan_fwd_kernelI32Selective_Scan_fwd_kernel_traitsILi64ELi8ELi1ELb0ELb1ELb1ELb0ELb0EfffEEv13SSMParamsBase,"axG",@progbits,_Z25selective_scan_fwd_kernelI32Selective_Scan_fwd_kernel_traitsILi64ELi8ELi1ELb0ELb1ELb1ELb0ELb0EfffEEv13SSMParamsBase,comdat
.Lfunc_end143:
	.size	_Z25selective_scan_fwd_kernelI32Selective_Scan_fwd_kernel_traitsILi64ELi8ELi1ELb0ELb1ELb1ELb0ELb0EfffEEv13SSMParamsBase, .Lfunc_end143-_Z25selective_scan_fwd_kernelI32Selective_Scan_fwd_kernel_traitsILi64ELi8ELi1ELb0ELb1ELb1ELb0ELb0EfffEEv13SSMParamsBase
                                        ; -- End function
	.section	.AMDGPU.csdata,"",@progbits
; Kernel info:
; codeLenInByte = 11776
; NumSgprs: 94
; NumVgprs: 101
; ScratchSize: 0
; MemoryBound: 0
; FloatMode: 240
; IeeeMode: 1
; LDSByteSize: 0 bytes/workgroup (compile time only)
; SGPRBlocks: 11
; VGPRBlocks: 12
; NumSGPRsForWavesPerEU: 94
; NumVGPRsForWavesPerEU: 101
; Occupancy: 12
; WaveLimiterHint : 0
; COMPUTE_PGM_RSRC2:SCRATCH_EN: 0
; COMPUTE_PGM_RSRC2:USER_SGPR: 14
; COMPUTE_PGM_RSRC2:TRAP_HANDLER: 0
; COMPUTE_PGM_RSRC2:TGID_X_EN: 1
; COMPUTE_PGM_RSRC2:TGID_Y_EN: 1
; COMPUTE_PGM_RSRC2:TGID_Z_EN: 0
; COMPUTE_PGM_RSRC2:TIDIG_COMP_CNT: 0
	.section	.text._Z25selective_scan_fwd_kernelI32Selective_Scan_fwd_kernel_traitsILi64ELi16ELi1ELb1ELb1ELb1ELb1ELb1EfffEEv13SSMParamsBase,"axG",@progbits,_Z25selective_scan_fwd_kernelI32Selective_Scan_fwd_kernel_traitsILi64ELi16ELi1ELb1ELb1ELb1ELb1ELb1EfffEEv13SSMParamsBase,comdat
	.protected	_Z25selective_scan_fwd_kernelI32Selective_Scan_fwd_kernel_traitsILi64ELi16ELi1ELb1ELb1ELb1ELb1ELb1EfffEEv13SSMParamsBase ; -- Begin function _Z25selective_scan_fwd_kernelI32Selective_Scan_fwd_kernel_traitsILi64ELi16ELi1ELb1ELb1ELb1ELb1ELb1EfffEEv13SSMParamsBase
	.globl	_Z25selective_scan_fwd_kernelI32Selective_Scan_fwd_kernel_traitsILi64ELi16ELi1ELb1ELb1ELb1ELb1ELb1EfffEEv13SSMParamsBase
	.p2align	8
	.type	_Z25selective_scan_fwd_kernelI32Selective_Scan_fwd_kernel_traitsILi64ELi16ELi1ELb1ELb1ELb1ELb1ELb1EfffEEv13SSMParamsBase,@function
_Z25selective_scan_fwd_kernelI32Selective_Scan_fwd_kernel_traitsILi64ELi16ELi1ELb1ELb1ELb1ELb1ELb1EfffEEv13SSMParamsBase: ; @_Z25selective_scan_fwd_kernelI32Selective_Scan_fwd_kernel_traitsILi64ELi16ELi1ELb1ELb1ELb1ELb1ELb1EfffEEv13SSMParamsBase
; %bb.0:
	s_clause 0x2
	s_load_b32 s11, s[0:1], 0x18
	s_load_b256 s[36:43], s[0:1], 0xc8
	s_load_b128 s[4:7], s[0:1], 0xe8
	s_mov_b32 s12, s15
	s_ashr_i32 s15, s14, 31
	s_mov_b32 s49, 0
	s_lshl_b64 s[8:9], s[14:15], 2
	s_waitcnt lgkmcnt(0)
	s_abs_i32 s10, s11
	s_add_u32 s2, s42, s8
	v_cvt_f32_u32_e32 v1, s10
	s_addc_u32 s3, s43, s9
	s_cmp_eq_u64 s[6:7], 0
	s_delay_alu instid0(VALU_DEP_1) | instskip(SKIP_2) | instid1(VALU_DEP_1)
	v_rcp_iflag_f32_e32 v1, v1
	s_waitcnt_depctr 0xfff
	v_mul_f32_e32 v1, 0x4f7ffffe, v1
	v_cvt_u32_f32_e32 v1, v1
	s_delay_alu instid0(VALU_DEP_1)
	v_readfirstlane_b32 s33, v1
	s_cbranch_scc1 .LBB144_2
; %bb.1:
	v_mov_b32_e32 v1, 0
	s_add_u32 s6, s6, s14
	s_addc_u32 s7, s7, s15
	global_load_u8 v1, v1, s[6:7]
	s_waitcnt vmcnt(0)
	v_and_b32_e32 v1, 1, v1
	s_delay_alu instid0(VALU_DEP_1)
	v_cmp_eq_u32_e64 s49, 1, v1
.LBB144_2:
	s_load_b64 s[6:7], s[0:1], 0x20
	s_cmp_eq_u64 s[4:5], 0
	s_cbranch_scc1 .LBB144_4
; %bb.3:
	s_add_u32 s4, s4, s8
	s_addc_u32 s5, s5, s9
	s_load_b32 s14, s[4:5], 0x0
	s_waitcnt lgkmcnt(0)
	s_ashr_i32 s15, s14, 31
.LBB144_4:
	s_waitcnt lgkmcnt(0)
	s_cmp_eq_u64 s[6:7], s[14:15]
	s_cbranch_scc1 .LBB144_300
; %bb.5:
	s_load_b512 s[16:31], s[0:1], 0x88
	s_load_b64 s[34:35], s[2:3], 0x0
	s_mov_b32 s84, 0
	s_mov_b32 s85, 0
	s_waitcnt lgkmcnt(0)
	s_cmp_eq_u64 s[22:23], 0
	s_cbranch_scc1 .LBB144_7
; %bb.6:
	s_ashr_i32 s13, s12, 31
	s_delay_alu instid0(SALU_CYCLE_1) | instskip(NEXT) | instid1(SALU_CYCLE_1)
	s_lshl_b64 s[2:3], s[12:13], 2
	s_add_u32 s2, s22, s2
	s_addc_u32 s3, s23, s3
	s_load_b32 s85, s[2:3], 0x0
.LBB144_7:
	s_cmp_eq_u64 s[28:29], 0
	s_cbranch_scc1 .LBB144_9
; %bb.8:
	s_ashr_i32 s13, s12, 31
	s_delay_alu instid0(SALU_CYCLE_1) | instskip(NEXT) | instid1(SALU_CYCLE_1)
	s_lshl_b64 s[2:3], s[12:13], 2
	s_add_u32 s2, s28, s2
	s_addc_u32 s3, s29, s3
	s_load_b32 s84, s[2:3], 0x0
.LBB144_9:
	s_sub_i32 s86, s35, s34
	s_delay_alu instid0(SALU_CYCLE_1)
	s_cmp_lt_i32 s86, 1
	s_cbranch_scc1 .LBB144_300
; %bb.10:
	s_sub_i32 s2, 0, s10
	s_load_b256 s[68:75], s[0:1], 0x4c
	s_mul_i32 s2, s2, s33
	s_abs_i32 s3, s12
	s_mul_hi_u32 s2, s33, s2
	s_ashr_i32 s5, s11, 31
	s_add_i32 s33, s33, s2
	s_ashr_i32 s2, s12, 31
	s_mul_hi_u32 s4, s3, s33
	s_xor_b32 s5, s2, s5
	s_mul_i32 s6, s4, s10
	s_load_b256 s[76:83], s[0:1], 0x2c
	s_sub_i32 s2, s3, s6
	s_add_i32 s3, s4, 1
	s_sub_i32 s6, s2, s10
	s_cmp_ge_u32 s2, s10
	s_mov_b32 s53, 0
	s_cselect_b32 s3, s3, s4
	s_cselect_b32 s2, s6, s2
	s_add_i32 s4, s3, 1
	s_cmp_ge_u32 s2, s10
	s_waitcnt lgkmcnt(0)
	s_mul_i32 s52, s34, s70
	s_cselect_b32 s4, s4, s3
	s_lshl_b64 s[2:3], s[52:53], 2
	s_xor_b32 s4, s4, s5
	s_mul_i32 s52, s71, s12
	s_sub_i32 s6, s4, s5
	s_add_u32 s4, s24, s2
	s_addc_u32 s5, s25, s3
	s_lshl_b64 s[2:3], s[52:53], 2
	s_mul_i32 s52, s34, s72
	s_add_u32 s70, s4, s2
	s_addc_u32 s71, s5, s3
	s_lshl_b64 s[2:3], s[52:53], 2
	s_mul_i32 s52, s73, s12
	;; [unrolled: 4-line block ×3, first 2 shown]
	s_add_u32 s72, s4, s2
	s_addc_u32 s73, s5, s3
	s_load_b64 s[4:5], s[0:1], 0x7c
	s_lshl_b64 s[2:3], s[52:53], 2
	s_mul_i32 s52, s34, s78
	s_add_u32 s76, s16, s2
	v_dual_mov_b32 v1, 0 :: v_dual_lshlrev_b32 v36, 4, v0
	s_addc_u32 s78, s17, s3
	s_lshl_b64 s[2:3], s[52:53], 2
	s_mul_i32 s52, s6, s81
	s_add_u32 s7, s18, s2
	s_addc_u32 s8, s19, s3
	s_clause 0x3
	s_load_b128 s[16:19], s[0:1], 0x6c
	s_load_b32 s83, s[0:1], 0x84
	s_load_b32 s89, s[0:1], 0xc
	;; [unrolled: 1-line block ×3, first 2 shown]
	v_mbcnt_lo_u32_b32 v37, -1, 0
	v_and_b32_e32 v2, 0x200, v36
	s_lshl_b64 s[2:3], s[52:53], 2
	s_mul_i32 s52, s34, s82
	s_add_u32 s79, s7, s2
	s_addc_u32 s81, s8, s3
	s_lshl_b64 s[2:3], s[52:53], 2
	s_mul_i32 s52, s6, s69
	v_or_b32_e32 v38, v37, v2
	s_add_u32 s7, s20, s2
	s_addc_u32 s6, s21, s3
	s_lshl_b64 s[2:3], s[52:53], 2
	s_waitcnt lgkmcnt(0)
	s_mul_i32 s52, s14, s4
	s_add_u32 s69, s7, s2
	s_addc_u32 s82, s6, s3
	s_lshl_b64 s[2:3], s[52:53], 2
	v_or_b32_e32 v39, 32, v38
	v_lshrrev_b32_e32 v3, 5, v2
	v_and_b32_e32 v15, 32, v0
	s_mul_i32 s52, s5, s12
	s_add_u32 s4, s36, s2
	s_addc_u32 s5, s37, s3
	s_lshl_b64 s[2:3], s[52:53], 2
	v_or_b32_e32 v40, 64, v38
	s_add_u32 s87, s4, s2
	v_or_b32_e32 v41, 0x60, v38
	v_or_b32_e32 v42, 0x80, v38
	;; [unrolled: 1-line block ×11, first 2 shown]
	v_add_nc_u32_e32 v3, v3, v38
	v_lshrrev_b32_e32 v4, 5, v39
	v_or_b32_e32 v52, 0x1c0, v38
	v_or_b32_e32 v53, 0x1e0, v38
	;; [unrolled: 1-line block ×3, first 2 shown]
	s_addc_u32 s88, s5, s3
	s_add_i32 s2, s86, 0x7ff
	v_lshrrev_b32_e32 v5, 5, v40
	s_lshr_b32 s90, s2, 11
	s_bitcmp1_b32 s0, 0
	v_lshl_add_u32 v54, v3, 2, 0
	v_add_lshl_u32 v3, v4, v38, 2
	v_lshrrev_b32_e32 v4, 5, v41
	v_lshrrev_b32_e32 v6, 5, v42
	;; [unrolled: 1-line block ×13, first 2 shown]
	v_lshlrev_b32_e32 v20, 4, v18
	v_bfe_u32 v18, v18, 1, 27
	s_cselect_b32 s91, -1, 0
	s_cmp_gt_i32 s89, 0
	v_add_lshl_u32 v5, v5, v38, 2
	s_cselect_b32 s92, -1, 0
	s_add_i32 s0, 0, 0x1080
	v_add_nc_u32_e32 v55, 0, v3
	v_add_lshl_u32 v4, v4, v38, 2
	v_add_lshl_u32 v6, v6, v38, 2
	;; [unrolled: 1-line block ×14, first 2 shown]
	v_add_nc_u32_e32 v71, s0, v3
	v_and_b32_e32 v3, 15, v37
	s_and_b32 s1, s86, 0x3ff
	v_add_nc_u32_e32 v72, s0, v5
	v_add_nc_u32_e32 v73, s0, v4
	v_add_nc_u32_e32 v74, s0, v6
	v_add_nc_u32_e32 v75, s0, v7
	v_add_nc_u32_e32 v76, s0, v8
	v_add_nc_u32_e32 v77, s0, v9
	v_add_nc_u32_e32 v78, s0, v10
	v_add_nc_u32_e32 v79, s0, v11
	v_add_nc_u32_e32 v80, s0, v12
	v_add_nc_u32_e32 v81, s0, v13
	v_add_nc_u32_e32 v82, s0, v14
	v_add_nc_u32_e32 v83, s0, v16
	v_add_nc_u32_e32 v84, s0, v17
	v_add_nc_u32_e32 v85, s0, v19
	s_cmp_eq_u32 s1, 0
	v_add_nc_u32_e32 v86, s0, v18
	v_cmp_ne_u32_e64 s0, 0, v3
	v_cmp_lt_u32_e64 s1, 1, v3
	v_cmp_lt_u32_e64 s2, 3, v3
	;; [unrolled: 1-line block ×3, first 2 shown]
	v_add_nc_u32_e32 v3, -1, v37
	v_add_nc_u32_e32 v57, 0, v4
	v_lshrrev_b32_e32 v4, 2, v0
	s_mul_i32 s52, s34, s16
	s_cselect_b32 s93, -1, 0
	v_cmp_gt_i32_e32 vcc_lo, 0, v3
	s_lshl_b64 s[14:15], s[52:53], 2
	v_and_b32_e32 v4, 8, v4
	s_add_i32 s94, s90, -1
	s_mul_i32 s52, s17, s12
	v_cndmask_b32_e32 v3, v3, v37, vcc_lo
	s_add_u32 s13, s30, s14
	s_addc_u32 s16, s31, s15
	s_lshl_b64 s[14:15], s[52:53], 2
	v_add_nc_u32_e32 v58, 0, v6
	v_or_b32_e32 v6, 31, v15
	v_lshlrev_b32_e32 v89, 2, v3
	s_mul_i32 s52, s34, s74
	v_lshlrev_b32_e32 v3, 2, v37
	v_add_nc_u32_e32 v56, 0, v5
	v_and_b32_e32 v5, 16, v37
	s_add_u32 s13, s13, s14
	v_add_nc_u32_e32 v87, 0, v4
	v_and_b32_e32 v4, 1, v37
	s_addc_u32 s16, s16, s15
	s_lshl_b64 s[14:15], s[52:53], 2
	s_mul_i32 s52, s75, s12
	s_add_u32 s17, s38, s14
	v_cmp_eq_u32_e64 s5, v6, v0
	v_cmp_gt_u32_e64 s6, 2, v0
	v_lshl_add_u32 v88, v0, 3, 0
	v_cmp_gt_u32_e64 s8, 32, v0
	v_cmp_lt_u32_e64 s9, 31, v0
	v_cmp_eq_u32_e64 s10, 0, v0
	s_addc_u32 s20, s39, s15
	s_lshl_b64 s[14:15], s[52:53], 2
	v_add_co_u32 v0, s13, s13, v3
	v_cmp_ne_u32_e64 s4, 0, v5
	s_mul_i32 s52, s34, s18
	v_lshlrev_b32_e32 v5, 2, v2
	v_cmp_eq_u32_e64 s7, 0, v4
	v_add_co_ci_u32_e64 v4, null, s16, 0, s13
	s_add_u32 s16, s17, s14
	s_addc_u32 s17, s20, s15
	s_lshl_b64 s[14:15], s[52:53], 2
	s_mul_i32 s52, s19, s12
	s_add_u32 s14, s40, s14
	s_addc_u32 s15, s41, s15
	s_lshl_b64 s[12:13], s[52:53], 2
	v_add_co_u32 v0, vcc_lo, v0, v5
	v_add_co_ci_u32_e32 v90, vcc_lo, 0, v4, vcc_lo
	s_add_u32 s12, s14, s12
	v_add_co_u32 v4, s14, s16, v3
	s_delay_alu instid0(VALU_DEP_1)
	v_add_co_ci_u32_e64 v6, null, s17, 0, s14
	s_addc_u32 s13, s15, s13
	v_add_co_u32 v3, s12, s12, v3
	v_add_nc_u32_e32 v59, 0, v7
	v_add_co_ci_u32_e64 v7, null, s13, 0, s12
	v_add_co_u32 v91, vcc_lo, v4, v5
	v_add_co_ci_u32_e32 v92, vcc_lo, 0, v6, vcc_lo
	v_add_co_u32 v93, vcc_lo, v3, v5
	v_add_nc_u32_e32 v60, 0, v8
	v_add_nc_u32_e32 v61, 0, v9
	;; [unrolled: 1-line block ×11, first 2 shown]
	v_cmp_eq_u32_e64 s11, 0, v37
	v_add_co_ci_u32_e32 v94, vcc_lo, 0, v7, vcc_lo
	v_or_b32_e32 v95, 1, v36
	v_or_b32_e32 v96, 2, v36
	;; [unrolled: 1-line block ×15, first 2 shown]
	v_lshlrev_b32_e32 v110, 2, v2
	s_mov_b32 s74, 0x3e9b6dac
	s_add_i32 s75, 0, 0x2110
	s_mov_b32 s95, 0
	s_branch .LBB144_12
.LBB144_11:                             ;   in Loop: Header=BB144_12 Depth=1
	s_or_b32 exec_lo, exec_lo, s12
	s_add_u32 s72, s72, 0x1000
	s_addc_u32 s73, s73, 0
	s_add_u32 s70, s70, 0x1000
	s_addc_u32 s71, s71, 0
	s_add_u32 s79, s79, 0x1000
	s_addc_u32 s81, s81, 0
	s_add_u32 s69, s69, 0x1000
	s_addc_u32 s82, s82, 0
	s_add_i32 s95, s95, 1
	s_delay_alu instid0(SALU_CYCLE_1)
	s_cmp_lg_u32 s95, s90
	s_cbranch_scc0 .LBB144_300
.LBB144_12:                             ; =>This Loop Header: Depth=1
                                        ;     Child Loop BB144_109 Depth 2
	v_lshlrev_b32_e32 v34, 2, v37
	s_lshl_b32 s50, s95, 10
	s_waitcnt lgkmcnt(0)
	v_mov_b32_e32 v4, 0
	s_sub_i32 s40, s86, s50
	v_add_co_u32 v2, s12, s70, v34
	s_delay_alu instid0(VALU_DEP_1) | instskip(SKIP_1) | instid1(VALU_DEP_3)
	v_add_co_ci_u32_e64 v3, null, s71, 0, s12
	v_cmp_gt_u32_e64 s12, s40, v38
	v_add_co_u32 v2, vcc_lo, v2, v110
	s_delay_alu instid0(VALU_DEP_3)
	v_add_co_ci_u32_e32 v3, vcc_lo, 0, v3, vcc_lo
	s_waitcnt_vscnt null, 0x0
	s_barrier
	buffer_gl0_inv
	s_and_saveexec_b32 s13, s12
	s_cbranch_execz .LBB144_14
; %bb.13:                               ;   in Loop: Header=BB144_12 Depth=1
	global_load_b32 v4, v[2:3], off
.LBB144_14:                             ;   in Loop: Header=BB144_12 Depth=1
	s_or_b32 exec_lo, exec_lo, s13
	v_cmp_gt_u32_e64 s13, s40, v39
	v_dual_mov_b32 v5, 0 :: v_dual_mov_b32 v6, 0
	s_delay_alu instid0(VALU_DEP_2)
	s_and_saveexec_b32 s14, s13
	s_cbranch_execz .LBB144_16
; %bb.15:                               ;   in Loop: Header=BB144_12 Depth=1
	global_load_b32 v6, v[2:3], off offset:128
.LBB144_16:                             ;   in Loop: Header=BB144_12 Depth=1
	s_or_b32 exec_lo, exec_lo, s14
	v_cmp_gt_u32_e64 s14, s40, v40
	s_delay_alu instid0(VALU_DEP_1)
	s_and_saveexec_b32 s15, s14
	s_cbranch_execz .LBB144_18
; %bb.17:                               ;   in Loop: Header=BB144_12 Depth=1
	global_load_b32 v5, v[2:3], off offset:256
.LBB144_18:                             ;   in Loop: Header=BB144_12 Depth=1
	s_or_b32 exec_lo, exec_lo, s15
	v_cmp_gt_u32_e64 s15, s40, v41
	v_dual_mov_b32 v7, 0 :: v_dual_mov_b32 v8, 0
	s_delay_alu instid0(VALU_DEP_2)
	s_and_saveexec_b32 s16, s15
	s_cbranch_execz .LBB144_20
; %bb.19:                               ;   in Loop: Header=BB144_12 Depth=1
	global_load_b32 v8, v[2:3], off offset:384
.LBB144_20:                             ;   in Loop: Header=BB144_12 Depth=1
	s_or_b32 exec_lo, exec_lo, s16
	v_cmp_gt_u32_e64 s16, s40, v42
	s_delay_alu instid0(VALU_DEP_1)
	s_and_saveexec_b32 s17, s16
	s_cbranch_execz .LBB144_22
; %bb.21:                               ;   in Loop: Header=BB144_12 Depth=1
	global_load_b32 v7, v[2:3], off offset:512
.LBB144_22:                             ;   in Loop: Header=BB144_12 Depth=1
	;; [unrolled: 17-line block ×7, first 2 shown]
	s_or_b32 exec_lo, exec_lo, s27
	v_cmp_gt_u32_e64 s27, s40, v53
	v_dual_mov_b32 v20, 0 :: v_dual_mov_b32 v19, 0
	s_delay_alu instid0(VALU_DEP_2)
	s_and_saveexec_b32 s28, s27
	s_cbranch_execz .LBB144_44
; %bb.43:                               ;   in Loop: Header=BB144_12 Depth=1
	global_load_b32 v19, v[2:3], off offset:1920
.LBB144_44:                             ;   in Loop: Header=BB144_12 Depth=1
	s_or_b32 exec_lo, exec_lo, s28
	s_waitcnt vmcnt(0)
	ds_store_b32 v54, v4
	ds_store_b32 v55, v6 offset:128
	ds_store_b32 v56, v5 offset:256
	;; [unrolled: 1-line block ×15, first 2 shown]
	; wave barrier
	ds_load_2addr_b32 v[2:3], v70 offset1:1
	ds_load_2addr_b32 v[4:5], v70 offset0:2 offset1:3
	ds_load_2addr_b32 v[6:7], v70 offset0:4 offset1:5
	;; [unrolled: 1-line block ×7, first 2 shown]
	v_add_co_u32 v18, s28, s72, v34
	s_delay_alu instid0(VALU_DEP_1) | instskip(SKIP_1) | instid1(VALU_DEP_2)
	v_add_co_ci_u32_e64 v19, null, s73, 0, s28
	s_waitcnt lgkmcnt(0)
	v_add_co_u32 v18, vcc_lo, v18, v110
	s_delay_alu instid0(VALU_DEP_2)
	v_add_co_ci_u32_e32 v19, vcc_lo, 0, v19, vcc_lo
	s_barrier
	buffer_gl0_inv
	s_and_saveexec_b32 s28, s12
	s_cbranch_execz .LBB144_46
; %bb.45:                               ;   in Loop: Header=BB144_12 Depth=1
	global_load_b32 v20, v[18:19], off
.LBB144_46:                             ;   in Loop: Header=BB144_12 Depth=1
	s_or_b32 exec_lo, exec_lo, s28
	v_dual_mov_b32 v21, 0 :: v_dual_mov_b32 v22, 0
	s_and_saveexec_b32 s28, s13
	s_cbranch_execz .LBB144_48
; %bb.47:                               ;   in Loop: Header=BB144_12 Depth=1
	global_load_b32 v22, v[18:19], off offset:128
.LBB144_48:                             ;   in Loop: Header=BB144_12 Depth=1
	s_or_b32 exec_lo, exec_lo, s28
	s_and_saveexec_b32 s28, s14
	s_cbranch_execz .LBB144_50
; %bb.49:                               ;   in Loop: Header=BB144_12 Depth=1
	global_load_b32 v21, v[18:19], off offset:256
.LBB144_50:                             ;   in Loop: Header=BB144_12 Depth=1
	s_or_b32 exec_lo, exec_lo, s28
	v_dual_mov_b32 v23, 0 :: v_dual_mov_b32 v24, 0
	s_and_saveexec_b32 s28, s15
	s_cbranch_execz .LBB144_52
; %bb.51:                               ;   in Loop: Header=BB144_12 Depth=1
	global_load_b32 v24, v[18:19], off offset:384
.LBB144_52:                             ;   in Loop: Header=BB144_12 Depth=1
	s_or_b32 exec_lo, exec_lo, s28
	s_and_saveexec_b32 s28, s16
	s_cbranch_execz .LBB144_54
; %bb.53:                               ;   in Loop: Header=BB144_12 Depth=1
	global_load_b32 v23, v[18:19], off offset:512
.LBB144_54:                             ;   in Loop: Header=BB144_12 Depth=1
	s_or_b32 exec_lo, exec_lo, s28
	v_dual_mov_b32 v25, 0 :: v_dual_mov_b32 v26, 0
	s_and_saveexec_b32 s28, s17
	s_cbranch_execz .LBB144_56
; %bb.55:                               ;   in Loop: Header=BB144_12 Depth=1
	global_load_b32 v26, v[18:19], off offset:640
.LBB144_56:                             ;   in Loop: Header=BB144_12 Depth=1
	s_or_b32 exec_lo, exec_lo, s28
	s_and_saveexec_b32 s28, s18
	s_cbranch_execz .LBB144_58
; %bb.57:                               ;   in Loop: Header=BB144_12 Depth=1
	global_load_b32 v25, v[18:19], off offset:768
.LBB144_58:                             ;   in Loop: Header=BB144_12 Depth=1
	s_or_b32 exec_lo, exec_lo, s28
	v_dual_mov_b32 v27, 0 :: v_dual_mov_b32 v28, 0
	s_and_saveexec_b32 s28, s19
	s_cbranch_execz .LBB144_60
; %bb.59:                               ;   in Loop: Header=BB144_12 Depth=1
	global_load_b32 v28, v[18:19], off offset:896
.LBB144_60:                             ;   in Loop: Header=BB144_12 Depth=1
	s_or_b32 exec_lo, exec_lo, s28
	s_and_saveexec_b32 s28, s20
	s_cbranch_execz .LBB144_62
; %bb.61:                               ;   in Loop: Header=BB144_12 Depth=1
	global_load_b32 v27, v[18:19], off offset:1024
.LBB144_62:                             ;   in Loop: Header=BB144_12 Depth=1
	s_or_b32 exec_lo, exec_lo, s28
	v_dual_mov_b32 v29, 0 :: v_dual_mov_b32 v30, 0
	s_and_saveexec_b32 s28, s21
	s_cbranch_execz .LBB144_64
; %bb.63:                               ;   in Loop: Header=BB144_12 Depth=1
	global_load_b32 v30, v[18:19], off offset:1152
.LBB144_64:                             ;   in Loop: Header=BB144_12 Depth=1
	s_or_b32 exec_lo, exec_lo, s28
	s_and_saveexec_b32 s28, s22
	s_cbranch_execz .LBB144_66
; %bb.65:                               ;   in Loop: Header=BB144_12 Depth=1
	global_load_b32 v29, v[18:19], off offset:1280
.LBB144_66:                             ;   in Loop: Header=BB144_12 Depth=1
	s_or_b32 exec_lo, exec_lo, s28
	v_dual_mov_b32 v31, 0 :: v_dual_mov_b32 v32, 0
	s_and_saveexec_b32 s28, s23
	s_cbranch_execz .LBB144_68
; %bb.67:                               ;   in Loop: Header=BB144_12 Depth=1
	global_load_b32 v32, v[18:19], off offset:1408
.LBB144_68:                             ;   in Loop: Header=BB144_12 Depth=1
	s_or_b32 exec_lo, exec_lo, s28
	s_and_saveexec_b32 s28, s24
	s_cbranch_execz .LBB144_70
; %bb.69:                               ;   in Loop: Header=BB144_12 Depth=1
	global_load_b32 v31, v[18:19], off offset:1536
.LBB144_70:                             ;   in Loop: Header=BB144_12 Depth=1
	s_or_b32 exec_lo, exec_lo, s28
	v_mov_b32_e32 v33, 0
	v_mov_b32_e32 v35, 0
	s_and_saveexec_b32 s28, s25
	s_cbranch_execnz .LBB144_252
; %bb.71:                               ;   in Loop: Header=BB144_12 Depth=1
	s_or_b32 exec_lo, exec_lo, s28
	s_and_saveexec_b32 s28, s26
	s_cbranch_execnz .LBB144_253
.LBB144_72:                             ;   in Loop: Header=BB144_12 Depth=1
	s_or_b32 exec_lo, exec_lo, s28
	v_mov_b32_e32 v111, 0
	s_and_saveexec_b32 s28, s27
	s_cbranch_execz .LBB144_74
.LBB144_73:                             ;   in Loop: Header=BB144_12 Depth=1
	global_load_b32 v111, v[18:19], off offset:1920
.LBB144_74:                             ;   in Loop: Header=BB144_12 Depth=1
	s_or_b32 exec_lo, exec_lo, s28
	s_waitcnt vmcnt(0)
	ds_store_b32 v54, v20
	ds_store_b32 v55, v22 offset:128
	ds_store_b32 v56, v21 offset:256
	;; [unrolled: 1-line block ×15, first 2 shown]
	; wave barrier
	ds_load_2addr_b32 v[32:33], v70 offset1:1
	ds_load_2addr_b32 v[30:31], v70 offset0:2 offset1:3
	ds_load_2addr_b32 v[28:29], v70 offset0:4 offset1:5
	;; [unrolled: 1-line block ×7, first 2 shown]
	s_waitcnt lgkmcnt(7)
	v_add_f32_e32 v111, s84, v32
	s_delay_alu instid0(VALU_DEP_1) | instskip(SKIP_1) | instid1(SALU_CYCLE_1)
	v_cmp_ge_f32_e32 vcc_lo, 0x41a00000, v111
	s_and_b32 s28, s91, vcc_lo
	s_and_saveexec_b32 s29, s28
	s_cbranch_execz .LBB144_76
; %bb.75:                               ;   in Loop: Header=BB144_12 Depth=1
	v_mul_f32_e32 v32, 0x3fb8aa3b, v111
	v_cmp_ngt_f32_e32 vcc_lo, 0xc2ce8ed0, v111
	s_delay_alu instid0(VALU_DEP_2) | instskip(SKIP_1) | instid1(VALU_DEP_2)
	v_rndne_f32_e32 v35, v32
	v_fma_f32 v112, 0x3fb8aa3b, v111, -v32
	v_sub_f32_e32 v32, v32, v35
	s_delay_alu instid0(VALU_DEP_2) | instskip(SKIP_1) | instid1(VALU_DEP_2)
	v_fmac_f32_e32 v112, 0x32a5705f, v111
	v_cvt_i32_f32_e32 v35, v35
	v_add_f32_e32 v32, v32, v112
	s_delay_alu instid0(VALU_DEP_1) | instskip(SKIP_2) | instid1(VALU_DEP_1)
	v_exp_f32_e32 v32, v32
	s_waitcnt_depctr 0xfff
	v_ldexp_f32 v32, v32, v35
	v_cndmask_b32_e32 v32, 0, v32, vcc_lo
	v_cmp_nlt_f32_e32 vcc_lo, 0x42b17218, v111
	s_delay_alu instid0(VALU_DEP_2) | instskip(NEXT) | instid1(VALU_DEP_1)
	v_cndmask_b32_e32 v32, 0x7f800000, v32, vcc_lo
	v_add_f32_e32 v35, 1.0, v32
	s_delay_alu instid0(VALU_DEP_1) | instskip(NEXT) | instid1(VALU_DEP_1)
	v_cvt_f64_f32_e32 v[111:112], v35
	v_frexp_exp_i32_f64_e32 v111, v[111:112]
	v_frexp_mant_f32_e32 v112, v35
	s_delay_alu instid0(VALU_DEP_1) | instskip(SKIP_1) | instid1(VALU_DEP_1)
	v_cmp_gt_f32_e32 vcc_lo, 0x3f2aaaab, v112
	v_add_f32_e32 v112, -1.0, v35
	v_sub_f32_e32 v114, v112, v35
	v_sub_f32_e32 v112, v32, v112
	s_delay_alu instid0(VALU_DEP_2) | instskip(NEXT) | instid1(VALU_DEP_1)
	v_add_f32_e32 v114, 1.0, v114
	v_add_f32_e32 v112, v112, v114
	v_subrev_co_ci_u32_e32 v111, vcc_lo, 0, v111, vcc_lo
	s_delay_alu instid0(VALU_DEP_1) | instskip(SKIP_1) | instid1(VALU_DEP_2)
	v_sub_nc_u32_e32 v113, 0, v111
	v_cvt_f32_i32_e32 v111, v111
	v_ldexp_f32 v35, v35, v113
	v_ldexp_f32 v112, v112, v113
	s_delay_alu instid0(VALU_DEP_2) | instskip(SKIP_1) | instid1(VALU_DEP_2)
	v_add_f32_e32 v115, 1.0, v35
	v_add_f32_e32 v113, -1.0, v35
	v_add_f32_e32 v114, -1.0, v115
	s_delay_alu instid0(VALU_DEP_2) | instskip(NEXT) | instid1(VALU_DEP_2)
	v_add_f32_e32 v116, 1.0, v113
	v_sub_f32_e32 v114, v35, v114
	s_delay_alu instid0(VALU_DEP_1) | instskip(NEXT) | instid1(VALU_DEP_1)
	v_dual_sub_f32 v35, v35, v116 :: v_dual_add_f32 v114, v112, v114
	v_add_f32_e32 v35, v112, v35
	v_cmp_eq_f32_e32 vcc_lo, 0x7f800000, v32
	v_cmp_gt_f32_e64 s28, 0x33800000, v32
	s_delay_alu instid0(VALU_DEP_3) | instskip(NEXT) | instid1(VALU_DEP_2)
	v_dual_add_f32 v116, v115, v114 :: v_dual_add_f32 v117, v113, v35
	s_or_b32 vcc_lo, s28, vcc_lo
	s_delay_alu instid0(VALU_DEP_1) | instskip(NEXT) | instid1(VALU_DEP_1)
	v_rcp_f32_e32 v112, v116
	v_sub_f32_e32 v113, v113, v117
	v_sub_f32_e32 v115, v115, v116
	s_delay_alu instid0(VALU_DEP_1) | instskip(SKIP_2) | instid1(VALU_DEP_1)
	v_dual_add_f32 v35, v35, v113 :: v_dual_add_f32 v114, v114, v115
	s_waitcnt_depctr 0xfff
	v_mul_f32_e32 v118, v117, v112
	v_mul_f32_e32 v119, v116, v118
	s_delay_alu instid0(VALU_DEP_1) | instskip(NEXT) | instid1(VALU_DEP_1)
	v_fma_f32 v115, v118, v116, -v119
	v_fmac_f32_e32 v115, v118, v114
	s_delay_alu instid0(VALU_DEP_1) | instskip(NEXT) | instid1(VALU_DEP_1)
	v_add_f32_e32 v120, v119, v115
	v_sub_f32_e32 v121, v117, v120
	v_sub_f32_e32 v113, v120, v119
	s_delay_alu instid0(VALU_DEP_2) | instskip(NEXT) | instid1(VALU_DEP_2)
	v_sub_f32_e32 v117, v117, v121
	v_sub_f32_e32 v113, v113, v115
	s_delay_alu instid0(VALU_DEP_2) | instskip(NEXT) | instid1(VALU_DEP_1)
	v_sub_f32_e32 v117, v117, v120
	v_add_f32_e32 v35, v35, v117
	s_delay_alu instid0(VALU_DEP_1) | instskip(NEXT) | instid1(VALU_DEP_1)
	v_add_f32_e32 v35, v113, v35
	v_add_f32_e32 v113, v121, v35
	s_delay_alu instid0(VALU_DEP_1) | instskip(NEXT) | instid1(VALU_DEP_1)
	v_mul_f32_e32 v115, v112, v113
	v_dual_sub_f32 v120, v121, v113 :: v_dual_mul_f32 v117, v116, v115
	s_delay_alu instid0(VALU_DEP_1) | instskip(NEXT) | instid1(VALU_DEP_1)
	v_fma_f32 v116, v115, v116, -v117
	v_fmac_f32_e32 v116, v115, v114
	s_delay_alu instid0(VALU_DEP_3) | instskip(NEXT) | instid1(VALU_DEP_2)
	v_add_f32_e32 v35, v35, v120
	v_add_f32_e32 v114, v117, v116
	s_delay_alu instid0(VALU_DEP_1) | instskip(NEXT) | instid1(VALU_DEP_1)
	v_sub_f32_e32 v119, v113, v114
	v_sub_f32_e32 v113, v113, v119
	s_delay_alu instid0(VALU_DEP_1) | instskip(NEXT) | instid1(VALU_DEP_1)
	v_sub_f32_e32 v113, v113, v114
	v_add_f32_e32 v35, v35, v113
	v_add_f32_e32 v113, v118, v115
	v_sub_f32_e32 v117, v114, v117
	s_delay_alu instid0(VALU_DEP_1) | instskip(NEXT) | instid1(VALU_DEP_1)
	v_sub_f32_e32 v114, v117, v116
	v_dual_add_f32 v35, v114, v35 :: v_dual_sub_f32 v114, v113, v118
	s_delay_alu instid0(VALU_DEP_1) | instskip(NEXT) | instid1(VALU_DEP_1)
	v_add_f32_e32 v35, v119, v35
	v_dual_sub_f32 v114, v115, v114 :: v_dual_mul_f32 v35, v112, v35
	s_delay_alu instid0(VALU_DEP_1) | instskip(NEXT) | instid1(VALU_DEP_1)
	v_add_f32_e32 v35, v114, v35
	v_add_f32_e32 v112, v113, v35
	s_delay_alu instid0(VALU_DEP_1) | instskip(NEXT) | instid1(VALU_DEP_1)
	v_mul_f32_e32 v114, v112, v112
	v_fmaak_f32 v115, s74, v114, 0x3ecc95a3
	v_mul_f32_e32 v116, v112, v114
	s_delay_alu instid0(VALU_DEP_2) | instskip(SKIP_2) | instid1(VALU_DEP_3)
	v_fmaak_f32 v114, v114, v115, 0x3f2aaada
	v_ldexp_f32 v115, v112, 1
	v_sub_f32_e32 v112, v112, v113
	v_mul_f32_e32 v114, v116, v114
	s_delay_alu instid0(VALU_DEP_1) | instskip(NEXT) | instid1(VALU_DEP_1)
	v_dual_mul_f32 v116, 0x3f317218, v111 :: v_dual_add_f32 v113, v115, v114
	v_dual_sub_f32 v35, v35, v112 :: v_dual_sub_f32 v112, v113, v115
	s_delay_alu instid0(VALU_DEP_1) | instskip(NEXT) | instid1(VALU_DEP_3)
	v_ldexp_f32 v35, v35, 1
	v_fma_f32 v115, 0x3f317218, v111, -v116
	s_delay_alu instid0(VALU_DEP_3) | instskip(NEXT) | instid1(VALU_DEP_1)
	v_sub_f32_e32 v112, v114, v112
	v_add_f32_e32 v35, v35, v112
	s_delay_alu instid0(VALU_DEP_1) | instskip(NEXT) | instid1(VALU_DEP_4)
	v_add_f32_e32 v112, v113, v35
	v_fmac_f32_e32 v115, 0xb102e308, v111
	s_delay_alu instid0(VALU_DEP_1) | instskip(NEXT) | instid1(VALU_DEP_1)
	v_add_f32_e32 v111, v116, v115
	v_add_f32_e32 v114, v111, v112
	v_dual_sub_f32 v116, v111, v116 :: v_dual_sub_f32 v113, v112, v113
	s_delay_alu instid0(VALU_DEP_2) | instskip(NEXT) | instid1(VALU_DEP_1)
	v_sub_f32_e32 v117, v114, v111
	v_dual_sub_f32 v115, v115, v116 :: v_dual_sub_f32 v112, v112, v117
	v_sub_f32_e32 v118, v114, v117
	s_delay_alu instid0(VALU_DEP_4) | instskip(NEXT) | instid1(VALU_DEP_2)
	v_sub_f32_e32 v35, v35, v113
	v_sub_f32_e32 v111, v111, v118
	s_delay_alu instid0(VALU_DEP_2) | instskip(NEXT) | instid1(VALU_DEP_2)
	v_add_f32_e32 v113, v115, v35
	v_add_f32_e32 v111, v112, v111
	s_delay_alu instid0(VALU_DEP_2) | instskip(NEXT) | instid1(VALU_DEP_2)
	v_sub_f32_e32 v112, v113, v115
	v_add_f32_e32 v111, v113, v111
	s_delay_alu instid0(VALU_DEP_2) | instskip(NEXT) | instid1(VALU_DEP_2)
	v_sub_f32_e32 v113, v113, v112
	v_dual_sub_f32 v35, v35, v112 :: v_dual_add_f32 v116, v114, v111
	s_delay_alu instid0(VALU_DEP_1) | instskip(NEXT) | instid1(VALU_DEP_1)
	v_dual_sub_f32 v113, v115, v113 :: v_dual_sub_f32 v112, v116, v114
	v_add_f32_e32 v35, v35, v113
	s_delay_alu instid0(VALU_DEP_2) | instskip(NEXT) | instid1(VALU_DEP_1)
	v_sub_f32_e32 v111, v111, v112
	v_add_f32_e32 v35, v35, v111
	s_delay_alu instid0(VALU_DEP_1) | instskip(NEXT) | instid1(VALU_DEP_1)
	v_add_f32_e32 v35, v116, v35
	v_cndmask_b32_e32 v111, v35, v32, vcc_lo
.LBB144_76:                             ;   in Loop: Header=BB144_12 Depth=1
	s_or_b32 exec_lo, exec_lo, s29
	v_add_f32_e32 v112, s84, v33
	s_delay_alu instid0(VALU_DEP_1) | instskip(SKIP_1) | instid1(SALU_CYCLE_1)
	v_cmp_ge_f32_e32 vcc_lo, 0x41a00000, v112
	s_and_b32 s28, s91, vcc_lo
	s_and_saveexec_b32 s29, s28
	s_cbranch_execz .LBB144_78
; %bb.77:                               ;   in Loop: Header=BB144_12 Depth=1
	v_mul_f32_e32 v32, 0x3fb8aa3b, v112
	v_cmp_ngt_f32_e32 vcc_lo, 0xc2ce8ed0, v112
	s_delay_alu instid0(VALU_DEP_2) | instskip(SKIP_1) | instid1(VALU_DEP_1)
	v_rndne_f32_e32 v33, v32
	v_fma_f32 v35, 0x3fb8aa3b, v112, -v32
	v_dual_sub_f32 v32, v32, v33 :: v_dual_fmac_f32 v35, 0x32a5705f, v112
	v_cvt_i32_f32_e32 v33, v33
	s_delay_alu instid0(VALU_DEP_2) | instskip(NEXT) | instid1(VALU_DEP_1)
	v_add_f32_e32 v32, v32, v35
	v_exp_f32_e32 v32, v32
	s_waitcnt_depctr 0xfff
	v_ldexp_f32 v32, v32, v33
	s_delay_alu instid0(VALU_DEP_1) | instskip(SKIP_1) | instid1(VALU_DEP_2)
	v_cndmask_b32_e32 v32, 0, v32, vcc_lo
	v_cmp_nlt_f32_e32 vcc_lo, 0x42b17218, v112
	v_cndmask_b32_e32 v35, 0x7f800000, v32, vcc_lo
	s_delay_alu instid0(VALU_DEP_1) | instskip(NEXT) | instid1(VALU_DEP_1)
	v_add_f32_e32 v112, 1.0, v35
	v_cvt_f64_f32_e32 v[32:33], v112
	s_delay_alu instid0(VALU_DEP_1) | instskip(SKIP_1) | instid1(VALU_DEP_1)
	v_frexp_exp_i32_f64_e32 v32, v[32:33]
	v_frexp_mant_f32_e32 v33, v112
	v_cmp_gt_f32_e32 vcc_lo, 0x3f2aaaab, v33
	v_add_f32_e32 v33, -1.0, v112
	s_delay_alu instid0(VALU_DEP_1) | instskip(NEXT) | instid1(VALU_DEP_1)
	v_sub_f32_e32 v114, v33, v112
	v_dual_add_f32 v114, 1.0, v114 :: v_dual_sub_f32 v33, v35, v33
	v_cmp_gt_f32_e64 s28, 0x33800000, v35
	s_delay_alu instid0(VALU_DEP_2) | instskip(SKIP_2) | instid1(VALU_DEP_2)
	v_add_f32_e32 v33, v33, v114
	v_subrev_co_ci_u32_e32 v32, vcc_lo, 0, v32, vcc_lo
	v_cmp_eq_f32_e32 vcc_lo, 0x7f800000, v35
	v_sub_nc_u32_e32 v113, 0, v32
	v_cvt_f32_i32_e32 v32, v32
	s_or_b32 vcc_lo, s28, vcc_lo
	s_delay_alu instid0(VALU_DEP_2) | instskip(SKIP_1) | instid1(VALU_DEP_2)
	v_ldexp_f32 v112, v112, v113
	v_ldexp_f32 v33, v33, v113
	v_add_f32_e32 v115, 1.0, v112
	s_delay_alu instid0(VALU_DEP_1) | instskip(NEXT) | instid1(VALU_DEP_1)
	v_dual_add_f32 v113, -1.0, v112 :: v_dual_add_f32 v114, -1.0, v115
	v_add_f32_e32 v116, 1.0, v113
	s_delay_alu instid0(VALU_DEP_2) | instskip(NEXT) | instid1(VALU_DEP_2)
	v_sub_f32_e32 v114, v112, v114
	v_sub_f32_e32 v112, v112, v116
	s_delay_alu instid0(VALU_DEP_2) | instskip(NEXT) | instid1(VALU_DEP_2)
	v_add_f32_e32 v114, v33, v114
	v_add_f32_e32 v33, v33, v112
	s_delay_alu instid0(VALU_DEP_1) | instskip(NEXT) | instid1(VALU_DEP_1)
	v_dual_add_f32 v117, v113, v33 :: v_dual_add_f32 v116, v115, v114
	v_sub_f32_e32 v113, v113, v117
	s_delay_alu instid0(VALU_DEP_2) | instskip(SKIP_1) | instid1(VALU_DEP_1)
	v_rcp_f32_e32 v112, v116
	v_sub_f32_e32 v115, v115, v116
	v_dual_add_f32 v114, v114, v115 :: v_dual_add_f32 v33, v33, v113
	s_waitcnt_depctr 0xfff
	v_mul_f32_e32 v118, v117, v112
	s_delay_alu instid0(VALU_DEP_1) | instskip(NEXT) | instid1(VALU_DEP_1)
	v_mul_f32_e32 v119, v116, v118
	v_fma_f32 v115, v118, v116, -v119
	s_delay_alu instid0(VALU_DEP_1) | instskip(NEXT) | instid1(VALU_DEP_1)
	v_fmac_f32_e32 v115, v118, v114
	v_add_f32_e32 v120, v119, v115
	s_delay_alu instid0(VALU_DEP_1) | instskip(NEXT) | instid1(VALU_DEP_1)
	v_sub_f32_e32 v121, v117, v120
	v_sub_f32_e32 v117, v117, v121
	;; [unrolled: 1-line block ×3, first 2 shown]
	s_delay_alu instid0(VALU_DEP_2) | instskip(NEXT) | instid1(VALU_DEP_2)
	v_sub_f32_e32 v117, v117, v120
	v_sub_f32_e32 v113, v113, v115
	s_delay_alu instid0(VALU_DEP_2) | instskip(NEXT) | instid1(VALU_DEP_1)
	v_add_f32_e32 v33, v33, v117
	v_add_f32_e32 v33, v113, v33
	s_delay_alu instid0(VALU_DEP_1) | instskip(NEXT) | instid1(VALU_DEP_1)
	v_add_f32_e32 v113, v121, v33
	v_mul_f32_e32 v115, v112, v113
	s_delay_alu instid0(VALU_DEP_1) | instskip(NEXT) | instid1(VALU_DEP_1)
	v_dual_sub_f32 v120, v121, v113 :: v_dual_mul_f32 v117, v116, v115
	v_add_f32_e32 v33, v33, v120
	s_delay_alu instid0(VALU_DEP_2) | instskip(NEXT) | instid1(VALU_DEP_1)
	v_fma_f32 v116, v115, v116, -v117
	v_fmac_f32_e32 v116, v115, v114
	s_delay_alu instid0(VALU_DEP_1) | instskip(NEXT) | instid1(VALU_DEP_1)
	v_add_f32_e32 v114, v117, v116
	v_sub_f32_e32 v119, v113, v114
	s_delay_alu instid0(VALU_DEP_1) | instskip(NEXT) | instid1(VALU_DEP_1)
	v_sub_f32_e32 v113, v113, v119
	v_sub_f32_e32 v113, v113, v114
	s_delay_alu instid0(VALU_DEP_1) | instskip(SKIP_2) | instid1(VALU_DEP_1)
	v_add_f32_e32 v33, v33, v113
	v_add_f32_e32 v113, v118, v115
	v_sub_f32_e32 v117, v114, v117
	v_sub_f32_e32 v114, v117, v116
	s_delay_alu instid0(VALU_DEP_1) | instskip(NEXT) | instid1(VALU_DEP_1)
	v_dual_add_f32 v33, v114, v33 :: v_dual_sub_f32 v114, v113, v118
	v_add_f32_e32 v33, v119, v33
	s_delay_alu instid0(VALU_DEP_1) | instskip(NEXT) | instid1(VALU_DEP_1)
	v_dual_sub_f32 v114, v115, v114 :: v_dual_mul_f32 v33, v112, v33
	v_add_f32_e32 v33, v114, v33
	s_delay_alu instid0(VALU_DEP_1) | instskip(NEXT) | instid1(VALU_DEP_1)
	v_add_f32_e32 v112, v113, v33
	v_mul_f32_e32 v114, v112, v112
	s_delay_alu instid0(VALU_DEP_1) | instskip(SKIP_1) | instid1(VALU_DEP_2)
	v_fmaak_f32 v115, s74, v114, 0x3ecc95a3
	v_mul_f32_e32 v116, v112, v114
	v_fmaak_f32 v114, v114, v115, 0x3f2aaada
	v_ldexp_f32 v115, v112, 1
	v_sub_f32_e32 v112, v112, v113
	s_delay_alu instid0(VALU_DEP_3) | instskip(SKIP_1) | instid1(VALU_DEP_3)
	v_mul_f32_e32 v114, v116, v114
	v_mul_f32_e32 v116, 0x3f317218, v32
	v_sub_f32_e32 v33, v33, v112
	s_delay_alu instid0(VALU_DEP_3) | instskip(NEXT) | instid1(VALU_DEP_2)
	v_add_f32_e32 v113, v115, v114
	v_ldexp_f32 v33, v33, 1
	s_delay_alu instid0(VALU_DEP_2) | instskip(SKIP_1) | instid1(VALU_DEP_2)
	v_sub_f32_e32 v112, v113, v115
	v_fma_f32 v115, 0x3f317218, v32, -v116
	v_sub_f32_e32 v112, v114, v112
	s_delay_alu instid0(VALU_DEP_2) | instskip(NEXT) | instid1(VALU_DEP_1)
	v_fmac_f32_e32 v115, 0xb102e308, v32
	v_dual_add_f32 v32, v33, v112 :: v_dual_add_f32 v33, v116, v115
	s_delay_alu instid0(VALU_DEP_1) | instskip(NEXT) | instid1(VALU_DEP_2)
	v_add_f32_e32 v112, v113, v32
	v_sub_f32_e32 v116, v33, v116
	s_delay_alu instid0(VALU_DEP_2) | instskip(NEXT) | instid1(VALU_DEP_1)
	v_dual_add_f32 v114, v33, v112 :: v_dual_sub_f32 v113, v112, v113
	v_sub_f32_e32 v117, v114, v33
	s_delay_alu instid0(VALU_DEP_2) | instskip(NEXT) | instid1(VALU_DEP_2)
	v_sub_f32_e32 v32, v32, v113
	v_sub_f32_e32 v118, v114, v117
	v_dual_sub_f32 v112, v112, v117 :: v_dual_sub_f32 v115, v115, v116
	s_delay_alu instid0(VALU_DEP_2) | instskip(NEXT) | instid1(VALU_DEP_2)
	v_sub_f32_e32 v33, v33, v118
	v_add_f32_e32 v113, v115, v32
	s_delay_alu instid0(VALU_DEP_2) | instskip(NEXT) | instid1(VALU_DEP_1)
	v_add_f32_e32 v33, v112, v33
	v_add_f32_e32 v33, v113, v33
	s_delay_alu instid0(VALU_DEP_1) | instskip(SKIP_1) | instid1(VALU_DEP_1)
	v_add_f32_e32 v116, v114, v33
	v_sub_f32_e32 v112, v113, v115
	v_sub_f32_e32 v113, v113, v112
	v_sub_f32_e32 v32, v32, v112
	s_delay_alu instid0(VALU_DEP_2) | instskip(NEXT) | instid1(VALU_DEP_1)
	v_dual_sub_f32 v112, v116, v114 :: v_dual_sub_f32 v113, v115, v113
	v_dual_sub_f32 v33, v33, v112 :: v_dual_add_f32 v32, v32, v113
	s_delay_alu instid0(VALU_DEP_1) | instskip(NEXT) | instid1(VALU_DEP_1)
	v_add_f32_e32 v32, v32, v33
	v_add_f32_e32 v32, v116, v32
	s_delay_alu instid0(VALU_DEP_1)
	v_cndmask_b32_e32 v112, v32, v35, vcc_lo
.LBB144_78:                             ;   in Loop: Header=BB144_12 Depth=1
	s_or_b32 exec_lo, exec_lo, s29
	s_waitcnt lgkmcnt(6)
	v_add_f32_e32 v113, s84, v30
	s_delay_alu instid0(VALU_DEP_1) | instskip(SKIP_1) | instid1(SALU_CYCLE_1)
	v_cmp_ge_f32_e32 vcc_lo, 0x41a00000, v113
	s_and_b32 s28, s91, vcc_lo
	s_and_saveexec_b32 s29, s28
	s_cbranch_execz .LBB144_80
; %bb.79:                               ;   in Loop: Header=BB144_12 Depth=1
	v_mul_f32_e32 v30, 0x3fb8aa3b, v113
	v_cmp_ngt_f32_e32 vcc_lo, 0xc2ce8ed0, v113
	s_delay_alu instid0(VALU_DEP_2) | instskip(SKIP_1) | instid1(VALU_DEP_1)
	v_rndne_f32_e32 v32, v30
	v_fma_f32 v33, 0x3fb8aa3b, v113, -v30
	v_dual_sub_f32 v30, v30, v32 :: v_dual_fmac_f32 v33, 0x32a5705f, v113
	v_cvt_i32_f32_e32 v32, v32
	s_delay_alu instid0(VALU_DEP_2) | instskip(NEXT) | instid1(VALU_DEP_1)
	v_add_f32_e32 v30, v30, v33
	v_exp_f32_e32 v30, v30
	s_waitcnt_depctr 0xfff
	v_ldexp_f32 v30, v30, v32
	s_delay_alu instid0(VALU_DEP_1) | instskip(SKIP_1) | instid1(VALU_DEP_2)
	v_cndmask_b32_e32 v30, 0, v30, vcc_lo
	v_cmp_nlt_f32_e32 vcc_lo, 0x42b17218, v113
	v_cndmask_b32_e32 v30, 0x7f800000, v30, vcc_lo
	s_delay_alu instid0(VALU_DEP_1) | instskip(NEXT) | instid1(VALU_DEP_1)
	v_add_f32_e32 v35, 1.0, v30
	v_cvt_f64_f32_e32 v[32:33], v35
	s_delay_alu instid0(VALU_DEP_1) | instskip(SKIP_1) | instid1(VALU_DEP_1)
	v_frexp_exp_i32_f64_e32 v32, v[32:33]
	v_frexp_mant_f32_e32 v33, v35
	v_cmp_gt_f32_e32 vcc_lo, 0x3f2aaaab, v33
	v_add_f32_e32 v33, -1.0, v35
	s_delay_alu instid0(VALU_DEP_1) | instskip(NEXT) | instid1(VALU_DEP_1)
	v_dual_sub_f32 v114, v33, v35 :: v_dual_sub_f32 v33, v30, v33
	v_add_f32_e32 v114, 1.0, v114
	s_delay_alu instid0(VALU_DEP_1) | instskip(SKIP_1) | instid1(VALU_DEP_1)
	v_add_f32_e32 v33, v33, v114
	v_subrev_co_ci_u32_e32 v32, vcc_lo, 0, v32, vcc_lo
	v_sub_nc_u32_e32 v113, 0, v32
	v_cvt_f32_i32_e32 v32, v32
	s_delay_alu instid0(VALU_DEP_2) | instskip(SKIP_1) | instid1(VALU_DEP_2)
	v_ldexp_f32 v35, v35, v113
	v_ldexp_f32 v33, v33, v113
	v_add_f32_e32 v115, 1.0, v35
	v_add_f32_e32 v113, -1.0, v35
	s_delay_alu instid0(VALU_DEP_2) | instskip(NEXT) | instid1(VALU_DEP_2)
	v_add_f32_e32 v114, -1.0, v115
	v_add_f32_e32 v116, 1.0, v113
	s_delay_alu instid0(VALU_DEP_2) | instskip(NEXT) | instid1(VALU_DEP_2)
	v_sub_f32_e32 v114, v35, v114
	v_sub_f32_e32 v35, v35, v116
	v_cmp_eq_f32_e32 vcc_lo, 0x7f800000, v30
	v_cmp_gt_f32_e64 s28, 0x33800000, v30
	s_delay_alu instid0(VALU_DEP_4) | instskip(NEXT) | instid1(VALU_DEP_4)
	v_add_f32_e32 v114, v33, v114
	v_add_f32_e32 v33, v33, v35
	s_delay_alu instid0(VALU_DEP_3) | instskip(NEXT) | instid1(VALU_DEP_1)
	s_or_b32 vcc_lo, s28, vcc_lo
	v_dual_add_f32 v117, v113, v33 :: v_dual_add_f32 v116, v115, v114
	s_delay_alu instid0(VALU_DEP_1) | instskip(NEXT) | instid1(VALU_DEP_2)
	v_sub_f32_e32 v113, v113, v117
	v_rcp_f32_e32 v35, v116
	v_sub_f32_e32 v115, v115, v116
	s_delay_alu instid0(VALU_DEP_1) | instskip(SKIP_2) | instid1(VALU_DEP_1)
	v_dual_add_f32 v33, v33, v113 :: v_dual_add_f32 v114, v114, v115
	s_waitcnt_depctr 0xfff
	v_mul_f32_e32 v118, v117, v35
	v_mul_f32_e32 v119, v116, v118
	s_delay_alu instid0(VALU_DEP_1) | instskip(NEXT) | instid1(VALU_DEP_1)
	v_fma_f32 v115, v118, v116, -v119
	v_fmac_f32_e32 v115, v118, v114
	s_delay_alu instid0(VALU_DEP_1) | instskip(NEXT) | instid1(VALU_DEP_1)
	v_add_f32_e32 v120, v119, v115
	v_sub_f32_e32 v121, v117, v120
	v_sub_f32_e32 v113, v120, v119
	s_delay_alu instid0(VALU_DEP_2) | instskip(NEXT) | instid1(VALU_DEP_2)
	v_sub_f32_e32 v117, v117, v121
	v_sub_f32_e32 v113, v113, v115
	s_delay_alu instid0(VALU_DEP_2) | instskip(NEXT) | instid1(VALU_DEP_1)
	v_sub_f32_e32 v117, v117, v120
	v_add_f32_e32 v33, v33, v117
	s_delay_alu instid0(VALU_DEP_1) | instskip(NEXT) | instid1(VALU_DEP_1)
	v_add_f32_e32 v33, v113, v33
	v_add_f32_e32 v113, v121, v33
	s_delay_alu instid0(VALU_DEP_1) | instskip(NEXT) | instid1(VALU_DEP_1)
	v_mul_f32_e32 v115, v35, v113
	v_dual_sub_f32 v120, v121, v113 :: v_dual_mul_f32 v117, v116, v115
	s_delay_alu instid0(VALU_DEP_1) | instskip(NEXT) | instid1(VALU_DEP_2)
	v_add_f32_e32 v33, v33, v120
	v_fma_f32 v116, v115, v116, -v117
	s_delay_alu instid0(VALU_DEP_1) | instskip(NEXT) | instid1(VALU_DEP_1)
	v_fmac_f32_e32 v116, v115, v114
	v_add_f32_e32 v114, v117, v116
	s_delay_alu instid0(VALU_DEP_1) | instskip(NEXT) | instid1(VALU_DEP_1)
	v_sub_f32_e32 v119, v113, v114
	v_sub_f32_e32 v113, v113, v119
	s_delay_alu instid0(VALU_DEP_1) | instskip(NEXT) | instid1(VALU_DEP_1)
	v_sub_f32_e32 v113, v113, v114
	v_add_f32_e32 v33, v33, v113
	v_add_f32_e32 v113, v118, v115
	v_sub_f32_e32 v117, v114, v117
	s_delay_alu instid0(VALU_DEP_1) | instskip(NEXT) | instid1(VALU_DEP_1)
	v_sub_f32_e32 v114, v117, v116
	v_dual_add_f32 v33, v114, v33 :: v_dual_sub_f32 v114, v113, v118
	s_delay_alu instid0(VALU_DEP_1) | instskip(NEXT) | instid1(VALU_DEP_2)
	v_add_f32_e32 v33, v119, v33
	v_sub_f32_e32 v114, v115, v114
	s_delay_alu instid0(VALU_DEP_2) | instskip(NEXT) | instid1(VALU_DEP_1)
	v_mul_f32_e32 v33, v35, v33
	v_add_f32_e32 v33, v114, v33
	s_delay_alu instid0(VALU_DEP_1) | instskip(NEXT) | instid1(VALU_DEP_1)
	v_add_f32_e32 v35, v113, v33
	v_mul_f32_e32 v114, v35, v35
	s_delay_alu instid0(VALU_DEP_1) | instskip(SKIP_1) | instid1(VALU_DEP_2)
	v_fmaak_f32 v115, s74, v114, 0x3ecc95a3
	v_mul_f32_e32 v116, v35, v114
	v_fmaak_f32 v114, v114, v115, 0x3f2aaada
	v_ldexp_f32 v115, v35, 1
	s_delay_alu instid0(VALU_DEP_2) | instskip(NEXT) | instid1(VALU_DEP_1)
	v_dual_sub_f32 v35, v35, v113 :: v_dual_mul_f32 v114, v116, v114
	v_dual_mul_f32 v116, 0x3f317218, v32 :: v_dual_sub_f32 v33, v33, v35
	s_delay_alu instid0(VALU_DEP_2) | instskip(NEXT) | instid1(VALU_DEP_2)
	v_add_f32_e32 v113, v115, v114
	v_ldexp_f32 v33, v33, 1
	s_delay_alu instid0(VALU_DEP_2) | instskip(NEXT) | instid1(VALU_DEP_4)
	v_sub_f32_e32 v35, v113, v115
	v_fma_f32 v115, 0x3f317218, v32, -v116
	s_delay_alu instid0(VALU_DEP_2) | instskip(NEXT) | instid1(VALU_DEP_1)
	v_sub_f32_e32 v35, v114, v35
	v_dual_fmac_f32 v115, 0xb102e308, v32 :: v_dual_add_f32 v32, v33, v35
	s_delay_alu instid0(VALU_DEP_1) | instskip(NEXT) | instid1(VALU_DEP_2)
	v_add_f32_e32 v33, v116, v115
	v_add_f32_e32 v35, v113, v32
	s_delay_alu instid0(VALU_DEP_2) | instskip(NEXT) | instid1(VALU_DEP_2)
	v_sub_f32_e32 v116, v33, v116
	v_dual_add_f32 v114, v33, v35 :: v_dual_sub_f32 v113, v35, v113
	s_delay_alu instid0(VALU_DEP_2) | instskip(NEXT) | instid1(VALU_DEP_2)
	v_sub_f32_e32 v115, v115, v116
	v_sub_f32_e32 v117, v114, v33
	s_delay_alu instid0(VALU_DEP_3) | instskip(NEXT) | instid1(VALU_DEP_2)
	v_sub_f32_e32 v32, v32, v113
	v_sub_f32_e32 v118, v114, v117
	;; [unrolled: 1-line block ×3, first 2 shown]
	s_delay_alu instid0(VALU_DEP_3) | instskip(NEXT) | instid1(VALU_DEP_3)
	v_add_f32_e32 v113, v115, v32
	v_sub_f32_e32 v33, v33, v118
	s_delay_alu instid0(VALU_DEP_1) | instskip(NEXT) | instid1(VALU_DEP_3)
	v_add_f32_e32 v33, v35, v33
	v_sub_f32_e32 v35, v113, v115
	s_delay_alu instid0(VALU_DEP_2) | instskip(NEXT) | instid1(VALU_DEP_2)
	v_add_f32_e32 v33, v113, v33
	v_sub_f32_e32 v113, v113, v35
	v_sub_f32_e32 v32, v32, v35
	s_delay_alu instid0(VALU_DEP_3) | instskip(NEXT) | instid1(VALU_DEP_3)
	v_add_f32_e32 v116, v114, v33
	v_sub_f32_e32 v113, v115, v113
	s_delay_alu instid0(VALU_DEP_2) | instskip(NEXT) | instid1(VALU_DEP_1)
	v_sub_f32_e32 v35, v116, v114
	v_dual_add_f32 v32, v32, v113 :: v_dual_sub_f32 v33, v33, v35
	s_delay_alu instid0(VALU_DEP_1) | instskip(NEXT) | instid1(VALU_DEP_1)
	v_add_f32_e32 v32, v32, v33
	v_add_f32_e32 v32, v116, v32
	s_delay_alu instid0(VALU_DEP_1)
	v_cndmask_b32_e32 v113, v32, v30, vcc_lo
.LBB144_80:                             ;   in Loop: Header=BB144_12 Depth=1
	s_or_b32 exec_lo, exec_lo, s29
	v_add_f32_e32 v114, s84, v31
	s_delay_alu instid0(VALU_DEP_1) | instskip(SKIP_1) | instid1(SALU_CYCLE_1)
	v_cmp_ge_f32_e32 vcc_lo, 0x41a00000, v114
	s_and_b32 s28, s91, vcc_lo
	s_and_saveexec_b32 s29, s28
	s_cbranch_execz .LBB144_82
; %bb.81:                               ;   in Loop: Header=BB144_12 Depth=1
	v_mul_f32_e32 v30, 0x3fb8aa3b, v114
	v_cmp_ngt_f32_e32 vcc_lo, 0xc2ce8ed0, v114
	s_delay_alu instid0(VALU_DEP_2) | instskip(SKIP_1) | instid1(VALU_DEP_2)
	v_rndne_f32_e32 v31, v30
	v_fma_f32 v32, 0x3fb8aa3b, v114, -v30
	v_sub_f32_e32 v30, v30, v31
	s_delay_alu instid0(VALU_DEP_2) | instskip(SKIP_1) | instid1(VALU_DEP_2)
	v_fmac_f32_e32 v32, 0x32a5705f, v114
	v_cvt_i32_f32_e32 v31, v31
	v_add_f32_e32 v30, v30, v32
	s_delay_alu instid0(VALU_DEP_1) | instskip(SKIP_2) | instid1(VALU_DEP_1)
	v_exp_f32_e32 v30, v30
	s_waitcnt_depctr 0xfff
	v_ldexp_f32 v30, v30, v31
	v_cndmask_b32_e32 v30, 0, v30, vcc_lo
	v_cmp_nlt_f32_e32 vcc_lo, 0x42b17218, v114
	s_delay_alu instid0(VALU_DEP_2) | instskip(NEXT) | instid1(VALU_DEP_1)
	v_cndmask_b32_e32 v32, 0x7f800000, v30, vcc_lo
	v_add_f32_e32 v33, 1.0, v32
	s_delay_alu instid0(VALU_DEP_1) | instskip(NEXT) | instid1(VALU_DEP_1)
	v_cvt_f64_f32_e32 v[30:31], v33
	v_frexp_exp_i32_f64_e32 v30, v[30:31]
	v_frexp_mant_f32_e32 v31, v33
	s_delay_alu instid0(VALU_DEP_1) | instskip(SKIP_1) | instid1(VALU_DEP_1)
	v_cmp_gt_f32_e32 vcc_lo, 0x3f2aaaab, v31
	v_add_f32_e32 v31, -1.0, v33
	v_dual_sub_f32 v114, v31, v33 :: v_dual_sub_f32 v31, v32, v31
	s_delay_alu instid0(VALU_DEP_1) | instskip(SKIP_1) | instid1(VALU_DEP_1)
	v_add_f32_e32 v114, 1.0, v114
	v_subrev_co_ci_u32_e32 v30, vcc_lo, 0, v30, vcc_lo
	v_sub_nc_u32_e32 v35, 0, v30
	v_cvt_f32_i32_e32 v30, v30
	s_delay_alu instid0(VALU_DEP_2) | instskip(NEXT) | instid1(VALU_DEP_1)
	v_ldexp_f32 v33, v33, v35
	v_add_f32_e32 v115, 1.0, v33
	s_delay_alu instid0(VALU_DEP_1) | instskip(NEXT) | instid1(VALU_DEP_1)
	v_dual_add_f32 v31, v31, v114 :: v_dual_add_f32 v114, -1.0, v115
	v_ldexp_f32 v31, v31, v35
	s_delay_alu instid0(VALU_DEP_2) | instskip(NEXT) | instid1(VALU_DEP_1)
	v_dual_add_f32 v35, -1.0, v33 :: v_dual_sub_f32 v114, v33, v114
	v_add_f32_e32 v116, 1.0, v35
	s_delay_alu instid0(VALU_DEP_1) | instskip(SKIP_2) | instid1(VALU_DEP_3)
	v_dual_add_f32 v114, v31, v114 :: v_dual_sub_f32 v33, v33, v116
	v_cmp_eq_f32_e32 vcc_lo, 0x7f800000, v32
	v_cmp_gt_f32_e64 s28, 0x33800000, v32
	v_add_f32_e32 v31, v31, v33
	s_delay_alu instid0(VALU_DEP_2) | instskip(NEXT) | instid1(VALU_DEP_1)
	s_or_b32 vcc_lo, s28, vcc_lo
	v_add_f32_e32 v117, v35, v31
	v_add_f32_e32 v116, v115, v114
	s_delay_alu instid0(VALU_DEP_2) | instskip(NEXT) | instid1(VALU_DEP_2)
	v_sub_f32_e32 v35, v35, v117
	v_rcp_f32_e32 v33, v116
	v_sub_f32_e32 v115, v115, v116
	s_delay_alu instid0(VALU_DEP_2) | instskip(NEXT) | instid1(VALU_DEP_2)
	v_add_f32_e32 v31, v31, v35
	v_add_f32_e32 v114, v114, v115
	s_waitcnt_depctr 0xfff
	v_mul_f32_e32 v118, v117, v33
	s_delay_alu instid0(VALU_DEP_1) | instskip(NEXT) | instid1(VALU_DEP_1)
	v_mul_f32_e32 v119, v116, v118
	v_fma_f32 v115, v118, v116, -v119
	s_delay_alu instid0(VALU_DEP_1) | instskip(NEXT) | instid1(VALU_DEP_1)
	v_fmac_f32_e32 v115, v118, v114
	v_add_f32_e32 v120, v119, v115
	s_delay_alu instid0(VALU_DEP_1) | instskip(SKIP_1) | instid1(VALU_DEP_2)
	v_sub_f32_e32 v121, v117, v120
	v_sub_f32_e32 v35, v120, v119
	v_sub_f32_e32 v117, v117, v121
	s_delay_alu instid0(VALU_DEP_2) | instskip(NEXT) | instid1(VALU_DEP_2)
	v_sub_f32_e32 v35, v35, v115
	v_sub_f32_e32 v117, v117, v120
	s_delay_alu instid0(VALU_DEP_1) | instskip(NEXT) | instid1(VALU_DEP_1)
	v_add_f32_e32 v31, v31, v117
	v_add_f32_e32 v31, v35, v31
	s_delay_alu instid0(VALU_DEP_1) | instskip(NEXT) | instid1(VALU_DEP_1)
	v_add_f32_e32 v35, v121, v31
	v_mul_f32_e32 v115, v33, v35
	v_sub_f32_e32 v120, v121, v35
	s_delay_alu instid0(VALU_DEP_2) | instskip(NEXT) | instid1(VALU_DEP_2)
	v_mul_f32_e32 v117, v116, v115
	v_add_f32_e32 v31, v31, v120
	s_delay_alu instid0(VALU_DEP_2) | instskip(NEXT) | instid1(VALU_DEP_1)
	v_fma_f32 v116, v115, v116, -v117
	v_fmac_f32_e32 v116, v115, v114
	s_delay_alu instid0(VALU_DEP_1) | instskip(NEXT) | instid1(VALU_DEP_1)
	v_add_f32_e32 v114, v117, v116
	v_sub_f32_e32 v119, v35, v114
	v_sub_f32_e32 v117, v114, v117
	s_delay_alu instid0(VALU_DEP_2) | instskip(NEXT) | instid1(VALU_DEP_1)
	v_sub_f32_e32 v35, v35, v119
	v_dual_sub_f32 v35, v35, v114 :: v_dual_sub_f32 v114, v117, v116
	s_delay_alu instid0(VALU_DEP_1) | instskip(SKIP_1) | instid1(VALU_DEP_1)
	v_add_f32_e32 v31, v31, v35
	v_add_f32_e32 v35, v118, v115
	v_dual_add_f32 v31, v114, v31 :: v_dual_sub_f32 v114, v35, v118
	s_delay_alu instid0(VALU_DEP_1) | instskip(NEXT) | instid1(VALU_DEP_1)
	v_add_f32_e32 v31, v119, v31
	v_dual_sub_f32 v114, v115, v114 :: v_dual_mul_f32 v31, v33, v31
	s_delay_alu instid0(VALU_DEP_1) | instskip(NEXT) | instid1(VALU_DEP_1)
	v_add_f32_e32 v31, v114, v31
	v_add_f32_e32 v33, v35, v31
	s_delay_alu instid0(VALU_DEP_1) | instskip(NEXT) | instid1(VALU_DEP_1)
	v_mul_f32_e32 v114, v33, v33
	v_fmaak_f32 v115, s74, v114, 0x3ecc95a3
	v_mul_f32_e32 v116, v33, v114
	s_delay_alu instid0(VALU_DEP_2) | instskip(SKIP_1) | instid1(VALU_DEP_2)
	v_fmaak_f32 v114, v114, v115, 0x3f2aaada
	v_ldexp_f32 v115, v33, 1
	v_mul_f32_e32 v114, v116, v114
	v_dual_mul_f32 v116, 0x3f317218, v30 :: v_dual_sub_f32 v33, v33, v35
	s_delay_alu instid0(VALU_DEP_2) | instskip(NEXT) | instid1(VALU_DEP_2)
	v_add_f32_e32 v35, v115, v114
	v_sub_f32_e32 v31, v31, v33
	s_delay_alu instid0(VALU_DEP_2) | instskip(NEXT) | instid1(VALU_DEP_4)
	v_sub_f32_e32 v33, v35, v115
	v_fma_f32 v115, 0x3f317218, v30, -v116
	s_delay_alu instid0(VALU_DEP_3) | instskip(NEXT) | instid1(VALU_DEP_3)
	v_ldexp_f32 v31, v31, 1
	v_sub_f32_e32 v33, v114, v33
	s_delay_alu instid0(VALU_DEP_1) | instskip(NEXT) | instid1(VALU_DEP_1)
	v_dual_fmac_f32 v115, 0xb102e308, v30 :: v_dual_add_f32 v30, v31, v33
	v_add_f32_e32 v31, v116, v115
	s_delay_alu instid0(VALU_DEP_2) | instskip(NEXT) | instid1(VALU_DEP_2)
	v_add_f32_e32 v33, v35, v30
	v_sub_f32_e32 v116, v31, v116
	s_delay_alu instid0(VALU_DEP_2) | instskip(NEXT) | instid1(VALU_DEP_2)
	v_dual_add_f32 v114, v31, v33 :: v_dual_sub_f32 v35, v33, v35
	v_sub_f32_e32 v115, v115, v116
	s_delay_alu instid0(VALU_DEP_2) | instskip(NEXT) | instid1(VALU_DEP_3)
	v_sub_f32_e32 v117, v114, v31
	v_sub_f32_e32 v30, v30, v35
	s_delay_alu instid0(VALU_DEP_2) | instskip(SKIP_1) | instid1(VALU_DEP_3)
	v_sub_f32_e32 v118, v114, v117
	v_sub_f32_e32 v33, v33, v117
	v_add_f32_e32 v35, v115, v30
	s_delay_alu instid0(VALU_DEP_3) | instskip(NEXT) | instid1(VALU_DEP_1)
	v_sub_f32_e32 v31, v31, v118
	v_add_f32_e32 v31, v33, v31
	s_delay_alu instid0(VALU_DEP_3) | instskip(NEXT) | instid1(VALU_DEP_2)
	v_sub_f32_e32 v33, v35, v115
	v_add_f32_e32 v31, v35, v31
	s_delay_alu instid0(VALU_DEP_2) | instskip(SKIP_1) | instid1(VALU_DEP_3)
	v_sub_f32_e32 v35, v35, v33
	v_sub_f32_e32 v30, v30, v33
	v_add_f32_e32 v116, v114, v31
	s_delay_alu instid0(VALU_DEP_3) | instskip(NEXT) | instid1(VALU_DEP_1)
	v_sub_f32_e32 v35, v115, v35
	v_dual_sub_f32 v33, v116, v114 :: v_dual_add_f32 v30, v30, v35
	s_delay_alu instid0(VALU_DEP_1) | instskip(NEXT) | instid1(VALU_DEP_1)
	v_sub_f32_e32 v31, v31, v33
	v_add_f32_e32 v30, v30, v31
	s_delay_alu instid0(VALU_DEP_1) | instskip(NEXT) | instid1(VALU_DEP_1)
	v_add_f32_e32 v30, v116, v30
	v_cndmask_b32_e32 v114, v30, v32, vcc_lo
.LBB144_82:                             ;   in Loop: Header=BB144_12 Depth=1
	s_or_b32 exec_lo, exec_lo, s29
	s_waitcnt lgkmcnt(5)
	v_add_f32_e32 v115, s84, v28
	s_delay_alu instid0(VALU_DEP_1) | instskip(SKIP_1) | instid1(SALU_CYCLE_1)
	v_cmp_ge_f32_e32 vcc_lo, 0x41a00000, v115
	s_and_b32 s28, s91, vcc_lo
	s_and_saveexec_b32 s29, s28
	s_cbranch_execz .LBB144_84
; %bb.83:                               ;   in Loop: Header=BB144_12 Depth=1
	v_mul_f32_e32 v28, 0x3fb8aa3b, v115
	v_cmp_ngt_f32_e32 vcc_lo, 0xc2ce8ed0, v115
	s_delay_alu instid0(VALU_DEP_2) | instskip(SKIP_1) | instid1(VALU_DEP_1)
	v_rndne_f32_e32 v30, v28
	v_fma_f32 v31, 0x3fb8aa3b, v115, -v28
	v_dual_sub_f32 v28, v28, v30 :: v_dual_fmac_f32 v31, 0x32a5705f, v115
	v_cvt_i32_f32_e32 v30, v30
	s_delay_alu instid0(VALU_DEP_2) | instskip(NEXT) | instid1(VALU_DEP_1)
	v_add_f32_e32 v28, v28, v31
	v_exp_f32_e32 v28, v28
	s_waitcnt_depctr 0xfff
	v_ldexp_f32 v28, v28, v30
	s_delay_alu instid0(VALU_DEP_1) | instskip(SKIP_1) | instid1(VALU_DEP_2)
	v_cndmask_b32_e32 v28, 0, v28, vcc_lo
	v_cmp_nlt_f32_e32 vcc_lo, 0x42b17218, v115
	v_cndmask_b32_e32 v28, 0x7f800000, v28, vcc_lo
	s_delay_alu instid0(VALU_DEP_1) | instskip(NEXT) | instid1(VALU_DEP_1)
	v_add_f32_e32 v32, 1.0, v28
	v_cvt_f64_f32_e32 v[30:31], v32
	s_delay_alu instid0(VALU_DEP_1) | instskip(SKIP_1) | instid1(VALU_DEP_1)
	v_frexp_exp_i32_f64_e32 v30, v[30:31]
	v_frexp_mant_f32_e32 v31, v32
	v_cmp_gt_f32_e32 vcc_lo, 0x3f2aaaab, v31
	v_add_f32_e32 v31, -1.0, v32
	s_delay_alu instid0(VALU_DEP_1) | instskip(SKIP_1) | instid1(VALU_DEP_2)
	v_sub_f32_e32 v35, v31, v32
	v_sub_f32_e32 v31, v28, v31
	v_add_f32_e32 v35, 1.0, v35
	s_delay_alu instid0(VALU_DEP_1) | instskip(SKIP_3) | instid1(VALU_DEP_2)
	v_add_f32_e32 v31, v31, v35
	v_cmp_gt_f32_e64 s28, 0x33800000, v28
	v_subrev_co_ci_u32_e32 v30, vcc_lo, 0, v30, vcc_lo
	v_cmp_eq_f32_e32 vcc_lo, 0x7f800000, v28
	v_sub_nc_u32_e32 v33, 0, v30
	v_cvt_f32_i32_e32 v30, v30
	s_or_b32 vcc_lo, s28, vcc_lo
	s_delay_alu instid0(VALU_DEP_2) | instskip(SKIP_1) | instid1(VALU_DEP_2)
	v_ldexp_f32 v32, v32, v33
	v_ldexp_f32 v31, v31, v33
	v_add_f32_e32 v33, -1.0, v32
	s_delay_alu instid0(VALU_DEP_1) | instskip(NEXT) | instid1(VALU_DEP_1)
	v_dual_add_f32 v115, 1.0, v32 :: v_dual_add_f32 v116, 1.0, v33
	v_add_f32_e32 v35, -1.0, v115
	s_delay_alu instid0(VALU_DEP_1) | instskip(NEXT) | instid1(VALU_DEP_1)
	v_sub_f32_e32 v35, v32, v35
	v_dual_sub_f32 v32, v32, v116 :: v_dual_add_f32 v35, v31, v35
	s_delay_alu instid0(VALU_DEP_1) | instskip(NEXT) | instid1(VALU_DEP_2)
	v_add_f32_e32 v31, v31, v32
	v_add_f32_e32 v116, v115, v35
	s_delay_alu instid0(VALU_DEP_2) | instskip(NEXT) | instid1(VALU_DEP_2)
	v_add_f32_e32 v117, v33, v31
	v_rcp_f32_e32 v32, v116
	v_sub_f32_e32 v115, v115, v116
	s_delay_alu instid0(VALU_DEP_2) | instskip(NEXT) | instid1(VALU_DEP_2)
	v_sub_f32_e32 v33, v33, v117
	v_add_f32_e32 v35, v35, v115
	s_waitcnt_depctr 0xfff
	v_dual_add_f32 v31, v31, v33 :: v_dual_mul_f32 v118, v117, v32
	s_delay_alu instid0(VALU_DEP_1) | instskip(NEXT) | instid1(VALU_DEP_1)
	v_mul_f32_e32 v119, v116, v118
	v_fma_f32 v115, v118, v116, -v119
	s_delay_alu instid0(VALU_DEP_1) | instskip(NEXT) | instid1(VALU_DEP_1)
	v_fmac_f32_e32 v115, v118, v35
	v_add_f32_e32 v120, v119, v115
	s_delay_alu instid0(VALU_DEP_1) | instskip(SKIP_1) | instid1(VALU_DEP_2)
	v_sub_f32_e32 v121, v117, v120
	v_sub_f32_e32 v33, v120, v119
	;; [unrolled: 1-line block ×3, first 2 shown]
	s_delay_alu instid0(VALU_DEP_2) | instskip(NEXT) | instid1(VALU_DEP_2)
	v_sub_f32_e32 v33, v33, v115
	v_sub_f32_e32 v117, v117, v120
	s_delay_alu instid0(VALU_DEP_1) | instskip(NEXT) | instid1(VALU_DEP_1)
	v_add_f32_e32 v31, v31, v117
	v_add_f32_e32 v31, v33, v31
	s_delay_alu instid0(VALU_DEP_1) | instskip(NEXT) | instid1(VALU_DEP_1)
	v_add_f32_e32 v33, v121, v31
	v_mul_f32_e32 v115, v32, v33
	s_delay_alu instid0(VALU_DEP_1) | instskip(NEXT) | instid1(VALU_DEP_1)
	v_dual_sub_f32 v120, v121, v33 :: v_dual_mul_f32 v117, v116, v115
	v_add_f32_e32 v31, v31, v120
	s_delay_alu instid0(VALU_DEP_2) | instskip(NEXT) | instid1(VALU_DEP_1)
	v_fma_f32 v116, v115, v116, -v117
	v_fmac_f32_e32 v116, v115, v35
	s_delay_alu instid0(VALU_DEP_1) | instskip(NEXT) | instid1(VALU_DEP_1)
	v_add_f32_e32 v35, v117, v116
	v_sub_f32_e32 v119, v33, v35
	v_sub_f32_e32 v117, v35, v117
	s_delay_alu instid0(VALU_DEP_2) | instskip(NEXT) | instid1(VALU_DEP_1)
	v_sub_f32_e32 v33, v33, v119
	v_sub_f32_e32 v33, v33, v35
	s_delay_alu instid0(VALU_DEP_3) | instskip(NEXT) | instid1(VALU_DEP_2)
	v_sub_f32_e32 v35, v117, v116
	v_add_f32_e32 v31, v31, v33
	v_add_f32_e32 v33, v118, v115
	s_delay_alu instid0(VALU_DEP_2) | instskip(NEXT) | instid1(VALU_DEP_2)
	v_add_f32_e32 v31, v35, v31
	v_sub_f32_e32 v35, v33, v118
	s_delay_alu instid0(VALU_DEP_2) | instskip(NEXT) | instid1(VALU_DEP_2)
	v_add_f32_e32 v31, v119, v31
	v_sub_f32_e32 v35, v115, v35
	s_delay_alu instid0(VALU_DEP_2) | instskip(NEXT) | instid1(VALU_DEP_1)
	v_mul_f32_e32 v31, v32, v31
	v_add_f32_e32 v31, v35, v31
	s_delay_alu instid0(VALU_DEP_1) | instskip(NEXT) | instid1(VALU_DEP_1)
	v_add_f32_e32 v32, v33, v31
	v_mul_f32_e32 v35, v32, v32
	s_delay_alu instid0(VALU_DEP_1) | instskip(SKIP_1) | instid1(VALU_DEP_2)
	v_fmaak_f32 v115, s74, v35, 0x3ecc95a3
	v_mul_f32_e32 v116, v32, v35
	v_fmaak_f32 v35, v35, v115, 0x3f2aaada
	v_ldexp_f32 v115, v32, 1
	v_sub_f32_e32 v32, v32, v33
	s_delay_alu instid0(VALU_DEP_3) | instskip(NEXT) | instid1(VALU_DEP_2)
	v_dual_mul_f32 v35, v116, v35 :: v_dual_mul_f32 v116, 0x3f317218, v30
	v_sub_f32_e32 v31, v31, v32
	s_delay_alu instid0(VALU_DEP_2) | instskip(NEXT) | instid1(VALU_DEP_2)
	v_add_f32_e32 v33, v115, v35
	v_ldexp_f32 v31, v31, 1
	s_delay_alu instid0(VALU_DEP_2) | instskip(SKIP_1) | instid1(VALU_DEP_1)
	v_sub_f32_e32 v32, v33, v115
	v_fma_f32 v115, 0x3f317218, v30, -v116
	v_dual_sub_f32 v32, v35, v32 :: v_dual_fmac_f32 v115, 0xb102e308, v30
	s_delay_alu instid0(VALU_DEP_1) | instskip(NEXT) | instid1(VALU_DEP_1)
	v_dual_add_f32 v30, v31, v32 :: v_dual_add_f32 v31, v116, v115
	v_add_f32_e32 v32, v33, v30
	s_delay_alu instid0(VALU_DEP_2) | instskip(NEXT) | instid1(VALU_DEP_2)
	v_sub_f32_e32 v116, v31, v116
	v_add_f32_e32 v35, v31, v32
	v_sub_f32_e32 v33, v32, v33
	s_delay_alu instid0(VALU_DEP_3) | instskip(NEXT) | instid1(VALU_DEP_2)
	v_sub_f32_e32 v115, v115, v116
	v_dual_sub_f32 v117, v35, v31 :: v_dual_sub_f32 v30, v30, v33
	s_delay_alu instid0(VALU_DEP_1) | instskip(NEXT) | instid1(VALU_DEP_2)
	v_sub_f32_e32 v118, v35, v117
	v_dual_sub_f32 v32, v32, v117 :: v_dual_add_f32 v33, v115, v30
	s_delay_alu instid0(VALU_DEP_2) | instskip(NEXT) | instid1(VALU_DEP_1)
	v_sub_f32_e32 v31, v31, v118
	v_add_f32_e32 v31, v32, v31
	s_delay_alu instid0(VALU_DEP_3) | instskip(NEXT) | instid1(VALU_DEP_2)
	v_sub_f32_e32 v32, v33, v115
	v_add_f32_e32 v31, v33, v31
	s_delay_alu instid0(VALU_DEP_2) | instskip(SKIP_1) | instid1(VALU_DEP_3)
	v_sub_f32_e32 v33, v33, v32
	v_sub_f32_e32 v30, v30, v32
	v_add_f32_e32 v116, v35, v31
	s_delay_alu instid0(VALU_DEP_1) | instskip(NEXT) | instid1(VALU_DEP_1)
	v_dual_sub_f32 v33, v115, v33 :: v_dual_sub_f32 v32, v116, v35
	v_dual_add_f32 v30, v30, v33 :: v_dual_sub_f32 v31, v31, v32
	s_delay_alu instid0(VALU_DEP_1) | instskip(NEXT) | instid1(VALU_DEP_1)
	v_add_f32_e32 v30, v30, v31
	v_add_f32_e32 v30, v116, v30
	s_delay_alu instid0(VALU_DEP_1)
	v_cndmask_b32_e32 v115, v30, v28, vcc_lo
.LBB144_84:                             ;   in Loop: Header=BB144_12 Depth=1
	s_or_b32 exec_lo, exec_lo, s29
	v_add_f32_e32 v116, s84, v29
	s_delay_alu instid0(VALU_DEP_1) | instskip(SKIP_1) | instid1(SALU_CYCLE_1)
	v_cmp_ge_f32_e32 vcc_lo, 0x41a00000, v116
	s_and_b32 s28, s91, vcc_lo
	s_and_saveexec_b32 s29, s28
	s_cbranch_execz .LBB144_86
; %bb.85:                               ;   in Loop: Header=BB144_12 Depth=1
	v_mul_f32_e32 v28, 0x3fb8aa3b, v116
	v_cmp_ngt_f32_e32 vcc_lo, 0xc2ce8ed0, v116
	s_delay_alu instid0(VALU_DEP_2) | instskip(SKIP_1) | instid1(VALU_DEP_2)
	v_rndne_f32_e32 v29, v28
	v_fma_f32 v30, 0x3fb8aa3b, v116, -v28
	v_sub_f32_e32 v28, v28, v29
	s_delay_alu instid0(VALU_DEP_2) | instskip(SKIP_1) | instid1(VALU_DEP_2)
	v_fmac_f32_e32 v30, 0x32a5705f, v116
	v_cvt_i32_f32_e32 v29, v29
	v_add_f32_e32 v28, v28, v30
	s_delay_alu instid0(VALU_DEP_1) | instskip(SKIP_2) | instid1(VALU_DEP_1)
	v_exp_f32_e32 v28, v28
	s_waitcnt_depctr 0xfff
	v_ldexp_f32 v28, v28, v29
	v_cndmask_b32_e32 v28, 0, v28, vcc_lo
	v_cmp_nlt_f32_e32 vcc_lo, 0x42b17218, v116
	s_delay_alu instid0(VALU_DEP_2) | instskip(NEXT) | instid1(VALU_DEP_1)
	v_cndmask_b32_e32 v30, 0x7f800000, v28, vcc_lo
	v_add_f32_e32 v31, 1.0, v30
	s_delay_alu instid0(VALU_DEP_1) | instskip(NEXT) | instid1(VALU_DEP_1)
	v_cvt_f64_f32_e32 v[28:29], v31
	v_frexp_exp_i32_f64_e32 v28, v[28:29]
	v_frexp_mant_f32_e32 v29, v31
	s_delay_alu instid0(VALU_DEP_1) | instskip(SKIP_1) | instid1(VALU_DEP_1)
	v_cmp_gt_f32_e32 vcc_lo, 0x3f2aaaab, v29
	v_add_f32_e32 v29, -1.0, v31
	v_sub_f32_e32 v33, v29, v31
	s_delay_alu instid0(VALU_DEP_1) | instskip(SKIP_1) | instid1(VALU_DEP_1)
	v_add_f32_e32 v33, 1.0, v33
	v_subrev_co_ci_u32_e32 v28, vcc_lo, 0, v28, vcc_lo
	v_sub_nc_u32_e32 v32, 0, v28
	v_cvt_f32_i32_e32 v28, v28
	s_delay_alu instid0(VALU_DEP_2) | instskip(NEXT) | instid1(VALU_DEP_1)
	v_ldexp_f32 v31, v31, v32
	v_add_f32_e32 v35, 1.0, v31
	v_sub_f32_e32 v29, v30, v29
	v_cmp_eq_f32_e32 vcc_lo, 0x7f800000, v30
	v_cmp_gt_f32_e64 s28, 0x33800000, v30
	s_delay_alu instid0(VALU_DEP_3) | instskip(NEXT) | instid1(VALU_DEP_2)
	v_add_f32_e32 v29, v29, v33
	s_or_b32 vcc_lo, s28, vcc_lo
	s_delay_alu instid0(VALU_DEP_1) | instskip(SKIP_1) | instid1(VALU_DEP_1)
	v_ldexp_f32 v29, v29, v32
	v_add_f32_e32 v32, -1.0, v31
	v_dual_add_f32 v33, -1.0, v35 :: v_dual_add_f32 v116, 1.0, v32
	s_delay_alu instid0(VALU_DEP_1) | instskip(NEXT) | instid1(VALU_DEP_2)
	v_sub_f32_e32 v33, v31, v33
	v_sub_f32_e32 v31, v31, v116
	s_delay_alu instid0(VALU_DEP_2) | instskip(NEXT) | instid1(VALU_DEP_1)
	v_add_f32_e32 v33, v29, v33
	v_dual_add_f32 v29, v29, v31 :: v_dual_add_f32 v116, v35, v33
	s_delay_alu instid0(VALU_DEP_1) | instskip(NEXT) | instid1(VALU_DEP_2)
	v_add_f32_e32 v117, v32, v29
	v_rcp_f32_e32 v31, v116
	s_delay_alu instid0(VALU_DEP_1) | instskip(SKIP_2) | instid1(VALU_DEP_1)
	v_sub_f32_e32 v32, v32, v117
	s_waitcnt_depctr 0xfff
	v_mul_f32_e32 v118, v117, v31
	v_mul_f32_e32 v119, v116, v118
	v_sub_f32_e32 v35, v35, v116
	s_delay_alu instid0(VALU_DEP_1) | instskip(NEXT) | instid1(VALU_DEP_3)
	v_add_f32_e32 v33, v33, v35
	v_fma_f32 v35, v118, v116, -v119
	v_add_f32_e32 v29, v29, v32
	s_delay_alu instid0(VALU_DEP_2) | instskip(NEXT) | instid1(VALU_DEP_1)
	v_fmac_f32_e32 v35, v118, v33
	v_add_f32_e32 v120, v119, v35
	s_delay_alu instid0(VALU_DEP_1) | instskip(NEXT) | instid1(VALU_DEP_1)
	v_dual_sub_f32 v32, v120, v119 :: v_dual_sub_f32 v121, v117, v120
	v_dual_sub_f32 v32, v32, v35 :: v_dual_sub_f32 v117, v117, v121
	s_delay_alu instid0(VALU_DEP_1) | instskip(NEXT) | instid1(VALU_DEP_1)
	v_sub_f32_e32 v117, v117, v120
	v_add_f32_e32 v29, v29, v117
	s_delay_alu instid0(VALU_DEP_1) | instskip(NEXT) | instid1(VALU_DEP_1)
	v_add_f32_e32 v29, v32, v29
	v_add_f32_e32 v32, v121, v29
	s_delay_alu instid0(VALU_DEP_1) | instskip(NEXT) | instid1(VALU_DEP_1)
	v_mul_f32_e32 v35, v31, v32
	v_dual_sub_f32 v120, v121, v32 :: v_dual_mul_f32 v117, v116, v35
	s_delay_alu instid0(VALU_DEP_1) | instskip(NEXT) | instid1(VALU_DEP_2)
	v_add_f32_e32 v29, v29, v120
	v_fma_f32 v116, v35, v116, -v117
	s_delay_alu instid0(VALU_DEP_1) | instskip(NEXT) | instid1(VALU_DEP_1)
	v_fmac_f32_e32 v116, v35, v33
	v_add_f32_e32 v33, v117, v116
	s_delay_alu instid0(VALU_DEP_1) | instskip(NEXT) | instid1(VALU_DEP_1)
	v_sub_f32_e32 v119, v32, v33
	v_dual_sub_f32 v117, v33, v117 :: v_dual_sub_f32 v32, v32, v119
	s_delay_alu instid0(VALU_DEP_1) | instskip(NEXT) | instid1(VALU_DEP_1)
	v_dual_sub_f32 v32, v32, v33 :: v_dual_sub_f32 v33, v117, v116
	v_dual_add_f32 v29, v29, v32 :: v_dual_add_f32 v32, v118, v35
	s_delay_alu instid0(VALU_DEP_1) | instskip(NEXT) | instid1(VALU_DEP_2)
	v_add_f32_e32 v29, v33, v29
	v_sub_f32_e32 v33, v32, v118
	s_delay_alu instid0(VALU_DEP_2) | instskip(NEXT) | instid1(VALU_DEP_2)
	v_add_f32_e32 v29, v119, v29
	v_sub_f32_e32 v33, v35, v33
	s_delay_alu instid0(VALU_DEP_2) | instskip(NEXT) | instid1(VALU_DEP_1)
	v_mul_f32_e32 v29, v31, v29
	v_add_f32_e32 v29, v33, v29
	s_delay_alu instid0(VALU_DEP_1) | instskip(NEXT) | instid1(VALU_DEP_1)
	v_add_f32_e32 v31, v32, v29
	v_mul_f32_e32 v33, v31, v31
	s_delay_alu instid0(VALU_DEP_1) | instskip(NEXT) | instid1(VALU_DEP_1)
	v_fmaak_f32 v35, s74, v33, 0x3ecc95a3
	v_dual_mul_f32 v116, v31, v33 :: v_dual_fmaak_f32 v33, v33, v35, 0x3f2aaada
	v_ldexp_f32 v35, v31, 1
	v_sub_f32_e32 v31, v31, v32
	s_delay_alu instid0(VALU_DEP_3) | instskip(NEXT) | instid1(VALU_DEP_1)
	v_dual_mul_f32 v33, v116, v33 :: v_dual_mul_f32 v116, 0x3f317218, v28
	v_dual_sub_f32 v29, v29, v31 :: v_dual_add_f32 v32, v35, v33
	s_delay_alu instid0(VALU_DEP_1) | instskip(NEXT) | instid1(VALU_DEP_2)
	v_ldexp_f32 v29, v29, 1
	v_sub_f32_e32 v31, v32, v35
	s_delay_alu instid0(VALU_DEP_4) | instskip(NEXT) | instid1(VALU_DEP_2)
	v_fma_f32 v35, 0x3f317218, v28, -v116
	v_sub_f32_e32 v31, v33, v31
	s_delay_alu instid0(VALU_DEP_1) | instskip(NEXT) | instid1(VALU_DEP_1)
	v_dual_fmac_f32 v35, 0xb102e308, v28 :: v_dual_add_f32 v28, v29, v31
	v_add_f32_e32 v29, v116, v35
	s_delay_alu instid0(VALU_DEP_2) | instskip(NEXT) | instid1(VALU_DEP_2)
	v_add_f32_e32 v31, v32, v28
	v_sub_f32_e32 v116, v29, v116
	s_delay_alu instid0(VALU_DEP_2) | instskip(NEXT) | instid1(VALU_DEP_2)
	v_dual_add_f32 v33, v29, v31 :: v_dual_sub_f32 v32, v31, v32
	v_sub_f32_e32 v35, v35, v116
	s_delay_alu instid0(VALU_DEP_2) | instskip(NEXT) | instid1(VALU_DEP_1)
	v_dual_sub_f32 v117, v33, v29 :: v_dual_sub_f32 v28, v28, v32
	v_sub_f32_e32 v118, v33, v117
	v_sub_f32_e32 v31, v31, v117
	s_delay_alu instid0(VALU_DEP_2) | instskip(NEXT) | instid1(VALU_DEP_1)
	v_dual_add_f32 v32, v35, v28 :: v_dual_sub_f32 v29, v29, v118
	v_add_f32_e32 v29, v31, v29
	s_delay_alu instid0(VALU_DEP_2) | instskip(NEXT) | instid1(VALU_DEP_2)
	v_sub_f32_e32 v31, v32, v35
	v_add_f32_e32 v29, v32, v29
	s_delay_alu instid0(VALU_DEP_2) | instskip(SKIP_1) | instid1(VALU_DEP_3)
	v_sub_f32_e32 v32, v32, v31
	v_sub_f32_e32 v28, v28, v31
	v_add_f32_e32 v116, v33, v29
	s_delay_alu instid0(VALU_DEP_1) | instskip(NEXT) | instid1(VALU_DEP_1)
	v_dual_sub_f32 v32, v35, v32 :: v_dual_sub_f32 v31, v116, v33
	v_dual_add_f32 v28, v28, v32 :: v_dual_sub_f32 v29, v29, v31
	s_delay_alu instid0(VALU_DEP_1) | instskip(NEXT) | instid1(VALU_DEP_1)
	v_add_f32_e32 v28, v28, v29
	v_add_f32_e32 v28, v116, v28
	s_delay_alu instid0(VALU_DEP_1)
	v_cndmask_b32_e32 v116, v28, v30, vcc_lo
.LBB144_86:                             ;   in Loop: Header=BB144_12 Depth=1
	s_or_b32 exec_lo, exec_lo, s29
	s_waitcnt lgkmcnt(4)
	v_add_f32_e32 v117, s84, v26
	s_delay_alu instid0(VALU_DEP_1) | instskip(SKIP_1) | instid1(SALU_CYCLE_1)
	v_cmp_ge_f32_e32 vcc_lo, 0x41a00000, v117
	s_and_b32 s28, s91, vcc_lo
	s_and_saveexec_b32 s29, s28
	s_cbranch_execz .LBB144_88
; %bb.87:                               ;   in Loop: Header=BB144_12 Depth=1
	v_mul_f32_e32 v26, 0x3fb8aa3b, v117
	v_cmp_ngt_f32_e32 vcc_lo, 0xc2ce8ed0, v117
	s_delay_alu instid0(VALU_DEP_2) | instskip(SKIP_1) | instid1(VALU_DEP_1)
	v_rndne_f32_e32 v28, v26
	v_fma_f32 v29, 0x3fb8aa3b, v117, -v26
	v_dual_sub_f32 v26, v26, v28 :: v_dual_fmac_f32 v29, 0x32a5705f, v117
	v_cvt_i32_f32_e32 v28, v28
	s_delay_alu instid0(VALU_DEP_2) | instskip(NEXT) | instid1(VALU_DEP_1)
	v_add_f32_e32 v26, v26, v29
	v_exp_f32_e32 v26, v26
	s_waitcnt_depctr 0xfff
	v_ldexp_f32 v26, v26, v28
	s_delay_alu instid0(VALU_DEP_1) | instskip(SKIP_1) | instid1(VALU_DEP_2)
	v_cndmask_b32_e32 v26, 0, v26, vcc_lo
	v_cmp_nlt_f32_e32 vcc_lo, 0x42b17218, v117
	v_cndmask_b32_e32 v26, 0x7f800000, v26, vcc_lo
	s_delay_alu instid0(VALU_DEP_1) | instskip(NEXT) | instid1(VALU_DEP_1)
	v_add_f32_e32 v30, 1.0, v26
	v_cvt_f64_f32_e32 v[28:29], v30
	s_delay_alu instid0(VALU_DEP_1) | instskip(SKIP_1) | instid1(VALU_DEP_1)
	v_frexp_exp_i32_f64_e32 v28, v[28:29]
	v_frexp_mant_f32_e32 v29, v30
	v_cmp_gt_f32_e32 vcc_lo, 0x3f2aaaab, v29
	v_add_f32_e32 v29, -1.0, v30
	s_delay_alu instid0(VALU_DEP_1) | instskip(SKIP_1) | instid1(VALU_DEP_1)
	v_dual_sub_f32 v32, v29, v30 :: v_dual_sub_f32 v29, v26, v29
	v_subrev_co_ci_u32_e32 v28, vcc_lo, 0, v28, vcc_lo
	v_sub_nc_u32_e32 v31, 0, v28
	v_cvt_f32_i32_e32 v28, v28
	s_delay_alu instid0(VALU_DEP_2) | instskip(NEXT) | instid1(VALU_DEP_1)
	v_ldexp_f32 v30, v30, v31
	v_dual_add_f32 v32, 1.0, v32 :: v_dual_add_f32 v33, 1.0, v30
	s_delay_alu instid0(VALU_DEP_1) | instskip(NEXT) | instid1(VALU_DEP_1)
	v_add_f32_e32 v29, v29, v32
	v_ldexp_f32 v29, v29, v31
	s_delay_alu instid0(VALU_DEP_3) | instskip(NEXT) | instid1(VALU_DEP_1)
	v_dual_add_f32 v31, -1.0, v30 :: v_dual_add_f32 v32, -1.0, v33
	v_dual_add_f32 v35, 1.0, v31 :: v_dual_sub_f32 v32, v30, v32
	v_cmp_eq_f32_e32 vcc_lo, 0x7f800000, v26
	v_cmp_gt_f32_e64 s28, 0x33800000, v26
	s_delay_alu instid0(VALU_DEP_3) | instskip(NEXT) | instid1(VALU_DEP_4)
	v_add_f32_e32 v32, v29, v32
	v_sub_f32_e32 v30, v30, v35
	s_delay_alu instid0(VALU_DEP_3) | instskip(NEXT) | instid1(VALU_DEP_2)
	s_or_b32 vcc_lo, s28, vcc_lo
	v_add_f32_e32 v35, v33, v32
	s_delay_alu instid0(VALU_DEP_2) | instskip(NEXT) | instid1(VALU_DEP_2)
	v_add_f32_e32 v29, v29, v30
	v_rcp_f32_e32 v30, v35
	s_delay_alu instid0(VALU_DEP_1) | instskip(SKIP_3) | instid1(VALU_DEP_1)
	v_add_f32_e32 v117, v31, v29
	v_sub_f32_e32 v33, v33, v35
	s_waitcnt_depctr 0xfff
	v_dual_sub_f32 v31, v31, v117 :: v_dual_mul_f32 v118, v117, v30
	v_add_f32_e32 v29, v29, v31
	s_delay_alu instid0(VALU_DEP_2) | instskip(NEXT) | instid1(VALU_DEP_1)
	v_dual_mul_f32 v119, v35, v118 :: v_dual_add_f32 v32, v32, v33
	v_fma_f32 v33, v118, v35, -v119
	s_delay_alu instid0(VALU_DEP_1) | instskip(NEXT) | instid1(VALU_DEP_1)
	v_fmac_f32_e32 v33, v118, v32
	v_add_f32_e32 v120, v119, v33
	s_delay_alu instid0(VALU_DEP_1) | instskip(SKIP_1) | instid1(VALU_DEP_2)
	v_sub_f32_e32 v121, v117, v120
	v_sub_f32_e32 v31, v120, v119
	;; [unrolled: 1-line block ×3, first 2 shown]
	s_delay_alu instid0(VALU_DEP_2) | instskip(NEXT) | instid1(VALU_DEP_2)
	v_sub_f32_e32 v31, v31, v33
	v_sub_f32_e32 v117, v117, v120
	s_delay_alu instid0(VALU_DEP_1) | instskip(NEXT) | instid1(VALU_DEP_1)
	v_add_f32_e32 v29, v29, v117
	v_add_f32_e32 v29, v31, v29
	s_delay_alu instid0(VALU_DEP_1) | instskip(NEXT) | instid1(VALU_DEP_1)
	v_add_f32_e32 v31, v121, v29
	v_mul_f32_e32 v33, v30, v31
	s_delay_alu instid0(VALU_DEP_1) | instskip(NEXT) | instid1(VALU_DEP_1)
	v_dual_sub_f32 v120, v121, v31 :: v_dual_mul_f32 v117, v35, v33
	v_add_f32_e32 v29, v29, v120
	s_delay_alu instid0(VALU_DEP_2) | instskip(NEXT) | instid1(VALU_DEP_1)
	v_fma_f32 v35, v33, v35, -v117
	v_fmac_f32_e32 v35, v33, v32
	s_delay_alu instid0(VALU_DEP_1) | instskip(NEXT) | instid1(VALU_DEP_1)
	v_add_f32_e32 v32, v117, v35
	v_sub_f32_e32 v119, v31, v32
	v_sub_f32_e32 v117, v32, v117
	s_delay_alu instid0(VALU_DEP_2) | instskip(NEXT) | instid1(VALU_DEP_1)
	v_sub_f32_e32 v31, v31, v119
	v_dual_sub_f32 v31, v31, v32 :: v_dual_sub_f32 v32, v117, v35
	s_delay_alu instid0(VALU_DEP_1) | instskip(SKIP_1) | instid1(VALU_DEP_1)
	v_add_f32_e32 v29, v29, v31
	v_add_f32_e32 v31, v118, v33
	v_dual_add_f32 v29, v32, v29 :: v_dual_sub_f32 v32, v31, v118
	s_delay_alu instid0(VALU_DEP_1) | instskip(NEXT) | instid1(VALU_DEP_1)
	v_dual_add_f32 v29, v119, v29 :: v_dual_sub_f32 v32, v33, v32
	v_mul_f32_e32 v29, v30, v29
	s_delay_alu instid0(VALU_DEP_1) | instskip(NEXT) | instid1(VALU_DEP_1)
	v_add_f32_e32 v29, v32, v29
	v_add_f32_e32 v30, v31, v29
	s_delay_alu instid0(VALU_DEP_1) | instskip(NEXT) | instid1(VALU_DEP_1)
	v_mul_f32_e32 v32, v30, v30
	v_fmaak_f32 v33, s74, v32, 0x3ecc95a3
	s_delay_alu instid0(VALU_DEP_1) | instskip(SKIP_2) | instid1(VALU_DEP_3)
	v_dual_mul_f32 v35, v30, v32 :: v_dual_fmaak_f32 v32, v32, v33, 0x3f2aaada
	v_ldexp_f32 v33, v30, 1
	v_sub_f32_e32 v30, v30, v31
	v_mul_f32_e32 v32, v35, v32
	v_mul_f32_e32 v35, 0x3f317218, v28
	s_delay_alu instid0(VALU_DEP_3) | instskip(NEXT) | instid1(VALU_DEP_3)
	v_sub_f32_e32 v29, v29, v30
	v_add_f32_e32 v31, v33, v32
	s_delay_alu instid0(VALU_DEP_2) | instskip(NEXT) | instid1(VALU_DEP_2)
	v_ldexp_f32 v29, v29, 1
	v_sub_f32_e32 v30, v31, v33
	v_fma_f32 v33, 0x3f317218, v28, -v35
	s_delay_alu instid0(VALU_DEP_1) | instskip(NEXT) | instid1(VALU_DEP_1)
	v_dual_sub_f32 v30, v32, v30 :: v_dual_fmac_f32 v33, 0xb102e308, v28
	v_dual_add_f32 v28, v29, v30 :: v_dual_add_f32 v29, v35, v33
	s_delay_alu instid0(VALU_DEP_1) | instskip(NEXT) | instid1(VALU_DEP_1)
	v_dual_add_f32 v30, v31, v28 :: v_dual_sub_f32 v35, v29, v35
	v_dual_add_f32 v32, v29, v30 :: v_dual_sub_f32 v31, v30, v31
	s_delay_alu instid0(VALU_DEP_2) | instskip(NEXT) | instid1(VALU_DEP_2)
	v_sub_f32_e32 v33, v33, v35
	v_sub_f32_e32 v117, v32, v29
	s_delay_alu instid0(VALU_DEP_3) | instskip(NEXT) | instid1(VALU_DEP_2)
	v_sub_f32_e32 v28, v28, v31
	v_sub_f32_e32 v118, v32, v117
	s_delay_alu instid0(VALU_DEP_2) | instskip(NEXT) | instid1(VALU_DEP_2)
	v_dual_sub_f32 v30, v30, v117 :: v_dual_add_f32 v31, v33, v28
	v_sub_f32_e32 v29, v29, v118
	s_delay_alu instid0(VALU_DEP_1) | instskip(NEXT) | instid1(VALU_DEP_3)
	v_add_f32_e32 v29, v30, v29
	v_sub_f32_e32 v30, v31, v33
	s_delay_alu instid0(VALU_DEP_2) | instskip(NEXT) | instid1(VALU_DEP_2)
	v_add_f32_e32 v29, v31, v29
	v_sub_f32_e32 v31, v31, v30
	v_sub_f32_e32 v28, v28, v30
	s_delay_alu instid0(VALU_DEP_3) | instskip(NEXT) | instid1(VALU_DEP_1)
	v_add_f32_e32 v35, v32, v29
	v_dual_sub_f32 v31, v33, v31 :: v_dual_sub_f32 v30, v35, v32
	s_delay_alu instid0(VALU_DEP_1) | instskip(NEXT) | instid1(VALU_DEP_1)
	v_dual_add_f32 v28, v28, v31 :: v_dual_sub_f32 v29, v29, v30
	v_add_f32_e32 v28, v28, v29
	s_delay_alu instid0(VALU_DEP_1) | instskip(NEXT) | instid1(VALU_DEP_1)
	v_add_f32_e32 v28, v35, v28
	v_cndmask_b32_e32 v117, v28, v26, vcc_lo
.LBB144_88:                             ;   in Loop: Header=BB144_12 Depth=1
	s_or_b32 exec_lo, exec_lo, s29
	v_add_f32_e32 v118, s84, v27
	s_delay_alu instid0(VALU_DEP_1) | instskip(SKIP_1) | instid1(SALU_CYCLE_1)
	v_cmp_ge_f32_e32 vcc_lo, 0x41a00000, v118
	s_and_b32 s28, s91, vcc_lo
	s_and_saveexec_b32 s29, s28
	s_cbranch_execz .LBB144_90
; %bb.89:                               ;   in Loop: Header=BB144_12 Depth=1
	v_mul_f32_e32 v26, 0x3fb8aa3b, v118
	v_cmp_ngt_f32_e32 vcc_lo, 0xc2ce8ed0, v118
	s_delay_alu instid0(VALU_DEP_2) | instskip(SKIP_1) | instid1(VALU_DEP_2)
	v_rndne_f32_e32 v27, v26
	v_fma_f32 v28, 0x3fb8aa3b, v118, -v26
	v_sub_f32_e32 v26, v26, v27
	s_delay_alu instid0(VALU_DEP_2) | instskip(SKIP_1) | instid1(VALU_DEP_2)
	v_fmac_f32_e32 v28, 0x32a5705f, v118
	v_cvt_i32_f32_e32 v27, v27
	v_add_f32_e32 v26, v26, v28
	s_delay_alu instid0(VALU_DEP_1) | instskip(SKIP_2) | instid1(VALU_DEP_1)
	v_exp_f32_e32 v26, v26
	s_waitcnt_depctr 0xfff
	v_ldexp_f32 v26, v26, v27
	v_cndmask_b32_e32 v26, 0, v26, vcc_lo
	v_cmp_nlt_f32_e32 vcc_lo, 0x42b17218, v118
	s_delay_alu instid0(VALU_DEP_2) | instskip(NEXT) | instid1(VALU_DEP_1)
	v_cndmask_b32_e32 v28, 0x7f800000, v26, vcc_lo
	v_add_f32_e32 v29, 1.0, v28
	s_delay_alu instid0(VALU_DEP_1) | instskip(NEXT) | instid1(VALU_DEP_1)
	v_cvt_f64_f32_e32 v[26:27], v29
	v_frexp_exp_i32_f64_e32 v26, v[26:27]
	v_frexp_mant_f32_e32 v27, v29
	s_delay_alu instid0(VALU_DEP_1) | instskip(SKIP_1) | instid1(VALU_DEP_1)
	v_cmp_gt_f32_e32 vcc_lo, 0x3f2aaaab, v27
	v_add_f32_e32 v27, -1.0, v29
	v_sub_f32_e32 v31, v27, v29
	v_sub_f32_e32 v27, v28, v27
	s_delay_alu instid0(VALU_DEP_2) | instskip(NEXT) | instid1(VALU_DEP_1)
	v_add_f32_e32 v31, 1.0, v31
	v_add_f32_e32 v27, v27, v31
	v_cmp_gt_f32_e64 s28, 0x33800000, v28
	v_subrev_co_ci_u32_e32 v26, vcc_lo, 0, v26, vcc_lo
	v_cmp_eq_f32_e32 vcc_lo, 0x7f800000, v28
	s_delay_alu instid0(VALU_DEP_2) | instskip(SKIP_2) | instid1(VALU_DEP_2)
	v_sub_nc_u32_e32 v30, 0, v26
	v_cvt_f32_i32_e32 v26, v26
	s_or_b32 vcc_lo, s28, vcc_lo
	v_ldexp_f32 v29, v29, v30
	v_ldexp_f32 v27, v27, v30
	s_delay_alu instid0(VALU_DEP_2) | instskip(NEXT) | instid1(VALU_DEP_1)
	v_add_f32_e32 v32, 1.0, v29
	v_dual_add_f32 v30, -1.0, v29 :: v_dual_add_f32 v31, -1.0, v32
	s_delay_alu instid0(VALU_DEP_1) | instskip(NEXT) | instid1(VALU_DEP_2)
	v_add_f32_e32 v33, 1.0, v30
	v_sub_f32_e32 v31, v29, v31
	s_delay_alu instid0(VALU_DEP_2) | instskip(NEXT) | instid1(VALU_DEP_2)
	v_sub_f32_e32 v29, v29, v33
	v_add_f32_e32 v31, v27, v31
	s_delay_alu instid0(VALU_DEP_2) | instskip(NEXT) | instid1(VALU_DEP_2)
	v_add_f32_e32 v27, v27, v29
	v_add_f32_e32 v33, v32, v31
	s_delay_alu instid0(VALU_DEP_1) | instskip(NEXT) | instid1(VALU_DEP_2)
	v_rcp_f32_e32 v29, v33
	v_dual_add_f32 v35, v30, v27 :: v_dual_sub_f32 v32, v32, v33
	s_delay_alu instid0(VALU_DEP_1) | instskip(SKIP_3) | instid1(VALU_DEP_2)
	v_sub_f32_e32 v30, v30, v35
	s_waitcnt_depctr 0xfff
	v_mul_f32_e32 v118, v35, v29
	v_add_f32_e32 v27, v27, v30
	v_mul_f32_e32 v119, v33, v118
	v_add_f32_e32 v31, v31, v32
	s_delay_alu instid0(VALU_DEP_2) | instskip(NEXT) | instid1(VALU_DEP_1)
	v_fma_f32 v32, v118, v33, -v119
	v_fmac_f32_e32 v32, v118, v31
	s_delay_alu instid0(VALU_DEP_1) | instskip(NEXT) | instid1(VALU_DEP_1)
	v_add_f32_e32 v120, v119, v32
	v_dual_sub_f32 v30, v120, v119 :: v_dual_sub_f32 v121, v35, v120
	s_delay_alu instid0(VALU_DEP_1) | instskip(NEXT) | instid1(VALU_DEP_1)
	v_dual_sub_f32 v30, v30, v32 :: v_dual_sub_f32 v35, v35, v121
	v_sub_f32_e32 v35, v35, v120
	s_delay_alu instid0(VALU_DEP_1) | instskip(NEXT) | instid1(VALU_DEP_1)
	v_add_f32_e32 v27, v27, v35
	v_add_f32_e32 v27, v30, v27
	s_delay_alu instid0(VALU_DEP_1) | instskip(NEXT) | instid1(VALU_DEP_1)
	v_add_f32_e32 v30, v121, v27
	v_mul_f32_e32 v32, v29, v30
	v_sub_f32_e32 v120, v121, v30
	s_delay_alu instid0(VALU_DEP_2) | instskip(NEXT) | instid1(VALU_DEP_2)
	v_mul_f32_e32 v35, v33, v32
	v_add_f32_e32 v27, v27, v120
	s_delay_alu instid0(VALU_DEP_2) | instskip(NEXT) | instid1(VALU_DEP_1)
	v_fma_f32 v33, v32, v33, -v35
	v_fmac_f32_e32 v33, v32, v31
	s_delay_alu instid0(VALU_DEP_1) | instskip(NEXT) | instid1(VALU_DEP_1)
	v_add_f32_e32 v31, v35, v33
	v_sub_f32_e32 v119, v30, v31
	v_sub_f32_e32 v35, v31, v35
	s_delay_alu instid0(VALU_DEP_2) | instskip(NEXT) | instid1(VALU_DEP_1)
	v_sub_f32_e32 v30, v30, v119
	v_dual_sub_f32 v30, v30, v31 :: v_dual_sub_f32 v31, v35, v33
	s_delay_alu instid0(VALU_DEP_1) | instskip(NEXT) | instid1(VALU_DEP_1)
	v_dual_add_f32 v27, v27, v30 :: v_dual_add_f32 v30, v118, v32
	v_add_f32_e32 v27, v31, v27
	s_delay_alu instid0(VALU_DEP_2) | instskip(NEXT) | instid1(VALU_DEP_2)
	v_sub_f32_e32 v31, v30, v118
	v_add_f32_e32 v27, v119, v27
	s_delay_alu instid0(VALU_DEP_2) | instskip(NEXT) | instid1(VALU_DEP_2)
	v_sub_f32_e32 v31, v32, v31
	v_mul_f32_e32 v27, v29, v27
	s_delay_alu instid0(VALU_DEP_1) | instskip(NEXT) | instid1(VALU_DEP_1)
	v_add_f32_e32 v27, v31, v27
	v_add_f32_e32 v29, v30, v27
	s_delay_alu instid0(VALU_DEP_1) | instskip(NEXT) | instid1(VALU_DEP_1)
	v_mul_f32_e32 v31, v29, v29
	v_fmaak_f32 v32, s74, v31, 0x3ecc95a3
	v_mul_f32_e32 v33, v29, v31
	s_delay_alu instid0(VALU_DEP_2) | instskip(SKIP_2) | instid1(VALU_DEP_3)
	v_fmaak_f32 v31, v31, v32, 0x3f2aaada
	v_ldexp_f32 v32, v29, 1
	v_sub_f32_e32 v29, v29, v30
	v_mul_f32_e32 v31, v33, v31
	v_mul_f32_e32 v33, 0x3f317218, v26
	s_delay_alu instid0(VALU_DEP_2) | instskip(NEXT) | instid1(VALU_DEP_1)
	v_dual_sub_f32 v27, v27, v29 :: v_dual_add_f32 v30, v32, v31
	v_ldexp_f32 v27, v27, 1
	s_delay_alu instid0(VALU_DEP_2) | instskip(NEXT) | instid1(VALU_DEP_4)
	v_sub_f32_e32 v29, v30, v32
	v_fma_f32 v32, 0x3f317218, v26, -v33
	s_delay_alu instid0(VALU_DEP_1) | instskip(NEXT) | instid1(VALU_DEP_1)
	v_dual_sub_f32 v29, v31, v29 :: v_dual_fmac_f32 v32, 0xb102e308, v26
	v_dual_add_f32 v26, v27, v29 :: v_dual_add_f32 v27, v33, v32
	s_delay_alu instid0(VALU_DEP_1) | instskip(NEXT) | instid1(VALU_DEP_2)
	v_add_f32_e32 v29, v30, v26
	v_sub_f32_e32 v33, v27, v33
	s_delay_alu instid0(VALU_DEP_2) | instskip(NEXT) | instid1(VALU_DEP_1)
	v_dual_add_f32 v31, v27, v29 :: v_dual_sub_f32 v30, v29, v30
	v_dual_sub_f32 v32, v32, v33 :: v_dual_sub_f32 v35, v31, v27
	s_delay_alu instid0(VALU_DEP_2) | instskip(NEXT) | instid1(VALU_DEP_2)
	v_sub_f32_e32 v26, v26, v30
	v_sub_f32_e32 v118, v31, v35
	s_delay_alu instid0(VALU_DEP_2) | instskip(NEXT) | instid1(VALU_DEP_2)
	v_dual_sub_f32 v29, v29, v35 :: v_dual_add_f32 v30, v32, v26
	v_sub_f32_e32 v27, v27, v118
	s_delay_alu instid0(VALU_DEP_1) | instskip(NEXT) | instid1(VALU_DEP_3)
	v_add_f32_e32 v27, v29, v27
	v_sub_f32_e32 v29, v30, v32
	s_delay_alu instid0(VALU_DEP_2) | instskip(NEXT) | instid1(VALU_DEP_2)
	v_add_f32_e32 v27, v30, v27
	v_sub_f32_e32 v30, v30, v29
	s_delay_alu instid0(VALU_DEP_2) | instskip(NEXT) | instid1(VALU_DEP_1)
	v_dual_sub_f32 v26, v26, v29 :: v_dual_add_f32 v33, v31, v27
	v_dual_sub_f32 v30, v32, v30 :: v_dual_sub_f32 v29, v33, v31
	s_delay_alu instid0(VALU_DEP_1) | instskip(NEXT) | instid1(VALU_DEP_1)
	v_dual_add_f32 v26, v26, v30 :: v_dual_sub_f32 v27, v27, v29
	v_add_f32_e32 v26, v26, v27
	s_delay_alu instid0(VALU_DEP_1) | instskip(NEXT) | instid1(VALU_DEP_1)
	v_add_f32_e32 v26, v33, v26
	v_cndmask_b32_e32 v118, v26, v28, vcc_lo
.LBB144_90:                             ;   in Loop: Header=BB144_12 Depth=1
	s_or_b32 exec_lo, exec_lo, s29
	s_waitcnt lgkmcnt(3)
	v_add_f32_e32 v119, s84, v24
	s_delay_alu instid0(VALU_DEP_1) | instskip(SKIP_1) | instid1(SALU_CYCLE_1)
	v_cmp_ge_f32_e32 vcc_lo, 0x41a00000, v119
	s_and_b32 s28, s91, vcc_lo
	s_and_saveexec_b32 s29, s28
	s_cbranch_execz .LBB144_92
; %bb.91:                               ;   in Loop: Header=BB144_12 Depth=1
	v_mul_f32_e32 v24, 0x3fb8aa3b, v119
	v_cmp_ngt_f32_e32 vcc_lo, 0xc2ce8ed0, v119
	s_delay_alu instid0(VALU_DEP_2) | instskip(SKIP_1) | instid1(VALU_DEP_1)
	v_rndne_f32_e32 v26, v24
	v_fma_f32 v27, 0x3fb8aa3b, v119, -v24
	v_dual_sub_f32 v24, v24, v26 :: v_dual_fmac_f32 v27, 0x32a5705f, v119
	v_cvt_i32_f32_e32 v26, v26
	s_delay_alu instid0(VALU_DEP_2) | instskip(NEXT) | instid1(VALU_DEP_1)
	v_add_f32_e32 v24, v24, v27
	v_exp_f32_e32 v24, v24
	s_waitcnt_depctr 0xfff
	v_ldexp_f32 v24, v24, v26
	s_delay_alu instid0(VALU_DEP_1) | instskip(SKIP_1) | instid1(VALU_DEP_2)
	v_cndmask_b32_e32 v24, 0, v24, vcc_lo
	v_cmp_nlt_f32_e32 vcc_lo, 0x42b17218, v119
	v_cndmask_b32_e32 v24, 0x7f800000, v24, vcc_lo
	s_delay_alu instid0(VALU_DEP_1) | instskip(NEXT) | instid1(VALU_DEP_1)
	v_add_f32_e32 v28, 1.0, v24
	v_cvt_f64_f32_e32 v[26:27], v28
	s_delay_alu instid0(VALU_DEP_1) | instskip(SKIP_1) | instid1(VALU_DEP_1)
	v_frexp_exp_i32_f64_e32 v26, v[26:27]
	v_frexp_mant_f32_e32 v27, v28
	v_cmp_gt_f32_e32 vcc_lo, 0x3f2aaaab, v27
	v_add_f32_e32 v27, -1.0, v28
	s_delay_alu instid0(VALU_DEP_1) | instskip(SKIP_1) | instid1(VALU_DEP_1)
	v_dual_sub_f32 v30, v27, v28 :: v_dual_sub_f32 v27, v24, v27
	v_subrev_co_ci_u32_e32 v26, vcc_lo, 0, v26, vcc_lo
	v_sub_nc_u32_e32 v29, 0, v26
	v_cvt_f32_i32_e32 v26, v26
	s_delay_alu instid0(VALU_DEP_2) | instskip(NEXT) | instid1(VALU_DEP_1)
	v_ldexp_f32 v28, v28, v29
	v_dual_add_f32 v30, 1.0, v30 :: v_dual_add_f32 v31, 1.0, v28
	s_delay_alu instid0(VALU_DEP_1) | instskip(NEXT) | instid1(VALU_DEP_1)
	v_add_f32_e32 v27, v27, v30
	v_ldexp_f32 v27, v27, v29
	s_delay_alu instid0(VALU_DEP_3) | instskip(NEXT) | instid1(VALU_DEP_1)
	v_dual_add_f32 v29, -1.0, v28 :: v_dual_add_f32 v30, -1.0, v31
	v_add_f32_e32 v32, 1.0, v29
	s_delay_alu instid0(VALU_DEP_2) | instskip(NEXT) | instid1(VALU_DEP_2)
	v_sub_f32_e32 v30, v28, v30
	v_sub_f32_e32 v28, v28, v32
	s_delay_alu instid0(VALU_DEP_2) | instskip(NEXT) | instid1(VALU_DEP_2)
	v_add_f32_e32 v30, v27, v30
	v_add_f32_e32 v27, v27, v28
	s_delay_alu instid0(VALU_DEP_1) | instskip(SKIP_2) | instid1(VALU_DEP_3)
	v_dual_add_f32 v33, v29, v27 :: v_dual_add_f32 v32, v31, v30
	v_cmp_eq_f32_e32 vcc_lo, 0x7f800000, v24
	v_cmp_gt_f32_e64 s28, 0x33800000, v24
	v_sub_f32_e32 v29, v29, v33
	s_delay_alu instid0(VALU_DEP_4) | instskip(SKIP_1) | instid1(VALU_DEP_3)
	v_rcp_f32_e32 v28, v32
	v_sub_f32_e32 v31, v31, v32
	s_or_b32 vcc_lo, s28, vcc_lo
	s_delay_alu instid0(VALU_DEP_1) | instskip(SKIP_2) | instid1(VALU_DEP_1)
	v_dual_add_f32 v27, v27, v29 :: v_dual_add_f32 v30, v30, v31
	s_waitcnt_depctr 0xfff
	v_mul_f32_e32 v35, v33, v28
	v_mul_f32_e32 v119, v32, v35
	s_delay_alu instid0(VALU_DEP_1) | instskip(NEXT) | instid1(VALU_DEP_1)
	v_fma_f32 v31, v35, v32, -v119
	v_fmac_f32_e32 v31, v35, v30
	s_delay_alu instid0(VALU_DEP_1) | instskip(NEXT) | instid1(VALU_DEP_1)
	v_add_f32_e32 v120, v119, v31
	v_sub_f32_e32 v121, v33, v120
	v_sub_f32_e32 v29, v120, v119
	s_delay_alu instid0(VALU_DEP_2) | instskip(NEXT) | instid1(VALU_DEP_2)
	v_sub_f32_e32 v33, v33, v121
	v_sub_f32_e32 v29, v29, v31
	s_delay_alu instid0(VALU_DEP_2) | instskip(NEXT) | instid1(VALU_DEP_1)
	v_sub_f32_e32 v33, v33, v120
	v_add_f32_e32 v27, v27, v33
	s_delay_alu instid0(VALU_DEP_1) | instskip(NEXT) | instid1(VALU_DEP_1)
	v_add_f32_e32 v27, v29, v27
	v_add_f32_e32 v29, v121, v27
	s_delay_alu instid0(VALU_DEP_1) | instskip(NEXT) | instid1(VALU_DEP_1)
	v_mul_f32_e32 v31, v28, v29
	v_dual_sub_f32 v120, v121, v29 :: v_dual_mul_f32 v33, v32, v31
	s_delay_alu instid0(VALU_DEP_1) | instskip(NEXT) | instid1(VALU_DEP_2)
	v_add_f32_e32 v27, v27, v120
	v_fma_f32 v32, v31, v32, -v33
	s_delay_alu instid0(VALU_DEP_1) | instskip(NEXT) | instid1(VALU_DEP_1)
	v_fmac_f32_e32 v32, v31, v30
	v_add_f32_e32 v30, v33, v32
	s_delay_alu instid0(VALU_DEP_1) | instskip(NEXT) | instid1(VALU_DEP_1)
	v_sub_f32_e32 v119, v29, v30
	v_sub_f32_e32 v29, v29, v119
	s_delay_alu instid0(VALU_DEP_1) | instskip(NEXT) | instid1(VALU_DEP_1)
	v_sub_f32_e32 v29, v29, v30
	v_add_f32_e32 v27, v27, v29
	v_add_f32_e32 v29, v35, v31
	v_sub_f32_e32 v33, v30, v33
	s_delay_alu instid0(VALU_DEP_1) | instskip(NEXT) | instid1(VALU_DEP_1)
	v_sub_f32_e32 v30, v33, v32
	v_add_f32_e32 v27, v30, v27
	s_delay_alu instid0(VALU_DEP_4) | instskip(NEXT) | instid1(VALU_DEP_2)
	v_sub_f32_e32 v30, v29, v35
	v_add_f32_e32 v27, v119, v27
	s_delay_alu instid0(VALU_DEP_1) | instskip(NEXT) | instid1(VALU_DEP_1)
	v_dual_sub_f32 v30, v31, v30 :: v_dual_mul_f32 v27, v28, v27
	v_add_f32_e32 v27, v30, v27
	s_delay_alu instid0(VALU_DEP_1) | instskip(NEXT) | instid1(VALU_DEP_1)
	v_add_f32_e32 v28, v29, v27
	v_mul_f32_e32 v30, v28, v28
	s_delay_alu instid0(VALU_DEP_1) | instskip(SKIP_1) | instid1(VALU_DEP_2)
	v_fmaak_f32 v31, s74, v30, 0x3ecc95a3
	v_mul_f32_e32 v32, v28, v30
	v_fmaak_f32 v30, v30, v31, 0x3f2aaada
	v_ldexp_f32 v31, v28, 1
	v_sub_f32_e32 v28, v28, v29
	s_delay_alu instid0(VALU_DEP_3) | instskip(NEXT) | instid1(VALU_DEP_2)
	v_mul_f32_e32 v30, v32, v30
	v_dual_mul_f32 v32, 0x3f317218, v26 :: v_dual_sub_f32 v27, v27, v28
	s_delay_alu instid0(VALU_DEP_2) | instskip(NEXT) | instid1(VALU_DEP_2)
	v_add_f32_e32 v29, v31, v30
	v_ldexp_f32 v27, v27, 1
	s_delay_alu instid0(VALU_DEP_2) | instskip(NEXT) | instid1(VALU_DEP_4)
	v_sub_f32_e32 v28, v29, v31
	v_fma_f32 v31, 0x3f317218, v26, -v32
	s_delay_alu instid0(VALU_DEP_1) | instskip(NEXT) | instid1(VALU_DEP_1)
	v_dual_sub_f32 v28, v30, v28 :: v_dual_fmac_f32 v31, 0xb102e308, v26
	v_add_f32_e32 v26, v27, v28
	s_delay_alu instid0(VALU_DEP_1) | instskip(NEXT) | instid1(VALU_DEP_1)
	v_add_f32_e32 v28, v29, v26
	v_sub_f32_e32 v29, v28, v29
	s_delay_alu instid0(VALU_DEP_1) | instskip(NEXT) | instid1(VALU_DEP_1)
	v_dual_sub_f32 v26, v26, v29 :: v_dual_add_f32 v27, v32, v31
	v_add_f32_e32 v30, v27, v28
	s_delay_alu instid0(VALU_DEP_1) | instskip(NEXT) | instid1(VALU_DEP_1)
	v_dual_sub_f32 v32, v27, v32 :: v_dual_sub_f32 v33, v30, v27
	v_dual_sub_f32 v31, v31, v32 :: v_dual_sub_f32 v28, v28, v33
	s_delay_alu instid0(VALU_DEP_1) | instskip(SKIP_1) | instid1(VALU_DEP_1)
	v_add_f32_e32 v29, v31, v26
	v_sub_f32_e32 v35, v30, v33
	v_sub_f32_e32 v27, v27, v35
	s_delay_alu instid0(VALU_DEP_1) | instskip(NEXT) | instid1(VALU_DEP_4)
	v_add_f32_e32 v27, v28, v27
	v_sub_f32_e32 v28, v29, v31
	s_delay_alu instid0(VALU_DEP_2) | instskip(NEXT) | instid1(VALU_DEP_2)
	v_add_f32_e32 v27, v29, v27
	v_sub_f32_e32 v29, v29, v28
	v_sub_f32_e32 v26, v26, v28
	s_delay_alu instid0(VALU_DEP_2) | instskip(NEXT) | instid1(VALU_DEP_1)
	v_dual_add_f32 v32, v30, v27 :: v_dual_sub_f32 v29, v31, v29
	v_sub_f32_e32 v28, v32, v30
	s_delay_alu instid0(VALU_DEP_1) | instskip(NEXT) | instid1(VALU_DEP_1)
	v_dual_add_f32 v26, v26, v29 :: v_dual_sub_f32 v27, v27, v28
	v_add_f32_e32 v26, v26, v27
	s_delay_alu instid0(VALU_DEP_1) | instskip(NEXT) | instid1(VALU_DEP_1)
	v_add_f32_e32 v26, v32, v26
	v_cndmask_b32_e32 v119, v26, v24, vcc_lo
.LBB144_92:                             ;   in Loop: Header=BB144_12 Depth=1
	s_or_b32 exec_lo, exec_lo, s29
	v_add_f32_e32 v128, s84, v25
	s_delay_alu instid0(VALU_DEP_1) | instskip(SKIP_1) | instid1(SALU_CYCLE_1)
	v_cmp_ge_f32_e32 vcc_lo, 0x41a00000, v128
	s_and_b32 s28, s91, vcc_lo
	s_and_saveexec_b32 s29, s28
	s_cbranch_execz .LBB144_94
; %bb.93:                               ;   in Loop: Header=BB144_12 Depth=1
	v_mul_f32_e32 v24, 0x3fb8aa3b, v128
	v_cmp_ngt_f32_e32 vcc_lo, 0xc2ce8ed0, v128
	s_delay_alu instid0(VALU_DEP_2) | instskip(SKIP_1) | instid1(VALU_DEP_2)
	v_rndne_f32_e32 v25, v24
	v_fma_f32 v26, 0x3fb8aa3b, v128, -v24
	v_sub_f32_e32 v24, v24, v25
	s_delay_alu instid0(VALU_DEP_2) | instskip(SKIP_1) | instid1(VALU_DEP_2)
	v_fmac_f32_e32 v26, 0x32a5705f, v128
	v_cvt_i32_f32_e32 v25, v25
	v_add_f32_e32 v24, v24, v26
	s_delay_alu instid0(VALU_DEP_1) | instskip(SKIP_2) | instid1(VALU_DEP_1)
	v_exp_f32_e32 v24, v24
	s_waitcnt_depctr 0xfff
	v_ldexp_f32 v24, v24, v25
	v_cndmask_b32_e32 v24, 0, v24, vcc_lo
	v_cmp_nlt_f32_e32 vcc_lo, 0x42b17218, v128
	s_delay_alu instid0(VALU_DEP_2) | instskip(NEXT) | instid1(VALU_DEP_1)
	v_cndmask_b32_e32 v26, 0x7f800000, v24, vcc_lo
	v_add_f32_e32 v27, 1.0, v26
	s_delay_alu instid0(VALU_DEP_1) | instskip(NEXT) | instid1(VALU_DEP_1)
	v_cvt_f64_f32_e32 v[24:25], v27
	v_frexp_exp_i32_f64_e32 v24, v[24:25]
	v_frexp_mant_f32_e32 v25, v27
	s_delay_alu instid0(VALU_DEP_1) | instskip(SKIP_1) | instid1(VALU_DEP_1)
	v_cmp_gt_f32_e32 vcc_lo, 0x3f2aaaab, v25
	v_add_f32_e32 v25, -1.0, v27
	v_sub_f32_e32 v29, v25, v27
	v_sub_f32_e32 v25, v26, v25
	s_delay_alu instid0(VALU_DEP_2) | instskip(NEXT) | instid1(VALU_DEP_1)
	v_add_f32_e32 v29, 1.0, v29
	v_add_f32_e32 v25, v25, v29
	v_cmp_gt_f32_e64 s28, 0x33800000, v26
	v_subrev_co_ci_u32_e32 v24, vcc_lo, 0, v24, vcc_lo
	v_cmp_eq_f32_e32 vcc_lo, 0x7f800000, v26
	s_delay_alu instid0(VALU_DEP_2) | instskip(SKIP_2) | instid1(VALU_DEP_2)
	v_sub_nc_u32_e32 v28, 0, v24
	v_cvt_f32_i32_e32 v24, v24
	s_or_b32 vcc_lo, s28, vcc_lo
	v_ldexp_f32 v27, v27, v28
	v_ldexp_f32 v25, v25, v28
	s_delay_alu instid0(VALU_DEP_2) | instskip(NEXT) | instid1(VALU_DEP_1)
	v_add_f32_e32 v30, 1.0, v27
	v_dual_add_f32 v28, -1.0, v27 :: v_dual_add_f32 v29, -1.0, v30
	s_delay_alu instid0(VALU_DEP_1) | instskip(NEXT) | instid1(VALU_DEP_2)
	v_add_f32_e32 v31, 1.0, v28
	v_sub_f32_e32 v29, v27, v29
	s_delay_alu instid0(VALU_DEP_2) | instskip(NEXT) | instid1(VALU_DEP_2)
	v_sub_f32_e32 v27, v27, v31
	v_add_f32_e32 v29, v25, v29
	s_delay_alu instid0(VALU_DEP_2) | instskip(NEXT) | instid1(VALU_DEP_2)
	v_add_f32_e32 v25, v25, v27
	v_add_f32_e32 v31, v30, v29
	s_delay_alu instid0(VALU_DEP_2) | instskip(NEXT) | instid1(VALU_DEP_2)
	v_add_f32_e32 v32, v28, v25
	v_rcp_f32_e32 v27, v31
	v_sub_f32_e32 v30, v30, v31
	s_delay_alu instid0(VALU_DEP_1) | instskip(SKIP_2) | instid1(VALU_DEP_1)
	v_dual_sub_f32 v28, v28, v32 :: v_dual_add_f32 v29, v29, v30
	s_waitcnt_depctr 0xfff
	v_mul_f32_e32 v33, v32, v27
	v_mul_f32_e32 v35, v31, v33
	s_delay_alu instid0(VALU_DEP_1) | instskip(NEXT) | instid1(VALU_DEP_1)
	v_fma_f32 v30, v33, v31, -v35
	v_fmac_f32_e32 v30, v33, v29
	s_delay_alu instid0(VALU_DEP_1) | instskip(NEXT) | instid1(VALU_DEP_1)
	v_add_f32_e32 v120, v35, v30
	v_sub_f32_e32 v121, v32, v120
	s_delay_alu instid0(VALU_DEP_1) | instskip(NEXT) | instid1(VALU_DEP_1)
	v_sub_f32_e32 v32, v32, v121
	v_sub_f32_e32 v32, v32, v120
	v_dual_add_f32 v25, v25, v28 :: v_dual_sub_f32 v28, v120, v35
	s_delay_alu instid0(VALU_DEP_1) | instskip(NEXT) | instid1(VALU_DEP_1)
	v_dual_add_f32 v25, v25, v32 :: v_dual_sub_f32 v28, v28, v30
	v_add_f32_e32 v25, v28, v25
	s_delay_alu instid0(VALU_DEP_1) | instskip(NEXT) | instid1(VALU_DEP_1)
	v_add_f32_e32 v28, v121, v25
	v_mul_f32_e32 v30, v27, v28
	s_delay_alu instid0(VALU_DEP_1) | instskip(SKIP_1) | instid1(VALU_DEP_2)
	v_mul_f32_e32 v32, v31, v30
	v_sub_f32_e32 v120, v121, v28
	v_fma_f32 v31, v30, v31, -v32
	s_delay_alu instid0(VALU_DEP_2) | instskip(NEXT) | instid1(VALU_DEP_2)
	v_add_f32_e32 v25, v25, v120
	v_fmac_f32_e32 v31, v30, v29
	s_delay_alu instid0(VALU_DEP_1) | instskip(NEXT) | instid1(VALU_DEP_1)
	v_add_f32_e32 v29, v32, v31
	v_sub_f32_e32 v35, v28, v29
	s_delay_alu instid0(VALU_DEP_1) | instskip(NEXT) | instid1(VALU_DEP_1)
	v_sub_f32_e32 v28, v28, v35
	v_sub_f32_e32 v28, v28, v29
	s_delay_alu instid0(VALU_DEP_1) | instskip(SKIP_2) | instid1(VALU_DEP_1)
	v_add_f32_e32 v25, v25, v28
	v_add_f32_e32 v28, v33, v30
	v_sub_f32_e32 v32, v29, v32
	v_sub_f32_e32 v29, v32, v31
	s_delay_alu instid0(VALU_DEP_1) | instskip(NEXT) | instid1(VALU_DEP_4)
	v_add_f32_e32 v25, v29, v25
	v_sub_f32_e32 v29, v28, v33
	s_delay_alu instid0(VALU_DEP_2) | instskip(NEXT) | instid1(VALU_DEP_2)
	v_add_f32_e32 v25, v35, v25
	v_sub_f32_e32 v29, v30, v29
	s_delay_alu instid0(VALU_DEP_2) | instskip(NEXT) | instid1(VALU_DEP_1)
	v_mul_f32_e32 v25, v27, v25
	v_add_f32_e32 v25, v29, v25
	s_delay_alu instid0(VALU_DEP_1) | instskip(NEXT) | instid1(VALU_DEP_1)
	v_add_f32_e32 v27, v28, v25
	v_mul_f32_e32 v29, v27, v27
	s_delay_alu instid0(VALU_DEP_1) | instskip(SKIP_1) | instid1(VALU_DEP_2)
	v_fmaak_f32 v30, s74, v29, 0x3ecc95a3
	v_mul_f32_e32 v31, v27, v29
	v_fmaak_f32 v29, v29, v30, 0x3f2aaada
	v_ldexp_f32 v30, v27, 1
	s_delay_alu instid0(VALU_DEP_2) | instskip(SKIP_1) | instid1(VALU_DEP_2)
	v_mul_f32_e32 v29, v31, v29
	v_sub_f32_e32 v27, v27, v28
	v_dual_mul_f32 v31, 0x3f317218, v24 :: v_dual_add_f32 v28, v30, v29
	s_delay_alu instid0(VALU_DEP_2) | instskip(NEXT) | instid1(VALU_DEP_2)
	v_sub_f32_e32 v25, v25, v27
	v_sub_f32_e32 v27, v28, v30
	s_delay_alu instid0(VALU_DEP_3) | instskip(NEXT) | instid1(VALU_DEP_3)
	v_fma_f32 v30, 0x3f317218, v24, -v31
	v_ldexp_f32 v25, v25, 1
	s_delay_alu instid0(VALU_DEP_2) | instskip(NEXT) | instid1(VALU_DEP_1)
	v_dual_sub_f32 v27, v29, v27 :: v_dual_fmac_f32 v30, 0xb102e308, v24
	v_dual_add_f32 v24, v25, v27 :: v_dual_add_f32 v25, v31, v30
	s_delay_alu instid0(VALU_DEP_1) | instskip(NEXT) | instid1(VALU_DEP_1)
	v_add_f32_e32 v27, v28, v24
	v_dual_add_f32 v29, v25, v27 :: v_dual_sub_f32 v28, v27, v28
	s_delay_alu instid0(VALU_DEP_1) | instskip(NEXT) | instid1(VALU_DEP_2)
	v_sub_f32_e32 v32, v29, v25
	v_dual_sub_f32 v31, v25, v31 :: v_dual_sub_f32 v24, v24, v28
	s_delay_alu instid0(VALU_DEP_1) | instskip(SKIP_1) | instid1(VALU_DEP_2)
	v_dual_sub_f32 v33, v29, v32 :: v_dual_sub_f32 v30, v30, v31
	v_sub_f32_e32 v27, v27, v32
	v_dual_sub_f32 v25, v25, v33 :: v_dual_add_f32 v28, v30, v24
	s_delay_alu instid0(VALU_DEP_1) | instskip(NEXT) | instid1(VALU_DEP_2)
	v_add_f32_e32 v25, v27, v25
	v_sub_f32_e32 v27, v28, v30
	s_delay_alu instid0(VALU_DEP_2) | instskip(NEXT) | instid1(VALU_DEP_2)
	v_add_f32_e32 v25, v28, v25
	v_sub_f32_e32 v28, v28, v27
	s_delay_alu instid0(VALU_DEP_2) | instskip(NEXT) | instid1(VALU_DEP_1)
	v_dual_sub_f32 v24, v24, v27 :: v_dual_add_f32 v31, v29, v25
	v_dual_sub_f32 v28, v30, v28 :: v_dual_sub_f32 v27, v31, v29
	s_delay_alu instid0(VALU_DEP_1) | instskip(NEXT) | instid1(VALU_DEP_1)
	v_dual_add_f32 v24, v24, v28 :: v_dual_sub_f32 v25, v25, v27
	v_add_f32_e32 v24, v24, v25
	s_delay_alu instid0(VALU_DEP_1) | instskip(NEXT) | instid1(VALU_DEP_1)
	v_add_f32_e32 v24, v31, v24
	v_cndmask_b32_e32 v128, v24, v26, vcc_lo
.LBB144_94:                             ;   in Loop: Header=BB144_12 Depth=1
	s_or_b32 exec_lo, exec_lo, s29
	s_waitcnt lgkmcnt(2)
	v_add_f32_e32 v131, s84, v22
	s_delay_alu instid0(VALU_DEP_1) | instskip(SKIP_1) | instid1(SALU_CYCLE_1)
	v_cmp_ge_f32_e32 vcc_lo, 0x41a00000, v131
	s_and_b32 s28, s91, vcc_lo
	s_and_saveexec_b32 s29, s28
	s_cbranch_execz .LBB144_96
; %bb.95:                               ;   in Loop: Header=BB144_12 Depth=1
	v_mul_f32_e32 v22, 0x3fb8aa3b, v131
	v_cmp_ngt_f32_e32 vcc_lo, 0xc2ce8ed0, v131
	s_delay_alu instid0(VALU_DEP_2) | instskip(SKIP_1) | instid1(VALU_DEP_1)
	v_rndne_f32_e32 v24, v22
	v_fma_f32 v25, 0x3fb8aa3b, v131, -v22
	v_dual_sub_f32 v22, v22, v24 :: v_dual_fmac_f32 v25, 0x32a5705f, v131
	v_cvt_i32_f32_e32 v24, v24
	s_delay_alu instid0(VALU_DEP_2) | instskip(NEXT) | instid1(VALU_DEP_1)
	v_add_f32_e32 v22, v22, v25
	v_exp_f32_e32 v22, v22
	s_waitcnt_depctr 0xfff
	v_ldexp_f32 v22, v22, v24
	s_delay_alu instid0(VALU_DEP_1) | instskip(SKIP_1) | instid1(VALU_DEP_2)
	v_cndmask_b32_e32 v22, 0, v22, vcc_lo
	v_cmp_nlt_f32_e32 vcc_lo, 0x42b17218, v131
	v_cndmask_b32_e32 v22, 0x7f800000, v22, vcc_lo
	s_delay_alu instid0(VALU_DEP_1) | instskip(NEXT) | instid1(VALU_DEP_1)
	v_add_f32_e32 v26, 1.0, v22
	v_cvt_f64_f32_e32 v[24:25], v26
	s_delay_alu instid0(VALU_DEP_1) | instskip(SKIP_1) | instid1(VALU_DEP_1)
	v_frexp_exp_i32_f64_e32 v24, v[24:25]
	v_frexp_mant_f32_e32 v25, v26
	v_cmp_gt_f32_e32 vcc_lo, 0x3f2aaaab, v25
	v_add_f32_e32 v25, -1.0, v26
	s_delay_alu instid0(VALU_DEP_1) | instskip(SKIP_1) | instid1(VALU_DEP_1)
	v_dual_sub_f32 v28, v25, v26 :: v_dual_sub_f32 v25, v22, v25
	v_subrev_co_ci_u32_e32 v24, vcc_lo, 0, v24, vcc_lo
	v_sub_nc_u32_e32 v27, 0, v24
	v_cvt_f32_i32_e32 v24, v24
	s_delay_alu instid0(VALU_DEP_2) | instskip(NEXT) | instid1(VALU_DEP_1)
	v_ldexp_f32 v26, v26, v27
	v_dual_add_f32 v28, 1.0, v28 :: v_dual_add_f32 v29, 1.0, v26
	s_delay_alu instid0(VALU_DEP_1) | instskip(NEXT) | instid1(VALU_DEP_1)
	v_add_f32_e32 v25, v25, v28
	v_ldexp_f32 v25, v25, v27
	s_delay_alu instid0(VALU_DEP_3) | instskip(NEXT) | instid1(VALU_DEP_1)
	v_dual_add_f32 v27, -1.0, v26 :: v_dual_add_f32 v28, -1.0, v29
	v_add_f32_e32 v30, 1.0, v27
	s_delay_alu instid0(VALU_DEP_2) | instskip(NEXT) | instid1(VALU_DEP_2)
	v_sub_f32_e32 v28, v26, v28
	v_sub_f32_e32 v26, v26, v30
	s_delay_alu instid0(VALU_DEP_2) | instskip(NEXT) | instid1(VALU_DEP_2)
	v_add_f32_e32 v28, v25, v28
	v_add_f32_e32 v25, v25, v26
	s_delay_alu instid0(VALU_DEP_1) | instskip(SKIP_2) | instid1(VALU_DEP_3)
	v_add_f32_e32 v31, v27, v25
	v_cmp_eq_f32_e32 vcc_lo, 0x7f800000, v22
	v_cmp_gt_f32_e64 s28, 0x33800000, v22
	v_dual_sub_f32 v27, v27, v31 :: v_dual_add_f32 v30, v29, v28
	s_delay_alu instid0(VALU_DEP_2) | instskip(NEXT) | instid1(VALU_DEP_1)
	s_or_b32 vcc_lo, s28, vcc_lo
	v_add_f32_e32 v25, v25, v27
	s_delay_alu instid0(VALU_DEP_2) | instskip(SKIP_1) | instid1(VALU_DEP_1)
	v_rcp_f32_e32 v26, v30
	v_sub_f32_e32 v29, v29, v30
	v_add_f32_e32 v28, v28, v29
	s_waitcnt_depctr 0xfff
	v_mul_f32_e32 v32, v31, v26
	s_delay_alu instid0(VALU_DEP_1) | instskip(NEXT) | instid1(VALU_DEP_1)
	v_mul_f32_e32 v33, v30, v32
	v_fma_f32 v29, v32, v30, -v33
	s_delay_alu instid0(VALU_DEP_1) | instskip(NEXT) | instid1(VALU_DEP_1)
	v_fmac_f32_e32 v29, v32, v28
	v_add_f32_e32 v35, v33, v29
	s_delay_alu instid0(VALU_DEP_1) | instskip(SKIP_1) | instid1(VALU_DEP_2)
	v_sub_f32_e32 v27, v35, v33
	v_sub_f32_e32 v120, v31, v35
	v_sub_f32_e32 v27, v27, v29
	s_delay_alu instid0(VALU_DEP_2) | instskip(NEXT) | instid1(VALU_DEP_1)
	v_sub_f32_e32 v31, v31, v120
	v_sub_f32_e32 v31, v31, v35
	s_delay_alu instid0(VALU_DEP_1) | instskip(NEXT) | instid1(VALU_DEP_1)
	v_add_f32_e32 v25, v25, v31
	v_add_f32_e32 v25, v27, v25
	s_delay_alu instid0(VALU_DEP_1) | instskip(NEXT) | instid1(VALU_DEP_1)
	v_add_f32_e32 v27, v120, v25
	v_mul_f32_e32 v29, v26, v27
	s_delay_alu instid0(VALU_DEP_1) | instskip(SKIP_1) | instid1(VALU_DEP_2)
	v_mul_f32_e32 v31, v30, v29
	v_sub_f32_e32 v35, v120, v27
	v_fma_f32 v30, v29, v30, -v31
	s_delay_alu instid0(VALU_DEP_2) | instskip(NEXT) | instid1(VALU_DEP_2)
	v_add_f32_e32 v25, v25, v35
	v_fmac_f32_e32 v30, v29, v28
	s_delay_alu instid0(VALU_DEP_1) | instskip(NEXT) | instid1(VALU_DEP_1)
	v_add_f32_e32 v28, v31, v30
	v_sub_f32_e32 v33, v27, v28
	v_sub_f32_e32 v31, v28, v31
	s_delay_alu instid0(VALU_DEP_2) | instskip(NEXT) | instid1(VALU_DEP_1)
	v_sub_f32_e32 v27, v27, v33
	v_sub_f32_e32 v27, v27, v28
	s_delay_alu instid0(VALU_DEP_1) | instskip(SKIP_1) | instid1(VALU_DEP_1)
	v_dual_sub_f32 v28, v31, v30 :: v_dual_add_f32 v25, v25, v27
	v_add_f32_e32 v27, v32, v29
	v_dual_add_f32 v25, v28, v25 :: v_dual_sub_f32 v28, v27, v32
	s_delay_alu instid0(VALU_DEP_1) | instskip(NEXT) | instid1(VALU_DEP_1)
	v_add_f32_e32 v25, v33, v25
	v_dual_sub_f32 v28, v29, v28 :: v_dual_mul_f32 v25, v26, v25
	s_delay_alu instid0(VALU_DEP_1) | instskip(NEXT) | instid1(VALU_DEP_1)
	v_add_f32_e32 v25, v28, v25
	v_add_f32_e32 v26, v27, v25
	s_delay_alu instid0(VALU_DEP_1) | instskip(NEXT) | instid1(VALU_DEP_1)
	v_mul_f32_e32 v28, v26, v26
	v_fmaak_f32 v29, s74, v28, 0x3ecc95a3
	v_mul_f32_e32 v30, v26, v28
	s_delay_alu instid0(VALU_DEP_2) | instskip(SKIP_2) | instid1(VALU_DEP_3)
	v_fmaak_f32 v28, v28, v29, 0x3f2aaada
	v_ldexp_f32 v29, v26, 1
	v_sub_f32_e32 v26, v26, v27
	v_mul_f32_e32 v28, v30, v28
	s_delay_alu instid0(VALU_DEP_2) | instskip(NEXT) | instid1(VALU_DEP_2)
	v_dual_mul_f32 v30, 0x3f317218, v24 :: v_dual_sub_f32 v25, v25, v26
	v_add_f32_e32 v27, v29, v28
	s_delay_alu instid0(VALU_DEP_2) | instskip(NEXT) | instid1(VALU_DEP_2)
	v_ldexp_f32 v25, v25, 1
	v_sub_f32_e32 v26, v27, v29
	s_delay_alu instid0(VALU_DEP_4) | instskip(NEXT) | instid1(VALU_DEP_1)
	v_fma_f32 v29, 0x3f317218, v24, -v30
	v_dual_sub_f32 v26, v28, v26 :: v_dual_fmac_f32 v29, 0xb102e308, v24
	s_delay_alu instid0(VALU_DEP_1) | instskip(NEXT) | instid1(VALU_DEP_1)
	v_add_f32_e32 v24, v25, v26
	v_add_f32_e32 v26, v27, v24
	s_delay_alu instid0(VALU_DEP_1) | instskip(NEXT) | instid1(VALU_DEP_1)
	v_sub_f32_e32 v27, v26, v27
	v_dual_sub_f32 v24, v24, v27 :: v_dual_add_f32 v25, v30, v29
	s_delay_alu instid0(VALU_DEP_1) | instskip(NEXT) | instid1(VALU_DEP_1)
	v_add_f32_e32 v28, v25, v26
	v_dual_sub_f32 v30, v25, v30 :: v_dual_sub_f32 v31, v28, v25
	s_delay_alu instid0(VALU_DEP_1) | instskip(NEXT) | instid1(VALU_DEP_1)
	v_dual_sub_f32 v29, v29, v30 :: v_dual_sub_f32 v32, v28, v31
	v_dual_sub_f32 v26, v26, v31 :: v_dual_add_f32 v27, v29, v24
	s_delay_alu instid0(VALU_DEP_2) | instskip(NEXT) | instid1(VALU_DEP_1)
	v_sub_f32_e32 v25, v25, v32
	v_add_f32_e32 v25, v26, v25
	s_delay_alu instid0(VALU_DEP_3) | instskip(NEXT) | instid1(VALU_DEP_2)
	v_sub_f32_e32 v26, v27, v29
	v_add_f32_e32 v25, v27, v25
	s_delay_alu instid0(VALU_DEP_2) | instskip(SKIP_1) | instid1(VALU_DEP_2)
	v_sub_f32_e32 v27, v27, v26
	v_sub_f32_e32 v24, v24, v26
	v_dual_add_f32 v30, v28, v25 :: v_dual_sub_f32 v27, v29, v27
	s_delay_alu instid0(VALU_DEP_1) | instskip(NEXT) | instid1(VALU_DEP_1)
	v_sub_f32_e32 v26, v30, v28
	v_dual_add_f32 v24, v24, v27 :: v_dual_sub_f32 v25, v25, v26
	s_delay_alu instid0(VALU_DEP_1) | instskip(NEXT) | instid1(VALU_DEP_1)
	v_add_f32_e32 v24, v24, v25
	v_add_f32_e32 v24, v30, v24
	s_delay_alu instid0(VALU_DEP_1)
	v_cndmask_b32_e32 v131, v24, v22, vcc_lo
.LBB144_96:                             ;   in Loop: Header=BB144_12 Depth=1
	s_or_b32 exec_lo, exec_lo, s29
	v_add_f32_e32 v137, s84, v23
	s_delay_alu instid0(VALU_DEP_1) | instskip(SKIP_1) | instid1(SALU_CYCLE_1)
	v_cmp_ge_f32_e32 vcc_lo, 0x41a00000, v137
	s_and_b32 s28, s91, vcc_lo
	s_and_saveexec_b32 s29, s28
	s_cbranch_execz .LBB144_98
; %bb.97:                               ;   in Loop: Header=BB144_12 Depth=1
	v_mul_f32_e32 v22, 0x3fb8aa3b, v137
	v_cmp_ngt_f32_e32 vcc_lo, 0xc2ce8ed0, v137
	s_delay_alu instid0(VALU_DEP_2) | instskip(SKIP_1) | instid1(VALU_DEP_2)
	v_rndne_f32_e32 v23, v22
	v_fma_f32 v24, 0x3fb8aa3b, v137, -v22
	v_sub_f32_e32 v22, v22, v23
	s_delay_alu instid0(VALU_DEP_2) | instskip(SKIP_1) | instid1(VALU_DEP_2)
	v_fmac_f32_e32 v24, 0x32a5705f, v137
	v_cvt_i32_f32_e32 v23, v23
	v_add_f32_e32 v22, v22, v24
	s_delay_alu instid0(VALU_DEP_1) | instskip(SKIP_2) | instid1(VALU_DEP_1)
	v_exp_f32_e32 v22, v22
	s_waitcnt_depctr 0xfff
	v_ldexp_f32 v22, v22, v23
	v_cndmask_b32_e32 v22, 0, v22, vcc_lo
	v_cmp_nlt_f32_e32 vcc_lo, 0x42b17218, v137
	s_delay_alu instid0(VALU_DEP_2) | instskip(NEXT) | instid1(VALU_DEP_1)
	v_cndmask_b32_e32 v24, 0x7f800000, v22, vcc_lo
	v_add_f32_e32 v25, 1.0, v24
	s_delay_alu instid0(VALU_DEP_1) | instskip(NEXT) | instid1(VALU_DEP_1)
	v_cvt_f64_f32_e32 v[22:23], v25
	v_frexp_exp_i32_f64_e32 v22, v[22:23]
	v_frexp_mant_f32_e32 v23, v25
	s_delay_alu instid0(VALU_DEP_1) | instskip(SKIP_1) | instid1(VALU_DEP_1)
	v_cmp_gt_f32_e32 vcc_lo, 0x3f2aaaab, v23
	v_add_f32_e32 v23, -1.0, v25
	v_sub_f32_e32 v27, v23, v25
	v_sub_f32_e32 v23, v24, v23
	s_delay_alu instid0(VALU_DEP_2) | instskip(NEXT) | instid1(VALU_DEP_1)
	v_add_f32_e32 v27, 1.0, v27
	v_add_f32_e32 v23, v23, v27
	v_cmp_gt_f32_e64 s28, 0x33800000, v24
	v_subrev_co_ci_u32_e32 v22, vcc_lo, 0, v22, vcc_lo
	v_cmp_eq_f32_e32 vcc_lo, 0x7f800000, v24
	s_delay_alu instid0(VALU_DEP_2) | instskip(SKIP_2) | instid1(VALU_DEP_2)
	v_sub_nc_u32_e32 v26, 0, v22
	v_cvt_f32_i32_e32 v22, v22
	s_or_b32 vcc_lo, s28, vcc_lo
	v_ldexp_f32 v25, v25, v26
	v_ldexp_f32 v23, v23, v26
	s_delay_alu instid0(VALU_DEP_2) | instskip(NEXT) | instid1(VALU_DEP_1)
	v_add_f32_e32 v28, 1.0, v25
	v_dual_add_f32 v26, -1.0, v25 :: v_dual_add_f32 v27, -1.0, v28
	s_delay_alu instid0(VALU_DEP_1) | instskip(NEXT) | instid1(VALU_DEP_2)
	v_add_f32_e32 v29, 1.0, v26
	v_sub_f32_e32 v27, v25, v27
	s_delay_alu instid0(VALU_DEP_2) | instskip(NEXT) | instid1(VALU_DEP_2)
	v_sub_f32_e32 v25, v25, v29
	v_add_f32_e32 v27, v23, v27
	s_delay_alu instid0(VALU_DEP_2) | instskip(NEXT) | instid1(VALU_DEP_1)
	v_add_f32_e32 v23, v23, v25
	v_add_f32_e32 v30, v26, v23
	s_delay_alu instid0(VALU_DEP_1) | instskip(NEXT) | instid1(VALU_DEP_1)
	v_dual_add_f32 v29, v28, v27 :: v_dual_sub_f32 v26, v26, v30
	v_rcp_f32_e32 v25, v29
	v_sub_f32_e32 v28, v28, v29
	s_delay_alu instid0(VALU_DEP_1) | instskip(SKIP_2) | instid1(VALU_DEP_1)
	v_add_f32_e32 v27, v27, v28
	s_waitcnt_depctr 0xfff
	v_mul_f32_e32 v31, v30, v25
	v_mul_f32_e32 v32, v29, v31
	s_delay_alu instid0(VALU_DEP_1) | instskip(NEXT) | instid1(VALU_DEP_1)
	v_fma_f32 v28, v31, v29, -v32
	v_fmac_f32_e32 v28, v31, v27
	s_delay_alu instid0(VALU_DEP_1) | instskip(NEXT) | instid1(VALU_DEP_1)
	v_add_f32_e32 v33, v32, v28
	v_sub_f32_e32 v35, v30, v33
	s_delay_alu instid0(VALU_DEP_1) | instskip(SKIP_1) | instid1(VALU_DEP_2)
	v_dual_sub_f32 v30, v30, v35 :: v_dual_add_f32 v23, v23, v26
	v_sub_f32_e32 v26, v33, v32
	v_sub_f32_e32 v30, v30, v33
	s_delay_alu instid0(VALU_DEP_1) | instskip(NEXT) | instid1(VALU_DEP_1)
	v_dual_sub_f32 v26, v26, v28 :: v_dual_add_f32 v23, v23, v30
	v_add_f32_e32 v23, v26, v23
	s_delay_alu instid0(VALU_DEP_1) | instskip(NEXT) | instid1(VALU_DEP_1)
	v_add_f32_e32 v26, v35, v23
	v_mul_f32_e32 v28, v25, v26
	s_delay_alu instid0(VALU_DEP_1) | instskip(NEXT) | instid1(VALU_DEP_1)
	v_dual_sub_f32 v33, v35, v26 :: v_dual_mul_f32 v30, v29, v28
	v_fma_f32 v29, v28, v29, -v30
	s_delay_alu instid0(VALU_DEP_1) | instskip(NEXT) | instid1(VALU_DEP_1)
	v_fmac_f32_e32 v29, v28, v27
	v_add_f32_e32 v27, v30, v29
	s_delay_alu instid0(VALU_DEP_1) | instskip(NEXT) | instid1(VALU_DEP_1)
	v_sub_f32_e32 v32, v26, v27
	v_dual_sub_f32 v26, v26, v32 :: v_dual_add_f32 v23, v23, v33
	s_delay_alu instid0(VALU_DEP_1) | instskip(NEXT) | instid1(VALU_DEP_1)
	v_sub_f32_e32 v26, v26, v27
	v_add_f32_e32 v23, v23, v26
	v_add_f32_e32 v26, v31, v28
	v_sub_f32_e32 v30, v27, v30
	s_delay_alu instid0(VALU_DEP_1) | instskip(NEXT) | instid1(VALU_DEP_1)
	v_sub_f32_e32 v27, v30, v29
	v_add_f32_e32 v23, v27, v23
	s_delay_alu instid0(VALU_DEP_4) | instskip(NEXT) | instid1(VALU_DEP_2)
	v_sub_f32_e32 v27, v26, v31
	v_add_f32_e32 v23, v32, v23
	s_delay_alu instid0(VALU_DEP_2) | instskip(NEXT) | instid1(VALU_DEP_2)
	v_sub_f32_e32 v27, v28, v27
	v_mul_f32_e32 v23, v25, v23
	s_delay_alu instid0(VALU_DEP_1) | instskip(NEXT) | instid1(VALU_DEP_1)
	v_add_f32_e32 v23, v27, v23
	v_add_f32_e32 v25, v26, v23
	s_delay_alu instid0(VALU_DEP_1) | instskip(NEXT) | instid1(VALU_DEP_1)
	v_mul_f32_e32 v27, v25, v25
	v_fmaak_f32 v28, s74, v27, 0x3ecc95a3
	v_mul_f32_e32 v29, v25, v27
	s_delay_alu instid0(VALU_DEP_2) | instskip(SKIP_1) | instid1(VALU_DEP_2)
	v_fmaak_f32 v27, v27, v28, 0x3f2aaada
	v_ldexp_f32 v28, v25, 1
	v_mul_f32_e32 v27, v29, v27
	v_sub_f32_e32 v25, v25, v26
	s_delay_alu instid0(VALU_DEP_2) | instskip(NEXT) | instid1(VALU_DEP_2)
	v_dual_mul_f32 v29, 0x3f317218, v22 :: v_dual_add_f32 v26, v28, v27
	v_sub_f32_e32 v23, v23, v25
	s_delay_alu instid0(VALU_DEP_2) | instskip(NEXT) | instid1(VALU_DEP_3)
	v_sub_f32_e32 v25, v26, v28
	v_fma_f32 v28, 0x3f317218, v22, -v29
	s_delay_alu instid0(VALU_DEP_3) | instskip(NEXT) | instid1(VALU_DEP_2)
	v_ldexp_f32 v23, v23, 1
	v_dual_sub_f32 v25, v27, v25 :: v_dual_fmac_f32 v28, 0xb102e308, v22
	s_delay_alu instid0(VALU_DEP_1) | instskip(NEXT) | instid1(VALU_DEP_1)
	v_dual_add_f32 v22, v23, v25 :: v_dual_add_f32 v23, v29, v28
	v_add_f32_e32 v25, v26, v22
	s_delay_alu instid0(VALU_DEP_1) | instskip(NEXT) | instid1(VALU_DEP_1)
	v_dual_add_f32 v27, v23, v25 :: v_dual_sub_f32 v26, v25, v26
	v_sub_f32_e32 v30, v27, v23
	s_delay_alu instid0(VALU_DEP_2) | instskip(NEXT) | instid1(VALU_DEP_1)
	v_dual_sub_f32 v29, v23, v29 :: v_dual_sub_f32 v22, v22, v26
	v_dual_sub_f32 v31, v27, v30 :: v_dual_sub_f32 v28, v28, v29
	v_sub_f32_e32 v25, v25, v30
	s_delay_alu instid0(VALU_DEP_2) | instskip(NEXT) | instid1(VALU_DEP_1)
	v_dual_sub_f32 v23, v23, v31 :: v_dual_add_f32 v26, v28, v22
	v_add_f32_e32 v23, v25, v23
	s_delay_alu instid0(VALU_DEP_2) | instskip(NEXT) | instid1(VALU_DEP_2)
	v_sub_f32_e32 v25, v26, v28
	v_add_f32_e32 v23, v26, v23
	s_delay_alu instid0(VALU_DEP_2) | instskip(NEXT) | instid1(VALU_DEP_2)
	v_sub_f32_e32 v26, v26, v25
	v_dual_sub_f32 v22, v22, v25 :: v_dual_add_f32 v29, v27, v23
	s_delay_alu instid0(VALU_DEP_1) | instskip(NEXT) | instid1(VALU_DEP_1)
	v_dual_sub_f32 v26, v28, v26 :: v_dual_sub_f32 v25, v29, v27
	v_dual_add_f32 v22, v22, v26 :: v_dual_sub_f32 v23, v23, v25
	s_delay_alu instid0(VALU_DEP_1) | instskip(NEXT) | instid1(VALU_DEP_1)
	v_add_f32_e32 v22, v22, v23
	v_add_f32_e32 v22, v29, v22
	s_delay_alu instid0(VALU_DEP_1)
	v_cndmask_b32_e32 v137, v22, v24, vcc_lo
.LBB144_98:                             ;   in Loop: Header=BB144_12 Depth=1
	s_or_b32 exec_lo, exec_lo, s29
	s_waitcnt lgkmcnt(1)
	v_add_f32_e32 v139, s84, v20
	s_delay_alu instid0(VALU_DEP_1) | instskip(SKIP_1) | instid1(SALU_CYCLE_1)
	v_cmp_ge_f32_e32 vcc_lo, 0x41a00000, v139
	s_and_b32 s28, s91, vcc_lo
	s_and_saveexec_b32 s29, s28
	s_cbranch_execz .LBB144_100
; %bb.99:                               ;   in Loop: Header=BB144_12 Depth=1
	v_mul_f32_e32 v20, 0x3fb8aa3b, v139
	v_cmp_ngt_f32_e32 vcc_lo, 0xc2ce8ed0, v139
	s_delay_alu instid0(VALU_DEP_2) | instskip(SKIP_1) | instid1(VALU_DEP_1)
	v_rndne_f32_e32 v22, v20
	v_fma_f32 v23, 0x3fb8aa3b, v139, -v20
	v_dual_sub_f32 v20, v20, v22 :: v_dual_fmac_f32 v23, 0x32a5705f, v139
	v_cvt_i32_f32_e32 v22, v22
	s_delay_alu instid0(VALU_DEP_2) | instskip(NEXT) | instid1(VALU_DEP_1)
	v_add_f32_e32 v20, v20, v23
	v_exp_f32_e32 v20, v20
	s_waitcnt_depctr 0xfff
	v_ldexp_f32 v20, v20, v22
	s_delay_alu instid0(VALU_DEP_1) | instskip(SKIP_1) | instid1(VALU_DEP_2)
	v_cndmask_b32_e32 v20, 0, v20, vcc_lo
	v_cmp_nlt_f32_e32 vcc_lo, 0x42b17218, v139
	v_cndmask_b32_e32 v20, 0x7f800000, v20, vcc_lo
	s_delay_alu instid0(VALU_DEP_1) | instskip(NEXT) | instid1(VALU_DEP_1)
	v_add_f32_e32 v24, 1.0, v20
	v_cvt_f64_f32_e32 v[22:23], v24
	s_delay_alu instid0(VALU_DEP_1) | instskip(SKIP_1) | instid1(VALU_DEP_1)
	v_frexp_exp_i32_f64_e32 v22, v[22:23]
	v_frexp_mant_f32_e32 v23, v24
	v_cmp_gt_f32_e32 vcc_lo, 0x3f2aaaab, v23
	v_add_f32_e32 v23, -1.0, v24
	s_delay_alu instid0(VALU_DEP_1) | instskip(SKIP_1) | instid1(VALU_DEP_1)
	v_dual_sub_f32 v26, v23, v24 :: v_dual_sub_f32 v23, v20, v23
	v_subrev_co_ci_u32_e32 v22, vcc_lo, 0, v22, vcc_lo
	v_sub_nc_u32_e32 v25, 0, v22
	v_cvt_f32_i32_e32 v22, v22
	s_delay_alu instid0(VALU_DEP_2) | instskip(NEXT) | instid1(VALU_DEP_1)
	v_ldexp_f32 v24, v24, v25
	v_dual_add_f32 v26, 1.0, v26 :: v_dual_add_f32 v27, 1.0, v24
	s_delay_alu instid0(VALU_DEP_1) | instskip(NEXT) | instid1(VALU_DEP_1)
	v_add_f32_e32 v23, v23, v26
	v_ldexp_f32 v23, v23, v25
	s_delay_alu instid0(VALU_DEP_3) | instskip(NEXT) | instid1(VALU_DEP_1)
	v_dual_add_f32 v25, -1.0, v24 :: v_dual_add_f32 v26, -1.0, v27
	v_add_f32_e32 v28, 1.0, v25
	s_delay_alu instid0(VALU_DEP_2) | instskip(NEXT) | instid1(VALU_DEP_2)
	v_sub_f32_e32 v26, v24, v26
	v_sub_f32_e32 v24, v24, v28
	s_delay_alu instid0(VALU_DEP_2) | instskip(NEXT) | instid1(VALU_DEP_2)
	v_add_f32_e32 v26, v23, v26
	v_add_f32_e32 v23, v23, v24
	s_delay_alu instid0(VALU_DEP_1) | instskip(SKIP_2) | instid1(VALU_DEP_3)
	v_dual_add_f32 v29, v25, v23 :: v_dual_add_f32 v28, v27, v26
	v_cmp_eq_f32_e32 vcc_lo, 0x7f800000, v20
	v_cmp_gt_f32_e64 s28, 0x33800000, v20
	v_sub_f32_e32 v25, v25, v29
	s_delay_alu instid0(VALU_DEP_4) | instskip(SKIP_1) | instid1(VALU_DEP_3)
	v_rcp_f32_e32 v24, v28
	v_sub_f32_e32 v27, v27, v28
	s_or_b32 vcc_lo, s28, vcc_lo
	s_delay_alu instid0(VALU_DEP_1) | instskip(SKIP_2) | instid1(VALU_DEP_1)
	v_dual_add_f32 v23, v23, v25 :: v_dual_add_f32 v26, v26, v27
	s_waitcnt_depctr 0xfff
	v_mul_f32_e32 v30, v29, v24
	v_mul_f32_e32 v31, v28, v30
	s_delay_alu instid0(VALU_DEP_1) | instskip(NEXT) | instid1(VALU_DEP_1)
	v_fma_f32 v27, v30, v28, -v31
	v_fmac_f32_e32 v27, v30, v26
	s_delay_alu instid0(VALU_DEP_1) | instskip(NEXT) | instid1(VALU_DEP_1)
	v_add_f32_e32 v32, v31, v27
	v_sub_f32_e32 v33, v29, v32
	s_delay_alu instid0(VALU_DEP_1) | instskip(NEXT) | instid1(VALU_DEP_1)
	v_sub_f32_e32 v29, v29, v33
	v_sub_f32_e32 v29, v29, v32
	;; [unrolled: 1-line block ×3, first 2 shown]
	s_delay_alu instid0(VALU_DEP_2) | instskip(NEXT) | instid1(VALU_DEP_2)
	v_add_f32_e32 v23, v23, v29
	v_sub_f32_e32 v25, v25, v27
	s_delay_alu instid0(VALU_DEP_1) | instskip(NEXT) | instid1(VALU_DEP_1)
	v_add_f32_e32 v23, v25, v23
	v_add_f32_e32 v25, v33, v23
	s_delay_alu instid0(VALU_DEP_1) | instskip(NEXT) | instid1(VALU_DEP_1)
	v_mul_f32_e32 v27, v24, v25
	v_dual_sub_f32 v32, v33, v25 :: v_dual_mul_f32 v29, v28, v27
	s_delay_alu instid0(VALU_DEP_1) | instskip(NEXT) | instid1(VALU_DEP_2)
	v_add_f32_e32 v23, v23, v32
	v_fma_f32 v28, v27, v28, -v29
	s_delay_alu instid0(VALU_DEP_1) | instskip(NEXT) | instid1(VALU_DEP_1)
	v_fmac_f32_e32 v28, v27, v26
	v_add_f32_e32 v26, v29, v28
	s_delay_alu instid0(VALU_DEP_1) | instskip(NEXT) | instid1(VALU_DEP_1)
	v_sub_f32_e32 v31, v25, v26
	v_sub_f32_e32 v25, v25, v31
	s_delay_alu instid0(VALU_DEP_1) | instskip(NEXT) | instid1(VALU_DEP_1)
	v_sub_f32_e32 v25, v25, v26
	v_add_f32_e32 v23, v23, v25
	v_add_f32_e32 v25, v30, v27
	v_sub_f32_e32 v29, v26, v29
	s_delay_alu instid0(VALU_DEP_1) | instskip(NEXT) | instid1(VALU_DEP_1)
	v_sub_f32_e32 v26, v29, v28
	v_dual_add_f32 v23, v26, v23 :: v_dual_sub_f32 v26, v25, v30
	s_delay_alu instid0(VALU_DEP_1) | instskip(NEXT) | instid1(VALU_DEP_1)
	v_add_f32_e32 v23, v31, v23
	v_dual_sub_f32 v26, v27, v26 :: v_dual_mul_f32 v23, v24, v23
	s_delay_alu instid0(VALU_DEP_1) | instskip(NEXT) | instid1(VALU_DEP_1)
	v_add_f32_e32 v23, v26, v23
	v_add_f32_e32 v24, v25, v23
	s_delay_alu instid0(VALU_DEP_1) | instskip(NEXT) | instid1(VALU_DEP_1)
	v_mul_f32_e32 v26, v24, v24
	v_fmaak_f32 v27, s74, v26, 0x3ecc95a3
	v_mul_f32_e32 v28, v24, v26
	s_delay_alu instid0(VALU_DEP_2) | instskip(SKIP_2) | instid1(VALU_DEP_3)
	v_fmaak_f32 v26, v26, v27, 0x3f2aaada
	v_ldexp_f32 v27, v24, 1
	v_sub_f32_e32 v24, v24, v25
	v_mul_f32_e32 v26, v28, v26
	v_mul_f32_e32 v28, 0x3f317218, v22
	s_delay_alu instid0(VALU_DEP_2) | instskip(NEXT) | instid1(VALU_DEP_1)
	v_add_f32_e32 v25, v27, v26
	v_dual_sub_f32 v23, v23, v24 :: v_dual_sub_f32 v24, v25, v27
	s_delay_alu instid0(VALU_DEP_3) | instskip(NEXT) | instid1(VALU_DEP_2)
	v_fma_f32 v27, 0x3f317218, v22, -v28
	v_ldexp_f32 v23, v23, 1
	s_delay_alu instid0(VALU_DEP_2) | instskip(NEXT) | instid1(VALU_DEP_1)
	v_dual_sub_f32 v24, v26, v24 :: v_dual_fmac_f32 v27, 0xb102e308, v22
	v_dual_add_f32 v22, v23, v24 :: v_dual_add_f32 v23, v28, v27
	s_delay_alu instid0(VALU_DEP_1) | instskip(NEXT) | instid1(VALU_DEP_1)
	v_add_f32_e32 v24, v25, v22
	v_add_f32_e32 v26, v23, v24
	s_delay_alu instid0(VALU_DEP_1) | instskip(NEXT) | instid1(VALU_DEP_1)
	v_sub_f32_e32 v29, v26, v23
	v_sub_f32_e32 v30, v26, v29
	;; [unrolled: 1-line block ×4, first 2 shown]
	s_delay_alu instid0(VALU_DEP_2) | instskip(SKIP_1) | instid1(VALU_DEP_1)
	v_sub_f32_e32 v22, v22, v25
	v_sub_f32_e32 v28, v23, v28
	;; [unrolled: 1-line block ×3, first 2 shown]
	s_delay_alu instid0(VALU_DEP_1) | instskip(SKIP_1) | instid1(VALU_DEP_1)
	v_add_f32_e32 v25, v27, v22
	v_sub_f32_e32 v23, v23, v30
	v_add_f32_e32 v23, v24, v23
	s_delay_alu instid0(VALU_DEP_3) | instskip(NEXT) | instid1(VALU_DEP_1)
	v_sub_f32_e32 v24, v25, v27
	v_dual_sub_f32 v22, v22, v24 :: v_dual_add_f32 v23, v25, v23
	s_delay_alu instid0(VALU_DEP_1) | instskip(NEXT) | instid1(VALU_DEP_1)
	v_dual_sub_f32 v25, v25, v24 :: v_dual_add_f32 v28, v26, v23
	v_dual_sub_f32 v25, v27, v25 :: v_dual_sub_f32 v24, v28, v26
	s_delay_alu instid0(VALU_DEP_1) | instskip(NEXT) | instid1(VALU_DEP_1)
	v_dual_add_f32 v22, v22, v25 :: v_dual_sub_f32 v23, v23, v24
	v_add_f32_e32 v22, v22, v23
	s_delay_alu instid0(VALU_DEP_1) | instskip(NEXT) | instid1(VALU_DEP_1)
	v_add_f32_e32 v22, v28, v22
	v_cndmask_b32_e32 v139, v22, v20, vcc_lo
.LBB144_100:                            ;   in Loop: Header=BB144_12 Depth=1
	s_or_b32 exec_lo, exec_lo, s29
	v_add_f32_e32 v140, s84, v21
	s_delay_alu instid0(VALU_DEP_1) | instskip(SKIP_1) | instid1(SALU_CYCLE_1)
	v_cmp_ge_f32_e32 vcc_lo, 0x41a00000, v140
	s_and_b32 s28, s91, vcc_lo
	s_and_saveexec_b32 s29, s28
	s_cbranch_execz .LBB144_102
; %bb.101:                              ;   in Loop: Header=BB144_12 Depth=1
	v_mul_f32_e32 v20, 0x3fb8aa3b, v140
	v_cmp_ngt_f32_e32 vcc_lo, 0xc2ce8ed0, v140
	s_delay_alu instid0(VALU_DEP_2) | instskip(SKIP_1) | instid1(VALU_DEP_2)
	v_rndne_f32_e32 v21, v20
	v_fma_f32 v22, 0x3fb8aa3b, v140, -v20
	v_sub_f32_e32 v20, v20, v21
	s_delay_alu instid0(VALU_DEP_2) | instskip(SKIP_1) | instid1(VALU_DEP_2)
	v_fmac_f32_e32 v22, 0x32a5705f, v140
	v_cvt_i32_f32_e32 v21, v21
	v_add_f32_e32 v20, v20, v22
	s_delay_alu instid0(VALU_DEP_1) | instskip(SKIP_2) | instid1(VALU_DEP_1)
	v_exp_f32_e32 v20, v20
	s_waitcnt_depctr 0xfff
	v_ldexp_f32 v20, v20, v21
	v_cndmask_b32_e32 v20, 0, v20, vcc_lo
	v_cmp_nlt_f32_e32 vcc_lo, 0x42b17218, v140
	s_delay_alu instid0(VALU_DEP_2) | instskip(NEXT) | instid1(VALU_DEP_1)
	v_cndmask_b32_e32 v22, 0x7f800000, v20, vcc_lo
	v_add_f32_e32 v23, 1.0, v22
	s_delay_alu instid0(VALU_DEP_1) | instskip(NEXT) | instid1(VALU_DEP_1)
	v_cvt_f64_f32_e32 v[20:21], v23
	v_frexp_exp_i32_f64_e32 v20, v[20:21]
	v_frexp_mant_f32_e32 v21, v23
	s_delay_alu instid0(VALU_DEP_1) | instskip(SKIP_1) | instid1(VALU_DEP_1)
	v_cmp_gt_f32_e32 vcc_lo, 0x3f2aaaab, v21
	v_add_f32_e32 v21, -1.0, v23
	v_sub_f32_e32 v25, v21, v23
	v_sub_f32_e32 v21, v22, v21
	s_delay_alu instid0(VALU_DEP_2) | instskip(NEXT) | instid1(VALU_DEP_1)
	v_add_f32_e32 v25, 1.0, v25
	v_add_f32_e32 v21, v21, v25
	v_cmp_gt_f32_e64 s28, 0x33800000, v22
	v_subrev_co_ci_u32_e32 v20, vcc_lo, 0, v20, vcc_lo
	v_cmp_eq_f32_e32 vcc_lo, 0x7f800000, v22
	s_delay_alu instid0(VALU_DEP_2) | instskip(SKIP_2) | instid1(VALU_DEP_2)
	v_sub_nc_u32_e32 v24, 0, v20
	v_cvt_f32_i32_e32 v20, v20
	s_or_b32 vcc_lo, s28, vcc_lo
	v_ldexp_f32 v23, v23, v24
	v_ldexp_f32 v21, v21, v24
	s_delay_alu instid0(VALU_DEP_2) | instskip(NEXT) | instid1(VALU_DEP_1)
	v_add_f32_e32 v26, 1.0, v23
	v_dual_add_f32 v24, -1.0, v23 :: v_dual_add_f32 v25, -1.0, v26
	s_delay_alu instid0(VALU_DEP_1) | instskip(NEXT) | instid1(VALU_DEP_2)
	v_add_f32_e32 v27, 1.0, v24
	v_sub_f32_e32 v25, v23, v25
	s_delay_alu instid0(VALU_DEP_2) | instskip(NEXT) | instid1(VALU_DEP_2)
	v_sub_f32_e32 v23, v23, v27
	v_add_f32_e32 v25, v21, v25
	s_delay_alu instid0(VALU_DEP_2) | instskip(NEXT) | instid1(VALU_DEP_1)
	v_add_f32_e32 v21, v21, v23
	v_add_f32_e32 v28, v24, v21
	s_delay_alu instid0(VALU_DEP_1) | instskip(NEXT) | instid1(VALU_DEP_1)
	v_dual_add_f32 v27, v26, v25 :: v_dual_sub_f32 v24, v24, v28
	v_rcp_f32_e32 v23, v27
	v_sub_f32_e32 v26, v26, v27
	s_delay_alu instid0(VALU_DEP_1) | instskip(SKIP_2) | instid1(VALU_DEP_1)
	v_add_f32_e32 v25, v25, v26
	s_waitcnt_depctr 0xfff
	v_mul_f32_e32 v29, v28, v23
	v_mul_f32_e32 v30, v27, v29
	s_delay_alu instid0(VALU_DEP_1) | instskip(NEXT) | instid1(VALU_DEP_1)
	v_fma_f32 v26, v29, v27, -v30
	v_fmac_f32_e32 v26, v29, v25
	s_delay_alu instid0(VALU_DEP_1) | instskip(NEXT) | instid1(VALU_DEP_1)
	v_add_f32_e32 v31, v30, v26
	v_sub_f32_e32 v32, v28, v31
	s_delay_alu instid0(VALU_DEP_1) | instskip(SKIP_1) | instid1(VALU_DEP_2)
	v_sub_f32_e32 v28, v28, v32
	v_dual_add_f32 v21, v21, v24 :: v_dual_sub_f32 v24, v31, v30
	v_sub_f32_e32 v28, v28, v31
	s_delay_alu instid0(VALU_DEP_1) | instskip(NEXT) | instid1(VALU_DEP_1)
	v_dual_sub_f32 v24, v24, v26 :: v_dual_add_f32 v21, v21, v28
	v_add_f32_e32 v21, v24, v21
	s_delay_alu instid0(VALU_DEP_1) | instskip(NEXT) | instid1(VALU_DEP_1)
	v_add_f32_e32 v24, v32, v21
	v_mul_f32_e32 v26, v23, v24
	s_delay_alu instid0(VALU_DEP_1) | instskip(NEXT) | instid1(VALU_DEP_1)
	v_dual_sub_f32 v31, v32, v24 :: v_dual_mul_f32 v28, v27, v26
	v_add_f32_e32 v21, v21, v31
	s_delay_alu instid0(VALU_DEP_2) | instskip(NEXT) | instid1(VALU_DEP_1)
	v_fma_f32 v27, v26, v27, -v28
	v_fmac_f32_e32 v27, v26, v25
	s_delay_alu instid0(VALU_DEP_1) | instskip(NEXT) | instid1(VALU_DEP_1)
	v_add_f32_e32 v25, v28, v27
	v_sub_f32_e32 v30, v24, v25
	s_delay_alu instid0(VALU_DEP_1) | instskip(NEXT) | instid1(VALU_DEP_1)
	v_sub_f32_e32 v24, v24, v30
	v_sub_f32_e32 v24, v24, v25
	s_delay_alu instid0(VALU_DEP_1) | instskip(SKIP_2) | instid1(VALU_DEP_1)
	v_add_f32_e32 v21, v21, v24
	v_add_f32_e32 v24, v29, v26
	v_sub_f32_e32 v28, v25, v28
	v_sub_f32_e32 v25, v28, v27
	s_delay_alu instid0(VALU_DEP_1) | instskip(NEXT) | instid1(VALU_DEP_4)
	v_add_f32_e32 v21, v25, v21
	v_sub_f32_e32 v25, v24, v29
	s_delay_alu instid0(VALU_DEP_2) | instskip(NEXT) | instid1(VALU_DEP_2)
	v_add_f32_e32 v21, v30, v21
	v_sub_f32_e32 v25, v26, v25
	s_delay_alu instid0(VALU_DEP_2) | instskip(NEXT) | instid1(VALU_DEP_1)
	v_mul_f32_e32 v21, v23, v21
	v_add_f32_e32 v21, v25, v21
	s_delay_alu instid0(VALU_DEP_1) | instskip(NEXT) | instid1(VALU_DEP_1)
	v_add_f32_e32 v23, v24, v21
	v_mul_f32_e32 v25, v23, v23
	s_delay_alu instid0(VALU_DEP_1) | instskip(SKIP_1) | instid1(VALU_DEP_2)
	v_fmaak_f32 v26, s74, v25, 0x3ecc95a3
	v_mul_f32_e32 v27, v23, v25
	v_fmaak_f32 v25, v25, v26, 0x3f2aaada
	v_ldexp_f32 v26, v23, 1
	s_delay_alu instid0(VALU_DEP_2) | instskip(SKIP_1) | instid1(VALU_DEP_2)
	v_mul_f32_e32 v25, v27, v25
	v_sub_f32_e32 v23, v23, v24
	v_dual_mul_f32 v27, 0x3f317218, v20 :: v_dual_add_f32 v24, v26, v25
	s_delay_alu instid0(VALU_DEP_2) | instskip(NEXT) | instid1(VALU_DEP_2)
	v_sub_f32_e32 v21, v21, v23
	v_sub_f32_e32 v23, v24, v26
	s_delay_alu instid0(VALU_DEP_3) | instskip(NEXT) | instid1(VALU_DEP_3)
	v_fma_f32 v26, 0x3f317218, v20, -v27
	v_ldexp_f32 v21, v21, 1
	s_delay_alu instid0(VALU_DEP_2) | instskip(NEXT) | instid1(VALU_DEP_1)
	v_dual_sub_f32 v23, v25, v23 :: v_dual_fmac_f32 v26, 0xb102e308, v20
	v_dual_add_f32 v20, v21, v23 :: v_dual_add_f32 v21, v27, v26
	s_delay_alu instid0(VALU_DEP_1) | instskip(NEXT) | instid1(VALU_DEP_1)
	v_add_f32_e32 v23, v24, v20
	v_dual_add_f32 v25, v21, v23 :: v_dual_sub_f32 v24, v23, v24
	s_delay_alu instid0(VALU_DEP_1) | instskip(NEXT) | instid1(VALU_DEP_2)
	v_sub_f32_e32 v28, v25, v21
	v_dual_sub_f32 v27, v21, v27 :: v_dual_sub_f32 v20, v20, v24
	s_delay_alu instid0(VALU_DEP_1) | instskip(SKIP_1) | instid1(VALU_DEP_2)
	v_dual_sub_f32 v29, v25, v28 :: v_dual_sub_f32 v26, v26, v27
	v_sub_f32_e32 v23, v23, v28
	v_dual_sub_f32 v21, v21, v29 :: v_dual_add_f32 v24, v26, v20
	s_delay_alu instid0(VALU_DEP_1) | instskip(NEXT) | instid1(VALU_DEP_2)
	v_add_f32_e32 v21, v23, v21
	v_sub_f32_e32 v23, v24, v26
	s_delay_alu instid0(VALU_DEP_2) | instskip(NEXT) | instid1(VALU_DEP_2)
	v_add_f32_e32 v21, v24, v21
	v_sub_f32_e32 v24, v24, v23
	s_delay_alu instid0(VALU_DEP_2) | instskip(NEXT) | instid1(VALU_DEP_1)
	v_dual_sub_f32 v20, v20, v23 :: v_dual_add_f32 v27, v25, v21
	v_dual_sub_f32 v24, v26, v24 :: v_dual_sub_f32 v23, v27, v25
	s_delay_alu instid0(VALU_DEP_1) | instskip(NEXT) | instid1(VALU_DEP_1)
	v_dual_add_f32 v20, v20, v24 :: v_dual_sub_f32 v21, v21, v23
	v_add_f32_e32 v20, v20, v21
	s_delay_alu instid0(VALU_DEP_1) | instskip(NEXT) | instid1(VALU_DEP_1)
	v_add_f32_e32 v20, v27, v20
	v_cndmask_b32_e32 v140, v20, v22, vcc_lo
.LBB144_102:                            ;   in Loop: Header=BB144_12 Depth=1
	s_or_b32 exec_lo, exec_lo, s29
	s_waitcnt lgkmcnt(0)
	v_add_f32_e32 v141, s84, v18
	s_delay_alu instid0(VALU_DEP_1) | instskip(SKIP_1) | instid1(SALU_CYCLE_1)
	v_cmp_ge_f32_e32 vcc_lo, 0x41a00000, v141
	s_and_b32 s28, s91, vcc_lo
	s_and_saveexec_b32 s29, s28
	s_cbranch_execz .LBB144_104
; %bb.103:                              ;   in Loop: Header=BB144_12 Depth=1
	v_mul_f32_e32 v18, 0x3fb8aa3b, v141
	v_cmp_ngt_f32_e32 vcc_lo, 0xc2ce8ed0, v141
	s_delay_alu instid0(VALU_DEP_2) | instskip(SKIP_1) | instid1(VALU_DEP_1)
	v_rndne_f32_e32 v20, v18
	v_fma_f32 v21, 0x3fb8aa3b, v141, -v18
	v_dual_sub_f32 v18, v18, v20 :: v_dual_fmac_f32 v21, 0x32a5705f, v141
	v_cvt_i32_f32_e32 v20, v20
	s_delay_alu instid0(VALU_DEP_2) | instskip(NEXT) | instid1(VALU_DEP_1)
	v_add_f32_e32 v18, v18, v21
	v_exp_f32_e32 v18, v18
	s_waitcnt_depctr 0xfff
	v_ldexp_f32 v18, v18, v20
	s_delay_alu instid0(VALU_DEP_1) | instskip(SKIP_1) | instid1(VALU_DEP_2)
	v_cndmask_b32_e32 v18, 0, v18, vcc_lo
	v_cmp_nlt_f32_e32 vcc_lo, 0x42b17218, v141
	v_cndmask_b32_e32 v18, 0x7f800000, v18, vcc_lo
	s_delay_alu instid0(VALU_DEP_1) | instskip(NEXT) | instid1(VALU_DEP_1)
	v_add_f32_e32 v22, 1.0, v18
	v_cvt_f64_f32_e32 v[20:21], v22
	s_delay_alu instid0(VALU_DEP_1) | instskip(SKIP_1) | instid1(VALU_DEP_1)
	v_frexp_exp_i32_f64_e32 v20, v[20:21]
	v_frexp_mant_f32_e32 v21, v22
	v_cmp_gt_f32_e32 vcc_lo, 0x3f2aaaab, v21
	v_add_f32_e32 v21, -1.0, v22
	s_delay_alu instid0(VALU_DEP_1) | instskip(SKIP_1) | instid1(VALU_DEP_1)
	v_dual_sub_f32 v24, v21, v22 :: v_dual_sub_f32 v21, v18, v21
	v_subrev_co_ci_u32_e32 v20, vcc_lo, 0, v20, vcc_lo
	v_sub_nc_u32_e32 v23, 0, v20
	v_cvt_f32_i32_e32 v20, v20
	s_delay_alu instid0(VALU_DEP_2) | instskip(NEXT) | instid1(VALU_DEP_1)
	v_ldexp_f32 v22, v22, v23
	v_dual_add_f32 v24, 1.0, v24 :: v_dual_add_f32 v25, 1.0, v22
	s_delay_alu instid0(VALU_DEP_1) | instskip(NEXT) | instid1(VALU_DEP_1)
	v_add_f32_e32 v21, v21, v24
	v_ldexp_f32 v21, v21, v23
	s_delay_alu instid0(VALU_DEP_3) | instskip(NEXT) | instid1(VALU_DEP_1)
	v_dual_add_f32 v23, -1.0, v22 :: v_dual_add_f32 v24, -1.0, v25
	v_add_f32_e32 v26, 1.0, v23
	s_delay_alu instid0(VALU_DEP_2) | instskip(NEXT) | instid1(VALU_DEP_2)
	v_sub_f32_e32 v24, v22, v24
	v_sub_f32_e32 v22, v22, v26
	s_delay_alu instid0(VALU_DEP_2) | instskip(NEXT) | instid1(VALU_DEP_2)
	v_add_f32_e32 v24, v21, v24
	v_add_f32_e32 v21, v21, v22
	s_delay_alu instid0(VALU_DEP_1) | instskip(SKIP_2) | instid1(VALU_DEP_3)
	v_dual_add_f32 v27, v23, v21 :: v_dual_add_f32 v26, v25, v24
	v_cmp_eq_f32_e32 vcc_lo, 0x7f800000, v18
	v_cmp_gt_f32_e64 s28, 0x33800000, v18
	v_sub_f32_e32 v23, v23, v27
	s_delay_alu instid0(VALU_DEP_4) | instskip(SKIP_1) | instid1(VALU_DEP_3)
	v_rcp_f32_e32 v22, v26
	v_sub_f32_e32 v25, v25, v26
	s_or_b32 vcc_lo, s28, vcc_lo
	s_delay_alu instid0(VALU_DEP_1) | instskip(SKIP_2) | instid1(VALU_DEP_1)
	v_dual_add_f32 v21, v21, v23 :: v_dual_add_f32 v24, v24, v25
	s_waitcnt_depctr 0xfff
	v_mul_f32_e32 v28, v27, v22
	v_mul_f32_e32 v29, v26, v28
	s_delay_alu instid0(VALU_DEP_1) | instskip(NEXT) | instid1(VALU_DEP_1)
	v_fma_f32 v25, v28, v26, -v29
	v_fmac_f32_e32 v25, v28, v24
	s_delay_alu instid0(VALU_DEP_1) | instskip(NEXT) | instid1(VALU_DEP_1)
	v_add_f32_e32 v30, v29, v25
	v_sub_f32_e32 v31, v27, v30
	s_delay_alu instid0(VALU_DEP_1) | instskip(NEXT) | instid1(VALU_DEP_1)
	v_sub_f32_e32 v27, v27, v31
	v_sub_f32_e32 v27, v27, v30
	;; [unrolled: 1-line block ×3, first 2 shown]
	s_delay_alu instid0(VALU_DEP_2) | instskip(NEXT) | instid1(VALU_DEP_2)
	v_add_f32_e32 v21, v21, v27
	v_sub_f32_e32 v23, v23, v25
	s_delay_alu instid0(VALU_DEP_1) | instskip(NEXT) | instid1(VALU_DEP_1)
	v_add_f32_e32 v21, v23, v21
	v_add_f32_e32 v23, v31, v21
	s_delay_alu instid0(VALU_DEP_1) | instskip(NEXT) | instid1(VALU_DEP_1)
	v_mul_f32_e32 v25, v22, v23
	v_dual_sub_f32 v30, v31, v23 :: v_dual_mul_f32 v27, v26, v25
	s_delay_alu instid0(VALU_DEP_1) | instskip(NEXT) | instid1(VALU_DEP_2)
	v_add_f32_e32 v21, v21, v30
	v_fma_f32 v26, v25, v26, -v27
	s_delay_alu instid0(VALU_DEP_1) | instskip(NEXT) | instid1(VALU_DEP_1)
	v_fmac_f32_e32 v26, v25, v24
	v_add_f32_e32 v24, v27, v26
	s_delay_alu instid0(VALU_DEP_1) | instskip(NEXT) | instid1(VALU_DEP_1)
	v_sub_f32_e32 v29, v23, v24
	v_sub_f32_e32 v23, v23, v29
	s_delay_alu instid0(VALU_DEP_1) | instskip(NEXT) | instid1(VALU_DEP_1)
	v_sub_f32_e32 v23, v23, v24
	v_add_f32_e32 v21, v21, v23
	v_add_f32_e32 v23, v28, v25
	v_sub_f32_e32 v27, v24, v27
	s_delay_alu instid0(VALU_DEP_1) | instskip(NEXT) | instid1(VALU_DEP_1)
	v_sub_f32_e32 v24, v27, v26
	v_dual_add_f32 v21, v24, v21 :: v_dual_sub_f32 v24, v23, v28
	s_delay_alu instid0(VALU_DEP_1) | instskip(NEXT) | instid1(VALU_DEP_1)
	v_add_f32_e32 v21, v29, v21
	v_dual_sub_f32 v24, v25, v24 :: v_dual_mul_f32 v21, v22, v21
	s_delay_alu instid0(VALU_DEP_1) | instskip(NEXT) | instid1(VALU_DEP_1)
	v_add_f32_e32 v21, v24, v21
	v_add_f32_e32 v22, v23, v21
	s_delay_alu instid0(VALU_DEP_1) | instskip(NEXT) | instid1(VALU_DEP_1)
	v_mul_f32_e32 v24, v22, v22
	v_fmaak_f32 v25, s74, v24, 0x3ecc95a3
	v_mul_f32_e32 v26, v22, v24
	s_delay_alu instid0(VALU_DEP_2) | instskip(SKIP_2) | instid1(VALU_DEP_3)
	v_fmaak_f32 v24, v24, v25, 0x3f2aaada
	v_ldexp_f32 v25, v22, 1
	v_sub_f32_e32 v22, v22, v23
	v_mul_f32_e32 v24, v26, v24
	v_mul_f32_e32 v26, 0x3f317218, v20
	s_delay_alu instid0(VALU_DEP_2) | instskip(NEXT) | instid1(VALU_DEP_1)
	v_add_f32_e32 v23, v25, v24
	v_dual_sub_f32 v21, v21, v22 :: v_dual_sub_f32 v22, v23, v25
	s_delay_alu instid0(VALU_DEP_3) | instskip(NEXT) | instid1(VALU_DEP_2)
	v_fma_f32 v25, 0x3f317218, v20, -v26
	v_ldexp_f32 v21, v21, 1
	s_delay_alu instid0(VALU_DEP_2) | instskip(NEXT) | instid1(VALU_DEP_1)
	v_dual_sub_f32 v22, v24, v22 :: v_dual_fmac_f32 v25, 0xb102e308, v20
	v_dual_add_f32 v20, v21, v22 :: v_dual_add_f32 v21, v26, v25
	s_delay_alu instid0(VALU_DEP_1) | instskip(NEXT) | instid1(VALU_DEP_1)
	v_add_f32_e32 v22, v23, v20
	v_add_f32_e32 v24, v21, v22
	s_delay_alu instid0(VALU_DEP_1) | instskip(NEXT) | instid1(VALU_DEP_1)
	v_sub_f32_e32 v27, v24, v21
	v_sub_f32_e32 v28, v24, v27
	;; [unrolled: 1-line block ×4, first 2 shown]
	s_delay_alu instid0(VALU_DEP_2) | instskip(SKIP_1) | instid1(VALU_DEP_1)
	v_sub_f32_e32 v20, v20, v23
	v_sub_f32_e32 v26, v21, v26
	v_sub_f32_e32 v25, v25, v26
	s_delay_alu instid0(VALU_DEP_1) | instskip(SKIP_1) | instid1(VALU_DEP_1)
	v_add_f32_e32 v23, v25, v20
	v_sub_f32_e32 v21, v21, v28
	v_add_f32_e32 v21, v22, v21
	s_delay_alu instid0(VALU_DEP_3) | instskip(NEXT) | instid1(VALU_DEP_1)
	v_sub_f32_e32 v22, v23, v25
	v_dual_sub_f32 v20, v20, v22 :: v_dual_add_f32 v21, v23, v21
	s_delay_alu instid0(VALU_DEP_1) | instskip(NEXT) | instid1(VALU_DEP_1)
	v_dual_sub_f32 v23, v23, v22 :: v_dual_add_f32 v26, v24, v21
	v_dual_sub_f32 v23, v25, v23 :: v_dual_sub_f32 v22, v26, v24
	s_delay_alu instid0(VALU_DEP_1) | instskip(NEXT) | instid1(VALU_DEP_1)
	v_dual_add_f32 v20, v20, v23 :: v_dual_sub_f32 v21, v21, v22
	v_add_f32_e32 v20, v20, v21
	s_delay_alu instid0(VALU_DEP_1) | instskip(NEXT) | instid1(VALU_DEP_1)
	v_add_f32_e32 v20, v26, v20
	v_cndmask_b32_e32 v141, v20, v18, vcc_lo
.LBB144_104:                            ;   in Loop: Header=BB144_12 Depth=1
	s_or_b32 exec_lo, exec_lo, s29
	v_add_f32_e32 v142, s84, v19
	s_delay_alu instid0(VALU_DEP_1) | instskip(SKIP_1) | instid1(SALU_CYCLE_1)
	v_cmp_ge_f32_e32 vcc_lo, 0x41a00000, v142
	s_and_b32 s28, s91, vcc_lo
	s_and_saveexec_b32 s29, s28
	s_cbranch_execz .LBB144_106
; %bb.105:                              ;   in Loop: Header=BB144_12 Depth=1
	v_mul_f32_e32 v18, 0x3fb8aa3b, v142
	v_cmp_ngt_f32_e32 vcc_lo, 0xc2ce8ed0, v142
	s_delay_alu instid0(VALU_DEP_2) | instskip(SKIP_1) | instid1(VALU_DEP_2)
	v_rndne_f32_e32 v19, v18
	v_fma_f32 v20, 0x3fb8aa3b, v142, -v18
	v_sub_f32_e32 v18, v18, v19
	s_delay_alu instid0(VALU_DEP_2) | instskip(SKIP_1) | instid1(VALU_DEP_2)
	v_fmac_f32_e32 v20, 0x32a5705f, v142
	v_cvt_i32_f32_e32 v19, v19
	v_add_f32_e32 v18, v18, v20
	s_delay_alu instid0(VALU_DEP_1) | instskip(SKIP_2) | instid1(VALU_DEP_1)
	v_exp_f32_e32 v18, v18
	s_waitcnt_depctr 0xfff
	v_ldexp_f32 v18, v18, v19
	v_cndmask_b32_e32 v18, 0, v18, vcc_lo
	v_cmp_nlt_f32_e32 vcc_lo, 0x42b17218, v142
	s_delay_alu instid0(VALU_DEP_2) | instskip(NEXT) | instid1(VALU_DEP_1)
	v_cndmask_b32_e32 v20, 0x7f800000, v18, vcc_lo
	v_add_f32_e32 v21, 1.0, v20
	s_delay_alu instid0(VALU_DEP_1) | instskip(NEXT) | instid1(VALU_DEP_1)
	v_cvt_f64_f32_e32 v[18:19], v21
	v_frexp_exp_i32_f64_e32 v18, v[18:19]
	v_frexp_mant_f32_e32 v19, v21
	s_delay_alu instid0(VALU_DEP_1) | instskip(SKIP_1) | instid1(VALU_DEP_1)
	v_cmp_gt_f32_e32 vcc_lo, 0x3f2aaaab, v19
	v_add_f32_e32 v19, -1.0, v21
	v_sub_f32_e32 v23, v19, v21
	v_sub_f32_e32 v19, v20, v19
	s_delay_alu instid0(VALU_DEP_2) | instskip(NEXT) | instid1(VALU_DEP_1)
	v_add_f32_e32 v23, 1.0, v23
	v_add_f32_e32 v19, v19, v23
	v_cmp_gt_f32_e64 s28, 0x33800000, v20
	v_subrev_co_ci_u32_e32 v18, vcc_lo, 0, v18, vcc_lo
	v_cmp_eq_f32_e32 vcc_lo, 0x7f800000, v20
	s_delay_alu instid0(VALU_DEP_2) | instskip(SKIP_2) | instid1(VALU_DEP_2)
	v_sub_nc_u32_e32 v22, 0, v18
	v_cvt_f32_i32_e32 v18, v18
	s_or_b32 vcc_lo, s28, vcc_lo
	v_ldexp_f32 v21, v21, v22
	v_ldexp_f32 v19, v19, v22
	s_delay_alu instid0(VALU_DEP_2) | instskip(NEXT) | instid1(VALU_DEP_1)
	v_add_f32_e32 v24, 1.0, v21
	v_dual_add_f32 v22, -1.0, v21 :: v_dual_add_f32 v23, -1.0, v24
	s_delay_alu instid0(VALU_DEP_1) | instskip(NEXT) | instid1(VALU_DEP_2)
	v_add_f32_e32 v25, 1.0, v22
	v_sub_f32_e32 v23, v21, v23
	s_delay_alu instid0(VALU_DEP_2) | instskip(NEXT) | instid1(VALU_DEP_2)
	v_sub_f32_e32 v21, v21, v25
	v_add_f32_e32 v23, v19, v23
	s_delay_alu instid0(VALU_DEP_2) | instskip(NEXT) | instid1(VALU_DEP_1)
	v_add_f32_e32 v19, v19, v21
	v_add_f32_e32 v26, v22, v19
	s_delay_alu instid0(VALU_DEP_1) | instskip(NEXT) | instid1(VALU_DEP_1)
	v_dual_add_f32 v25, v24, v23 :: v_dual_sub_f32 v22, v22, v26
	v_rcp_f32_e32 v21, v25
	v_sub_f32_e32 v24, v24, v25
	s_delay_alu instid0(VALU_DEP_1) | instskip(SKIP_2) | instid1(VALU_DEP_1)
	v_add_f32_e32 v23, v23, v24
	s_waitcnt_depctr 0xfff
	v_mul_f32_e32 v27, v26, v21
	v_mul_f32_e32 v28, v25, v27
	s_delay_alu instid0(VALU_DEP_1) | instskip(NEXT) | instid1(VALU_DEP_1)
	v_fma_f32 v24, v27, v25, -v28
	v_fmac_f32_e32 v24, v27, v23
	s_delay_alu instid0(VALU_DEP_1) | instskip(NEXT) | instid1(VALU_DEP_1)
	v_add_f32_e32 v29, v28, v24
	v_sub_f32_e32 v30, v26, v29
	s_delay_alu instid0(VALU_DEP_1) | instskip(SKIP_1) | instid1(VALU_DEP_2)
	v_sub_f32_e32 v26, v26, v30
	v_dual_add_f32 v19, v19, v22 :: v_dual_sub_f32 v22, v29, v28
	v_sub_f32_e32 v26, v26, v29
	s_delay_alu instid0(VALU_DEP_1) | instskip(NEXT) | instid1(VALU_DEP_1)
	v_dual_sub_f32 v22, v22, v24 :: v_dual_add_f32 v19, v19, v26
	v_add_f32_e32 v19, v22, v19
	s_delay_alu instid0(VALU_DEP_1) | instskip(NEXT) | instid1(VALU_DEP_1)
	v_add_f32_e32 v22, v30, v19
	v_mul_f32_e32 v24, v21, v22
	s_delay_alu instid0(VALU_DEP_1) | instskip(NEXT) | instid1(VALU_DEP_1)
	v_dual_sub_f32 v29, v30, v22 :: v_dual_mul_f32 v26, v25, v24
	v_add_f32_e32 v19, v19, v29
	s_delay_alu instid0(VALU_DEP_2) | instskip(NEXT) | instid1(VALU_DEP_1)
	v_fma_f32 v25, v24, v25, -v26
	v_fmac_f32_e32 v25, v24, v23
	s_delay_alu instid0(VALU_DEP_1) | instskip(NEXT) | instid1(VALU_DEP_1)
	v_add_f32_e32 v23, v26, v25
	v_sub_f32_e32 v28, v22, v23
	s_delay_alu instid0(VALU_DEP_1) | instskip(NEXT) | instid1(VALU_DEP_1)
	v_sub_f32_e32 v22, v22, v28
	v_sub_f32_e32 v22, v22, v23
	s_delay_alu instid0(VALU_DEP_1) | instskip(SKIP_2) | instid1(VALU_DEP_1)
	v_add_f32_e32 v19, v19, v22
	v_add_f32_e32 v22, v27, v24
	v_sub_f32_e32 v26, v23, v26
	v_sub_f32_e32 v23, v26, v25
	s_delay_alu instid0(VALU_DEP_1) | instskip(NEXT) | instid1(VALU_DEP_4)
	v_add_f32_e32 v19, v23, v19
	v_sub_f32_e32 v23, v22, v27
	s_delay_alu instid0(VALU_DEP_2) | instskip(NEXT) | instid1(VALU_DEP_2)
	v_add_f32_e32 v19, v28, v19
	v_sub_f32_e32 v23, v24, v23
	s_delay_alu instid0(VALU_DEP_2) | instskip(NEXT) | instid1(VALU_DEP_1)
	v_mul_f32_e32 v19, v21, v19
	v_add_f32_e32 v19, v23, v19
	s_delay_alu instid0(VALU_DEP_1) | instskip(NEXT) | instid1(VALU_DEP_1)
	v_add_f32_e32 v21, v22, v19
	v_mul_f32_e32 v23, v21, v21
	s_delay_alu instid0(VALU_DEP_1) | instskip(SKIP_1) | instid1(VALU_DEP_2)
	v_fmaak_f32 v24, s74, v23, 0x3ecc95a3
	v_mul_f32_e32 v25, v21, v23
	v_fmaak_f32 v23, v23, v24, 0x3f2aaada
	v_ldexp_f32 v24, v21, 1
	s_delay_alu instid0(VALU_DEP_2) | instskip(SKIP_1) | instid1(VALU_DEP_2)
	v_mul_f32_e32 v23, v25, v23
	v_sub_f32_e32 v21, v21, v22
	v_dual_mul_f32 v25, 0x3f317218, v18 :: v_dual_add_f32 v22, v24, v23
	s_delay_alu instid0(VALU_DEP_2) | instskip(NEXT) | instid1(VALU_DEP_2)
	v_sub_f32_e32 v19, v19, v21
	v_sub_f32_e32 v21, v22, v24
	s_delay_alu instid0(VALU_DEP_3) | instskip(NEXT) | instid1(VALU_DEP_3)
	v_fma_f32 v24, 0x3f317218, v18, -v25
	v_ldexp_f32 v19, v19, 1
	s_delay_alu instid0(VALU_DEP_2) | instskip(NEXT) | instid1(VALU_DEP_1)
	v_dual_sub_f32 v21, v23, v21 :: v_dual_fmac_f32 v24, 0xb102e308, v18
	v_dual_add_f32 v18, v19, v21 :: v_dual_add_f32 v19, v25, v24
	s_delay_alu instid0(VALU_DEP_1) | instskip(NEXT) | instid1(VALU_DEP_1)
	v_add_f32_e32 v21, v22, v18
	v_dual_add_f32 v23, v19, v21 :: v_dual_sub_f32 v22, v21, v22
	s_delay_alu instid0(VALU_DEP_1) | instskip(NEXT) | instid1(VALU_DEP_2)
	v_sub_f32_e32 v26, v23, v19
	v_dual_sub_f32 v25, v19, v25 :: v_dual_sub_f32 v18, v18, v22
	s_delay_alu instid0(VALU_DEP_1) | instskip(SKIP_1) | instid1(VALU_DEP_2)
	v_dual_sub_f32 v27, v23, v26 :: v_dual_sub_f32 v24, v24, v25
	v_sub_f32_e32 v21, v21, v26
	v_dual_sub_f32 v19, v19, v27 :: v_dual_add_f32 v22, v24, v18
	s_delay_alu instid0(VALU_DEP_1) | instskip(NEXT) | instid1(VALU_DEP_2)
	v_add_f32_e32 v19, v21, v19
	v_sub_f32_e32 v21, v22, v24
	s_delay_alu instid0(VALU_DEP_2) | instskip(NEXT) | instid1(VALU_DEP_2)
	v_add_f32_e32 v19, v22, v19
	v_sub_f32_e32 v22, v22, v21
	s_delay_alu instid0(VALU_DEP_2) | instskip(NEXT) | instid1(VALU_DEP_1)
	v_dual_sub_f32 v18, v18, v21 :: v_dual_add_f32 v25, v23, v19
	v_dual_sub_f32 v22, v24, v22 :: v_dual_sub_f32 v21, v25, v23
	s_delay_alu instid0(VALU_DEP_1) | instskip(NEXT) | instid1(VALU_DEP_1)
	v_dual_add_f32 v18, v18, v22 :: v_dual_sub_f32 v19, v19, v21
	v_add_f32_e32 v18, v18, v19
	s_delay_alu instid0(VALU_DEP_1) | instskip(NEXT) | instid1(VALU_DEP_1)
	v_add_f32_e32 v18, v25, v18
	v_cndmask_b32_e32 v142, v18, v20, vcc_lo
.LBB144_106:                            ;   in Loop: Header=BB144_12 Depth=1
	s_or_b32 exec_lo, exec_lo, s29
	v_dual_mul_f32 v120, s85, v16 :: v_dual_mul_f32 v121, s85, v15
	v_dual_mul_f32 v122, s85, v14 :: v_dual_mul_f32 v123, s85, v13
	;; [unrolled: 1-line block ×7, first 2 shown]
	v_mul_f32_e32 v138, s85, v2
	v_mul_f32_e32 v124, s85, v17
	s_and_b32 vcc_lo, exec_lo, s92
	s_barrier
	buffer_gl0_inv
	s_cbranch_vccz .LBB144_202
; %bb.107:                              ;   in Loop: Header=BB144_12 Depth=1
	v_dual_mul_f32 v143, v17, v142 :: v_dual_mul_f32 v148, v16, v141
	v_add_co_u32 v17, s28, s79, v34
	s_delay_alu instid0(VALU_DEP_1) | instskip(SKIP_1) | instid1(VALU_DEP_1)
	v_add_co_ci_u32_e64 v18, null, s81, 0, s28
	v_add_co_u32 v19, s28, s69, v34
	v_add_co_ci_u32_e64 v20, null, s82, 0, s28
	s_delay_alu instid0(VALU_DEP_4) | instskip(NEXT) | instid1(VALU_DEP_4)
	v_add_co_u32 v144, vcc_lo, v17, v110
	v_add_co_ci_u32_e32 v145, vcc_lo, 0, v18, vcc_lo
	s_delay_alu instid0(VALU_DEP_4) | instskip(NEXT) | instid1(VALU_DEP_4)
	v_add_co_u32 v146, vcc_lo, v19, v110
	v_add_co_ci_u32_e32 v147, vcc_lo, 0, v20, vcc_lo
	v_cmp_gt_u32_e32 vcc_lo, s40, v36
	s_cmp_lg_u32 s95, 0
	v_cmp_gt_u32_e64 s30, s40, v96
	s_cselect_b32 s51, -1, 0
	s_cmp_eq_u32 s95, s94
	v_cmp_gt_u32_e64 s31, s40, v97
	s_cselect_b32 s60, -1, 0
	s_or_b32 s28, s93, vcc_lo
	v_cmp_gt_u32_e32 vcc_lo, s40, v95
	v_cmp_gt_u32_e64 s33, s40, v98
	v_cmp_gt_u32_e64 s34, s40, v99
	;; [unrolled: 1-line block ×4, first 2 shown]
	s_or_b32 s29, s93, vcc_lo
	v_cmp_gt_u32_e32 vcc_lo, s40, v100
	v_cmp_gt_u32_e64 s38, s40, v103
	v_cmp_gt_u32_e64 s39, s40, v104
	;; [unrolled: 1-line block ×4, first 2 shown]
	s_or_b32 s35, s93, vcc_lo
	v_cmp_gt_u32_e32 vcc_lo, s40, v105
	v_cmp_gt_u32_e64 s43, s40, v108
	v_cmp_gt_u32_e64 s44, s40, v109
	v_dual_mul_f32 v149, v15, v140 :: v_dual_mul_f32 v150, v14, v139
	v_dual_mul_f32 v151, v13, v137 :: v_dual_mul_f32 v152, v12, v131
	;; [unrolled: 1-line block ×7, first 2 shown]
	s_mov_b32 s52, 0
	s_or_b32 s30, s93, s30
	s_or_b32 s31, s93, s31
	;; [unrolled: 1-line block ×8, first 2 shown]
	s_or_b32 s40, s93, vcc_lo
	s_or_b32 s41, s93, s41
	s_or_b32 s42, s93, s42
	;; [unrolled: 1-line block ×4, first 2 shown]
	s_mov_b32 s54, s52
	s_mov_b32 s56, s52
	;; [unrolled: 1-line block ×5, first 2 shown]
	s_branch .LBB144_109
.LBB144_108:                            ;   in Loop: Header=BB144_109 Depth=2
	s_or_b32 exec_lo, exec_lo, s45
	v_cndmask_b32_e64 v18, v184, v23, s11
	v_cndmask_b32_e64 v19, v183, v22, s11
	s_add_i32 s61, s61, -1
	s_add_i32 s62, s62, 8
	s_add_i32 s58, s58, s83
	v_fma_f32 v18, v18, v165, v35
	v_mul_f32_e32 v19, v19, v165
	s_add_i32 s56, s56, s68
	s_add_i32 s54, s54, s80
	;; [unrolled: 1-line block ×3, first 2 shown]
	v_cndmask_b32_e64 v18, v18, v35, s10
	v_cndmask_b32_e64 v19, v19, v165, s10
	s_cmp_eq_u32 s61, 0
	s_waitcnt lgkmcnt(0)
	s_delay_alu instid0(VALU_DEP_1) | instskip(NEXT) | instid1(VALU_DEP_1)
	v_fmac_f32_e32 v18, v20, v19
	v_fmac_f32_e32 v32, v18, v164
	s_delay_alu instid0(VALU_DEP_1) | instskip(NEXT) | instid1(VALU_DEP_1)
	v_fmac_f32_e32 v34, v32, v163
	v_dual_fmac_f32 v136, v17, v32 :: v_dual_fmac_f32 v33, v34, v166
	s_delay_alu instid0(VALU_DEP_1) | instskip(NEXT) | instid1(VALU_DEP_1)
	v_fmac_f32_e32 v30, v33, v167
	v_fmac_f32_e32 v31, v30, v168
	s_delay_alu instid0(VALU_DEP_1) | instskip(NEXT) | instid1(VALU_DEP_1)
	v_dual_fmac_f32 v135, v14, v34 :: v_dual_fmac_f32 v28, v31, v169
	v_fmac_f32_e32 v29, v28, v170
	v_fmac_f32_e32 v133, v12, v30
	s_delay_alu instid0(VALU_DEP_2) | instskip(SKIP_1) | instid1(VALU_DEP_1)
	v_dual_fmac_f32 v138, v16, v18 :: v_dual_fmac_f32 v129, v11, v29
	v_fmac_f32_e32 v26, v29, v171
	v_dual_fmac_f32 v134, v15, v33 :: v_dual_fmac_f32 v127, v8, v26
	v_fmac_f32_e32 v27, v26, v172
	v_fmac_f32_e32 v130, v10, v28
	s_delay_alu instid0(VALU_DEP_2) | instskip(NEXT) | instid1(VALU_DEP_1)
	v_fmac_f32_e32 v24, v27, v173
	v_dual_fmac_f32 v132, v13, v31 :: v_dual_fmac_f32 v125, v6, v24
	v_fmac_f32_e32 v25, v24, v179
	s_delay_alu instid0(VALU_DEP_1) | instskip(NEXT) | instid1(VALU_DEP_1)
	v_dual_fmac_f32 v174, v25, v175 :: v_dual_fmac_f32 v123, v7, v25
	v_fmac_f32_e32 v176, v174, v178
	s_delay_alu instid0(VALU_DEP_1) | instskip(SKIP_1) | instid1(VALU_DEP_1)
	v_dual_fmac_f32 v126, v9, v27 :: v_dual_fmac_f32 v121, v3, v176
	v_dual_fmac_f32 v177, v176, v181 :: v_dual_fmac_f32 v122, v2, v174
	v_fmac_f32_e32 v180, v177, v182
	v_fmac_f32_e32 v120, v4, v177
	s_delay_alu instid0(VALU_DEP_2)
	v_fmac_f32_e32 v124, v5, v180
	s_cbranch_scc1 .LBB144_202
.LBB144_109:                            ;   Parent Loop BB144_12 Depth=1
                                        ; =>  This Inner Loop Header: Depth=2
	s_lshl_b64 s[46:47], s[52:53], 2
	s_mov_b32 s55, s53
	s_add_u32 s46, s76, s46
	s_addc_u32 s47, s78, s47
	v_dual_mov_b32 v4, 0 :: v_dual_mov_b32 v5, 0
	global_load_b32 v163, v1, s[46:47]
	s_lshl_b64 s[46:47], s[54:55], 2
	s_delay_alu instid0(SALU_CYCLE_1)
	v_add_co_u32 v2, vcc_lo, v144, s46
	v_add_co_ci_u32_e32 v3, vcc_lo, s47, v145, vcc_lo
	s_and_saveexec_b32 s45, s12
	s_cbranch_execz .LBB144_111
; %bb.110:                              ;   in Loop: Header=BB144_109 Depth=2
	global_load_b32 v5, v[2:3], off
.LBB144_111:                            ;   in Loop: Header=BB144_109 Depth=2
	s_or_b32 exec_lo, exec_lo, s45
	s_and_saveexec_b32 s45, s13
	s_cbranch_execz .LBB144_113
; %bb.112:                              ;   in Loop: Header=BB144_109 Depth=2
	global_load_b32 v4, v[2:3], off offset:128
.LBB144_113:                            ;   in Loop: Header=BB144_109 Depth=2
	s_or_b32 exec_lo, exec_lo, s45
	v_dual_mov_b32 v6, 0 :: v_dual_mov_b32 v7, 0
	s_and_saveexec_b32 s45, s14
	s_cbranch_execz .LBB144_115
; %bb.114:                              ;   in Loop: Header=BB144_109 Depth=2
	global_load_b32 v7, v[2:3], off offset:256
.LBB144_115:                            ;   in Loop: Header=BB144_109 Depth=2
	s_or_b32 exec_lo, exec_lo, s45
	s_and_saveexec_b32 s45, s15
	s_cbranch_execz .LBB144_117
; %bb.116:                              ;   in Loop: Header=BB144_109 Depth=2
	global_load_b32 v6, v[2:3], off offset:384
.LBB144_117:                            ;   in Loop: Header=BB144_109 Depth=2
	s_or_b32 exec_lo, exec_lo, s45
	v_dual_mov_b32 v8, 0 :: v_dual_mov_b32 v9, 0
	s_and_saveexec_b32 s45, s16
	s_cbranch_execz .LBB144_119
; %bb.118:                              ;   in Loop: Header=BB144_109 Depth=2
	global_load_b32 v9, v[2:3], off offset:512
.LBB144_119:                            ;   in Loop: Header=BB144_109 Depth=2
	;; [unrolled: 13-line block ×7, first 2 shown]
	s_or_b32 exec_lo, exec_lo, s45
	s_and_saveexec_b32 s45, s27
	s_cbranch_execz .LBB144_141
; %bb.140:                              ;   in Loop: Header=BB144_109 Depth=2
	global_load_b32 v18, v[2:3], off offset:1920
.LBB144_141:                            ;   in Loop: Header=BB144_109 Depth=2
	s_or_b32 exec_lo, exec_lo, s45
	s_waitcnt vmcnt(0)
	ds_store_b32 v54, v5
	ds_store_b32 v55, v4 offset:128
	ds_store_b32 v56, v7 offset:256
	;; [unrolled: 1-line block ×15, first 2 shown]
	; wave barrier
	ds_load_2addr_b32 v[34:35], v70 offset1:1
	ds_load_2addr_b32 v[32:33], v70 offset0:2 offset1:3
	ds_load_2addr_b32 v[30:31], v70 offset0:4 offset1:5
	;; [unrolled: 1-line block ×7, first 2 shown]
	s_mov_b32 s57, s53
	v_dual_mov_b32 v4, 0 :: v_dual_mov_b32 v5, 0
	s_lshl_b64 s[46:47], s[56:57], 2
	s_delay_alu instid0(SALU_CYCLE_1)
	v_add_co_u32 v2, vcc_lo, v146, s46
	v_add_co_ci_u32_e32 v3, vcc_lo, s47, v147, vcc_lo
	s_and_saveexec_b32 s45, s12
	s_cbranch_execz .LBB144_143
; %bb.142:                              ;   in Loop: Header=BB144_109 Depth=2
	global_load_b32 v5, v[2:3], off
.LBB144_143:                            ;   in Loop: Header=BB144_109 Depth=2
	s_or_b32 exec_lo, exec_lo, s45
	s_and_saveexec_b32 s45, s13
	s_cbranch_execz .LBB144_145
; %bb.144:                              ;   in Loop: Header=BB144_109 Depth=2
	global_load_b32 v4, v[2:3], off offset:128
.LBB144_145:                            ;   in Loop: Header=BB144_109 Depth=2
	s_or_b32 exec_lo, exec_lo, s45
	v_dual_mov_b32 v6, 0 :: v_dual_mov_b32 v7, 0
	s_and_saveexec_b32 s45, s14
	s_cbranch_execz .LBB144_147
; %bb.146:                              ;   in Loop: Header=BB144_109 Depth=2
	global_load_b32 v7, v[2:3], off offset:256
.LBB144_147:                            ;   in Loop: Header=BB144_109 Depth=2
	s_or_b32 exec_lo, exec_lo, s45
	s_and_saveexec_b32 s45, s15
	s_cbranch_execz .LBB144_149
; %bb.148:                              ;   in Loop: Header=BB144_109 Depth=2
	global_load_b32 v6, v[2:3], off offset:384
.LBB144_149:                            ;   in Loop: Header=BB144_109 Depth=2
	s_or_b32 exec_lo, exec_lo, s45
	v_dual_mov_b32 v8, 0 :: v_dual_mov_b32 v9, 0
	s_and_saveexec_b32 s45, s16
	s_cbranch_execz .LBB144_151
; %bb.150:                              ;   in Loop: Header=BB144_109 Depth=2
	global_load_b32 v9, v[2:3], off offset:512
.LBB144_151:                            ;   in Loop: Header=BB144_109 Depth=2
	;; [unrolled: 13-line block ×7, first 2 shown]
	s_or_b32 exec_lo, exec_lo, s45
	s_and_saveexec_b32 s45, s27
	s_cbranch_execz .LBB144_173
; %bb.172:                              ;   in Loop: Header=BB144_109 Depth=2
	global_load_b32 v18, v[2:3], off offset:1920
.LBB144_173:                            ;   in Loop: Header=BB144_109 Depth=2
	s_or_b32 exec_lo, exec_lo, s45
	s_waitcnt vmcnt(0)
	ds_store_b32 v54, v5 offset:4224
	ds_store_b32 v71, v4 offset:128
	;; [unrolled: 1-line block ×16, first 2 shown]
	v_add_nc_u32_e32 v4, 0x1080, v70
	; wave barrier
	ds_load_2addr_b32 v[14:15], v86 offset0:2 offset1:3
	ds_load_2addr_b32 v[12:13], v86 offset0:4 offset1:5
	;; [unrolled: 1-line block ×6, first 2 shown]
	ds_load_2addr_b32 v[16:17], v4 offset1:1
	ds_load_2addr_b32 v[4:5], v86 offset0:14 offset1:15
	s_and_not1_b32 vcc_lo, exec_lo, s51
	s_cbranch_vccnz .LBB144_175
; %bb.174:                              ;   in Loop: Header=BB144_109 Depth=2
	v_mov_b32_e32 v18, s62
	ds_load_b64 v[18:19], v18
	s_cbranch_execz .LBB144_176
	s_branch .LBB144_179
.LBB144_175:                            ;   in Loop: Header=BB144_109 Depth=2
                                        ; implicit-def: $vgpr18
.LBB144_176:                            ;   in Loop: Header=BB144_109 Depth=2
	s_waitcnt lgkmcnt(0)
	v_mov_b32_e32 v19, 0
	s_and_not1_b32 vcc_lo, exec_lo, s49
	s_cbranch_vccnz .LBB144_178
; %bb.177:                              ;   in Loop: Header=BB144_109 Depth=2
	s_mov_b32 s59, s53
	s_delay_alu instid0(SALU_CYCLE_1) | instskip(NEXT) | instid1(SALU_CYCLE_1)
	s_lshl_b64 s[46:47], s[58:59], 2
	s_add_u32 s46, s87, s46
	s_addc_u32 s47, s88, s47
	global_load_b32 v19, v1, s[46:47]
.LBB144_178:                            ;   in Loop: Header=BB144_109 Depth=2
	v_mov_b32_e32 v18, 1.0
.LBB144_179:                            ;   in Loop: Header=BB144_109 Depth=2
	s_waitcnt lgkmcnt(31)
	v_dual_mul_f32 v177, 0x3fb8aa3b, v163 :: v_dual_mul_f32 v34, v34, v162
	s_waitcnt lgkmcnt(30)
	v_dual_mul_f32 v163, v35, v161 :: v_dual_mul_f32 v164, v32, v160
	;; [unrolled: 2-line block ×3, first 2 shown]
	v_mul_f32_e32 v165, v177, v112
	v_mul_f32_e32 v166, v177, v113
	v_dual_mul_f32 v167, v177, v114 :: v_dual_mul_f32 v28, v28, v156
	v_cndmask_b32_e64 v35, 0, v34, s28
	s_delay_alu instid0(VALU_DEP_4) | instskip(NEXT) | instid1(VALU_DEP_4)
	v_cmp_gt_f32_e64 s45, 0xc2fc0000, v165
	v_cmp_gt_f32_e64 s46, 0xc2fc0000, v166
	s_delay_alu instid0(VALU_DEP_4)
	v_cmp_gt_f32_e64 s47, 0xc2fc0000, v167
	v_cndmask_b32_e64 v34, 0, v164, s30
	v_cndmask_b32_e64 v28, 0, v28, s35
	;; [unrolled: 1-line block ×5, first 2 shown]
	v_cndmask_b32_e64 v169, 1.0, 0x1f800000, s45
	s_delay_alu instid0(VALU_DEP_4) | instskip(NEXT) | instid1(VALU_DEP_4)
	v_dual_mul_f32 v31, v31, v157 :: v_dual_fmac_f32 v166, v177, v112
	v_fmac_f32_e32 v168, v177, v113
	s_delay_alu instid0(VALU_DEP_4) | instskip(SKIP_1) | instid1(VALU_DEP_4)
	v_fmac_f32_e32 v164, v177, v114
	v_cndmask_b32_e64 v170, 1.0, 0x1f800000, s46
	v_cndmask_b32_e64 v31, 0, v31, s34
	v_exp_f32_e32 v166, v166
	v_exp_f32_e32 v168, v168
	v_mul_f32_e32 v167, v177, v116
	v_exp_f32_e32 v172, v164
	v_cndmask_b32_e64 v25, 0, v25, s40
	v_dual_mul_f32 v27, v27, v153 :: v_dual_mul_f32 v30, v30, v158
	v_mul_f32_e32 v24, v24, v152
	v_mul_f32_e32 v26, v26, v154
	;; [unrolled: 1-line block ×3, first 2 shown]
	s_delay_alu instid0(TRANS32_DEP_3) | instskip(NEXT) | instid1(TRANS32_DEP_2)
	v_mul_f32_e32 v164, v166, v169
	v_mul_f32_e32 v166, v168, v170
	v_cndmask_b32_e64 v168, 1.0, 0x1f800000, s47
	v_mul_f32_e32 v32, v177, v111
	v_mul_f32_e32 v170, v177, v118
	v_cndmask_b32_e64 v164, 1.0, v164, s29
	v_cndmask_b32_e64 v30, 0, v30, s33
	v_cndmask_b32_e64 v26, 0, v26, s37
	v_cmp_gt_f32_e32 vcc_lo, 0xc2fc0000, v32
	v_cndmask_b32_e64 v32, 0, v163, s29
	v_mul_f32_e32 v163, v177, v115
	v_cmp_gt_f32_e64 s46, 0xc2fc0000, v170
	v_cndmask_b32_e64 v27, 0, v27, s38
	v_cndmask_b32_e64 v165, 0, 0x42800000, vcc_lo
	v_fma_f32 v179, v164, v35, v32
	v_cmp_gt_f32_e64 s48, 0xc2fc0000, v163
	v_cndmask_b32_e64 v163, 1.0, 0x1f800000, vcc_lo
	v_cmp_gt_f32_e32 vcc_lo, 0xc2fc0000, v167
	v_mul_f32_e32 v167, v172, v168
	v_cndmask_b32_e64 v24, 0, v24, s39
	v_cndmask_b32_e64 v171, 0, 0x42800000, s48
	v_mul_f32_e32 v23, v23, v149
	v_cndmask_b32_e64 v170, 1.0, 0x1f800000, vcc_lo
	v_fmac_f32_e32 v165, v177, v111
	v_cndmask_b32_e64 v169, 0, 0x42800000, vcc_lo
	v_fmac_f32_e32 v171, v177, v115
	s_delay_alu instid0(VALU_DEP_3) | instskip(NEXT) | instid1(VALU_DEP_2)
	v_exp_f32_e32 v165, v165
	v_fmac_f32_e32 v169, v177, v116
	s_delay_alu instid0(VALU_DEP_2) | instskip(SKIP_2) | instid1(VALU_DEP_1)
	v_exp_f32_e32 v168, v171
	s_waitcnt_depctr 0xfff
	v_mul_f32_e32 v163, v165, v163
	v_cndmask_b32_e64 v165, 1.0, v163, s28
	v_cndmask_b32_e64 v163, 1.0, v166, s30
	v_mul_f32_e32 v166, v177, v117
	s_delay_alu instid0(VALU_DEP_1) | instskip(SKIP_3) | instid1(VALU_DEP_4)
	v_cmp_gt_f32_e64 s45, 0xc2fc0000, v166
	v_cndmask_b32_e64 v166, 1.0, v167, s31
	v_cndmask_b32_e64 v167, 1.0, 0x1f800000, s48
	v_mul_f32_e32 v172, v177, v119
	v_cndmask_b32_e64 v171, 0, 0x42800000, s45
	s_delay_alu instid0(VALU_DEP_3) | instskip(SKIP_2) | instid1(VALU_DEP_3)
	v_mul_f32_e32 v167, v168, v167
	v_exp_f32_e32 v168, v169
	v_cndmask_b32_e64 v169, 0, 0x42800000, s46
	v_fmac_f32_e32 v171, v177, v117
	v_cmp_gt_f32_e32 vcc_lo, 0xc2fc0000, v172
	v_cndmask_b32_e64 v167, 1.0, v167, s33
	v_mul_f32_e32 v172, v177, v128
	v_fmac_f32_e32 v169, v177, v118
	v_exp_f32_e32 v171, v171
	s_delay_alu instid0(TRANS32_DEP_2) | instskip(SKIP_1) | instid1(VALU_DEP_3)
	v_mul_f32_e32 v168, v168, v170
	v_cndmask_b32_e64 v170, 1.0, 0x1f800000, s45
	v_exp_f32_e32 v173, v169
	v_cmp_gt_f32_e64 s45, 0xc2fc0000, v172
	v_mul_f32_e32 v172, v177, v137
	v_cndmask_b32_e64 v168, 1.0, v168, s34
	s_delay_alu instid0(TRANS32_DEP_2) | instskip(SKIP_3) | instid1(VALU_DEP_4)
	v_dual_mul_f32 v174, v177, v131 :: v_dual_mul_f32 v169, v171, v170
	v_cndmask_b32_e64 v171, 0, 0x42800000, vcc_lo
	v_cndmask_b32_e64 v170, 1.0, 0x1f800000, s46
	v_cmp_gt_f32_e64 s47, 0xc2fc0000, v172
	v_cmp_gt_f32_e64 s46, 0xc2fc0000, v174
	v_cndmask_b32_e64 v172, 1.0, 0x1f800000, vcc_lo
	v_fmac_f32_e32 v171, v177, v119
	v_mul_f32_e32 v170, v173, v170
	v_cndmask_b32_e64 v173, 0, 0x42800000, s45
	v_cndmask_b32_e64 v174, 0, 0x42800000, s46
	;; [unrolled: 1-line block ×3, first 2 shown]
	v_exp_f32_e32 v171, v171
	v_cndmask_b32_e64 v170, 1.0, v170, s36
	v_fmac_f32_e32 v173, v177, v128
	v_fmac_f32_e32 v174, v177, v131
	v_cndmask_b32_e64 v176, 1.0, 0x1f800000, s46
	v_cndmask_b32_e64 v178, 1.0, 0x1f800000, s47
	v_cndmask_b32_e64 v169, 1.0, v169, s35
	v_exp_f32_e32 v173, v173
	s_delay_alu instid0(TRANS32_DEP_2) | instskip(SKIP_3) | instid1(VALU_DEP_3)
	v_mul_f32_e32 v171, v171, v172
	v_exp_f32_e32 v172, v174
	v_cndmask_b32_e64 v174, 1.0, 0x1f800000, s45
	v_mul_f32_e32 v33, v33, v159
	v_cndmask_b32_e64 v171, 1.0, v171, s37
	v_fmac_f32_e32 v175, v177, v137
	s_delay_alu instid0(TRANS32_DEP_2) | instid1(VALU_DEP_4)
	v_mul_f32_e32 v173, v173, v174
	v_mul_f32_e32 v174, v177, v139
	s_delay_alu instid0(VALU_DEP_3) | instskip(NEXT) | instid1(TRANS32_DEP_2)
	v_exp_f32_e32 v175, v175
	v_mul_f32_e32 v176, v172, v176
	s_delay_alu instid0(VALU_DEP_2) | instskip(SKIP_2) | instid1(VALU_DEP_4)
	v_cmp_gt_f32_e32 vcc_lo, 0xc2fc0000, v174
	v_cndmask_b32_e64 v172, 1.0, v173, s38
	v_cndmask_b32_e64 v33, 0, v33, s31
	v_cndmask_b32_e64 v173, 1.0, v176, s39
	v_cndmask_b32_e64 v176, 0, 0x42800000, vcc_lo
	s_delay_alu instid0(TRANS32_DEP_1) | instskip(SKIP_1) | instid1(VALU_DEP_3)
	v_dual_mul_f32 v174, v175, v178 :: v_dual_mul_f32 v175, v177, v140
	v_mul_f32_e32 v178, v164, v165
	v_fmac_f32_e32 v176, v177, v139
	s_delay_alu instid0(VALU_DEP_3) | instskip(NEXT) | instid1(VALU_DEP_3)
	v_cmp_gt_f32_e64 s45, 0xc2fc0000, v175
	v_mul_f32_e32 v175, v178, v163
	v_fma_f32 v178, v179, v163, v34
	s_delay_alu instid0(VALU_DEP_4)
	v_exp_f32_e32 v176, v176
	v_cndmask_b32_e64 v179, 1.0, v174, s40
	v_cndmask_b32_e64 v180, 0, 0x42800000, s45
	v_mul_f32_e32 v175, v175, v166
	v_fma_f32 v178, v178, v166, v33
	v_cndmask_b32_e64 v174, 1.0, 0x1f800000, vcc_lo
	v_mul_f32_e32 v29, v29, v155
	s_delay_alu instid0(VALU_DEP_4) | instskip(NEXT) | instid1(VALU_DEP_4)
	v_dual_fmac_f32 v180, v177, v140 :: v_dual_mul_f32 v175, v175, v167
	v_fma_f32 v178, v178, v167, v30
	s_delay_alu instid0(TRANS32_DEP_1) | instid1(VALU_DEP_4)
	v_mul_f32_e32 v176, v176, v174
	v_cndmask_b32_e64 v174, 0, v22, s41
	s_delay_alu instid0(VALU_DEP_4)
	v_exp_f32_e32 v180, v180
	v_mul_f32_e32 v181, v175, v168
	v_fma_f32 v178, v178, v168, v31
	v_mul_f32_e32 v22, v177, v141
	v_cndmask_b32_e64 v182, 1.0, 0x1f800000, s45
	v_cndmask_b32_e64 v175, 1.0, v176, s41
	v_mul_f32_e32 v176, v181, v169
	v_cndmask_b32_e64 v29, 0, v29, s36
	v_fma_f32 v178, v178, v169, v28
	v_cmp_gt_f32_e32 vcc_lo, 0xc2fc0000, v22
	v_mul_f32_e32 v22, v180, v182
	v_mul_f32_e32 v180, v177, v142
	;; [unrolled: 1-line block ×3, first 2 shown]
	v_fma_f32 v178, v178, v170, v29
	v_cndmask_b32_e64 v181, 0, 0x42800000, vcc_lo
	s_delay_alu instid0(VALU_DEP_4) | instskip(NEXT) | instid1(VALU_DEP_4)
	v_cmp_gt_f32_e64 s45, 0xc2fc0000, v180
	v_mul_f32_e32 v180, v176, v171
	s_delay_alu instid0(VALU_DEP_4) | instskip(SKIP_1) | instid1(VALU_DEP_4)
	v_fma_f32 v178, v178, v171, v26
	v_cndmask_b32_e64 v176, 0, v23, s42
	v_cndmask_b32_e64 v23, 0, 0x42800000, s45
	s_delay_alu instid0(VALU_DEP_4) | instskip(NEXT) | instid1(VALU_DEP_4)
	v_mul_f32_e32 v180, v180, v172
	v_fma_f32 v182, v178, v172, v27
	v_cndmask_b32_e64 v178, 1.0, v22, s42
	s_delay_alu instid0(VALU_DEP_3) | instskip(SKIP_2) | instid1(VALU_DEP_3)
	v_mul_f32_e32 v22, v180, v173
	v_fmac_f32_e32 v181, v177, v141
	v_cndmask_b32_e64 v180, 1.0, 0x1f800000, vcc_lo
	v_mul_f32_e32 v22, v22, v179
	s_delay_alu instid0(VALU_DEP_3) | instskip(SKIP_2) | instid1(VALU_DEP_3)
	v_exp_f32_e32 v181, v181
	v_fmac_f32_e32 v23, v177, v142
	v_fma_f32 v177, v182, v173, v24
	v_mul_f32_e32 v22, v22, v175
	s_delay_alu instid0(VALU_DEP_3) | instskip(NEXT) | instid1(VALU_DEP_2)
	v_exp_f32_e32 v23, v23
	v_fma_f32 v182, v177, v179, v25
	v_cndmask_b32_e64 v177, 0, v20, s43
	v_cndmask_b32_e64 v20, 1.0, 0x1f800000, s45
	s_delay_alu instid0(TRANS32_DEP_2) | instskip(SKIP_3) | instid1(VALU_DEP_4)
	v_mul_f32_e32 v180, v181, v180
	v_mul_f32_e32 v21, v21, v143
	v_fma_f32 v182, v182, v175, v174
	v_mul_f32_e32 v22, v22, v178
	v_cndmask_b32_e64 v181, 1.0, v180, s43
	s_delay_alu instid0(TRANS32_DEP_1) | instskip(NEXT) | instid1(VALU_DEP_4)
	v_mul_f32_e32 v20, v23, v20
	v_fma_f32 v23, v182, v178, v176
	v_cndmask_b32_e64 v180, 0, v21, s44
	s_delay_alu instid0(VALU_DEP_3) | instskip(SKIP_1) | instid1(VALU_DEP_4)
	v_cndmask_b32_e64 v182, 1.0, v20, s44
	v_mul_f32_e32 v20, v22, v181
	v_fma_f32 v21, v23, v181, v177
	s_delay_alu instid0(VALU_DEP_2) | instskip(NEXT) | instid1(VALU_DEP_2)
	v_mul_f32_e32 v20, v20, v182
	v_fma_f32 v21, v21, v182, v180
	s_delay_alu instid0(VALU_DEP_2) | instskip(NEXT) | instid1(VALU_DEP_2)
	v_mov_b32_dpp v23, v20 row_shr:1 row_mask:0xf bank_mask:0xf
	v_mov_b32_dpp v22, v21 row_shr:1 row_mask:0xf bank_mask:0xf
	s_and_saveexec_b32 s45, s0
; %bb.180:                              ;   in Loop: Header=BB144_109 Depth=2
	s_delay_alu instid0(VALU_DEP_2) | instskip(NEXT) | instid1(VALU_DEP_1)
	v_mul_f32_e32 v23, v20, v23
	v_dual_fmac_f32 v21, v20, v22 :: v_dual_mov_b32 v20, v23
; %bb.181:                              ;   in Loop: Header=BB144_109 Depth=2
	s_or_b32 exec_lo, exec_lo, s45
	s_delay_alu instid0(VALU_DEP_1) | instskip(NEXT) | instid1(VALU_DEP_2)
	v_mov_b32_dpp v22, v20 row_shr:2 row_mask:0xf bank_mask:0xf
	v_mov_b32_dpp v23, v21 row_shr:2 row_mask:0xf bank_mask:0xf
	s_and_saveexec_b32 s45, s1
; %bb.182:                              ;   in Loop: Header=BB144_109 Depth=2
	s_delay_alu instid0(VALU_DEP_1) | instskip(NEXT) | instid1(VALU_DEP_3)
	v_fmac_f32_e32 v21, v20, v23
	v_mul_f32_e32 v20, v20, v22
; %bb.183:                              ;   in Loop: Header=BB144_109 Depth=2
	s_or_b32 exec_lo, exec_lo, s45
	s_delay_alu instid0(VALU_DEP_1) | instskip(NEXT) | instid1(VALU_DEP_3)
	v_mov_b32_dpp v22, v20 row_shr:4 row_mask:0xf bank_mask:0xf
	v_mov_b32_dpp v23, v21 row_shr:4 row_mask:0xf bank_mask:0xf
	s_and_saveexec_b32 s45, s2
; %bb.184:                              ;   in Loop: Header=BB144_109 Depth=2
	s_delay_alu instid0(VALU_DEP_1) | instskip(NEXT) | instid1(VALU_DEP_3)
	v_fmac_f32_e32 v21, v20, v23
	v_mul_f32_e32 v20, v20, v22
; %bb.185:                              ;   in Loop: Header=BB144_109 Depth=2
	s_or_b32 exec_lo, exec_lo, s45
	s_delay_alu instid0(VALU_DEP_1) | instskip(NEXT) | instid1(VALU_DEP_3)
	v_mov_b32_dpp v22, v20 row_shr:8 row_mask:0xf bank_mask:0xf
	v_mov_b32_dpp v23, v21 row_shr:8 row_mask:0xf bank_mask:0xf
	s_and_saveexec_b32 s45, s3
; %bb.186:                              ;   in Loop: Header=BB144_109 Depth=2
	s_delay_alu instid0(VALU_DEP_1) | instskip(NEXT) | instid1(VALU_DEP_3)
	v_fmac_f32_e32 v21, v20, v23
	v_mul_f32_e32 v20, v20, v22
; %bb.187:                              ;   in Loop: Header=BB144_109 Depth=2
	s_or_b32 exec_lo, exec_lo, s45
	ds_swizzle_b32 v23, v20 offset:swizzle(BROADCAST,32,15)
	ds_swizzle_b32 v22, v21 offset:swizzle(BROADCAST,32,15)
	s_and_saveexec_b32 s45, s4
	s_cbranch_execz .LBB144_189
; %bb.188:                              ;   in Loop: Header=BB144_109 Depth=2
	s_waitcnt lgkmcnt(1)
	v_mul_f32_e32 v23, v20, v23
	s_waitcnt lgkmcnt(0)
	s_delay_alu instid0(VALU_DEP_1)
	v_dual_fmac_f32 v21, v20, v22 :: v_dual_mov_b32 v20, v23
.LBB144_189:                            ;   in Loop: Header=BB144_109 Depth=2
	s_or_b32 exec_lo, exec_lo, s45
	s_and_saveexec_b32 s45, s5
	s_cbranch_execz .LBB144_191
; %bb.190:                              ;   in Loop: Header=BB144_109 Depth=2
	ds_store_b64 v87, v[20:21] offset:8448
.LBB144_191:                            ;   in Loop: Header=BB144_109 Depth=2
	s_or_b32 exec_lo, exec_lo, s45
	s_waitcnt vmcnt(0) lgkmcnt(0)
	s_waitcnt_vscnt null, 0x0
	s_barrier
	buffer_gl0_inv
	s_and_saveexec_b32 s45, s6
	s_cbranch_execz .LBB144_193
; %bb.192:                              ;   in Loop: Header=BB144_109 Depth=2
	ds_load_b64 v[22:23], v88 offset:8448
	s_waitcnt lgkmcnt(0)
	v_mov_b32_dpp v183, v22 row_shr:1 row_mask:0xf bank_mask:0xf
	v_mov_b32_dpp v184, v23 row_shr:1 row_mask:0xf bank_mask:0xf
	s_delay_alu instid0(VALU_DEP_2) | instskip(NEXT) | instid1(VALU_DEP_2)
	v_mul_f32_e32 v183, v22, v183
	v_fma_f32 v184, v22, v184, v23
	s_delay_alu instid0(VALU_DEP_2) | instskip(NEXT) | instid1(VALU_DEP_2)
	v_cndmask_b32_e64 v22, v183, v22, s7
	v_cndmask_b32_e64 v23, v184, v23, s7
	ds_store_b64 v88, v[22:23] offset:8448
.LBB144_193:                            ;   in Loop: Header=BB144_109 Depth=2
	s_or_b32 exec_lo, exec_lo, s45
	s_waitcnt lgkmcnt(0)
	s_barrier
	buffer_gl0_inv
                                        ; implicit-def: $vgpr23
	s_and_saveexec_b32 s45, s9
	s_cbranch_execz .LBB144_195
; %bb.194:                              ;   in Loop: Header=BB144_109 Depth=2
	ds_load_b64 v[22:23], v87 offset:8440
	s_waitcnt lgkmcnt(0)
	v_mul_f32_e32 v183, v20, v22
	s_delay_alu instid0(VALU_DEP_1)
	v_dual_fmac_f32 v21, v20, v23 :: v_dual_mov_b32 v20, v183
.LBB144_195:                            ;   in Loop: Header=BB144_109 Depth=2
	s_or_b32 exec_lo, exec_lo, s45
	ds_bpermute_b32 v183, v89, v20
	ds_bpermute_b32 v184, v89, v21
	s_and_saveexec_b32 s45, s8
	s_cbranch_execz .LBB144_199
; %bb.196:                              ;   in Loop: Header=BB144_109 Depth=2
	ds_load_b64 v[20:21], v1 offset:8456
	s_and_saveexec_b32 s46, s10
	s_cbranch_execz .LBB144_198
; %bb.197:                              ;   in Loop: Header=BB144_109 Depth=2
	ds_store_b64 v1, v[18:19] offset:8456
.LBB144_198:                            ;   in Loop: Header=BB144_109 Depth=2
	s_or_b32 exec_lo, exec_lo, s46
	s_waitcnt lgkmcnt(0)
	v_fmac_f32_e32 v21, v19, v20
	s_delay_alu instid0(VALU_DEP_1)
	v_dual_mul_f32 v18, v18, v20 :: v_dual_mov_b32 v19, v21
.LBB144_199:                            ;   in Loop: Header=BB144_109 Depth=2
	s_or_b32 exec_lo, exec_lo, s45
	s_waitcnt lgkmcnt(0)
	s_barrier
	buffer_gl0_inv
	ds_load_b32 v20, v1 offset:8460
	s_and_saveexec_b32 s45, s10
	s_cbranch_execz .LBB144_108
; %bb.200:                              ;   in Loop: Header=BB144_109 Depth=2
	v_mov_b32_e32 v21, s62
	s_and_not1_b32 vcc_lo, exec_lo, s60
	ds_store_b64 v21, v[18:19]
	s_cbranch_vccnz .LBB144_108
; %bb.201:                              ;   in Loop: Header=BB144_109 Depth=2
	s_mov_b32 s59, s53
	s_delay_alu instid0(SALU_CYCLE_1) | instskip(NEXT) | instid1(SALU_CYCLE_1)
	s_lshl_b64 s[46:47], s[58:59], 2
	s_add_u32 s46, s87, s46
	s_addc_u32 s47, s88, s47
	global_store_b32 v1, v19, s[46:47]
	s_branch .LBB144_108
.LBB144_202:                            ;   in Loop: Header=BB144_12 Depth=1
	s_waitcnt_vscnt null, 0x0
	s_barrier
	buffer_gl0_inv
	ds_store_2addr_b32 v70, v138, v136 offset1:1
	ds_store_2addr_b32 v70, v135, v134 offset0:2 offset1:3
	ds_store_2addr_b32 v70, v133, v132 offset0:4 offset1:5
	;; [unrolled: 1-line block ×7, first 2 shown]
	; wave barrier
	ds_load_b32 v18, v55 offset:128
	ds_load_b32 v17, v56 offset:256
	;; [unrolled: 1-line block ×15, first 2 shown]
	s_mov_b32 s51, s53
	s_delay_alu instid0(SALU_CYCLE_1) | instskip(NEXT) | instid1(SALU_CYCLE_1)
	s_lshl_b64 s[34:35], s[50:51], 2
	v_add_co_u32 v2, vcc_lo, v0, s34
	v_add_co_ci_u32_e32 v3, vcc_lo, s35, v90, vcc_lo
	s_and_saveexec_b32 s28, s12
	s_cbranch_execnz .LBB144_254
; %bb.203:                              ;   in Loop: Header=BB144_12 Depth=1
	s_or_b32 exec_lo, exec_lo, s28
	s_and_saveexec_b32 s28, s13
	s_cbranch_execnz .LBB144_255
.LBB144_204:                            ;   in Loop: Header=BB144_12 Depth=1
	s_or_b32 exec_lo, exec_lo, s28
	s_and_saveexec_b32 s28, s14
	s_cbranch_execnz .LBB144_256
.LBB144_205:                            ;   in Loop: Header=BB144_12 Depth=1
	s_or_b32 exec_lo, exec_lo, s28
	s_and_saveexec_b32 s28, s15
	s_cbranch_execnz .LBB144_257
.LBB144_206:                            ;   in Loop: Header=BB144_12 Depth=1
	s_or_b32 exec_lo, exec_lo, s28
	s_and_saveexec_b32 s28, s16
	s_cbranch_execnz .LBB144_258
.LBB144_207:                            ;   in Loop: Header=BB144_12 Depth=1
	s_or_b32 exec_lo, exec_lo, s28
	s_and_saveexec_b32 s28, s17
	s_cbranch_execnz .LBB144_259
.LBB144_208:                            ;   in Loop: Header=BB144_12 Depth=1
	s_or_b32 exec_lo, exec_lo, s28
	s_and_saveexec_b32 s28, s18
	s_cbranch_execnz .LBB144_260
.LBB144_209:                            ;   in Loop: Header=BB144_12 Depth=1
	s_or_b32 exec_lo, exec_lo, s28
	s_and_saveexec_b32 s28, s19
	s_cbranch_execnz .LBB144_261
.LBB144_210:                            ;   in Loop: Header=BB144_12 Depth=1
	s_or_b32 exec_lo, exec_lo, s28
	s_and_saveexec_b32 s28, s20
	s_cbranch_execnz .LBB144_262
.LBB144_211:                            ;   in Loop: Header=BB144_12 Depth=1
	s_or_b32 exec_lo, exec_lo, s28
	s_and_saveexec_b32 s28, s21
	s_cbranch_execnz .LBB144_263
.LBB144_212:                            ;   in Loop: Header=BB144_12 Depth=1
	s_or_b32 exec_lo, exec_lo, s28
	s_and_saveexec_b32 s28, s22
	s_cbranch_execnz .LBB144_264
.LBB144_213:                            ;   in Loop: Header=BB144_12 Depth=1
	s_or_b32 exec_lo, exec_lo, s28
	s_and_saveexec_b32 s28, s23
	s_cbranch_execnz .LBB144_265
.LBB144_214:                            ;   in Loop: Header=BB144_12 Depth=1
	s_or_b32 exec_lo, exec_lo, s28
	s_and_saveexec_b32 s28, s24
	s_cbranch_execnz .LBB144_266
.LBB144_215:                            ;   in Loop: Header=BB144_12 Depth=1
	s_or_b32 exec_lo, exec_lo, s28
	s_and_saveexec_b32 s28, s25
	s_cbranch_execnz .LBB144_267
.LBB144_216:                            ;   in Loop: Header=BB144_12 Depth=1
	s_or_b32 exec_lo, exec_lo, s28
	s_and_saveexec_b32 s28, s26
	s_cbranch_execnz .LBB144_268
.LBB144_217:                            ;   in Loop: Header=BB144_12 Depth=1
	s_or_b32 exec_lo, exec_lo, s28
	s_and_saveexec_b32 s28, s27
	s_cbranch_execz .LBB144_219
.LBB144_218:                            ;   in Loop: Header=BB144_12 Depth=1
	s_waitcnt lgkmcnt(0)
	global_store_b32 v[2:3], v4, off offset:1920
.LBB144_219:                            ;   in Loop: Header=BB144_12 Depth=1
	s_or_b32 exec_lo, exec_lo, s28
	s_mov_b32 s52, s53
	s_mov_b32 s54, s53
	;; [unrolled: 1-line block ×15, first 2 shown]
	s_waitcnt lgkmcnt(14)
	v_add_co_u32 v18, vcc_lo, v91, s34
	s_waitcnt lgkmcnt(0)
	v_dual_mov_b32 v2, s52 :: v_dual_mov_b32 v3, s53
	v_add_co_ci_u32_e32 v19, vcc_lo, s35, v92, vcc_lo
	v_dual_mov_b32 v4, s54 :: v_dual_mov_b32 v5, s55
	v_dual_mov_b32 v6, s56 :: v_dual_mov_b32 v7, s57
	;; [unrolled: 1-line block ×7, first 2 shown]
	v_mov_b32_e32 v20, 0
	s_waitcnt_vscnt null, 0x0
	s_barrier
	buffer_gl0_inv
	s_and_saveexec_b32 s28, s12
	s_cbranch_execnz .LBB144_269
; %bb.220:                              ;   in Loop: Header=BB144_12 Depth=1
	s_or_b32 exec_lo, exec_lo, s28
	s_and_saveexec_b32 s28, s13
	s_cbranch_execnz .LBB144_270
.LBB144_221:                            ;   in Loop: Header=BB144_12 Depth=1
	s_or_b32 exec_lo, exec_lo, s28
	s_and_saveexec_b32 s28, s14
	s_cbranch_execnz .LBB144_271
.LBB144_222:                            ;   in Loop: Header=BB144_12 Depth=1
	s_or_b32 exec_lo, exec_lo, s28
	s_and_saveexec_b32 s28, s15
	s_cbranch_execnz .LBB144_272
.LBB144_223:                            ;   in Loop: Header=BB144_12 Depth=1
	s_or_b32 exec_lo, exec_lo, s28
	s_and_saveexec_b32 s28, s16
	s_cbranch_execnz .LBB144_273
.LBB144_224:                            ;   in Loop: Header=BB144_12 Depth=1
	s_or_b32 exec_lo, exec_lo, s28
	s_and_saveexec_b32 s28, s17
	s_cbranch_execnz .LBB144_274
.LBB144_225:                            ;   in Loop: Header=BB144_12 Depth=1
	s_or_b32 exec_lo, exec_lo, s28
	s_and_saveexec_b32 s28, s18
	s_cbranch_execnz .LBB144_275
.LBB144_226:                            ;   in Loop: Header=BB144_12 Depth=1
	s_or_b32 exec_lo, exec_lo, s28
	s_and_saveexec_b32 s28, s19
	s_cbranch_execnz .LBB144_276
.LBB144_227:                            ;   in Loop: Header=BB144_12 Depth=1
	s_or_b32 exec_lo, exec_lo, s28
	s_and_saveexec_b32 s28, s20
	s_cbranch_execnz .LBB144_277
.LBB144_228:                            ;   in Loop: Header=BB144_12 Depth=1
	s_or_b32 exec_lo, exec_lo, s28
	s_and_saveexec_b32 s28, s21
	s_cbranch_execnz .LBB144_278
.LBB144_229:                            ;   in Loop: Header=BB144_12 Depth=1
	s_or_b32 exec_lo, exec_lo, s28
	s_and_saveexec_b32 s28, s22
	s_cbranch_execnz .LBB144_279
.LBB144_230:                            ;   in Loop: Header=BB144_12 Depth=1
	s_or_b32 exec_lo, exec_lo, s28
	s_and_saveexec_b32 s28, s23
	s_cbranch_execnz .LBB144_280
.LBB144_231:                            ;   in Loop: Header=BB144_12 Depth=1
	s_or_b32 exec_lo, exec_lo, s28
	s_and_saveexec_b32 s28, s24
	s_cbranch_execnz .LBB144_281
.LBB144_232:                            ;   in Loop: Header=BB144_12 Depth=1
	s_or_b32 exec_lo, exec_lo, s28
	s_and_saveexec_b32 s28, s25
	s_cbranch_execnz .LBB144_282
.LBB144_233:                            ;   in Loop: Header=BB144_12 Depth=1
	s_or_b32 exec_lo, exec_lo, s28
	s_and_saveexec_b32 s28, s26
	s_cbranch_execnz .LBB144_283
.LBB144_234:                            ;   in Loop: Header=BB144_12 Depth=1
	s_or_b32 exec_lo, exec_lo, s28
	s_and_saveexec_b32 s28, s27
	s_cbranch_execz .LBB144_236
.LBB144_235:                            ;   in Loop: Header=BB144_12 Depth=1
	global_load_b32 v17, v[18:19], off offset:1920
.LBB144_236:                            ;   in Loop: Header=BB144_12 Depth=1
	s_or_b32 exec_lo, exec_lo, s28
	s_waitcnt vmcnt(0)
	ds_store_b32 v54, v20
	ds_store_b32 v55, v3 offset:128
	ds_store_b32 v56, v4 offset:256
	;; [unrolled: 1-line block ×15, first 2 shown]
	; wave barrier
	ds_load_2addr_b32 v[12:13], v70 offset1:1
	ds_load_2addr_b32 v[14:15], v70 offset0:2 offset1:3
	ds_load_2addr_b32 v[16:17], v70 offset0:4 offset1:5
	;; [unrolled: 1-line block ×3, first 2 shown]
	s_waitcnt lgkmcnt(3)
	v_dual_mul_f32 v2, 0xbfb8aa3b, v12 :: v_dual_mul_f32 v19, 0xbfb8aa3b, v13
	s_waitcnt lgkmcnt(2)
	v_dual_mul_f32 v23, 0xbfb8aa3b, v14 :: v_dual_mul_f32 v24, 0xbfb8aa3b, v15
	v_cmp_nlt_f32_e32 vcc_lo, 0x42ce8ed0, v12
	s_delay_alu instid0(VALU_DEP_3) | instskip(SKIP_4) | instid1(VALU_DEP_4)
	v_rndne_f32_e32 v18, v2
	v_fma_f32 v3, 0xbfb8aa3b, v12, -v2
	v_rndne_f32_e32 v20, v19
	v_fma_f32 v21, 0xbfb8aa3b, v13, -v19
	v_fma_f32 v26, 0xbfb8aa3b, v14, -v23
	v_dual_sub_f32 v2, v2, v18 :: v_dual_fmac_f32 v3, 0xb2a5705f, v12
	s_delay_alu instid0(VALU_DEP_4)
	v_sub_f32_e32 v19, v19, v20
	v_cvt_i32_f32_e32 v18, v18
	v_rndne_f32_e32 v27, v24
	s_waitcnt lgkmcnt(1)
	v_dual_mul_f32 v25, 0xbfb8aa3b, v16 :: v_dual_add_f32 v22, v2, v3
	v_cvt_i32_f32_e32 v20, v20
	v_fma_f32 v28, 0xbfb8aa3b, v15, -v24
	v_sub_f32_e32 v24, v24, v27
	v_cvt_i32_f32_e32 v27, v27
	v_exp_f32_e32 v22, v22
	v_cmp_ngt_f32_e64 s28, 0xc2b17218, v14
	v_cmp_ngt_f32_e64 s29, 0xc2b17218, v15
	ds_load_2addr_b32 v[8:9], v70 offset0:8 offset1:9
	ds_load_2addr_b32 v[6:7], v70 offset0:10 offset1:11
	;; [unrolled: 1-line block ×4, first 2 shown]
	s_waitcnt lgkmcnt(0)
	s_barrier
	buffer_gl0_inv
	v_fmac_f32_e32 v26, 0xb2a5705f, v14
	v_ldexp_f32 v18, v22, v18
	v_fmac_f32_e32 v21, 0xb2a5705f, v13
	v_rndne_f32_e32 v22, v25
	v_fmac_f32_e32 v28, 0xb2a5705f, v15
	s_delay_alu instid0(VALU_DEP_3) | instskip(SKIP_2) | instid1(VALU_DEP_3)
	v_dual_cndmask_b32 v18, 0, v18 :: v_dual_add_f32 v19, v19, v21
	v_rndne_f32_e32 v21, v23
	v_cmp_ngt_f32_e32 vcc_lo, 0xc2b17218, v12
	v_exp_f32_e32 v19, v19
	s_delay_alu instid0(VALU_DEP_2)
	v_dual_sub_f32 v23, v23, v21 :: v_dual_cndmask_b32 v18, 0x7f800000, v18
	v_cmp_nlt_f32_e32 vcc_lo, 0x42ce8ed0, v13
	v_cvt_i32_f32_e32 v21, v21
	s_waitcnt_depctr 0xfff
	v_ldexp_f32 v19, v19, v20
	v_add_f32_e32 v20, v23, v26
	v_fma_f32 v26, 0xbfb8aa3b, v16, -v25
	v_sub_f32_e32 v25, v25, v22
	v_dual_add_f32 v18, 1.0, v18 :: v_dual_add_f32 v23, v24, v28
	v_cndmask_b32_e32 v19, 0, v19, vcc_lo
	v_exp_f32_e32 v20, v20
	v_cmp_ngt_f32_e32 vcc_lo, 0xc2b17218, v13
	s_delay_alu instid0(VALU_DEP_3) | instskip(SKIP_3) | instid1(VALU_DEP_3)
	v_div_scale_f32 v24, null, v18, v18, v12
	v_exp_f32_e32 v23, v23
	v_cvt_i32_f32_e32 v22, v22
	v_fmac_f32_e32 v26, 0xb2a5705f, v16
	v_rcp_f32_e32 v28, v24
	s_delay_alu instid0(TRANS32_DEP_3) | instskip(NEXT) | instid1(VALU_DEP_2)
	v_ldexp_f32 v20, v20, v21
	v_add_f32_e32 v25, v25, v26
	s_waitcnt_depctr 0xfff
	v_ldexp_f32 v21, v23, v27
	v_exp_f32_e32 v25, v25
	v_fma_f32 v27, -v24, v28, 1.0
	v_cndmask_b32_e32 v19, 0x7f800000, v19, vcc_lo
	v_cmp_nlt_f32_e32 vcc_lo, 0x42ce8ed0, v14
	s_delay_alu instid0(VALU_DEP_2) | instskip(SKIP_3) | instid1(VALU_DEP_1)
	v_dual_fmac_f32 v28, v27, v28 :: v_dual_add_f32 v19, 1.0, v19
	s_waitcnt_depctr 0xfff
	v_ldexp_f32 v22, v25, v22
	v_div_scale_f32 v29, null, v19, v19, v13
	v_rcp_f32_e32 v23, v29
	s_waitcnt_depctr 0xfff
	v_fma_f32 v27, -v29, v23, 1.0
	v_cndmask_b32_e32 v20, 0, v20, vcc_lo
	v_div_scale_f32 v30, vcc_lo, v12, v18, v12
	s_delay_alu instid0(VALU_DEP_3) | instskip(NEXT) | instid1(VALU_DEP_3)
	v_fmac_f32_e32 v23, v27, v23
	v_cndmask_b32_e64 v20, 0x7f800000, v20, s28
	v_cmp_nlt_f32_e64 s28, 0x42ce8ed0, v15
	s_delay_alu instid0(VALU_DEP_2) | instskip(NEXT) | instid1(VALU_DEP_2)
	v_add_f32_e32 v20, 1.0, v20
	v_cndmask_b32_e64 v21, 0, v21, s28
	v_div_scale_f32 v32, s28, v13, v19, v13
	v_mul_f32_e32 v31, v30, v28
	s_delay_alu instid0(VALU_DEP_4) | instskip(NEXT) | instid1(VALU_DEP_3)
	v_div_scale_f32 v33, null, v20, v20, v14
	v_mul_f32_e32 v34, v32, v23
	v_cndmask_b32_e64 v21, 0x7f800000, v21, s29
	s_delay_alu instid0(VALU_DEP_4) | instskip(NEXT) | instid1(VALU_DEP_4)
	v_fma_f32 v27, -v24, v31, v30
	v_rcp_f32_e32 v26, v33
	s_delay_alu instid0(VALU_DEP_1) | instskip(SKIP_2) | instid1(VALU_DEP_3)
	v_fmac_f32_e32 v31, v27, v28
	v_fma_f32 v27, -v29, v34, v32
	v_add_f32_e32 v21, 1.0, v21
	v_fma_f32 v24, -v24, v31, v30
	s_delay_alu instid0(VALU_DEP_3) | instskip(SKIP_1) | instid1(VALU_DEP_3)
	v_fmac_f32_e32 v34, v27, v23
	v_mul_f32_e32 v30, 0xbfb8aa3b, v17
	v_div_fmas_f32 v24, v24, v28, v31
	s_delay_alu instid0(TRANS32_DEP_1) | instskip(NEXT) | instid1(VALU_DEP_3)
	v_fma_f32 v28, -v33, v26, 1.0
	v_rndne_f32_e32 v25, v30
	v_cmp_nlt_f32_e32 vcc_lo, 0x42ce8ed0, v16
	v_div_scale_f32 v31, s29, v14, v20, v14
	v_div_fixup_f32 v12, v24, v18, v12
	v_div_scale_f32 v18, null, v21, v21, v15
	v_fma_f32 v24, -v29, v34, v32
	s_delay_alu instid0(VALU_DEP_2) | instskip(SKIP_3) | instid1(VALU_DEP_2)
	v_rcp_f32_e32 v29, v18
	v_fmac_f32_e32 v26, v28, v26
	v_fma_f32 v28, 0xbfb8aa3b, v17, -v30
	v_sub_f32_e32 v30, v30, v25
	v_fmac_f32_e32 v28, 0xb2a5705f, v17
	s_delay_alu instid0(VALU_DEP_1) | instskip(SKIP_2) | instid1(VALU_DEP_1)
	v_add_f32_e32 v28, v30, v28
	s_waitcnt_depctr 0xfff
	v_fma_f32 v30, -v18, v29, 1.0
	v_dual_fmac_f32 v29, v30, v29 :: v_dual_cndmask_b32 v22, 0, v22
	s_mov_b32 vcc_lo, s28
	v_mul_f32_e32 v27, v31, v26
	v_div_fmas_f32 v23, v24, v23, v34
	v_cmp_ngt_f32_e32 vcc_lo, 0xc2b17218, v16
	s_delay_alu instid0(VALU_DEP_3) | instskip(NEXT) | instid1(VALU_DEP_3)
	v_fma_f32 v24, -v33, v27, v31
	v_div_fixup_f32 v13, v23, v19, v13
	v_exp_f32_e32 v19, v28
	v_cvt_i32_f32_e32 v23, v25
	v_div_scale_f32 v28, s28, v15, v21, v15
	v_fmac_f32_e32 v27, v24, v26
	v_dual_mul_f32 v24, 0xbfb8aa3b, v10 :: v_dual_mul_f32 v13, v13, v136
	s_delay_alu instid0(VALU_DEP_2)
	v_fma_f32 v31, -v33, v27, v31
	s_waitcnt_depctr 0xfff
	v_ldexp_f32 v19, v19, v23
	v_rndne_f32_e32 v23, v24
	v_fma_f32 v30, 0xbfb8aa3b, v10, -v24
	v_dual_mul_f32 v33, v28, v29 :: v_dual_cndmask_b32 v22, 0x7f800000, v22
	v_cmp_nlt_f32_e32 vcc_lo, 0x42ce8ed0, v17
	s_delay_alu instid0(VALU_DEP_4) | instskip(NEXT) | instid1(VALU_DEP_4)
	v_sub_f32_e32 v24, v24, v23
	v_fmac_f32_e32 v30, 0xb2a5705f, v10
	v_mul_f32_e32 v12, v12, v138
	v_cvt_i32_f32_e32 v23, v23
	v_cndmask_b32_e32 v19, 0, v19, vcc_lo
	v_cmp_ngt_f32_e32 vcc_lo, 0xc2b17218, v17
	v_add_f32_e32 v24, v24, v30
	v_fma_f32 v30, -v18, v33, v28
	s_delay_alu instid0(VALU_DEP_4) | instskip(NEXT) | instid1(VALU_DEP_3)
	v_dual_add_f32 v22, 1.0, v22 :: v_dual_cndmask_b32 v19, 0x7f800000, v19
	v_exp_f32_e32 v24, v24
	s_delay_alu instid0(VALU_DEP_2) | instskip(SKIP_1) | instid1(VALU_DEP_2)
	v_fmac_f32_e32 v33, v30, v29
	s_mov_b32 vcc_lo, s29
	v_div_scale_f32 v25, null, v22, v22, v16
	v_div_fmas_f32 v26, v31, v26, v27
	v_cmp_nlt_f32_e32 vcc_lo, 0x42ce8ed0, v10
	v_add_f32_e32 v19, 1.0, v19
	v_fma_f32 v18, -v18, v33, v28
	v_rcp_f32_e32 v32, v25
	s_delay_alu instid0(TRANS32_DEP_2) | instskip(SKIP_2) | instid1(VALU_DEP_3)
	v_ldexp_f32 v23, v24, v23
	v_div_fixup_f32 v14, v26, v20, v14
	v_div_scale_f32 v31, null, v19, v19, v17
	v_cndmask_b32_e32 v20, 0, v23, vcc_lo
	v_cmp_ngt_f32_e32 vcc_lo, 0xc2b17218, v10
	s_delay_alu instid0(VALU_DEP_3) | instskip(NEXT) | instid1(TRANS32_DEP_2)
	v_rcp_f32_e32 v34, v31
	v_fma_f32 v27, -v25, v32, 1.0
	s_delay_alu instid0(VALU_DEP_3)
	v_cndmask_b32_e32 v20, 0x7f800000, v20, vcc_lo
	s_mov_b32 vcc_lo, s28
	v_div_fmas_f32 v18, v18, v29, v33
	s_waitcnt_depctr 0xfff
	v_fma_f32 v26, -v31, v34, 1.0
	v_div_fixup_f32 v15, v18, v21, v15
	s_delay_alu instid0(VALU_DEP_2) | instskip(SKIP_1) | instid1(VALU_DEP_3)
	v_fmac_f32_e32 v34, v26, v34
	v_div_scale_f32 v26, s28, v17, v19, v17
	v_dual_mul_f32 v15, v15, v134 :: v_dual_add_f32 v20, 1.0, v20
	v_fmac_f32_e32 v32, v27, v32
	v_div_scale_f32 v27, s29, v16, v22, v16
	s_delay_alu instid0(VALU_DEP_1) | instskip(NEXT) | instid1(VALU_DEP_3)
	s_mov_b32 vcc_lo, s29
	v_div_scale_f32 v30, null, v20, v20, v10
	s_delay_alu instid0(VALU_DEP_2) | instskip(NEXT) | instid1(VALU_DEP_2)
	v_mul_f32_e32 v24, v27, v32
	v_rcp_f32_e32 v33, v30
	s_delay_alu instid0(VALU_DEP_1) | instskip(SKIP_3) | instid1(VALU_DEP_2)
	v_fma_f32 v23, -v25, v24, v27
	s_waitcnt_depctr 0xfff
	v_fma_f32 v21, -v30, v33, 1.0
	v_dual_fmac_f32 v24, v23, v32 :: v_dual_mul_f32 v23, 0xbfb8aa3b, v11
	v_fmac_f32_e32 v33, v21, v33
	s_delay_alu instid0(VALU_DEP_2) | instskip(NEXT) | instid1(VALU_DEP_3)
	v_fma_f32 v25, -v25, v24, v27
	v_rndne_f32_e32 v28, v23
	v_fma_f32 v29, 0xbfb8aa3b, v11, -v23
	v_mul_f32_e32 v27, v26, v34
	v_div_scale_f32 v21, s29, v10, v20, v10
	s_delay_alu instid0(VALU_DEP_4) | instskip(NEXT) | instid1(VALU_DEP_4)
	v_sub_f32_e32 v23, v23, v28
	v_fmac_f32_e32 v29, 0xb2a5705f, v11
	v_div_fmas_f32 v24, v25, v32, v24
	v_fma_f32 v25, -v31, v27, v26
	s_mov_b32 vcc_lo, s28
	v_cmp_nlt_f32_e64 s28, 0x42ce8ed0, v9
	v_add_f32_e32 v23, v23, v29
	v_div_fixup_f32 v16, v24, v22, v16
	v_fmac_f32_e32 v27, v25, v34
	v_cvt_i32_f32_e32 v22, v28
	v_mul_f32_e32 v24, 0xbfb8aa3b, v8
	v_exp_f32_e32 v18, v23
	s_delay_alu instid0(VALU_DEP_3) | instskip(NEXT) | instid1(VALU_DEP_2)
	v_fma_f32 v23, -v31, v27, v26
	v_fma_f32 v25, 0xbfb8aa3b, v8, -v24
	s_delay_alu instid0(VALU_DEP_1)
	v_dual_mul_f32 v16, v16, v133 :: v_dual_fmac_f32 v25, 0xb2a5705f, v8
	s_waitcnt_depctr 0xfff
	v_ldexp_f32 v18, v18, v22
	v_div_fmas_f32 v22, v23, v34, v27
	v_mul_f32_e32 v23, v21, v33
	v_cmp_nlt_f32_e32 vcc_lo, 0x42ce8ed0, v11
	s_delay_alu instid0(VALU_DEP_3) | instskip(NEXT) | instid1(VALU_DEP_3)
	v_div_fixup_f32 v17, v22, v19, v17
	v_fma_f32 v19, -v30, v23, v21
	v_rndne_f32_e32 v22, v24
	s_delay_alu instid0(VALU_DEP_3) | instskip(NEXT) | instid1(VALU_DEP_3)
	v_dual_mul_f32 v14, v14, v135 :: v_dual_mul_f32 v17, v17, v132
	v_fmac_f32_e32 v23, v19, v33
	s_delay_alu instid0(VALU_DEP_3) | instskip(SKIP_2) | instid1(VALU_DEP_4)
	v_dual_sub_f32 v19, v24, v22 :: v_dual_mul_f32 v24, 0xbfb8aa3b, v9
	v_cndmask_b32_e32 v18, 0, v18, vcc_lo
	v_cmp_ngt_f32_e32 vcc_lo, 0xc2b17218, v11
	v_fma_f32 v21, -v30, v23, v21
	s_delay_alu instid0(VALU_DEP_4) | instskip(SKIP_3) | instid1(VALU_DEP_4)
	v_add_f32_e32 v19, v19, v25
	v_rndne_f32_e32 v25, v24
	v_fma_f32 v27, 0xbfb8aa3b, v9, -v24
	v_cvt_i32_f32_e32 v22, v22
	v_exp_f32_e32 v19, v19
	s_delay_alu instid0(VALU_DEP_3) | instskip(NEXT) | instid1(VALU_DEP_3)
	v_sub_f32_e32 v24, v24, v25
	v_fmac_f32_e32 v27, 0xb2a5705f, v9
	v_cndmask_b32_e32 v18, 0x7f800000, v18, vcc_lo
	s_mov_b32 vcc_lo, s29
	v_div_fmas_f32 v21, v21, v33, v23
	v_cmp_nlt_f32_e32 vcc_lo, 0x42ce8ed0, v8
	s_waitcnt_depctr 0xfff
	v_ldexp_f32 v19, v19, v22
	v_div_fixup_f32 v10, v21, v20, v10
	s_delay_alu instid0(VALU_DEP_2) | instskip(SKIP_1) | instid1(VALU_DEP_2)
	v_cndmask_b32_e32 v19, 0, v19, vcc_lo
	v_cmp_ngt_f32_e32 vcc_lo, 0xc2b17218, v8
	v_cndmask_b32_e32 v19, 0x7f800000, v19, vcc_lo
	s_delay_alu instid0(VALU_DEP_1) | instskip(NEXT) | instid1(VALU_DEP_1)
	v_dual_mul_f32 v28, 0xbfb8aa3b, v6 :: v_dual_add_f32 v19, 1.0, v19
	v_fma_f32 v31, 0xbfb8aa3b, v6, -v28
	v_rndne_f32_e32 v30, v28
	s_delay_alu instid0(VALU_DEP_2) | instskip(SKIP_1) | instid1(VALU_DEP_3)
	v_fmac_f32_e32 v31, 0xb2a5705f, v6
	v_dual_add_f32 v23, v24, v27 :: v_dual_add_f32 v18, 1.0, v18
	v_sub_f32_e32 v24, v28, v30
	s_delay_alu instid0(VALU_DEP_2) | instskip(NEXT) | instid1(VALU_DEP_2)
	v_exp_f32_e32 v20, v23
	v_div_scale_f32 v26, null, v18, v18, v11
	s_delay_alu instid0(VALU_DEP_2) | instskip(SKIP_1) | instid1(VALU_DEP_3)
	v_add_f32_e32 v22, v24, v31
	v_cvt_i32_f32_e32 v23, v25
	v_rcp_f32_e32 v29, v26
	s_waitcnt_depctr 0xfff
	v_ldexp_f32 v20, v20, v23
	s_delay_alu instid0(VALU_DEP_1) | instskip(SKIP_2) | instid1(VALU_DEP_2)
	v_cndmask_b32_e64 v20, 0, v20, s28
	v_fma_f32 v21, -v26, v29, 1.0
	v_cmp_ngt_f32_e64 s28, 0xc2b17218, v9
	v_fmac_f32_e32 v29, v21, v29
	v_exp_f32_e32 v21, v22
	v_cvt_i32_f32_e32 v22, v30
	v_div_scale_f32 v23, vcc_lo, v11, v18, v11
	v_cndmask_b32_e64 v20, 0x7f800000, v20, s28
	v_cmp_nlt_f32_e64 s28, 0x42ce8ed0, v6
	s_delay_alu instid0(VALU_DEP_3) | instskip(SKIP_4) | instid1(VALU_DEP_3)
	v_mul_f32_e32 v24, v23, v29
	s_waitcnt_depctr 0xfff
	v_ldexp_f32 v21, v21, v22
	v_div_scale_f32 v22, null, v19, v19, v8
	v_fma_f32 v27, -v26, v24, v23
	v_cndmask_b32_e64 v21, 0, v21, s28
	s_delay_alu instid0(VALU_DEP_3) | instskip(SKIP_1) | instid1(VALU_DEP_3)
	v_rcp_f32_e32 v25, v22
	v_cmp_ngt_f32_e64 s28, 0xc2b17218, v6
	v_fmac_f32_e32 v24, v27, v29
	s_delay_alu instid0(VALU_DEP_2) | instskip(NEXT) | instid1(VALU_DEP_2)
	v_cndmask_b32_e64 v21, 0x7f800000, v21, s28
	v_fma_f32 v23, -v26, v24, v23
	s_waitcnt_depctr 0xfff
	v_fma_f32 v27, -v22, v25, 1.0
	v_dual_add_f32 v20, 1.0, v20 :: v_dual_add_f32 v21, 1.0, v21
	v_div_fmas_f32 v23, v23, v29, v24
	v_cmp_nlt_f32_e32 vcc_lo, 0x42ce8ed0, v7
	s_delay_alu instid0(VALU_DEP_4) | instskip(NEXT) | instid1(VALU_DEP_4)
	v_fmac_f32_e32 v25, v27, v25
	v_div_scale_f32 v28, null, v20, v20, v9
	v_div_scale_f32 v31, null, v21, v21, v6
	v_div_fixup_f32 v11, v23, v18, v11
	s_delay_alu instid0(VALU_DEP_3) | instskip(SKIP_1) | instid1(VALU_DEP_3)
	v_rcp_f32_e32 v30, v28
	v_div_scale_f32 v27, s28, v8, v19, v8
	v_rcp_f32_e32 v33, v31
	s_delay_alu instid0(VALU_DEP_2) | instskip(NEXT) | instid1(VALU_DEP_2)
	v_mul_f32_e32 v11, v11, v129
	v_mul_f32_e32 v26, v27, v25
	s_waitcnt_depctr 0xfff
	v_fma_f32 v111, -v28, v30, 1.0
	v_fma_f32 v24, -v22, v26, v27
	v_fma_f32 v112, -v31, v33, 1.0
	s_delay_alu instid0(VALU_DEP_3) | instskip(SKIP_1) | instid1(VALU_DEP_3)
	v_fmac_f32_e32 v30, v111, v30
	v_div_scale_f32 v111, s29, v9, v20, v9
	v_dual_fmac_f32 v33, v112, v33 :: v_dual_mul_f32 v32, 0xbfb8aa3b, v7
	s_delay_alu instid0(VALU_DEP_2) | instskip(NEXT) | instid1(VALU_DEP_2)
	v_dual_fmac_f32 v26, v24, v25 :: v_dual_mul_f32 v29, v111, v30
	v_rndne_f32_e32 v34, v32
	v_fma_f32 v35, 0xbfb8aa3b, v7, -v32
	v_mul_f32_e32 v10, v10, v130
	s_delay_alu instid0(VALU_DEP_4) | instskip(SKIP_1) | instid1(VALU_DEP_4)
	v_fma_f32 v23, -v28, v29, v111
	v_fma_f32 v22, -v22, v26, v27
	v_dual_sub_f32 v32, v32, v34 :: v_dual_fmac_f32 v35, 0xb2a5705f, v7
	v_cvt_i32_f32_e32 v18, v34
	s_delay_alu instid0(VALU_DEP_2) | instskip(SKIP_1) | instid1(VALU_DEP_2)
	v_dual_fmac_f32 v29, v23, v30 :: v_dual_add_f32 v32, v32, v35
	v_div_scale_f32 v35, s30, v6, v21, v6
	v_exp_f32_e32 v32, v32
	s_delay_alu instid0(VALU_DEP_1) | instskip(NEXT) | instid1(VALU_DEP_1)
	v_mul_f32_e32 v24, v35, v33
	v_fma_f32 v23, -v31, v24, v35
	s_waitcnt_depctr 0xfff
	v_ldexp_f32 v18, v32, v18
	v_dual_fmac_f32 v24, v23, v33 :: v_dual_mul_f32 v23, 0xbfb8aa3b, v4
	s_delay_alu instid0(VALU_DEP_2) | instskip(SKIP_1) | instid1(VALU_DEP_2)
	v_cndmask_b32_e32 v18, 0, v18, vcc_lo
	s_mov_b32 vcc_lo, s28
	v_rndne_f32_e32 v27, v23
	v_div_fmas_f32 v22, v22, v25, v26
	v_cmp_ngt_f32_e32 vcc_lo, 0xc2b17218, v7
	v_fma_f32 v25, -v28, v29, v111
	v_fma_f32 v26, -v31, v24, v35
	v_fma_f32 v28, 0xbfb8aa3b, v4, -v23
	v_dual_sub_f32 v23, v23, v27 :: v_dual_cndmask_b32 v18, 0x7f800000, v18
	s_mov_b32 vcc_lo, s29
	v_div_fixup_f32 v8, v22, v19, v8
	v_div_fmas_f32 v25, v25, v30, v29
	s_mov_b32 vcc_lo, s30
	v_fmac_f32_e32 v28, 0xb2a5705f, v4
	v_div_fmas_f32 v24, v26, v33, v24
	v_cvt_i32_f32_e32 v27, v27
	v_div_fixup_f32 v9, v25, v20, v9
	v_cmp_nlt_f32_e32 vcc_lo, 0x42ce8ed0, v4
	s_delay_alu instid0(VALU_DEP_4) | instskip(SKIP_1) | instid1(VALU_DEP_4)
	v_div_fixup_f32 v6, v24, v21, v6
	v_dual_mul_f32 v21, 0xbfb8aa3b, v5 :: v_dual_mul_f32 v24, 0xbfb8aa3b, v2
	v_mul_f32_e32 v9, v9, v126
	s_delay_alu instid0(VALU_DEP_2) | instskip(NEXT) | instid1(VALU_DEP_3)
	v_rndne_f32_e32 v22, v21
	v_fma_f32 v29, 0xbfb8aa3b, v2, -v24
	v_add_f32_e32 v20, v23, v28
	v_fma_f32 v23, 0xbfb8aa3b, v5, -v21
	v_rndne_f32_e32 v28, v24
	v_sub_f32_e32 v21, v21, v22
	v_fmac_f32_e32 v29, 0xb2a5705f, v2
	v_exp_f32_e32 v20, v20
	v_fmac_f32_e32 v23, 0xb2a5705f, v5
	v_cvt_i32_f32_e32 v22, v22
	s_delay_alu instid0(VALU_DEP_2)
	v_add_f32_e32 v21, v21, v23
	v_dual_sub_f32 v23, v24, v28 :: v_dual_add_f32 v18, 1.0, v18
	s_waitcnt_depctr 0xfff
	v_ldexp_f32 v20, v20, v27
	v_exp_f32_e32 v21, v21
	v_add_f32_e32 v23, v23, v29
	v_div_scale_f32 v26, null, v18, v18, v7
	s_delay_alu instid0(VALU_DEP_2) | instskip(NEXT) | instid1(VALU_DEP_1)
	v_exp_f32_e32 v23, v23
	v_rcp_f32_e32 v19, v26
	s_delay_alu instid0(TRANS32_DEP_3) | instskip(SKIP_4) | instid1(VALU_DEP_3)
	v_ldexp_f32 v21, v21, v22
	s_waitcnt_depctr 0xfff
	v_fma_f32 v25, -v26, v19, 1.0
	v_cndmask_b32_e32 v20, 0, v20, vcc_lo
	v_cmp_ngt_f32_e32 vcc_lo, 0xc2b17218, v4
	v_fmac_f32_e32 v19, v25, v19
	v_cvt_i32_f32_e32 v25, v28
	s_delay_alu instid0(VALU_DEP_4) | instskip(SKIP_2) | instid1(VALU_DEP_4)
	v_cndmask_b32_e32 v20, 0x7f800000, v20, vcc_lo
	v_cmp_nlt_f32_e32 vcc_lo, 0x42ce8ed0, v5
	v_mul_f32_e32 v30, 0xbfb8aa3b, v3
	v_ldexp_f32 v23, v23, v25
	v_cndmask_b32_e32 v21, 0, v21, vcc_lo
	s_delay_alu instid0(VALU_DEP_3)
	v_rndne_f32_e32 v24, v30
	v_fma_f32 v27, 0xbfb8aa3b, v3, -v30
	v_mul_f32_e32 v8, v8, v127
	v_mul_f32_e32 v6, v6, v125
	v_cmp_nlt_f32_e32 vcc_lo, 0x42ce8ed0, v2
	v_sub_f32_e32 v29, v30, v24
	v_fmac_f32_e32 v27, 0xb2a5705f, v3
	v_cvt_i32_f32_e32 v24, v24
	s_delay_alu instid0(VALU_DEP_2) | instskip(NEXT) | instid1(VALU_DEP_1)
	v_add_f32_e32 v27, v29, v27
	v_exp_f32_e32 v22, v27
	s_waitcnt_depctr 0xfff
	v_ldexp_f32 v22, v22, v24
	v_cndmask_b32_e32 v23, 0, v23, vcc_lo
	v_cmp_ngt_f32_e32 vcc_lo, 0xc2b17218, v5
	v_cndmask_b32_e32 v21, 0x7f800000, v21, vcc_lo
	v_cmp_ngt_f32_e32 vcc_lo, 0xc2b17218, v2
	s_delay_alu instid0(VALU_DEP_2) | instskip(SKIP_2) | instid1(VALU_DEP_3)
	v_dual_add_f32 v21, 1.0, v21 :: v_dual_add_f32 v20, 1.0, v20
	v_cndmask_b32_e32 v23, 0x7f800000, v23, vcc_lo
	v_cmp_nlt_f32_e32 vcc_lo, 0x42ce8ed0, v3
	v_div_scale_f32 v25, null, v21, v21, v5
	s_delay_alu instid0(VALU_DEP_4) | instskip(SKIP_3) | instid1(VALU_DEP_4)
	v_div_scale_f32 v27, null, v20, v20, v4
	v_cndmask_b32_e32 v22, 0, v22, vcc_lo
	v_cmp_ngt_f32_e32 vcc_lo, 0xc2b17218, v3
	v_add_f32_e32 v23, 1.0, v23
	v_rcp_f32_e32 v24, v27
	v_rcp_f32_e32 v30, v25
	v_cndmask_b32_e32 v22, 0x7f800000, v22, vcc_lo
	s_delay_alu instid0(VALU_DEP_2) | instskip(SKIP_1) | instid1(VALU_DEP_3)
	v_div_scale_f32 v28, null, v23, v23, v2
	v_div_scale_f32 v29, vcc_lo, v7, v18, v7
	v_add_f32_e32 v22, 1.0, v22
	s_delay_alu instid0(VALU_DEP_3) | instskip(NEXT) | instid1(TRANS32_DEP_3)
	v_rcp_f32_e32 v32, v28
	v_fma_f32 v31, -v27, v24, 1.0
	s_delay_alu instid0(VALU_DEP_3) | instskip(NEXT) | instid1(TRANS32_DEP_2)
	v_mul_f32_e32 v33, v29, v19
	v_fma_f32 v35, -v25, v30, 1.0
	v_div_scale_f32 v34, null, v22, v22, v3
	s_delay_alu instid0(VALU_DEP_4) | instskip(SKIP_1) | instid1(VALU_DEP_3)
	v_fmac_f32_e32 v24, v31, v24
	v_div_scale_f32 v31, s28, v4, v20, v4
	v_rcp_f32_e32 v111, v34
	v_fma_f32 v112, -v26, v33, v29
	s_delay_alu instid0(TRANS32_DEP_2) | instskip(NEXT) | instid1(VALU_DEP_2)
	v_fma_f32 v113, -v28, v32, 1.0
	v_dual_mul_f32 v114, v31, v24 :: v_dual_fmac_f32 v33, v112, v19
	s_delay_alu instid0(VALU_DEP_1)
	v_fma_f32 v112, -v27, v114, v31
	s_waitcnt_depctr 0xfff
	v_fma_f32 v115, -v34, v111, 1.0
	v_fmac_f32_e32 v32, v113, v32
	v_div_scale_f32 v113, s30, v2, v23, v2
	v_fma_f32 v26, -v26, v33, v29
	s_delay_alu instid0(VALU_DEP_4) | instskip(NEXT) | instid1(VALU_DEP_3)
	v_fmac_f32_e32 v111, v115, v111
	v_dual_fmac_f32 v30, v35, v30 :: v_dual_mul_f32 v117, v113, v32
	v_div_scale_f32 v35, s29, v5, v21, v5
	s_delay_alu instid0(VALU_DEP_4) | instskip(SKIP_2) | instid1(VALU_DEP_2)
	v_div_fmas_f32 v19, v26, v19, v33
	s_mov_b32 vcc_lo, s28
	v_div_scale_f32 v115, s31, v3, v22, v3
	v_div_fixup_f32 v7, v19, v18, v7
	v_fmac_f32_e32 v114, v112, v24
	v_fma_f32 v112, -v28, v117, v113
	v_mul_f32_e32 v116, v35, v30
	s_delay_alu instid0(VALU_DEP_4) | instskip(NEXT) | instid1(VALU_DEP_4)
	v_mul_f32_e32 v7, v7, v123
	v_fma_f32 v26, -v27, v114, v31
	s_delay_alu instid0(VALU_DEP_4) | instskip(NEXT) | instid1(VALU_DEP_4)
	v_fmac_f32_e32 v117, v112, v32
	v_fma_f32 v29, -v25, v116, v35
	s_delay_alu instid0(VALU_DEP_3) | instskip(SKIP_1) | instid1(VALU_DEP_2)
	v_div_fmas_f32 v24, v26, v24, v114
	s_mov_b32 vcc_lo, s29
	v_fmac_f32_e32 v116, v29, v30
	v_fma_f32 v26, -v28, v117, v113
	s_delay_alu instid0(VALU_DEP_3) | instskip(NEXT) | instid1(VALU_DEP_3)
	v_div_fixup_f32 v4, v24, v20, v4
	v_fma_f32 v25, -v25, v116, v35
	s_delay_alu instid0(VALU_DEP_2) | instskip(NEXT) | instid1(VALU_DEP_2)
	v_mul_f32_e32 v4, v4, v122
	v_div_fmas_f32 v25, v25, v30, v116
	s_mov_b32 vcc_lo, s30
	v_div_fmas_f32 v26, v26, v32, v117
	s_mov_b32 vcc_lo, s31
	s_delay_alu instid0(VALU_DEP_2) | instskip(SKIP_1) | instid1(VALU_DEP_3)
	v_div_fixup_f32 v5, v25, v21, v5
	v_mul_f32_e32 v118, v115, v111
	v_div_fixup_f32 v2, v26, v23, v2
	s_delay_alu instid0(VALU_DEP_3) | instskip(NEXT) | instid1(VALU_DEP_3)
	v_mul_f32_e32 v5, v5, v121
	v_fma_f32 v27, -v34, v118, v115
	s_delay_alu instid0(VALU_DEP_3) | instskip(NEXT) | instid1(VALU_DEP_2)
	v_mul_f32_e32 v2, v2, v120
	v_fmac_f32_e32 v118, v27, v111
	s_delay_alu instid0(VALU_DEP_1) | instskip(NEXT) | instid1(VALU_DEP_1)
	v_fma_f32 v27, -v34, v118, v115
	v_div_fmas_f32 v27, v27, v111, v118
	s_delay_alu instid0(VALU_DEP_1) | instskip(NEXT) | instid1(VALU_DEP_1)
	v_div_fixup_f32 v3, v27, v22, v3
	v_mul_f32_e32 v3, v3, v124
	ds_store_2addr_b32 v70, v12, v13 offset1:1
	ds_store_2addr_b32 v70, v14, v15 offset0:2 offset1:3
	ds_store_2addr_b32 v70, v16, v17 offset0:4 offset1:5
	;; [unrolled: 1-line block ×7, first 2 shown]
	; wave barrier
	ds_load_b32 v18, v55 offset:128
	ds_load_b32 v17, v56 offset:256
	;; [unrolled: 1-line block ×15, first 2 shown]
	v_add_co_u32 v2, vcc_lo, v93, s34
	v_add_co_ci_u32_e32 v3, vcc_lo, s35, v94, vcc_lo
	s_and_saveexec_b32 s28, s12
	s_cbranch_execnz .LBB144_284
; %bb.237:                              ;   in Loop: Header=BB144_12 Depth=1
	s_or_b32 exec_lo, exec_lo, s28
	s_and_saveexec_b32 s12, s13
	s_cbranch_execnz .LBB144_285
.LBB144_238:                            ;   in Loop: Header=BB144_12 Depth=1
	s_or_b32 exec_lo, exec_lo, s12
	s_and_saveexec_b32 s12, s14
	s_cbranch_execnz .LBB144_286
.LBB144_239:                            ;   in Loop: Header=BB144_12 Depth=1
	s_or_b32 exec_lo, exec_lo, s12
	s_and_saveexec_b32 s12, s15
	s_cbranch_execnz .LBB144_287
.LBB144_240:                            ;   in Loop: Header=BB144_12 Depth=1
	s_or_b32 exec_lo, exec_lo, s12
	s_and_saveexec_b32 s12, s16
	s_cbranch_execnz .LBB144_288
.LBB144_241:                            ;   in Loop: Header=BB144_12 Depth=1
	s_or_b32 exec_lo, exec_lo, s12
	s_and_saveexec_b32 s12, s17
	s_cbranch_execnz .LBB144_289
.LBB144_242:                            ;   in Loop: Header=BB144_12 Depth=1
	s_or_b32 exec_lo, exec_lo, s12
	s_and_saveexec_b32 s12, s18
	s_cbranch_execnz .LBB144_290
.LBB144_243:                            ;   in Loop: Header=BB144_12 Depth=1
	s_or_b32 exec_lo, exec_lo, s12
	s_and_saveexec_b32 s12, s19
	s_cbranch_execnz .LBB144_291
.LBB144_244:                            ;   in Loop: Header=BB144_12 Depth=1
	s_or_b32 exec_lo, exec_lo, s12
	s_and_saveexec_b32 s12, s20
	s_cbranch_execnz .LBB144_292
.LBB144_245:                            ;   in Loop: Header=BB144_12 Depth=1
	s_or_b32 exec_lo, exec_lo, s12
	s_and_saveexec_b32 s12, s21
	s_cbranch_execnz .LBB144_293
.LBB144_246:                            ;   in Loop: Header=BB144_12 Depth=1
	s_or_b32 exec_lo, exec_lo, s12
	s_and_saveexec_b32 s12, s22
	s_cbranch_execnz .LBB144_294
.LBB144_247:                            ;   in Loop: Header=BB144_12 Depth=1
	s_or_b32 exec_lo, exec_lo, s12
	s_and_saveexec_b32 s12, s23
	s_cbranch_execnz .LBB144_295
.LBB144_248:                            ;   in Loop: Header=BB144_12 Depth=1
	s_or_b32 exec_lo, exec_lo, s12
	s_and_saveexec_b32 s12, s24
	s_cbranch_execnz .LBB144_296
.LBB144_249:                            ;   in Loop: Header=BB144_12 Depth=1
	s_or_b32 exec_lo, exec_lo, s12
	s_and_saveexec_b32 s12, s25
	s_cbranch_execnz .LBB144_297
.LBB144_250:                            ;   in Loop: Header=BB144_12 Depth=1
	s_or_b32 exec_lo, exec_lo, s12
	s_and_saveexec_b32 s12, s26
	s_cbranch_execnz .LBB144_298
.LBB144_251:                            ;   in Loop: Header=BB144_12 Depth=1
	s_or_b32 exec_lo, exec_lo, s12
	s_and_saveexec_b32 s12, s27
	s_cbranch_execz .LBB144_11
	s_branch .LBB144_299
.LBB144_252:                            ;   in Loop: Header=BB144_12 Depth=1
	global_load_b32 v35, v[18:19], off offset:1664
	s_or_b32 exec_lo, exec_lo, s28
	s_and_saveexec_b32 s28, s26
	s_cbranch_execz .LBB144_72
.LBB144_253:                            ;   in Loop: Header=BB144_12 Depth=1
	global_load_b32 v33, v[18:19], off offset:1792
	s_or_b32 exec_lo, exec_lo, s28
	v_mov_b32_e32 v111, 0
	s_and_saveexec_b32 s28, s27
	s_cbranch_execnz .LBB144_73
	s_branch .LBB144_74
.LBB144_254:                            ;   in Loop: Header=BB144_12 Depth=1
	ds_load_b32 v19, v54
	s_waitcnt lgkmcnt(0)
	global_store_b32 v[2:3], v19, off
	s_or_b32 exec_lo, exec_lo, s28
	s_and_saveexec_b32 s28, s13
	s_cbranch_execz .LBB144_204
.LBB144_255:                            ;   in Loop: Header=BB144_12 Depth=1
	s_waitcnt lgkmcnt(14)
	global_store_b32 v[2:3], v18, off offset:128
	s_or_b32 exec_lo, exec_lo, s28
	s_and_saveexec_b32 s28, s14
	s_cbranch_execz .LBB144_205
.LBB144_256:                            ;   in Loop: Header=BB144_12 Depth=1
	s_waitcnt lgkmcnt(13)
	global_store_b32 v[2:3], v17, off offset:256
	s_or_b32 exec_lo, exec_lo, s28
	s_and_saveexec_b32 s28, s15
	s_cbranch_execz .LBB144_206
.LBB144_257:                            ;   in Loop: Header=BB144_12 Depth=1
	s_waitcnt lgkmcnt(12)
	global_store_b32 v[2:3], v16, off offset:384
	s_or_b32 exec_lo, exec_lo, s28
	s_and_saveexec_b32 s28, s16
	s_cbranch_execz .LBB144_207
.LBB144_258:                            ;   in Loop: Header=BB144_12 Depth=1
	s_waitcnt lgkmcnt(11)
	global_store_b32 v[2:3], v15, off offset:512
	s_or_b32 exec_lo, exec_lo, s28
	s_and_saveexec_b32 s28, s17
	s_cbranch_execz .LBB144_208
.LBB144_259:                            ;   in Loop: Header=BB144_12 Depth=1
	s_waitcnt lgkmcnt(10)
	global_store_b32 v[2:3], v14, off offset:640
	s_or_b32 exec_lo, exec_lo, s28
	s_and_saveexec_b32 s28, s18
	s_cbranch_execz .LBB144_209
.LBB144_260:                            ;   in Loop: Header=BB144_12 Depth=1
	s_waitcnt lgkmcnt(9)
	global_store_b32 v[2:3], v13, off offset:768
	s_or_b32 exec_lo, exec_lo, s28
	s_and_saveexec_b32 s28, s19
	s_cbranch_execz .LBB144_210
.LBB144_261:                            ;   in Loop: Header=BB144_12 Depth=1
	s_waitcnt lgkmcnt(8)
	global_store_b32 v[2:3], v12, off offset:896
	s_or_b32 exec_lo, exec_lo, s28
	s_and_saveexec_b32 s28, s20
	s_cbranch_execz .LBB144_211
.LBB144_262:                            ;   in Loop: Header=BB144_12 Depth=1
	s_waitcnt lgkmcnt(7)
	global_store_b32 v[2:3], v11, off offset:1024
	s_or_b32 exec_lo, exec_lo, s28
	s_and_saveexec_b32 s28, s21
	s_cbranch_execz .LBB144_212
.LBB144_263:                            ;   in Loop: Header=BB144_12 Depth=1
	s_waitcnt lgkmcnt(6)
	global_store_b32 v[2:3], v10, off offset:1152
	s_or_b32 exec_lo, exec_lo, s28
	s_and_saveexec_b32 s28, s22
	s_cbranch_execz .LBB144_213
.LBB144_264:                            ;   in Loop: Header=BB144_12 Depth=1
	s_waitcnt lgkmcnt(5)
	global_store_b32 v[2:3], v9, off offset:1280
	s_or_b32 exec_lo, exec_lo, s28
	s_and_saveexec_b32 s28, s23
	s_cbranch_execz .LBB144_214
.LBB144_265:                            ;   in Loop: Header=BB144_12 Depth=1
	s_waitcnt lgkmcnt(4)
	global_store_b32 v[2:3], v8, off offset:1408
	s_or_b32 exec_lo, exec_lo, s28
	s_and_saveexec_b32 s28, s24
	s_cbranch_execz .LBB144_215
.LBB144_266:                            ;   in Loop: Header=BB144_12 Depth=1
	s_waitcnt lgkmcnt(3)
	global_store_b32 v[2:3], v7, off offset:1536
	s_or_b32 exec_lo, exec_lo, s28
	s_and_saveexec_b32 s28, s25
	s_cbranch_execz .LBB144_216
.LBB144_267:                            ;   in Loop: Header=BB144_12 Depth=1
	s_waitcnt lgkmcnt(2)
	global_store_b32 v[2:3], v6, off offset:1664
	s_or_b32 exec_lo, exec_lo, s28
	s_and_saveexec_b32 s28, s26
	s_cbranch_execz .LBB144_217
.LBB144_268:                            ;   in Loop: Header=BB144_12 Depth=1
	s_waitcnt lgkmcnt(1)
	global_store_b32 v[2:3], v5, off offset:1792
	s_or_b32 exec_lo, exec_lo, s28
	s_and_saveexec_b32 s28, s27
	s_cbranch_execnz .LBB144_218
	s_branch .LBB144_219
.LBB144_269:                            ;   in Loop: Header=BB144_12 Depth=1
	global_load_b32 v20, v[18:19], off
	v_mov_b32_e32 v15, v1
	v_mov_b32_e32 v2, v1
	;; [unrolled: 1-line block ×15, first 2 shown]
	s_delay_alu instid0(VALU_DEP_2)
	v_dual_mov_b32 v16, v14 :: v_dual_mov_b32 v15, v13
	v_mov_b32_e32 v14, v12
	v_mov_b32_e32 v13, v11
	;; [unrolled: 1-line block ×13, first 2 shown]
	s_or_b32 exec_lo, exec_lo, s28
	s_and_saveexec_b32 s28, s13
	s_cbranch_execz .LBB144_221
.LBB144_270:                            ;   in Loop: Header=BB144_12 Depth=1
	global_load_b32 v3, v[18:19], off offset:128
	s_or_b32 exec_lo, exec_lo, s28
	s_and_saveexec_b32 s28, s14
	s_cbranch_execz .LBB144_222
.LBB144_271:                            ;   in Loop: Header=BB144_12 Depth=1
	global_load_b32 v4, v[18:19], off offset:256
	s_or_b32 exec_lo, exec_lo, s28
	s_and_saveexec_b32 s28, s15
	s_cbranch_execz .LBB144_223
.LBB144_272:                            ;   in Loop: Header=BB144_12 Depth=1
	global_load_b32 v5, v[18:19], off offset:384
	s_or_b32 exec_lo, exec_lo, s28
	s_and_saveexec_b32 s28, s16
	s_cbranch_execz .LBB144_224
.LBB144_273:                            ;   in Loop: Header=BB144_12 Depth=1
	global_load_b32 v6, v[18:19], off offset:512
	s_or_b32 exec_lo, exec_lo, s28
	s_and_saveexec_b32 s28, s17
	s_cbranch_execz .LBB144_225
.LBB144_274:                            ;   in Loop: Header=BB144_12 Depth=1
	global_load_b32 v7, v[18:19], off offset:640
	s_or_b32 exec_lo, exec_lo, s28
	s_and_saveexec_b32 s28, s18
	s_cbranch_execz .LBB144_226
.LBB144_275:                            ;   in Loop: Header=BB144_12 Depth=1
	global_load_b32 v8, v[18:19], off offset:768
	s_or_b32 exec_lo, exec_lo, s28
	s_and_saveexec_b32 s28, s19
	s_cbranch_execz .LBB144_227
.LBB144_276:                            ;   in Loop: Header=BB144_12 Depth=1
	global_load_b32 v9, v[18:19], off offset:896
	s_or_b32 exec_lo, exec_lo, s28
	s_and_saveexec_b32 s28, s20
	s_cbranch_execz .LBB144_228
.LBB144_277:                            ;   in Loop: Header=BB144_12 Depth=1
	global_load_b32 v10, v[18:19], off offset:1024
	s_or_b32 exec_lo, exec_lo, s28
	s_and_saveexec_b32 s28, s21
	s_cbranch_execz .LBB144_229
.LBB144_278:                            ;   in Loop: Header=BB144_12 Depth=1
	global_load_b32 v11, v[18:19], off offset:1152
	s_or_b32 exec_lo, exec_lo, s28
	s_and_saveexec_b32 s28, s22
	s_cbranch_execz .LBB144_230
.LBB144_279:                            ;   in Loop: Header=BB144_12 Depth=1
	global_load_b32 v12, v[18:19], off offset:1280
	s_or_b32 exec_lo, exec_lo, s28
	s_and_saveexec_b32 s28, s23
	s_cbranch_execz .LBB144_231
.LBB144_280:                            ;   in Loop: Header=BB144_12 Depth=1
	global_load_b32 v13, v[18:19], off offset:1408
	s_or_b32 exec_lo, exec_lo, s28
	s_and_saveexec_b32 s28, s24
	s_cbranch_execz .LBB144_232
.LBB144_281:                            ;   in Loop: Header=BB144_12 Depth=1
	global_load_b32 v14, v[18:19], off offset:1536
	s_or_b32 exec_lo, exec_lo, s28
	s_and_saveexec_b32 s28, s25
	s_cbranch_execz .LBB144_233
.LBB144_282:                            ;   in Loop: Header=BB144_12 Depth=1
	global_load_b32 v15, v[18:19], off offset:1664
	s_or_b32 exec_lo, exec_lo, s28
	s_and_saveexec_b32 s28, s26
	s_cbranch_execz .LBB144_234
.LBB144_283:                            ;   in Loop: Header=BB144_12 Depth=1
	global_load_b32 v16, v[18:19], off offset:1792
	s_or_b32 exec_lo, exec_lo, s28
	s_and_saveexec_b32 s28, s27
	s_cbranch_execnz .LBB144_235
	s_branch .LBB144_236
.LBB144_284:                            ;   in Loop: Header=BB144_12 Depth=1
	ds_load_b32 v19, v54
	s_waitcnt lgkmcnt(0)
	global_store_b32 v[2:3], v19, off
	s_or_b32 exec_lo, exec_lo, s28
	s_and_saveexec_b32 s12, s13
	s_cbranch_execz .LBB144_238
.LBB144_285:                            ;   in Loop: Header=BB144_12 Depth=1
	s_waitcnt lgkmcnt(14)
	global_store_b32 v[2:3], v18, off offset:128
	s_or_b32 exec_lo, exec_lo, s12
	s_and_saveexec_b32 s12, s14
	s_cbranch_execz .LBB144_239
.LBB144_286:                            ;   in Loop: Header=BB144_12 Depth=1
	s_waitcnt lgkmcnt(13)
	global_store_b32 v[2:3], v17, off offset:256
	s_or_b32 exec_lo, exec_lo, s12
	s_and_saveexec_b32 s12, s15
	s_cbranch_execz .LBB144_240
.LBB144_287:                            ;   in Loop: Header=BB144_12 Depth=1
	s_waitcnt lgkmcnt(12)
	global_store_b32 v[2:3], v16, off offset:384
	s_or_b32 exec_lo, exec_lo, s12
	s_and_saveexec_b32 s12, s16
	s_cbranch_execz .LBB144_241
.LBB144_288:                            ;   in Loop: Header=BB144_12 Depth=1
	s_waitcnt lgkmcnt(11)
	global_store_b32 v[2:3], v15, off offset:512
	s_or_b32 exec_lo, exec_lo, s12
	s_and_saveexec_b32 s12, s17
	s_cbranch_execz .LBB144_242
.LBB144_289:                            ;   in Loop: Header=BB144_12 Depth=1
	s_waitcnt lgkmcnt(10)
	global_store_b32 v[2:3], v14, off offset:640
	s_or_b32 exec_lo, exec_lo, s12
	s_and_saveexec_b32 s12, s18
	s_cbranch_execz .LBB144_243
.LBB144_290:                            ;   in Loop: Header=BB144_12 Depth=1
	s_waitcnt lgkmcnt(9)
	global_store_b32 v[2:3], v13, off offset:768
	s_or_b32 exec_lo, exec_lo, s12
	s_and_saveexec_b32 s12, s19
	s_cbranch_execz .LBB144_244
.LBB144_291:                            ;   in Loop: Header=BB144_12 Depth=1
	s_waitcnt lgkmcnt(8)
	global_store_b32 v[2:3], v12, off offset:896
	s_or_b32 exec_lo, exec_lo, s12
	s_and_saveexec_b32 s12, s20
	s_cbranch_execz .LBB144_245
.LBB144_292:                            ;   in Loop: Header=BB144_12 Depth=1
	s_waitcnt lgkmcnt(7)
	global_store_b32 v[2:3], v11, off offset:1024
	s_or_b32 exec_lo, exec_lo, s12
	s_and_saveexec_b32 s12, s21
	s_cbranch_execz .LBB144_246
.LBB144_293:                            ;   in Loop: Header=BB144_12 Depth=1
	s_waitcnt lgkmcnt(6)
	global_store_b32 v[2:3], v10, off offset:1152
	s_or_b32 exec_lo, exec_lo, s12
	s_and_saveexec_b32 s12, s22
	s_cbranch_execz .LBB144_247
.LBB144_294:                            ;   in Loop: Header=BB144_12 Depth=1
	s_waitcnt lgkmcnt(5)
	global_store_b32 v[2:3], v9, off offset:1280
	s_or_b32 exec_lo, exec_lo, s12
	s_and_saveexec_b32 s12, s23
	s_cbranch_execz .LBB144_248
.LBB144_295:                            ;   in Loop: Header=BB144_12 Depth=1
	s_waitcnt lgkmcnt(4)
	global_store_b32 v[2:3], v8, off offset:1408
	s_or_b32 exec_lo, exec_lo, s12
	s_and_saveexec_b32 s12, s24
	s_cbranch_execz .LBB144_249
.LBB144_296:                            ;   in Loop: Header=BB144_12 Depth=1
	s_waitcnt lgkmcnt(3)
	global_store_b32 v[2:3], v7, off offset:1536
	s_or_b32 exec_lo, exec_lo, s12
	s_and_saveexec_b32 s12, s25
	s_cbranch_execz .LBB144_250
.LBB144_297:                            ;   in Loop: Header=BB144_12 Depth=1
	s_waitcnt lgkmcnt(2)
	global_store_b32 v[2:3], v6, off offset:1664
	s_or_b32 exec_lo, exec_lo, s12
	s_and_saveexec_b32 s12, s26
	s_cbranch_execz .LBB144_251
.LBB144_298:                            ;   in Loop: Header=BB144_12 Depth=1
	s_waitcnt lgkmcnt(1)
	global_store_b32 v[2:3], v5, off offset:1792
	s_or_b32 exec_lo, exec_lo, s12
	s_and_saveexec_b32 s12, s27
	s_cbranch_execz .LBB144_11
.LBB144_299:                            ;   in Loop: Header=BB144_12 Depth=1
	s_waitcnt lgkmcnt(0)
	global_store_b32 v[2:3], v4, off offset:1920
	s_branch .LBB144_11
.LBB144_300:
	s_nop 0
	s_sendmsg sendmsg(MSG_DEALLOC_VGPRS)
	s_endpgm
	.section	.rodata,"a",@progbits
	.p2align	6, 0x0
	.amdhsa_kernel _Z25selective_scan_fwd_kernelI32Selective_Scan_fwd_kernel_traitsILi64ELi16ELi1ELb1ELb1ELb1ELb1ELb1EfffEEv13SSMParamsBase
		.amdhsa_group_segment_fixed_size 0
		.amdhsa_private_segment_fixed_size 0
		.amdhsa_kernarg_size 248
		.amdhsa_user_sgpr_count 14
		.amdhsa_user_sgpr_dispatch_ptr 0
		.amdhsa_user_sgpr_queue_ptr 0
		.amdhsa_user_sgpr_kernarg_segment_ptr 1
		.amdhsa_user_sgpr_dispatch_id 0
		.amdhsa_user_sgpr_private_segment_size 0
		.amdhsa_wavefront_size32 1
		.amdhsa_uses_dynamic_stack 0
		.amdhsa_enable_private_segment 0
		.amdhsa_system_sgpr_workgroup_id_x 1
		.amdhsa_system_sgpr_workgroup_id_y 1
		.amdhsa_system_sgpr_workgroup_id_z 0
		.amdhsa_system_sgpr_workgroup_info 0
		.amdhsa_system_vgpr_workitem_id 0
		.amdhsa_next_free_vgpr 185
		.amdhsa_next_free_sgpr 96
		.amdhsa_reserve_vcc 1
		.amdhsa_float_round_mode_32 0
		.amdhsa_float_round_mode_16_64 0
		.amdhsa_float_denorm_mode_32 3
		.amdhsa_float_denorm_mode_16_64 3
		.amdhsa_dx10_clamp 1
		.amdhsa_ieee_mode 1
		.amdhsa_fp16_overflow 0
		.amdhsa_workgroup_processor_mode 1
		.amdhsa_memory_ordered 1
		.amdhsa_forward_progress 0
		.amdhsa_shared_vgpr_count 0
		.amdhsa_exception_fp_ieee_invalid_op 0
		.amdhsa_exception_fp_denorm_src 0
		.amdhsa_exception_fp_ieee_div_zero 0
		.amdhsa_exception_fp_ieee_overflow 0
		.amdhsa_exception_fp_ieee_underflow 0
		.amdhsa_exception_fp_ieee_inexact 0
		.amdhsa_exception_int_div_zero 0
	.end_amdhsa_kernel
	.section	.text._Z25selective_scan_fwd_kernelI32Selective_Scan_fwd_kernel_traitsILi64ELi16ELi1ELb1ELb1ELb1ELb1ELb1EfffEEv13SSMParamsBase,"axG",@progbits,_Z25selective_scan_fwd_kernelI32Selective_Scan_fwd_kernel_traitsILi64ELi16ELi1ELb1ELb1ELb1ELb1ELb1EfffEEv13SSMParamsBase,comdat
.Lfunc_end144:
	.size	_Z25selective_scan_fwd_kernelI32Selective_Scan_fwd_kernel_traitsILi64ELi16ELi1ELb1ELb1ELb1ELb1ELb1EfffEEv13SSMParamsBase, .Lfunc_end144-_Z25selective_scan_fwd_kernelI32Selective_Scan_fwd_kernel_traitsILi64ELi16ELi1ELb1ELb1ELb1ELb1ELb1EfffEEv13SSMParamsBase
                                        ; -- End function
	.section	.AMDGPU.csdata,"",@progbits
; Kernel info:
; codeLenInByte = 25532
; NumSgprs: 98
; NumVgprs: 185
; ScratchSize: 0
; MemoryBound: 0
; FloatMode: 240
; IeeeMode: 1
; LDSByteSize: 0 bytes/workgroup (compile time only)
; SGPRBlocks: 12
; VGPRBlocks: 23
; NumSGPRsForWavesPerEU: 98
; NumVGPRsForWavesPerEU: 185
; Occupancy: 8
; WaveLimiterHint : 1
; COMPUTE_PGM_RSRC2:SCRATCH_EN: 0
; COMPUTE_PGM_RSRC2:USER_SGPR: 14
; COMPUTE_PGM_RSRC2:TRAP_HANDLER: 0
; COMPUTE_PGM_RSRC2:TGID_X_EN: 1
; COMPUTE_PGM_RSRC2:TGID_Y_EN: 1
; COMPUTE_PGM_RSRC2:TGID_Z_EN: 0
; COMPUTE_PGM_RSRC2:TIDIG_COMP_CNT: 0
	.section	.text._Z25selective_scan_fwd_kernelI32Selective_Scan_fwd_kernel_traitsILi64ELi16ELi1ELb1ELb1ELb1ELb1ELb0EfffEEv13SSMParamsBase,"axG",@progbits,_Z25selective_scan_fwd_kernelI32Selective_Scan_fwd_kernel_traitsILi64ELi16ELi1ELb1ELb1ELb1ELb1ELb0EfffEEv13SSMParamsBase,comdat
	.protected	_Z25selective_scan_fwd_kernelI32Selective_Scan_fwd_kernel_traitsILi64ELi16ELi1ELb1ELb1ELb1ELb1ELb0EfffEEv13SSMParamsBase ; -- Begin function _Z25selective_scan_fwd_kernelI32Selective_Scan_fwd_kernel_traitsILi64ELi16ELi1ELb1ELb1ELb1ELb1ELb0EfffEEv13SSMParamsBase
	.globl	_Z25selective_scan_fwd_kernelI32Selective_Scan_fwd_kernel_traitsILi64ELi16ELi1ELb1ELb1ELb1ELb1ELb0EfffEEv13SSMParamsBase
	.p2align	8
	.type	_Z25selective_scan_fwd_kernelI32Selective_Scan_fwd_kernel_traitsILi64ELi16ELi1ELb1ELb1ELb1ELb1ELb0EfffEEv13SSMParamsBase,@function
_Z25selective_scan_fwd_kernelI32Selective_Scan_fwd_kernel_traitsILi64ELi16ELi1ELb1ELb1ELb1ELb1ELb0EfffEEv13SSMParamsBase: ; @_Z25selective_scan_fwd_kernelI32Selective_Scan_fwd_kernel_traitsILi64ELi16ELi1ELb1ELb1ELb1ELb1ELb0EfffEEv13SSMParamsBase
; %bb.0:
	s_clause 0x1
	s_load_b32 s9, s[0:1], 0x18
	s_load_b128 s[4:7], s[0:1], 0xe8
	s_mov_b32 s34, s15
	s_mov_b32 s56, 0
	s_waitcnt lgkmcnt(0)
	s_abs_i32 s8, s9
	s_cmp_eq_u64 s[6:7], 0
	v_cvt_f32_u32_e32 v1, s8
	s_delay_alu instid0(VALU_DEP_1) | instskip(SKIP_2) | instid1(VALU_DEP_1)
	v_rcp_iflag_f32_e32 v1, v1
	s_waitcnt_depctr 0xfff
	v_mul_f32_e32 v1, 0x4f7ffffe, v1
	v_cvt_u32_f32_e32 v1, v1
	s_delay_alu instid0(VALU_DEP_1)
	v_readfirstlane_b32 s10, v1
	s_cbranch_scc1 .LBB145_2
; %bb.1:
	v_mov_b32_e32 v1, 0
	s_ashr_i32 s3, s14, 31
	s_add_u32 s2, s6, s14
	s_addc_u32 s3, s7, s3
	global_load_u8 v1, v1, s[2:3]
	s_waitcnt vmcnt(0)
	v_and_b32_e32 v1, 1, v1
	s_delay_alu instid0(VALU_DEP_1)
	v_cmp_eq_u32_e64 s56, 1, v1
.LBB145_2:
	s_load_b64 s[6:7], s[0:1], 0x20
	s_cmp_eq_u64 s[4:5], 0
	s_cbranch_scc1 .LBB145_4
; %bb.3:
	s_ashr_i32 s15, s14, 31
	s_delay_alu instid0(SALU_CYCLE_1) | instskip(NEXT) | instid1(SALU_CYCLE_1)
	s_lshl_b64 s[2:3], s[14:15], 2
	s_add_u32 s2, s4, s2
	s_addc_u32 s3, s5, s3
	s_load_b32 s2, s[2:3], 0x0
	s_waitcnt lgkmcnt(0)
	s_ashr_i32 s3, s2, 31
	s_delay_alu instid0(SALU_CYCLE_1)
	s_cmp_eq_u64 s[6:7], s[2:3]
	s_cbranch_scc0 .LBB145_5
	s_branch .LBB145_100
.LBB145_4:
	s_mov_b32 s2, s14
	s_delay_alu instid0(SALU_CYCLE_1)
	s_ashr_i32 s3, s2, 31
	s_waitcnt lgkmcnt(0)
	s_cmp_eq_u64 s[6:7], s[2:3]
	s_cbranch_scc1 .LBB145_100
.LBB145_5:
	s_clause 0x1
	s_load_b512 s[16:31], s[0:1], 0x88
	s_load_b64 s[52:53], s[0:1], 0x8
	s_mov_b32 s57, 0
	s_mov_b32 s58, 0
	s_waitcnt lgkmcnt(0)
	s_cmp_eq_u64 s[22:23], 0
	s_cbranch_scc1 .LBB145_7
; %bb.6:
	s_ashr_i32 s35, s34, 31
	s_delay_alu instid0(SALU_CYCLE_1) | instskip(NEXT) | instid1(SALU_CYCLE_1)
	s_lshl_b64 s[4:5], s[34:35], 2
	s_add_u32 s4, s22, s4
	s_addc_u32 s5, s23, s5
	s_load_b32 s58, s[4:5], 0x0
.LBB145_7:
	s_cmp_eq_u64 s[28:29], 0
	s_cbranch_scc1 .LBB145_9
; %bb.8:
	s_ashr_i32 s35, s34, 31
	s_delay_alu instid0(SALU_CYCLE_1) | instskip(NEXT) | instid1(SALU_CYCLE_1)
	s_lshl_b64 s[4:5], s[34:35], 2
	s_add_u32 s4, s28, s4
	s_addc_u32 s5, s29, s5
	s_load_b32 s57, s[4:5], 0x0
.LBB145_9:
	s_cmp_lt_i32 s52, 1
	s_cbranch_scc1 .LBB145_100
; %bb.10:
	s_sub_i32 s3, 0, s8
	s_load_b256 s[36:43], s[0:1], 0x4c
	s_mul_i32 s3, s3, s10
	s_abs_i32 s4, s34
	s_mul_hi_u32 s3, s10, s3
	s_ashr_i32 s6, s9, 31
	s_add_i32 s10, s10, s3
	s_ashr_i32 s3, s34, 31
	s_mul_hi_u32 s5, s4, s10
	s_xor_b32 s3, s3, s6
	s_mul_i32 s7, s5, s8
	s_add_i32 s6, s5, 1
	s_sub_i32 s4, s4, s7
	s_load_b256 s[44:51], s[0:1], 0x2c
	s_sub_i32 s7, s4, s8
	s_cmp_ge_u32 s4, s8
	s_mov_b32 s55, 0
	s_cselect_b32 s5, s6, s5
	s_cselect_b32 s4, s7, s4
	s_add_i32 s6, s5, 1
	s_cmp_ge_u32 s4, s8
	s_waitcnt lgkmcnt(0)
	s_mul_i32 s54, s38, s14
	s_cselect_b32 s6, s6, s5
	s_lshl_b64 s[4:5], s[54:55], 2
	s_xor_b32 s6, s6, s3
	s_mul_i32 s54, s39, s34
	s_sub_i32 s3, s6, s3
	s_add_u32 s6, s24, s4
	s_addc_u32 s7, s25, s5
	s_lshl_b64 s[4:5], s[54:55], 2
	s_mul_i32 s54, s40, s14
	s_add_u32 s51, s6, s4
	s_addc_u32 s59, s7, s5
	s_lshl_b64 s[4:5], s[54:55], 2
	s_mul_i32 s54, s41, s34
	;; [unrolled: 4-line block ×3, first 2 shown]
	s_add_u32 s60, s6, s4
	s_addc_u32 s44, s7, s5
	s_clause 0x2
	s_load_b64 s[6:7], s[0:1], 0x7c
	s_load_b32 s64, s[0:1], 0x84
	s_load_b128 s[24:27], s[0:1], 0xc8
	s_lshl_b64 s[4:5], s[54:55], 2
	s_mul_i32 s54, s46, s14
	s_add_u32 s61, s16, s4
	s_addc_u32 s62, s17, s5
	s_lshl_b64 s[4:5], s[54:55], 2
	s_mul_i32 s54, s3, s49
	s_add_u32 s8, s18, s4
	s_addc_u32 s9, s19, s5
	;; [unrolled: 4-line block ×4, first 2 shown]
	s_load_b64 s[20:21], s[0:1], 0xd8
	s_lshl_b64 s[4:5], s[54:55], 2
	s_waitcnt lgkmcnt(0)
	s_mul_i32 s54, s2, s6
	s_add_u32 s37, s8, s4
	s_addc_u32 s63, s3, s5
	s_lshl_b64 s[2:3], s[54:55], 2
	v_dual_mov_b32 v98, 0 :: v_dual_lshlrev_b32 v1, 2, v0
	s_mul_i32 s54, s7, s34
	s_add_u32 s4, s24, s2
	s_addc_u32 s5, s25, s3
	s_lshl_b64 s[2:3], s[54:55], 2
	s_load_b128 s[16:19], s[0:1], 0x6c
	s_add_u32 s65, s4, s2
	s_load_b32 s4, s[0:1], 0x28
	v_mbcnt_lo_u32_b32 v2, -1, 0
	v_and_b32_e32 v1, 0x80, v1
	v_and_b32_e32 v8, 32, v0
	s_addc_u32 s66, s5, s3
	s_add_i32 s2, s52, 0x7ff
	v_lshlrev_b32_e32 v108, 4, v0
	v_or_b32_e32 v3, v2, v1
	v_lshrrev_b32_e32 v6, 5, v1
	s_lshr_b32 s67, s2, 11
	v_or_b32_e32 v9, v2, v8
	v_cmp_gt_u32_e64 s10, 2, v0
	v_or_b32_e32 v4, 32, v3
	v_or_b32_e32 v5, 64, v3
	;; [unrolled: 1-line block ×3, first 2 shown]
	v_add_nc_u32_e32 v6, v6, v3
	v_cmp_gt_u32_e64 s0, 0x100, v3
	v_cmp_gt_u32_e64 s1, 0x100, v4
	;; [unrolled: 1-line block ×3, first 2 shown]
	v_lshrrev_b32_e32 v4, 5, v4
	v_lshrrev_b32_e32 v5, 5, v5
	v_lshl_add_u32 v99, v6, 4, 0
	v_lshrrev_b32_e32 v6, 5, v7
	s_waitcnt lgkmcnt(0)
	s_bitcmp1_b32 s4, 0
	v_cmp_gt_u32_e64 s3, 0x100, v7
	v_add_lshl_u32 v4, v4, v3, 4
	v_add_lshl_u32 v5, v5, v3, 4
	v_lshlrev_b32_e32 v7, 2, v9
	v_bfe_u32 v9, v9, 3, 27
	v_add_lshl_u32 v3, v6, v3, 4
	s_cselect_b32 s68, -1, 0
	s_cmp_gt_i32 s53, 0
	v_add_nc_u32_e32 v100, 0, v4
	s_cselect_b32 s69, -1, 0
	s_add_i32 s4, 0, 0x1080
	v_add_lshl_u32 v6, v9, v7, 4
	v_add_nc_u32_e32 v102, 0, v3
	v_add_nc_u32_e32 v106, s4, v3
	v_and_b32_e32 v3, 15, v2
	s_and_b32 s5, s52, 0x3ff
	v_add_nc_u32_e32 v104, s4, v4
	v_add_nc_u32_e32 v105, s4, v5
	s_cmp_eq_u32 s5, 0
	v_add_nc_u32_e32 v107, s4, v6
	v_cmp_ne_u32_e64 s4, 0, v3
	v_cmp_lt_u32_e64 s5, 1, v3
	v_cmp_lt_u32_e64 s6, 3, v3
	;; [unrolled: 1-line block ×3, first 2 shown]
	v_add_nc_u32_e32 v3, -1, v2
	v_lshrrev_b32_e32 v4, 2, v0
	s_mul_i32 s54, s16, s14
	v_add_nc_u32_e32 v103, 0, v6
	s_cselect_b32 s70, -1, 0
	v_cmp_gt_i32_e32 vcc_lo, 0, v3
	s_lshl_b64 s[22:23], s[54:55], 2
	v_and_b32_e32 v4, 8, v4
	s_add_i32 s71, s67, -1
	s_mul_i32 s54, s17, s34
	v_cndmask_b32_e32 v3, v3, v2, vcc_lo
	v_or_b32_e32 v6, 31, v8
	s_add_u32 s24, s30, s22
	s_addc_u32 s17, s31, s23
	s_lshl_b64 s[22:23], s[54:55], 2
	v_lshl_add_u32 v110, v0, 3, 0
	v_cmp_eq_u32_e64 s9, v6, v0
	v_cmp_gt_u32_e64 s12, 32, v0
	v_cmp_lt_u32_e64 s13, 31, v0
	v_cmp_eq_u32_e64 s15, 0, v0
	s_mul_i32 s54, s42, s14
	v_lshlrev_b32_e32 v0, 4, v2
	s_add_u32 s24, s24, s22
	v_add_nc_u32_e32 v101, 0, v5
	v_and_b32_e32 v5, 16, v2
	v_add_nc_u32_e32 v109, 0, v4
	v_and_b32_e32 v4, 1, v2
	s_addc_u32 s17, s17, s23
	s_lshl_b64 s[22:23], s[54:55], 2
	s_mul_i32 s54, s43, s34
	s_add_u32 s25, s26, s22
	v_lshlrev_b32_e32 v111, 2, v3
	s_addc_u32 s26, s27, s23
	s_lshl_b64 s[22:23], s[54:55], 2
	v_add_co_u32 v3, s24, s24, v0
	s_mul_i32 s54, s18, s14
	v_cmp_ne_u32_e64 s8, 0, v5
	v_cmp_eq_u32_e64 s11, 0, v4
	v_add_co_ci_u32_e64 v4, null, s17, 0, s24
	s_add_u32 s17, s25, s22
	v_lshlrev_b32_e32 v5, 4, v1
	s_addc_u32 s14, s26, s23
	s_lshl_b64 s[22:23], s[54:55], 2
	s_mul_i32 s54, s19, s34
	s_add_u32 s20, s20, s22
	s_addc_u32 s21, s21, s23
	s_lshl_b64 s[18:19], s[54:55], 2
	v_add_co_u32 v112, vcc_lo, v3, v5
	v_add_co_u32 v3, s17, s17, v0
	s_add_u32 s18, s20, s18
	v_add_co_ci_u32_e32 v113, vcc_lo, 0, v4, vcc_lo
	v_add_co_ci_u32_e64 v4, null, s14, 0, s17
	s_addc_u32 s19, s21, s19
	v_add_co_u32 v0, s14, s18, v0
	s_delay_alu instid0(VALU_DEP_1) | instskip(SKIP_2) | instid1(VALU_DEP_4)
	v_add_co_ci_u32_e64 v6, null, s19, 0, s14
	v_add_co_u32 v114, vcc_lo, v3, v5
	v_add_co_ci_u32_e32 v115, vcc_lo, 0, v4, vcc_lo
	v_add_co_u32 v116, vcc_lo, v0, v5
	v_cmp_eq_u32_e64 s16, 0, v2
	v_add_co_ci_u32_e32 v117, vcc_lo, 0, v6, vcc_lo
	v_or_b32_e32 v118, 1, v108
	v_or_b32_e32 v119, 2, v108
	;; [unrolled: 1-line block ×15, first 2 shown]
	v_lshlrev_b32_e32 v133, 4, v1
	v_lshlrev_b32_e32 v134, 4, v2
	s_mov_b32 s72, 0x3e9b6dac
	s_add_i32 s73, 0, 0x2110
	s_mov_b32 s74, 0
                                        ; implicit-def: $vgpr3
                                        ; implicit-def: $vgpr7
                                        ; implicit-def: $vgpr19
                                        ; implicit-def: $vgpr35
                                        ; implicit-def: $vgpr36
                                        ; implicit-def: $vgpr28
                                        ; implicit-def: $vgpr20
                                        ; implicit-def: $vgpr8
                                        ; implicit-def: $vgpr15
                                        ; implicit-def: $vgpr27
                                        ; implicit-def: $vgpr43
                                        ; implicit-def: $vgpr47
	s_branch .LBB145_12
.LBB145_11:                             ;   in Loop: Header=BB145_12 Depth=1
	s_or_b32 exec_lo, exec_lo, s14
	s_waitcnt vmcnt(0)
	ds_store_b128 v99, v[44:47]
	ds_store_b128 v100, v[40:43] offset:512
	ds_store_b128 v101, v[24:27] offset:1024
	;; [unrolled: 1-line block ×3, first 2 shown]
	; wave barrier
	ds_load_b128 v[44:47], v103
	ds_load_b128 v[40:43], v103 offset:16
	ds_load_b128 v[24:27], v103 offset:32
	;; [unrolled: 1-line block ×3, first 2 shown]
	s_waitcnt lgkmcnt(0)
	s_barrier
	buffer_gl0_inv
	s_add_u32 s60, s60, 0x1000
	s_addc_u32 s44, s44, 0
	s_add_u32 s51, s51, 0x1000
	s_addc_u32 s59, s59, 0
	;; [unrolled: 2-line block ×4, first 2 shown]
	s_add_i32 s74, s74, 1
	s_delay_alu instid0(SALU_CYCLE_1) | instskip(SKIP_3) | instid1(VALU_DEP_3)
	s_cmp_eq_u32 s74, s67
	v_dual_mul_f32 v64, 0xbfb8aa3b, v44 :: v_dual_mul_f32 v65, 0xbfb8aa3b, v45
	v_dual_mul_f32 v66, 0xbfb8aa3b, v46 :: v_dual_mul_f32 v67, 0xbfb8aa3b, v47
	v_cmp_nlt_f32_e32 vcc_lo, 0x42ce8ed0, v44
	v_rndne_f32_e32 v70, v64
	v_fma_f32 v71, 0xbfb8aa3b, v44, -v64
	v_rndne_f32_e32 v72, v65
	v_fma_f32 v73, 0xbfb8aa3b, v45, -v65
	v_rndne_f32_e32 v74, v66
	s_delay_alu instid0(VALU_DEP_4) | instskip(NEXT) | instid1(VALU_DEP_4)
	v_dual_sub_f32 v64, v64, v70 :: v_dual_fmac_f32 v71, 0xb2a5705f, v44
	v_sub_f32_e32 v65, v65, v72
	v_cvt_i32_f32_e32 v70, v70
	v_fma_f32 v75, 0xbfb8aa3b, v46, -v66
	v_dual_fmac_f32 v73, 0xb2a5705f, v45 :: v_dual_sub_f32 v66, v66, v74
	v_add_f32_e32 v64, v64, v71
	v_dual_mul_f32 v68, 0xbfb8aa3b, v40 :: v_dual_mul_f32 v69, 0xbfb8aa3b, v41
	v_cvt_i32_f32_e32 v71, v72
	v_rndne_f32_e32 v76, v67
	s_delay_alu instid0(VALU_DEP_4) | instskip(NEXT) | instid1(VALU_DEP_3)
	v_exp_f32_e32 v64, v64
	v_rndne_f32_e32 v78, v68
	v_fma_f32 v77, 0xbfb8aa3b, v47, -v67
	v_fma_f32 v79, 0xbfb8aa3b, v40, -v68
	v_sub_f32_e32 v67, v67, v76
	v_cvt_i32_f32_e32 v72, v74
	v_sub_f32_e32 v68, v68, v78
	v_rndne_f32_e32 v80, v69
	v_fma_f32 v81, 0xbfb8aa3b, v41, -v69
	s_delay_alu instid0(TRANS32_DEP_1) | instskip(SKIP_2) | instid1(VALU_DEP_3)
	v_ldexp_f32 v64, v64, v70
	v_fmac_f32_e32 v75, 0xb2a5705f, v46
	v_cvt_i32_f32_e32 v70, v78
	v_dual_cndmask_b32 v64, 0, v64 :: v_dual_add_f32 v65, v65, v73
	s_delay_alu instid0(VALU_DEP_3) | instskip(SKIP_2) | instid1(VALU_DEP_4)
	v_add_f32_e32 v66, v66, v75
	v_cmp_nlt_f32_e32 vcc_lo, 0x42ce8ed0, v45
	v_cvt_i32_f32_e32 v73, v76
	v_exp_f32_e32 v65, v65
	s_delay_alu instid0(VALU_DEP_3) | instskip(SKIP_3) | instid1(VALU_DEP_2)
	v_exp_f32_e32 v66, v66
	s_waitcnt_depctr 0xfff
	v_ldexp_f32 v65, v65, v71
	v_ldexp_f32 v66, v66, v72
	v_cndmask_b32_e32 v65, 0, v65, vcc_lo
	v_cmp_ngt_f32_e32 vcc_lo, 0xc2b17218, v44
	v_cndmask_b32_e32 v64, 0x7f800000, v64, vcc_lo
	v_cmp_ngt_f32_e32 vcc_lo, 0xc2b17218, v45
	s_delay_alu instid0(VALU_DEP_4) | instskip(SKIP_1) | instid1(VALU_DEP_2)
	v_cndmask_b32_e32 v65, 0x7f800000, v65, vcc_lo
	v_cmp_nlt_f32_e32 vcc_lo, 0x42ce8ed0, v46
	v_add_f32_e32 v65, 1.0, v65
	v_dual_fmac_f32 v77, 0xb2a5705f, v47 :: v_dual_add_f32 v64, 1.0, v64
	v_cndmask_b32_e32 v66, 0, v66, vcc_lo
	v_cmp_nlt_f32_e32 vcc_lo, 0x42ce8ed0, v47
	s_delay_alu instid0(VALU_DEP_4) | instskip(NEXT) | instid1(VALU_DEP_4)
	v_div_scale_f32 v72, null, v65, v65, v45
	v_add_f32_e32 v67, v67, v77
	v_div_scale_f32 v71, null, v64, v64, v44
	s_delay_alu instid0(VALU_DEP_3) | instskip(NEXT) | instid1(VALU_DEP_2)
	v_rcp_f32_e32 v74, v72
	v_exp_f32_e32 v67, v67
	s_waitcnt_depctr 0xfff
	v_fma_f32 v78, -v72, v74, 1.0
	v_ldexp_f32 v67, v67, v73
	v_rcp_f32_e32 v73, v71
	s_delay_alu instid0(VALU_DEP_2) | instskip(SKIP_2) | instid1(VALU_DEP_1)
	v_fmac_f32_e32 v74, v78, v74
	s_waitcnt_depctr 0xfff
	v_fma_f32 v76, -v71, v73, 1.0
	v_fmac_f32_e32 v73, v76, v73
	v_cndmask_b32_e32 v67, 0, v67, vcc_lo
	v_cmp_ngt_f32_e32 vcc_lo, 0xc2b17218, v46
	v_dual_sub_f32 v69, v69, v80 :: v_dual_cndmask_b32 v66, 0x7f800000, v66
	v_fmac_f32_e32 v79, 0xb2a5705f, v40
	v_cmp_ngt_f32_e32 vcc_lo, 0xc2b17218, v47
	s_delay_alu instid0(VALU_DEP_3) | instskip(NEXT) | instid1(VALU_DEP_3)
	v_add_f32_e32 v66, 1.0, v66
	v_add_f32_e32 v68, v68, v79
	v_div_scale_f32 v79, s14, v45, v65, v45
	v_cndmask_b32_e32 v67, 0x7f800000, v67, vcc_lo
	s_delay_alu instid0(VALU_DEP_4) | instskip(NEXT) | instid1(VALU_DEP_3)
	v_div_scale_f32 v77, null, v66, v66, v46
	v_mul_f32_e32 v82, v79, v74
	v_div_scale_f32 v75, vcc_lo, v44, v64, v44
	s_delay_alu instid0(VALU_DEP_3) | instskip(SKIP_1) | instid1(VALU_DEP_2)
	v_rcp_f32_e32 v76, v77
	v_exp_f32_e32 v68, v68
	v_fma_f32 v86, -v72, v82, v79
	v_fmac_f32_e32 v81, 0xb2a5705f, v41
	v_div_scale_f32 v83, s17, v46, v66, v46
	s_delay_alu instid0(VALU_DEP_2) | instskip(SKIP_4) | instid1(VALU_DEP_3)
	v_dual_fmac_f32 v82, v86, v74 :: v_dual_add_f32 v69, v69, v81
	s_waitcnt_depctr 0xfff
	v_fma_f32 v85, -v77, v76, 1.0
	v_ldexp_f32 v68, v68, v70
	v_fma_f32 v72, -v72, v82, v79
	v_fmac_f32_e32 v76, v85, v76
	v_mul_f32_e32 v78, v75, v73
	s_delay_alu instid0(VALU_DEP_1) | instskip(NEXT) | instid1(VALU_DEP_1)
	v_fma_f32 v84, -v71, v78, v75
	v_dual_add_f32 v67, 1.0, v67 :: v_dual_fmac_f32 v78, v84, v73
	s_delay_alu instid0(VALU_DEP_1) | instskip(NEXT) | instid1(VALU_DEP_2)
	v_div_scale_f32 v87, null, v67, v67, v47
	v_fma_f32 v71, -v71, v78, v75
	s_delay_alu instid0(VALU_DEP_2) | instskip(NEXT) | instid1(VALU_DEP_1)
	v_rcp_f32_e32 v70, v87
	v_div_fmas_f32 v71, v71, v73, v78
	v_cmp_nlt_f32_e32 vcc_lo, 0x42ce8ed0, v40
	s_delay_alu instid0(VALU_DEP_2)
	v_div_fixup_f32 v64, v71, v64, v44
	v_cndmask_b32_e32 v68, 0, v68, vcc_lo
	s_mov_b32 vcc_lo, s14
	s_waitcnt_depctr 0xfff
	v_fma_f32 v73, -v87, v70, 1.0
	v_mul_f32_e32 v75, v83, v76
	v_div_fmas_f32 v72, v72, v74, v82
	v_mul_f32_e32 v60, v60, v64
	v_cmp_ngt_f32_e32 vcc_lo, 0xc2b17218, v40
	v_fmac_f32_e32 v70, v73, v70
	v_fma_f32 v71, -v77, v75, v83
	v_div_fixup_f32 v64, v72, v65, v45
	v_exp_f32_e32 v65, v69
	v_cvt_i32_f32_e32 v69, v80
	v_div_scale_f32 v73, s14, v47, v67, v47
	v_fmac_f32_e32 v75, v71, v76
	v_mul_f32_e32 v71, 0xbfb8aa3b, v42
	v_mul_f32_e32 v61, v61, v64
	s_waitcnt_depctr 0xfff
	v_ldexp_f32 v65, v65, v69
	v_rndne_f32_e32 v69, v71
	v_cndmask_b32_e32 v68, 0x7f800000, v68, vcc_lo
	v_fma_f32 v74, 0xbfb8aa3b, v42, -v71
	v_cmp_nlt_f32_e32 vcc_lo, 0x42ce8ed0, v41
	s_delay_alu instid0(VALU_DEP_3) | instskip(NEXT) | instid1(VALU_DEP_3)
	v_dual_sub_f32 v71, v71, v69 :: v_dual_add_f32 v68, 1.0, v68
	v_dual_fmac_f32 v74, 0xb2a5705f, v42 :: v_dual_cndmask_b32 v65, 0, v65
	v_cmp_ngt_f32_e32 vcc_lo, 0xc2b17218, v41
	v_fma_f32 v77, -v77, v75, v83
	s_delay_alu instid0(VALU_DEP_4) | instskip(NEXT) | instid1(VALU_DEP_4)
	v_div_scale_f32 v72, null, v68, v68, v40
	v_add_f32_e32 v71, v71, v74
	v_cvt_i32_f32_e32 v69, v69
	s_delay_alu instid0(VALU_DEP_3) | instskip(SKIP_1) | instid1(VALU_DEP_3)
	v_rcp_f32_e32 v78, v72
	v_cndmask_b32_e32 v65, 0x7f800000, v65, vcc_lo
	v_exp_f32_e32 v71, v71
	s_mov_b32 vcc_lo, s17
	v_div_fmas_f32 v74, v77, v76, v75
	v_cmp_nlt_f32_e32 vcc_lo, 0x42ce8ed0, v42
	s_waitcnt_depctr 0xfff
	v_fma_f32 v75, -v72, v78, 1.0
	v_div_fixup_f32 v66, v74, v66, v46
	v_ldexp_f32 v64, v71, v69
	v_mul_f32_e32 v79, v73, v70
	s_delay_alu instid0(VALU_DEP_4) | instskip(SKIP_1) | instid1(VALU_DEP_4)
	v_fmac_f32_e32 v78, v75, v78
	v_div_scale_f32 v75, s17, v40, v68, v40
	v_cndmask_b32_e32 v64, 0, v64, vcc_lo
	s_delay_alu instid0(VALU_DEP_4)
	v_fma_f32 v76, -v87, v79, v73
	v_cmp_ngt_f32_e32 vcc_lo, 0xc2b17218, v42
	v_add_f32_e32 v65, 1.0, v65
	v_mul_f32_e32 v69, v75, v78
	v_mul_f32_e32 v62, v62, v66
	v_dual_cndmask_b32 v64, 0x7f800000, v64 :: v_dual_fmac_f32 v79, v76, v70
	s_delay_alu instid0(VALU_DEP_4) | instskip(SKIP_1) | instid1(VALU_DEP_2)
	v_div_scale_f32 v77, null, v65, v65, v41
	s_mov_b32 vcc_lo, s14
	v_add_f32_e32 v64, 1.0, v64
	s_delay_alu instid0(VALU_DEP_3) | instskip(SKIP_2) | instid1(VALU_DEP_2)
	v_fma_f32 v71, -v87, v79, v73
	v_fma_f32 v73, -v72, v69, v75
	v_rcp_f32_e32 v80, v77
	v_div_fmas_f32 v70, v71, v70, v79
	s_delay_alu instid0(VALU_DEP_2) | instskip(SKIP_2) | instid1(VALU_DEP_4)
	v_fmac_f32_e32 v69, v73, v78
	v_div_scale_f32 v79, null, v64, v64, v42
	v_mul_f32_e32 v71, 0xbfb8aa3b, v43
	v_div_fixup_f32 v66, v70, v67, v47
	v_mul_f32_e32 v70, 0xbfb8aa3b, v24
	v_fma_f32 v72, -v72, v69, v75
	v_rcp_f32_e32 v81, v79
	s_mov_b32 vcc_lo, s17
	v_fma_f32 v74, -v77, v80, 1.0
	v_fma_f32 v76, 0xbfb8aa3b, v43, -v71
	v_div_fmas_f32 v69, v72, v78, v69
	v_mul_f32_e32 v78, 0xbfb8aa3b, v27
	s_delay_alu instid0(VALU_DEP_4) | instskip(SKIP_1) | instid1(VALU_DEP_4)
	v_fmac_f32_e32 v80, v74, v80
	v_rndne_f32_e32 v74, v71
	v_div_fixup_f32 v67, v69, v68, v40
	s_delay_alu instid0(TRANS32_DEP_1) | instskip(SKIP_2) | instid1(VALU_DEP_3)
	v_fma_f32 v69, -v79, v81, 1.0
	v_fmac_f32_e32 v76, 0xb2a5705f, v43
	v_div_scale_f32 v73, s14, v41, v65, v41
	v_dual_mul_f32 v56, v56, v67 :: v_dual_fmac_f32 v81, v69, v81
	v_div_scale_f32 v69, s17, v42, v64, v42
	v_sub_f32_e32 v71, v71, v74
	s_mov_b32 vcc_lo, s14
	v_cmp_nlt_f32_e64 s14, 0x42ce8ed0, v25
	s_delay_alu instid0(VALU_DEP_2) | instskip(NEXT) | instid1(VALU_DEP_1)
	v_add_f32_e32 v71, v71, v76
	v_exp_f32_e32 v68, v71
	v_rndne_f32_e32 v71, v70
	v_mul_f32_e32 v63, v63, v66
	v_cvt_i32_f32_e32 v66, v74
	v_mul_f32_e32 v74, 0xbfb8aa3b, v26
	s_delay_alu instid0(VALU_DEP_1) | instskip(SKIP_4) | instid1(VALU_DEP_2)
	v_rndne_f32_e32 v76, v74
	s_waitcnt_depctr 0xfff
	v_ldexp_f32 v66, v68, v66
	v_mul_f32_e32 v75, v73, v80
	v_mul_f32_e32 v68, v69, v81
	v_fma_f32 v72, -v77, v75, v73
	s_delay_alu instid0(VALU_DEP_1) | instskip(SKIP_1) | instid1(VALU_DEP_2)
	v_fmac_f32_e32 v75, v72, v80
	v_fma_f32 v72, 0xbfb8aa3b, v24, -v70
	v_fma_f32 v67, -v77, v75, v73
	s_delay_alu instid0(VALU_DEP_2) | instskip(SKIP_1) | instid1(VALU_DEP_3)
	v_fmac_f32_e32 v72, 0xb2a5705f, v24
	v_fma_f32 v77, 0xbfb8aa3b, v26, -v74
	v_div_fmas_f32 v67, v67, v80, v75
	v_cmp_nlt_f32_e32 vcc_lo, 0x42ce8ed0, v43
	s_delay_alu instid0(VALU_DEP_3) | instskip(SKIP_1) | instid1(VALU_DEP_4)
	v_fmac_f32_e32 v77, 0xb2a5705f, v26
	v_rndne_f32_e32 v80, v78
	v_div_fixup_f32 v65, v67, v65, v41
	v_cndmask_b32_e32 v66, 0, v66, vcc_lo
	v_cmp_ngt_f32_e32 vcc_lo, 0xc2b17218, v43
	v_fma_f32 v67, -v79, v68, v69
	s_delay_alu instid0(VALU_DEP_3) | instskip(NEXT) | instid1(VALU_DEP_2)
	v_dual_mul_f32 v57, v57, v65 :: v_dual_cndmask_b32 v66, 0x7f800000, v66
	v_fmac_f32_e32 v68, v67, v81
	s_mov_b32 vcc_lo, s17
	v_mul_f32_e32 v67, 0xbfb8aa3b, v25
	s_delay_alu instid0(VALU_DEP_3) | instskip(NEXT) | instid1(VALU_DEP_3)
	v_dual_add_f32 v65, 1.0, v66 :: v_dual_sub_f32 v66, v70, v71
	v_fma_f32 v69, -v79, v68, v69
	s_delay_alu instid0(VALU_DEP_3) | instskip(NEXT) | instid1(VALU_DEP_3)
	v_fma_f32 v73, 0xbfb8aa3b, v25, -v67
	v_div_scale_f32 v70, null, v65, v65, v43
	s_delay_alu instid0(VALU_DEP_4) | instskip(NEXT) | instid1(VALU_DEP_4)
	v_add_f32_e32 v66, v66, v72
	v_div_fmas_f32 v68, v69, v81, v68
	v_cvt_i32_f32_e32 v69, v71
	v_rndne_f32_e32 v72, v67
	v_cmp_nlt_f32_e32 vcc_lo, 0x42ce8ed0, v24
	v_exp_f32_e32 v66, v66
	v_rcp_f32_e32 v75, v70
	v_div_fixup_f32 v64, v68, v64, v42
	v_fma_f32 v81, 0xbfb8aa3b, v27, -v78
	v_sub_f32_e32 v78, v78, v80
	s_delay_alu instid0(VALU_DEP_2) | instskip(SKIP_4) | instid1(VALU_DEP_3)
	v_dual_mul_f32 v58, v58, v64 :: v_dual_fmac_f32 v81, 0xb2a5705f, v27
	s_waitcnt_depctr 0xfff
	v_ldexp_f32 v66, v66, v69
	v_sub_f32_e32 v67, v67, v72
	v_fma_f32 v68, -v70, v75, 1.0
	v_cndmask_b32_e32 v66, 0, v66, vcc_lo
	v_cmp_ngt_f32_e32 vcc_lo, 0xc2b17218, v24
	v_sub_f32_e32 v71, v74, v76
	s_delay_alu instid0(VALU_DEP_3) | instskip(SKIP_1) | instid1(VALU_DEP_3)
	v_dual_fmac_f32 v75, v68, v75 :: v_dual_cndmask_b32 v66, 0x7f800000, v66
	v_fmac_f32_e32 v73, 0xb2a5705f, v25
	v_add_f32_e32 v69, v71, v77
	v_cvt_i32_f32_e32 v71, v72
	s_delay_alu instid0(VALU_DEP_3) | instskip(NEXT) | instid1(VALU_DEP_1)
	v_dual_add_f32 v66, 1.0, v66 :: v_dual_add_f32 v67, v67, v73
	v_exp_f32_e32 v67, v67
	s_waitcnt_depctr 0xfff
	v_ldexp_f32 v67, v67, v71
	v_div_scale_f32 v71, vcc_lo, v43, v65, v43
	s_delay_alu instid0(VALU_DEP_2) | instskip(NEXT) | instid1(VALU_DEP_2)
	v_cndmask_b32_e64 v67, 0, v67, s14
	v_mul_f32_e32 v72, v71, v75
	v_cmp_ngt_f32_e64 s14, 0xc2b17218, v25
	s_delay_alu instid0(VALU_DEP_2) | instskip(NEXT) | instid1(VALU_DEP_2)
	v_fma_f32 v74, -v70, v72, v71
	v_cndmask_b32_e64 v67, 0x7f800000, v67, s14
	v_cmp_nlt_f32_e64 s14, 0x42ce8ed0, v26
	s_delay_alu instid0(VALU_DEP_3) | instskip(SKIP_3) | instid1(VALU_DEP_3)
	v_fmac_f32_e32 v72, v74, v75
	v_exp_f32_e32 v68, v69
	v_cvt_i32_f32_e32 v69, v76
	v_add_f32_e32 v67, 1.0, v67
	v_fma_f32 v70, -v70, v72, v71
	s_delay_alu instid0(VALU_DEP_2) | instskip(NEXT) | instid1(VALU_DEP_2)
	v_div_scale_f32 v76, null, v67, v67, v25
	v_div_fmas_f32 v70, v70, v75, v72
	s_waitcnt_depctr 0xfff
	v_ldexp_f32 v68, v68, v69
	v_div_scale_f32 v69, null, v66, v66, v24
	v_rcp_f32_e32 v74, v76
	v_div_fixup_f32 v65, v70, v65, v43
	s_delay_alu instid0(VALU_DEP_3)
	v_cndmask_b32_e64 v68, 0, v68, s14
	v_cmp_ngt_f32_e64 s14, 0xc2b17218, v26
	v_rcp_f32_e32 v73, v69
	v_cvt_i32_f32_e32 v70, v80
	v_mul_f32_e32 v59, v59, v65
	v_cmp_nlt_f32_e32 vcc_lo, 0x42ce8ed0, v27
	v_cndmask_b32_e64 v68, 0x7f800000, v68, s14
	s_delay_alu instid0(TRANS32_DEP_2) | instskip(NEXT) | instid1(VALU_DEP_2)
	v_fma_f32 v82, -v76, v74, 1.0
	v_add_f32_e32 v64, 1.0, v68
	s_delay_alu instid0(TRANS32_DEP_1) | instskip(NEXT) | instid1(VALU_DEP_3)
	v_fma_f32 v68, -v69, v73, 1.0
	v_fmac_f32_e32 v74, v82, v74
	v_div_scale_f32 v82, s17, v25, v67, v25
	s_delay_alu instid0(VALU_DEP_4) | instskip(NEXT) | instid1(VALU_DEP_4)
	v_div_scale_f32 v77, null, v64, v64, v26
	v_fmac_f32_e32 v73, v68, v73
	v_div_scale_f32 v68, s14, v24, v66, v24
	s_delay_alu instid0(VALU_DEP_3) | instskip(SKIP_4) | instid1(VALU_DEP_3)
	v_rcp_f32_e32 v79, v77
	s_waitcnt_depctr 0xfff
	v_fma_f32 v83, -v77, v79, 1.0
	v_add_f32_e32 v78, v78, v81
	v_div_scale_f32 v81, s18, v26, v64, v26
	v_fmac_f32_e32 v79, v83, v79
	v_mul_f32_e32 v71, v68, v73
	s_delay_alu instid0(VALU_DEP_4) | instskip(NEXT) | instid1(VALU_DEP_2)
	v_exp_f32_e32 v78, v78
	v_mul_f32_e32 v80, v81, v79
	s_delay_alu instid0(VALU_DEP_2) | instskip(NEXT) | instid1(VALU_DEP_1)
	v_fma_f32 v72, -v69, v71, v68
	v_fmac_f32_e32 v71, v72, v73
	s_waitcnt_depctr 0xfff
	v_ldexp_f32 v65, v78, v70
	v_fma_f32 v68, -v69, v71, v68
	v_fma_f32 v69, -v77, v80, v81
	v_mul_f32_e32 v75, v82, v74
	s_delay_alu instid0(VALU_DEP_4) | instskip(SKIP_1) | instid1(VALU_DEP_3)
	v_cndmask_b32_e32 v65, 0, v65, vcc_lo
	s_mov_b32 vcc_lo, s14
	v_fmac_f32_e32 v80, v69, v79
	s_delay_alu instid0(VALU_DEP_3) | instskip(SKIP_2) | instid1(VALU_DEP_4)
	v_fma_f32 v72, -v76, v75, v82
	v_div_fmas_f32 v68, v68, v73, v71
	v_cmp_ngt_f32_e32 vcc_lo, 0xc2b17218, v27
	v_fma_f32 v71, -v77, v80, v81
	s_delay_alu instid0(VALU_DEP_4) | instskip(NEXT) | instid1(VALU_DEP_4)
	v_fmac_f32_e32 v75, v72, v74
	v_div_fixup_f32 v66, v68, v66, v24
	s_delay_alu instid0(VALU_DEP_2)
	v_fma_f32 v70, -v76, v75, v82
	v_mul_f32_e32 v76, 0xbfb8aa3b, v15
	v_cndmask_b32_e32 v65, 0x7f800000, v65, vcc_lo
	s_mov_b32 vcc_lo, s17
	v_mul_f32_e32 v52, v52, v66
	v_div_fmas_f32 v70, v70, v74, v75
	s_mov_b32 vcc_lo, s18
	v_div_fmas_f32 v71, v71, v79, v80
	v_cmp_nlt_f32_e32 vcc_lo, 0x42ce8ed0, v12
	s_delay_alu instid0(VALU_DEP_3) | instskip(SKIP_1) | instid1(VALU_DEP_4)
	v_div_fixup_f32 v67, v70, v67, v25
	v_mul_f32_e32 v70, 0xbfb8aa3b, v13
	v_div_fixup_f32 v64, v71, v64, v26
	s_delay_alu instid0(VALU_DEP_3) | instskip(NEXT) | instid1(VALU_DEP_3)
	v_mul_f32_e32 v53, v53, v67
	v_rndne_f32_e32 v66, v70
	v_fma_f32 v67, 0xbfb8aa3b, v13, -v70
	s_delay_alu instid0(VALU_DEP_4) | instskip(NEXT) | instid1(VALU_DEP_2)
	v_mul_f32_e32 v54, v54, v64
	v_dual_sub_f32 v70, v70, v66 :: v_dual_fmac_f32 v67, 0xb2a5705f, v13
	v_cvt_i32_f32_e32 v66, v66
	s_delay_alu instid0(VALU_DEP_2) | instskip(SKIP_1) | instid1(VALU_DEP_2)
	v_add_f32_e32 v67, v70, v67
	v_rndne_f32_e32 v70, v76
	v_exp_f32_e32 v67, v67
	s_waitcnt_depctr 0xfff
	v_ldexp_f32 v66, v67, v66
	v_mul_f32_e32 v69, 0xbfb8aa3b, v12
	s_delay_alu instid0(VALU_DEP_1) | instskip(SKIP_1) | instid1(VALU_DEP_2)
	v_rndne_f32_e32 v72, v69
	v_fma_f32 v73, 0xbfb8aa3b, v12, -v69
	v_sub_f32_e32 v69, v69, v72
	s_delay_alu instid0(VALU_DEP_2) | instskip(SKIP_1) | instid1(VALU_DEP_2)
	v_fmac_f32_e32 v73, 0xb2a5705f, v12
	v_cvt_i32_f32_e32 v72, v72
	v_add_f32_e32 v69, v69, v73
	s_delay_alu instid0(VALU_DEP_1) | instskip(SKIP_1) | instid1(VALU_DEP_1)
	v_exp_f32_e32 v64, v69
	v_mul_f32_e32 v69, 0xbfb8aa3b, v14
	v_rndne_f32_e32 v73, v69
	v_fma_f32 v75, 0xbfb8aa3b, v14, -v69
	s_waitcnt_depctr 0xfff
	v_ldexp_f32 v64, v64, v72
	v_sub_f32_e32 v69, v69, v73
	v_fmac_f32_e32 v75, 0xb2a5705f, v14
	v_fma_f32 v72, 0xbfb8aa3b, v15, -v76
	s_delay_alu instid0(VALU_DEP_4) | instskip(SKIP_1) | instid1(VALU_DEP_4)
	v_cndmask_b32_e32 v64, 0, v64, vcc_lo
	v_cmp_ngt_f32_e32 vcc_lo, 0xc2b17218, v12
	v_add_f32_e32 v69, v69, v75
	s_delay_alu instid0(VALU_DEP_4) | instskip(SKIP_2) | instid1(VALU_DEP_4)
	v_dual_sub_f32 v75, v76, v70 :: v_dual_fmac_f32 v72, 0xb2a5705f, v15
	v_cvt_i32_f32_e32 v70, v70
	v_cndmask_b32_e32 v64, 0x7f800000, v64, vcc_lo
	v_exp_f32_e32 v69, v69
	v_cmp_nlt_f32_e32 vcc_lo, 0x42ce8ed0, v13
	v_dual_add_f32 v72, v75, v72 :: v_dual_add_f32 v65, 1.0, v65
	s_delay_alu instid0(VALU_DEP_3) | instskip(SKIP_2) | instid1(VALU_DEP_4)
	v_add_f32_e32 v64, 1.0, v64
	v_cndmask_b32_e32 v66, 0, v66, vcc_lo
	v_cmp_nlt_f32_e32 vcc_lo, 0x42ce8ed0, v14
	v_div_scale_f32 v74, null, v65, v65, v27
	v_exp_f32_e32 v67, v72
	v_div_scale_f32 v72, null, v64, v64, v12
	s_delay_alu instid0(VALU_DEP_2) | instskip(SKIP_4) | instid1(VALU_DEP_1)
	v_rcp_f32_e32 v68, v74
	s_waitcnt_depctr 0xfff
	v_ldexp_f32 v67, v67, v70
	v_rcp_f32_e32 v70, v72
	v_fma_f32 v71, -v74, v68, 1.0
	v_fmac_f32_e32 v68, v71, v68
	v_cvt_i32_f32_e32 v71, v73
	s_waitcnt_depctr 0xfff
	v_fma_f32 v77, -v72, v70, 1.0
	v_ldexp_f32 v69, v69, v71
	s_delay_alu instid0(VALU_DEP_2) | instskip(SKIP_1) | instid1(VALU_DEP_3)
	v_fmac_f32_e32 v70, v77, v70
	v_div_scale_f32 v77, s14, v12, v64, v12
	v_cndmask_b32_e32 v69, 0, v69, vcc_lo
	v_cmp_ngt_f32_e32 vcc_lo, 0xc2b17218, v13
	s_delay_alu instid0(VALU_DEP_3) | instskip(SKIP_2) | instid1(VALU_DEP_2)
	v_mul_f32_e32 v85, v77, v70
	v_cndmask_b32_e32 v66, 0x7f800000, v66, vcc_lo
	v_cmp_ngt_f32_e32 vcc_lo, 0xc2b17218, v14
	v_dual_add_f32 v66, 1.0, v66 :: v_dual_cndmask_b32 v69, 0x7f800000, v69
	v_cmp_nlt_f32_e32 vcc_lo, 0x42ce8ed0, v15
	s_delay_alu instid0(VALU_DEP_2) | instskip(SKIP_3) | instid1(VALU_DEP_4)
	v_div_scale_f32 v71, null, v66, v66, v13
	v_cndmask_b32_e32 v67, 0, v67, vcc_lo
	v_cmp_ngt_f32_e32 vcc_lo, 0xc2b17218, v15
	v_add_f32_e32 v69, 1.0, v69
	v_rcp_f32_e32 v76, v71
	s_delay_alu instid0(VALU_DEP_3) | instskip(NEXT) | instid1(VALU_DEP_2)
	v_cndmask_b32_e32 v67, 0x7f800000, v67, vcc_lo
	v_div_scale_f32 v73, null, v69, v69, v14
	v_div_scale_f32 v75, vcc_lo, v27, v65, v27
	s_delay_alu instid0(VALU_DEP_3) | instskip(NEXT) | instid1(VALU_DEP_3)
	v_add_f32_e32 v67, 1.0, v67
	v_rcp_f32_e32 v78, v73
	s_waitcnt_depctr 0xfff
	v_fma_f32 v81, -v71, v76, 1.0
	v_mul_f32_e32 v79, v75, v68
	v_div_scale_f32 v80, null, v67, v67, v15
	s_delay_alu instid0(VALU_DEP_3) | instskip(NEXT) | instid1(VALU_DEP_3)
	v_fmac_f32_e32 v76, v81, v76
	v_fma_f32 v83, -v74, v79, v75
	v_div_scale_f32 v81, s17, v13, v66, v13
	s_delay_alu instid0(VALU_DEP_4) | instskip(SKIP_1) | instid1(VALU_DEP_3)
	v_rcp_f32_e32 v82, v80
	v_fma_f32 v84, -v73, v78, 1.0
	v_fmac_f32_e32 v79, v83, v68
	s_delay_alu instid0(VALU_DEP_3) | instskip(SKIP_1) | instid1(VALU_DEP_4)
	v_mul_f32_e32 v87, v81, v76
	v_fma_f32 v83, -v72, v85, v77
	v_fmac_f32_e32 v78, v84, v78
	v_div_scale_f32 v84, s18, v14, v69, v14
	v_fma_f32 v74, -v74, v79, v75
	s_delay_alu instid0(TRANS32_DEP_1) | instskip(SKIP_1) | instid1(VALU_DEP_4)
	v_fma_f32 v86, -v80, v82, 1.0
	v_fma_f32 v75, -v71, v87, v81
	v_mul_f32_e32 v88, v84, v78
	v_fmac_f32_e32 v85, v83, v70
	v_div_fmas_f32 v68, v74, v68, v79
	v_fmac_f32_e32 v82, v86, v82
	v_div_scale_f32 v86, s19, v15, v67, v15
	v_fma_f32 v83, -v73, v88, v84
	v_fmac_f32_e32 v87, v75, v76
	v_fma_f32 v72, -v72, v85, v77
	s_delay_alu instid0(VALU_DEP_4)
	v_mul_f32_e32 v89, v86, v82
	s_mov_b32 vcc_lo, s14
	v_fmac_f32_e32 v88, v83, v78
	v_fma_f32 v71, -v71, v87, v81
	v_div_fmas_f32 v70, v72, v70, v85
	v_fma_f32 v74, -v80, v89, v86
	s_mov_b32 vcc_lo, s17
	v_fma_f32 v72, -v73, v88, v84
	v_div_fmas_f32 v71, v71, v76, v87
	s_mov_b32 vcc_lo, s18
	v_fmac_f32_e32 v89, v74, v82
	v_div_fixup_f32 v65, v68, v65, v27
	v_div_fmas_f32 v72, v72, v78, v88
	s_mov_b32 vcc_lo, s19
	v_div_fixup_f32 v64, v70, v64, v12
	v_fma_f32 v73, -v80, v89, v86
	v_div_fixup_f32 v66, v71, v66, v13
	v_div_fixup_f32 v68, v72, v69, v14
	s_delay_alu instid0(VALU_DEP_4) | instskip(NEXT) | instid1(VALU_DEP_4)
	v_dual_mul_f32 v55, v55, v65 :: v_dual_mul_f32 v48, v48, v64
	v_div_fmas_f32 v73, v73, v82, v89
	s_delay_alu instid0(VALU_DEP_3) | instskip(SKIP_1) | instid1(VALU_DEP_3)
	v_dual_mul_f32 v49, v49, v66 :: v_dual_mul_f32 v50, v50, v68
	v_add_co_u32 v64, vcc_lo, v116, s20
	v_div_fixup_f32 v67, v73, v67, v15
	v_add_co_ci_u32_e32 v65, vcc_lo, s21, v117, vcc_lo
	s_delay_alu instid0(VALU_DEP_2)
	v_mul_f32_e32 v51, v51, v67
	ds_store_b128 v103, v[60:63]
	ds_store_b128 v103, v[56:59] offset:16
	ds_store_b128 v103, v[52:55] offset:32
	;; [unrolled: 1-line block ×3, first 2 shown]
	; wave barrier
	ds_load_b128 v[48:51], v99
	ds_load_b128 v[52:55], v100 offset:512
	ds_load_b128 v[56:59], v101 offset:1024
	;; [unrolled: 1-line block ×3, first 2 shown]
	s_waitcnt lgkmcnt(3)
	global_store_b128 v[64:65], v[48:51], off
	s_waitcnt lgkmcnt(2)
	global_store_b128 v[64:65], v[52:55], off offset:512
	s_waitcnt lgkmcnt(1)
	global_store_b128 v[64:65], v[56:59], off offset:1024
	;; [unrolled: 2-line block ×3, first 2 shown]
	s_cbranch_scc1 .LBB145_100
.LBB145_12:                             ; =>This Loop Header: Depth=1
                                        ;     Child Loop BB145_57 Depth 2
	v_add_co_u32 v48, s14, s51, v134
	s_delay_alu instid0(VALU_DEP_1) | instskip(NEXT) | instid1(VALU_DEP_2)
	v_add_co_ci_u32_e64 v49, null, s59, 0, s14
	v_add_co_u32 v48, vcc_lo, v48, v133
	s_delay_alu instid0(VALU_DEP_2)
	v_add_co_ci_u32_e32 v49, vcc_lo, 0, v49, vcc_lo
	s_waitcnt_vscnt null, 0x0
	s_barrier
	buffer_gl0_inv
	s_and_saveexec_b32 s14, s0
	s_cbranch_execnz .LBB145_90
; %bb.13:                               ;   in Loop: Header=BB145_12 Depth=1
	s_or_b32 exec_lo, exec_lo, s14
	s_and_saveexec_b32 s14, s1
	s_cbranch_execnz .LBB145_91
.LBB145_14:                             ;   in Loop: Header=BB145_12 Depth=1
	s_or_b32 exec_lo, exec_lo, s14
	s_and_saveexec_b32 s14, s2
	s_cbranch_execnz .LBB145_92
.LBB145_15:                             ;   in Loop: Header=BB145_12 Depth=1
	s_or_b32 exec_lo, exec_lo, s14
	s_and_saveexec_b32 s14, s3
	s_cbranch_execz .LBB145_17
.LBB145_16:                             ;   in Loop: Header=BB145_12 Depth=1
	global_load_b128 v[8:11], v[48:49], off offset:1536
.LBB145_17:                             ;   in Loop: Header=BB145_12 Depth=1
	s_or_b32 exec_lo, exec_lo, s14
	s_waitcnt vmcnt(0)
	ds_store_b128 v99, v[36:39]
	ds_store_b128 v100, v[28:31] offset:512
	ds_store_b128 v101, v[20:23] offset:1024
	;; [unrolled: 1-line block ×3, first 2 shown]
	; wave barrier
	ds_load_b128 v[36:39], v103
	ds_load_b128 v[28:31], v103 offset:16
	ds_load_b128 v[20:23], v103 offset:32
	ds_load_b128 v[8:11], v103 offset:48
	v_add_co_u32 v48, s14, s60, v134
	s_delay_alu instid0(VALU_DEP_1) | instskip(SKIP_1) | instid1(VALU_DEP_2)
	v_add_co_ci_u32_e64 v49, null, s44, 0, s14
	s_waitcnt lgkmcnt(0)
	v_add_co_u32 v48, vcc_lo, v48, v133
	s_delay_alu instid0(VALU_DEP_2)
	v_add_co_ci_u32_e32 v49, vcc_lo, 0, v49, vcc_lo
	s_barrier
	buffer_gl0_inv
	s_and_saveexec_b32 s14, s0
	s_cbranch_execnz .LBB145_93
; %bb.18:                               ;   in Loop: Header=BB145_12 Depth=1
	s_or_b32 exec_lo, exec_lo, s14
	s_and_saveexec_b32 s14, s1
	s_cbranch_execnz .LBB145_94
.LBB145_19:                             ;   in Loop: Header=BB145_12 Depth=1
	s_or_b32 exec_lo, exec_lo, s14
	s_and_saveexec_b32 s14, s2
	s_cbranch_execnz .LBB145_95
.LBB145_20:                             ;   in Loop: Header=BB145_12 Depth=1
	s_or_b32 exec_lo, exec_lo, s14
	s_and_saveexec_b32 s14, s3
	s_cbranch_execz .LBB145_22
.LBB145_21:                             ;   in Loop: Header=BB145_12 Depth=1
	global_load_b128 v[0:3], v[48:49], off offset:1536
.LBB145_22:                             ;   in Loop: Header=BB145_12 Depth=1
	s_or_b32 exec_lo, exec_lo, s14
	s_waitcnt vmcnt(0)
	ds_store_b128 v99, v[32:35]
	ds_store_b128 v100, v[16:19] offset:512
	ds_store_b128 v101, v[4:7] offset:1024
	;; [unrolled: 1-line block ×3, first 2 shown]
	; wave barrier
	ds_load_b128 v[32:35], v103
	ds_load_b128 v[16:19], v103 offset:16
	ds_load_b128 v[4:7], v103 offset:32
	;; [unrolled: 1-line block ×3, first 2 shown]
	s_waitcnt lgkmcnt(3)
	v_add_f32_e32 v135, s57, v32
	s_delay_alu instid0(VALU_DEP_1) | instskip(SKIP_1) | instid1(SALU_CYCLE_1)
	v_cmp_ge_f32_e32 vcc_lo, 0x41a00000, v135
	s_and_b32 s14, s68, vcc_lo
	s_and_saveexec_b32 s17, s14
	s_cbranch_execz .LBB145_24
; %bb.23:                               ;   in Loop: Header=BB145_12 Depth=1
	v_mul_f32_e32 v48, 0x3fb8aa3b, v135
	v_cmp_ngt_f32_e32 vcc_lo, 0xc2ce8ed0, v135
	s_delay_alu instid0(VALU_DEP_2) | instskip(SKIP_1) | instid1(VALU_DEP_2)
	v_rndne_f32_e32 v49, v48
	v_fma_f32 v50, 0x3fb8aa3b, v135, -v48
	v_sub_f32_e32 v48, v48, v49
	s_delay_alu instid0(VALU_DEP_2) | instskip(SKIP_1) | instid1(VALU_DEP_2)
	v_fmac_f32_e32 v50, 0x32a5705f, v135
	v_cvt_i32_f32_e32 v49, v49
	v_add_f32_e32 v48, v48, v50
	s_delay_alu instid0(VALU_DEP_1) | instskip(SKIP_2) | instid1(VALU_DEP_1)
	v_exp_f32_e32 v48, v48
	s_waitcnt_depctr 0xfff
	v_ldexp_f32 v48, v48, v49
	v_cndmask_b32_e32 v48, 0, v48, vcc_lo
	v_cmp_nlt_f32_e32 vcc_lo, 0x42b17218, v135
	s_delay_alu instid0(VALU_DEP_2) | instskip(NEXT) | instid1(VALU_DEP_1)
	v_cndmask_b32_e32 v50, 0x7f800000, v48, vcc_lo
	v_add_f32_e32 v51, 1.0, v50
	s_delay_alu instid0(VALU_DEP_1) | instskip(NEXT) | instid1(VALU_DEP_1)
	v_cvt_f64_f32_e32 v[48:49], v51
	v_frexp_exp_i32_f64_e32 v48, v[48:49]
	v_frexp_mant_f32_e32 v49, v51
	s_delay_alu instid0(VALU_DEP_1) | instskip(SKIP_1) | instid1(VALU_DEP_1)
	v_cmp_gt_f32_e32 vcc_lo, 0x3f2aaaab, v49
	v_add_f32_e32 v49, -1.0, v51
	v_sub_f32_e32 v53, v49, v51
	v_sub_f32_e32 v49, v50, v49
	s_delay_alu instid0(VALU_DEP_2) | instskip(NEXT) | instid1(VALU_DEP_1)
	v_add_f32_e32 v53, 1.0, v53
	v_add_f32_e32 v49, v49, v53
	v_cmp_gt_f32_e64 s14, 0x33800000, v50
	v_subrev_co_ci_u32_e32 v48, vcc_lo, 0, v48, vcc_lo
	v_cmp_eq_f32_e32 vcc_lo, 0x7f800000, v50
	s_delay_alu instid0(VALU_DEP_2) | instskip(SKIP_2) | instid1(VALU_DEP_2)
	v_sub_nc_u32_e32 v52, 0, v48
	v_cvt_f32_i32_e32 v48, v48
	s_or_b32 vcc_lo, s14, vcc_lo
	v_ldexp_f32 v51, v51, v52
	v_ldexp_f32 v49, v49, v52
	s_delay_alu instid0(VALU_DEP_2) | instskip(NEXT) | instid1(VALU_DEP_1)
	v_add_f32_e32 v54, 1.0, v51
	v_dual_add_f32 v52, -1.0, v51 :: v_dual_add_f32 v53, -1.0, v54
	s_delay_alu instid0(VALU_DEP_1) | instskip(NEXT) | instid1(VALU_DEP_2)
	v_add_f32_e32 v55, 1.0, v52
	v_sub_f32_e32 v53, v51, v53
	s_delay_alu instid0(VALU_DEP_2) | instskip(NEXT) | instid1(VALU_DEP_2)
	v_sub_f32_e32 v51, v51, v55
	v_add_f32_e32 v53, v49, v53
	s_delay_alu instid0(VALU_DEP_2) | instskip(NEXT) | instid1(VALU_DEP_1)
	v_add_f32_e32 v49, v49, v51
	v_add_f32_e32 v56, v52, v49
	s_delay_alu instid0(VALU_DEP_1) | instskip(NEXT) | instid1(VALU_DEP_1)
	v_dual_add_f32 v55, v54, v53 :: v_dual_sub_f32 v52, v52, v56
	v_rcp_f32_e32 v51, v55
	v_sub_f32_e32 v54, v54, v55
	s_delay_alu instid0(VALU_DEP_1) | instskip(SKIP_2) | instid1(VALU_DEP_1)
	v_add_f32_e32 v53, v53, v54
	s_waitcnt_depctr 0xfff
	v_mul_f32_e32 v57, v56, v51
	v_mul_f32_e32 v58, v55, v57
	s_delay_alu instid0(VALU_DEP_1) | instskip(NEXT) | instid1(VALU_DEP_1)
	v_fma_f32 v54, v57, v55, -v58
	v_fmac_f32_e32 v54, v57, v53
	s_delay_alu instid0(VALU_DEP_1) | instskip(NEXT) | instid1(VALU_DEP_1)
	v_add_f32_e32 v59, v58, v54
	v_sub_f32_e32 v60, v56, v59
	s_delay_alu instid0(VALU_DEP_1) | instskip(SKIP_1) | instid1(VALU_DEP_2)
	v_sub_f32_e32 v56, v56, v60
	v_dual_add_f32 v49, v49, v52 :: v_dual_sub_f32 v52, v59, v58
	v_sub_f32_e32 v56, v56, v59
	s_delay_alu instid0(VALU_DEP_1) | instskip(NEXT) | instid1(VALU_DEP_1)
	v_dual_sub_f32 v52, v52, v54 :: v_dual_add_f32 v49, v49, v56
	v_add_f32_e32 v49, v52, v49
	s_delay_alu instid0(VALU_DEP_1) | instskip(NEXT) | instid1(VALU_DEP_1)
	v_add_f32_e32 v52, v60, v49
	v_mul_f32_e32 v54, v51, v52
	s_delay_alu instid0(VALU_DEP_1) | instskip(NEXT) | instid1(VALU_DEP_1)
	v_dual_sub_f32 v59, v60, v52 :: v_dual_mul_f32 v56, v55, v54
	v_add_f32_e32 v49, v49, v59
	s_delay_alu instid0(VALU_DEP_2) | instskip(NEXT) | instid1(VALU_DEP_1)
	v_fma_f32 v55, v54, v55, -v56
	v_fmac_f32_e32 v55, v54, v53
	s_delay_alu instid0(VALU_DEP_1) | instskip(NEXT) | instid1(VALU_DEP_1)
	v_add_f32_e32 v53, v56, v55
	v_sub_f32_e32 v58, v52, v53
	s_delay_alu instid0(VALU_DEP_1) | instskip(NEXT) | instid1(VALU_DEP_1)
	v_sub_f32_e32 v52, v52, v58
	v_sub_f32_e32 v52, v52, v53
	s_delay_alu instid0(VALU_DEP_1) | instskip(SKIP_2) | instid1(VALU_DEP_1)
	v_add_f32_e32 v49, v49, v52
	v_add_f32_e32 v52, v57, v54
	v_sub_f32_e32 v56, v53, v56
	v_sub_f32_e32 v53, v56, v55
	s_delay_alu instid0(VALU_DEP_1) | instskip(NEXT) | instid1(VALU_DEP_4)
	v_add_f32_e32 v49, v53, v49
	v_sub_f32_e32 v53, v52, v57
	s_delay_alu instid0(VALU_DEP_2) | instskip(NEXT) | instid1(VALU_DEP_2)
	v_add_f32_e32 v49, v58, v49
	v_sub_f32_e32 v53, v54, v53
	s_delay_alu instid0(VALU_DEP_2) | instskip(NEXT) | instid1(VALU_DEP_1)
	v_mul_f32_e32 v49, v51, v49
	v_add_f32_e32 v49, v53, v49
	s_delay_alu instid0(VALU_DEP_1) | instskip(NEXT) | instid1(VALU_DEP_1)
	v_add_f32_e32 v51, v52, v49
	v_mul_f32_e32 v53, v51, v51
	s_delay_alu instid0(VALU_DEP_1) | instskip(SKIP_1) | instid1(VALU_DEP_2)
	v_fmaak_f32 v54, s72, v53, 0x3ecc95a3
	v_mul_f32_e32 v55, v51, v53
	v_fmaak_f32 v53, v53, v54, 0x3f2aaada
	v_ldexp_f32 v54, v51, 1
	s_delay_alu instid0(VALU_DEP_2) | instskip(SKIP_1) | instid1(VALU_DEP_2)
	v_mul_f32_e32 v53, v55, v53
	v_sub_f32_e32 v51, v51, v52
	v_dual_mul_f32 v55, 0x3f317218, v48 :: v_dual_add_f32 v52, v54, v53
	s_delay_alu instid0(VALU_DEP_2) | instskip(NEXT) | instid1(VALU_DEP_2)
	v_sub_f32_e32 v49, v49, v51
	v_sub_f32_e32 v51, v52, v54
	s_delay_alu instid0(VALU_DEP_3) | instskip(NEXT) | instid1(VALU_DEP_3)
	v_fma_f32 v54, 0x3f317218, v48, -v55
	v_ldexp_f32 v49, v49, 1
	s_delay_alu instid0(VALU_DEP_2) | instskip(NEXT) | instid1(VALU_DEP_1)
	v_dual_sub_f32 v51, v53, v51 :: v_dual_fmac_f32 v54, 0xb102e308, v48
	v_dual_add_f32 v48, v49, v51 :: v_dual_add_f32 v49, v55, v54
	s_delay_alu instid0(VALU_DEP_1) | instskip(NEXT) | instid1(VALU_DEP_1)
	v_add_f32_e32 v51, v52, v48
	v_dual_add_f32 v53, v49, v51 :: v_dual_sub_f32 v52, v51, v52
	s_delay_alu instid0(VALU_DEP_1) | instskip(NEXT) | instid1(VALU_DEP_2)
	v_sub_f32_e32 v56, v53, v49
	v_dual_sub_f32 v55, v49, v55 :: v_dual_sub_f32 v48, v48, v52
	s_delay_alu instid0(VALU_DEP_1) | instskip(SKIP_1) | instid1(VALU_DEP_2)
	v_dual_sub_f32 v57, v53, v56 :: v_dual_sub_f32 v54, v54, v55
	v_sub_f32_e32 v51, v51, v56
	v_dual_sub_f32 v49, v49, v57 :: v_dual_add_f32 v52, v54, v48
	s_delay_alu instid0(VALU_DEP_1) | instskip(NEXT) | instid1(VALU_DEP_2)
	v_add_f32_e32 v49, v51, v49
	v_sub_f32_e32 v51, v52, v54
	s_delay_alu instid0(VALU_DEP_2) | instskip(NEXT) | instid1(VALU_DEP_2)
	v_add_f32_e32 v49, v52, v49
	v_sub_f32_e32 v52, v52, v51
	s_delay_alu instid0(VALU_DEP_2) | instskip(NEXT) | instid1(VALU_DEP_1)
	v_dual_sub_f32 v48, v48, v51 :: v_dual_add_f32 v55, v53, v49
	v_dual_sub_f32 v52, v54, v52 :: v_dual_sub_f32 v51, v55, v53
	s_delay_alu instid0(VALU_DEP_1) | instskip(NEXT) | instid1(VALU_DEP_1)
	v_dual_add_f32 v48, v48, v52 :: v_dual_sub_f32 v49, v49, v51
	v_add_f32_e32 v48, v48, v49
	s_delay_alu instid0(VALU_DEP_1) | instskip(NEXT) | instid1(VALU_DEP_1)
	v_add_f32_e32 v48, v55, v48
	v_cndmask_b32_e32 v135, v48, v50, vcc_lo
.LBB145_24:                             ;   in Loop: Header=BB145_12 Depth=1
	s_or_b32 exec_lo, exec_lo, s17
	v_add_f32_e32 v136, s57, v33
	s_delay_alu instid0(VALU_DEP_1) | instskip(SKIP_1) | instid1(SALU_CYCLE_1)
	v_cmp_ge_f32_e32 vcc_lo, 0x41a00000, v136
	s_and_b32 s14, s68, vcc_lo
	s_and_saveexec_b32 s17, s14
	s_cbranch_execz .LBB145_26
; %bb.25:                               ;   in Loop: Header=BB145_12 Depth=1
	v_mul_f32_e32 v48, 0x3fb8aa3b, v136
	v_cmp_ngt_f32_e32 vcc_lo, 0xc2ce8ed0, v136
	s_delay_alu instid0(VALU_DEP_2) | instskip(SKIP_1) | instid1(VALU_DEP_2)
	v_rndne_f32_e32 v49, v48
	v_fma_f32 v50, 0x3fb8aa3b, v136, -v48
	v_sub_f32_e32 v48, v48, v49
	s_delay_alu instid0(VALU_DEP_2) | instskip(SKIP_1) | instid1(VALU_DEP_2)
	v_fmac_f32_e32 v50, 0x32a5705f, v136
	v_cvt_i32_f32_e32 v49, v49
	v_add_f32_e32 v48, v48, v50
	s_delay_alu instid0(VALU_DEP_1) | instskip(SKIP_2) | instid1(VALU_DEP_1)
	v_exp_f32_e32 v48, v48
	s_waitcnt_depctr 0xfff
	v_ldexp_f32 v48, v48, v49
	v_cndmask_b32_e32 v48, 0, v48, vcc_lo
	v_cmp_nlt_f32_e32 vcc_lo, 0x42b17218, v136
	s_delay_alu instid0(VALU_DEP_2) | instskip(NEXT) | instid1(VALU_DEP_1)
	v_cndmask_b32_e32 v50, 0x7f800000, v48, vcc_lo
	v_add_f32_e32 v51, 1.0, v50
	s_delay_alu instid0(VALU_DEP_1) | instskip(NEXT) | instid1(VALU_DEP_1)
	v_cvt_f64_f32_e32 v[48:49], v51
	v_frexp_exp_i32_f64_e32 v48, v[48:49]
	v_frexp_mant_f32_e32 v49, v51
	s_delay_alu instid0(VALU_DEP_1) | instskip(SKIP_1) | instid1(VALU_DEP_1)
	v_cmp_gt_f32_e32 vcc_lo, 0x3f2aaaab, v49
	v_add_f32_e32 v49, -1.0, v51
	v_sub_f32_e32 v53, v49, v51
	v_sub_f32_e32 v49, v50, v49
	s_delay_alu instid0(VALU_DEP_2) | instskip(NEXT) | instid1(VALU_DEP_1)
	v_add_f32_e32 v53, 1.0, v53
	v_add_f32_e32 v49, v49, v53
	v_cmp_gt_f32_e64 s14, 0x33800000, v50
	v_subrev_co_ci_u32_e32 v48, vcc_lo, 0, v48, vcc_lo
	v_cmp_eq_f32_e32 vcc_lo, 0x7f800000, v50
	s_delay_alu instid0(VALU_DEP_2) | instskip(SKIP_2) | instid1(VALU_DEP_2)
	v_sub_nc_u32_e32 v52, 0, v48
	v_cvt_f32_i32_e32 v48, v48
	s_or_b32 vcc_lo, s14, vcc_lo
	v_ldexp_f32 v51, v51, v52
	v_ldexp_f32 v49, v49, v52
	s_delay_alu instid0(VALU_DEP_2) | instskip(NEXT) | instid1(VALU_DEP_1)
	v_add_f32_e32 v54, 1.0, v51
	v_dual_add_f32 v52, -1.0, v51 :: v_dual_add_f32 v53, -1.0, v54
	s_delay_alu instid0(VALU_DEP_1) | instskip(NEXT) | instid1(VALU_DEP_2)
	v_add_f32_e32 v55, 1.0, v52
	v_sub_f32_e32 v53, v51, v53
	s_delay_alu instid0(VALU_DEP_2) | instskip(NEXT) | instid1(VALU_DEP_2)
	v_sub_f32_e32 v51, v51, v55
	v_add_f32_e32 v53, v49, v53
	s_delay_alu instid0(VALU_DEP_2) | instskip(NEXT) | instid1(VALU_DEP_1)
	v_add_f32_e32 v49, v49, v51
	v_add_f32_e32 v56, v52, v49
	s_delay_alu instid0(VALU_DEP_1) | instskip(NEXT) | instid1(VALU_DEP_1)
	v_dual_add_f32 v55, v54, v53 :: v_dual_sub_f32 v52, v52, v56
	v_rcp_f32_e32 v51, v55
	v_sub_f32_e32 v54, v54, v55
	s_delay_alu instid0(VALU_DEP_1) | instskip(SKIP_2) | instid1(VALU_DEP_1)
	v_add_f32_e32 v53, v53, v54
	s_waitcnt_depctr 0xfff
	v_mul_f32_e32 v57, v56, v51
	v_mul_f32_e32 v58, v55, v57
	s_delay_alu instid0(VALU_DEP_1) | instskip(NEXT) | instid1(VALU_DEP_1)
	v_fma_f32 v54, v57, v55, -v58
	v_fmac_f32_e32 v54, v57, v53
	s_delay_alu instid0(VALU_DEP_1) | instskip(NEXT) | instid1(VALU_DEP_1)
	v_add_f32_e32 v59, v58, v54
	v_sub_f32_e32 v60, v56, v59
	s_delay_alu instid0(VALU_DEP_1) | instskip(SKIP_1) | instid1(VALU_DEP_2)
	v_sub_f32_e32 v56, v56, v60
	v_dual_add_f32 v49, v49, v52 :: v_dual_sub_f32 v52, v59, v58
	v_sub_f32_e32 v56, v56, v59
	s_delay_alu instid0(VALU_DEP_1) | instskip(NEXT) | instid1(VALU_DEP_1)
	v_dual_sub_f32 v52, v52, v54 :: v_dual_add_f32 v49, v49, v56
	v_add_f32_e32 v49, v52, v49
	s_delay_alu instid0(VALU_DEP_1) | instskip(NEXT) | instid1(VALU_DEP_1)
	v_add_f32_e32 v52, v60, v49
	v_mul_f32_e32 v54, v51, v52
	s_delay_alu instid0(VALU_DEP_1) | instskip(NEXT) | instid1(VALU_DEP_1)
	v_dual_sub_f32 v59, v60, v52 :: v_dual_mul_f32 v56, v55, v54
	v_add_f32_e32 v49, v49, v59
	s_delay_alu instid0(VALU_DEP_2) | instskip(NEXT) | instid1(VALU_DEP_1)
	v_fma_f32 v55, v54, v55, -v56
	v_fmac_f32_e32 v55, v54, v53
	s_delay_alu instid0(VALU_DEP_1) | instskip(NEXT) | instid1(VALU_DEP_1)
	v_add_f32_e32 v53, v56, v55
	v_sub_f32_e32 v58, v52, v53
	s_delay_alu instid0(VALU_DEP_1) | instskip(NEXT) | instid1(VALU_DEP_1)
	v_sub_f32_e32 v52, v52, v58
	v_sub_f32_e32 v52, v52, v53
	s_delay_alu instid0(VALU_DEP_1) | instskip(SKIP_2) | instid1(VALU_DEP_1)
	v_add_f32_e32 v49, v49, v52
	v_add_f32_e32 v52, v57, v54
	v_sub_f32_e32 v56, v53, v56
	v_sub_f32_e32 v53, v56, v55
	s_delay_alu instid0(VALU_DEP_1) | instskip(NEXT) | instid1(VALU_DEP_4)
	v_add_f32_e32 v49, v53, v49
	v_sub_f32_e32 v53, v52, v57
	s_delay_alu instid0(VALU_DEP_2) | instskip(NEXT) | instid1(VALU_DEP_2)
	v_add_f32_e32 v49, v58, v49
	v_sub_f32_e32 v53, v54, v53
	s_delay_alu instid0(VALU_DEP_2) | instskip(NEXT) | instid1(VALU_DEP_1)
	v_mul_f32_e32 v49, v51, v49
	v_add_f32_e32 v49, v53, v49
	s_delay_alu instid0(VALU_DEP_1) | instskip(NEXT) | instid1(VALU_DEP_1)
	v_add_f32_e32 v51, v52, v49
	v_mul_f32_e32 v53, v51, v51
	s_delay_alu instid0(VALU_DEP_1) | instskip(SKIP_1) | instid1(VALU_DEP_2)
	v_fmaak_f32 v54, s72, v53, 0x3ecc95a3
	v_mul_f32_e32 v55, v51, v53
	v_fmaak_f32 v53, v53, v54, 0x3f2aaada
	v_ldexp_f32 v54, v51, 1
	s_delay_alu instid0(VALU_DEP_2) | instskip(SKIP_1) | instid1(VALU_DEP_2)
	v_mul_f32_e32 v53, v55, v53
	v_sub_f32_e32 v51, v51, v52
	v_dual_mul_f32 v55, 0x3f317218, v48 :: v_dual_add_f32 v52, v54, v53
	s_delay_alu instid0(VALU_DEP_2) | instskip(NEXT) | instid1(VALU_DEP_2)
	v_sub_f32_e32 v49, v49, v51
	v_sub_f32_e32 v51, v52, v54
	s_delay_alu instid0(VALU_DEP_3) | instskip(NEXT) | instid1(VALU_DEP_3)
	v_fma_f32 v54, 0x3f317218, v48, -v55
	v_ldexp_f32 v49, v49, 1
	s_delay_alu instid0(VALU_DEP_2) | instskip(NEXT) | instid1(VALU_DEP_1)
	v_dual_sub_f32 v51, v53, v51 :: v_dual_fmac_f32 v54, 0xb102e308, v48
	v_dual_add_f32 v48, v49, v51 :: v_dual_add_f32 v49, v55, v54
	s_delay_alu instid0(VALU_DEP_1) | instskip(NEXT) | instid1(VALU_DEP_1)
	v_add_f32_e32 v51, v52, v48
	v_dual_add_f32 v53, v49, v51 :: v_dual_sub_f32 v52, v51, v52
	s_delay_alu instid0(VALU_DEP_1) | instskip(NEXT) | instid1(VALU_DEP_2)
	v_sub_f32_e32 v56, v53, v49
	v_dual_sub_f32 v55, v49, v55 :: v_dual_sub_f32 v48, v48, v52
	s_delay_alu instid0(VALU_DEP_1) | instskip(SKIP_1) | instid1(VALU_DEP_2)
	v_dual_sub_f32 v57, v53, v56 :: v_dual_sub_f32 v54, v54, v55
	v_sub_f32_e32 v51, v51, v56
	v_dual_sub_f32 v49, v49, v57 :: v_dual_add_f32 v52, v54, v48
	s_delay_alu instid0(VALU_DEP_1) | instskip(NEXT) | instid1(VALU_DEP_2)
	v_add_f32_e32 v49, v51, v49
	v_sub_f32_e32 v51, v52, v54
	s_delay_alu instid0(VALU_DEP_2) | instskip(NEXT) | instid1(VALU_DEP_2)
	v_add_f32_e32 v49, v52, v49
	v_sub_f32_e32 v52, v52, v51
	s_delay_alu instid0(VALU_DEP_2) | instskip(NEXT) | instid1(VALU_DEP_1)
	v_dual_sub_f32 v48, v48, v51 :: v_dual_add_f32 v55, v53, v49
	v_dual_sub_f32 v52, v54, v52 :: v_dual_sub_f32 v51, v55, v53
	s_delay_alu instid0(VALU_DEP_1) | instskip(NEXT) | instid1(VALU_DEP_1)
	v_dual_add_f32 v48, v48, v52 :: v_dual_sub_f32 v49, v49, v51
	v_add_f32_e32 v48, v48, v49
	s_delay_alu instid0(VALU_DEP_1) | instskip(NEXT) | instid1(VALU_DEP_1)
	v_add_f32_e32 v48, v55, v48
	v_cndmask_b32_e32 v136, v48, v50, vcc_lo
.LBB145_26:                             ;   in Loop: Header=BB145_12 Depth=1
	s_or_b32 exec_lo, exec_lo, s17
	v_add_f32_e32 v137, s57, v34
	s_delay_alu instid0(VALU_DEP_1) | instskip(SKIP_1) | instid1(SALU_CYCLE_1)
	v_cmp_ge_f32_e32 vcc_lo, 0x41a00000, v137
	s_and_b32 s14, s68, vcc_lo
	s_and_saveexec_b32 s17, s14
	s_cbranch_execz .LBB145_28
; %bb.27:                               ;   in Loop: Header=BB145_12 Depth=1
	v_mul_f32_e32 v48, 0x3fb8aa3b, v137
	v_cmp_ngt_f32_e32 vcc_lo, 0xc2ce8ed0, v137
	s_delay_alu instid0(VALU_DEP_2) | instskip(SKIP_1) | instid1(VALU_DEP_2)
	v_rndne_f32_e32 v49, v48
	v_fma_f32 v50, 0x3fb8aa3b, v137, -v48
	v_sub_f32_e32 v48, v48, v49
	s_delay_alu instid0(VALU_DEP_2) | instskip(SKIP_1) | instid1(VALU_DEP_2)
	v_fmac_f32_e32 v50, 0x32a5705f, v137
	v_cvt_i32_f32_e32 v49, v49
	v_add_f32_e32 v48, v48, v50
	s_delay_alu instid0(VALU_DEP_1) | instskip(SKIP_2) | instid1(VALU_DEP_1)
	v_exp_f32_e32 v48, v48
	s_waitcnt_depctr 0xfff
	v_ldexp_f32 v48, v48, v49
	v_cndmask_b32_e32 v48, 0, v48, vcc_lo
	v_cmp_nlt_f32_e32 vcc_lo, 0x42b17218, v137
	s_delay_alu instid0(VALU_DEP_2) | instskip(NEXT) | instid1(VALU_DEP_1)
	v_cndmask_b32_e32 v50, 0x7f800000, v48, vcc_lo
	v_add_f32_e32 v51, 1.0, v50
	s_delay_alu instid0(VALU_DEP_1) | instskip(NEXT) | instid1(VALU_DEP_1)
	v_cvt_f64_f32_e32 v[48:49], v51
	v_frexp_exp_i32_f64_e32 v48, v[48:49]
	v_frexp_mant_f32_e32 v49, v51
	s_delay_alu instid0(VALU_DEP_1) | instskip(SKIP_1) | instid1(VALU_DEP_1)
	v_cmp_gt_f32_e32 vcc_lo, 0x3f2aaaab, v49
	v_add_f32_e32 v49, -1.0, v51
	v_sub_f32_e32 v53, v49, v51
	v_sub_f32_e32 v49, v50, v49
	s_delay_alu instid0(VALU_DEP_2) | instskip(NEXT) | instid1(VALU_DEP_1)
	v_add_f32_e32 v53, 1.0, v53
	v_add_f32_e32 v49, v49, v53
	v_cmp_gt_f32_e64 s14, 0x33800000, v50
	v_subrev_co_ci_u32_e32 v48, vcc_lo, 0, v48, vcc_lo
	v_cmp_eq_f32_e32 vcc_lo, 0x7f800000, v50
	s_delay_alu instid0(VALU_DEP_2) | instskip(SKIP_2) | instid1(VALU_DEP_2)
	v_sub_nc_u32_e32 v52, 0, v48
	v_cvt_f32_i32_e32 v48, v48
	s_or_b32 vcc_lo, s14, vcc_lo
	v_ldexp_f32 v51, v51, v52
	v_ldexp_f32 v49, v49, v52
	s_delay_alu instid0(VALU_DEP_2) | instskip(NEXT) | instid1(VALU_DEP_1)
	v_add_f32_e32 v54, 1.0, v51
	v_dual_add_f32 v52, -1.0, v51 :: v_dual_add_f32 v53, -1.0, v54
	s_delay_alu instid0(VALU_DEP_1) | instskip(NEXT) | instid1(VALU_DEP_2)
	v_add_f32_e32 v55, 1.0, v52
	v_sub_f32_e32 v53, v51, v53
	s_delay_alu instid0(VALU_DEP_2) | instskip(NEXT) | instid1(VALU_DEP_2)
	v_sub_f32_e32 v51, v51, v55
	v_add_f32_e32 v53, v49, v53
	s_delay_alu instid0(VALU_DEP_2) | instskip(NEXT) | instid1(VALU_DEP_1)
	v_add_f32_e32 v49, v49, v51
	v_add_f32_e32 v56, v52, v49
	s_delay_alu instid0(VALU_DEP_1) | instskip(NEXT) | instid1(VALU_DEP_1)
	v_dual_add_f32 v55, v54, v53 :: v_dual_sub_f32 v52, v52, v56
	v_rcp_f32_e32 v51, v55
	v_sub_f32_e32 v54, v54, v55
	s_delay_alu instid0(VALU_DEP_1) | instskip(SKIP_2) | instid1(VALU_DEP_1)
	v_add_f32_e32 v53, v53, v54
	s_waitcnt_depctr 0xfff
	v_mul_f32_e32 v57, v56, v51
	v_mul_f32_e32 v58, v55, v57
	s_delay_alu instid0(VALU_DEP_1) | instskip(NEXT) | instid1(VALU_DEP_1)
	v_fma_f32 v54, v57, v55, -v58
	v_fmac_f32_e32 v54, v57, v53
	s_delay_alu instid0(VALU_DEP_1) | instskip(NEXT) | instid1(VALU_DEP_1)
	v_add_f32_e32 v59, v58, v54
	v_sub_f32_e32 v60, v56, v59
	s_delay_alu instid0(VALU_DEP_1) | instskip(SKIP_1) | instid1(VALU_DEP_2)
	v_sub_f32_e32 v56, v56, v60
	v_dual_add_f32 v49, v49, v52 :: v_dual_sub_f32 v52, v59, v58
	v_sub_f32_e32 v56, v56, v59
	s_delay_alu instid0(VALU_DEP_1) | instskip(NEXT) | instid1(VALU_DEP_1)
	v_dual_sub_f32 v52, v52, v54 :: v_dual_add_f32 v49, v49, v56
	v_add_f32_e32 v49, v52, v49
	s_delay_alu instid0(VALU_DEP_1) | instskip(NEXT) | instid1(VALU_DEP_1)
	v_add_f32_e32 v52, v60, v49
	v_mul_f32_e32 v54, v51, v52
	s_delay_alu instid0(VALU_DEP_1) | instskip(NEXT) | instid1(VALU_DEP_1)
	v_dual_sub_f32 v59, v60, v52 :: v_dual_mul_f32 v56, v55, v54
	v_add_f32_e32 v49, v49, v59
	s_delay_alu instid0(VALU_DEP_2) | instskip(NEXT) | instid1(VALU_DEP_1)
	v_fma_f32 v55, v54, v55, -v56
	v_fmac_f32_e32 v55, v54, v53
	s_delay_alu instid0(VALU_DEP_1) | instskip(NEXT) | instid1(VALU_DEP_1)
	v_add_f32_e32 v53, v56, v55
	v_sub_f32_e32 v58, v52, v53
	s_delay_alu instid0(VALU_DEP_1) | instskip(NEXT) | instid1(VALU_DEP_1)
	v_sub_f32_e32 v52, v52, v58
	v_sub_f32_e32 v52, v52, v53
	s_delay_alu instid0(VALU_DEP_1) | instskip(SKIP_2) | instid1(VALU_DEP_1)
	v_add_f32_e32 v49, v49, v52
	v_add_f32_e32 v52, v57, v54
	v_sub_f32_e32 v56, v53, v56
	v_sub_f32_e32 v53, v56, v55
	s_delay_alu instid0(VALU_DEP_1) | instskip(NEXT) | instid1(VALU_DEP_4)
	v_add_f32_e32 v49, v53, v49
	v_sub_f32_e32 v53, v52, v57
	s_delay_alu instid0(VALU_DEP_2) | instskip(NEXT) | instid1(VALU_DEP_2)
	v_add_f32_e32 v49, v58, v49
	v_sub_f32_e32 v53, v54, v53
	s_delay_alu instid0(VALU_DEP_2) | instskip(NEXT) | instid1(VALU_DEP_1)
	v_mul_f32_e32 v49, v51, v49
	v_add_f32_e32 v49, v53, v49
	s_delay_alu instid0(VALU_DEP_1) | instskip(NEXT) | instid1(VALU_DEP_1)
	v_add_f32_e32 v51, v52, v49
	v_mul_f32_e32 v53, v51, v51
	s_delay_alu instid0(VALU_DEP_1) | instskip(SKIP_1) | instid1(VALU_DEP_2)
	v_fmaak_f32 v54, s72, v53, 0x3ecc95a3
	v_mul_f32_e32 v55, v51, v53
	v_fmaak_f32 v53, v53, v54, 0x3f2aaada
	v_ldexp_f32 v54, v51, 1
	s_delay_alu instid0(VALU_DEP_2) | instskip(SKIP_1) | instid1(VALU_DEP_2)
	v_mul_f32_e32 v53, v55, v53
	v_sub_f32_e32 v51, v51, v52
	v_dual_mul_f32 v55, 0x3f317218, v48 :: v_dual_add_f32 v52, v54, v53
	s_delay_alu instid0(VALU_DEP_2) | instskip(NEXT) | instid1(VALU_DEP_2)
	v_sub_f32_e32 v49, v49, v51
	v_sub_f32_e32 v51, v52, v54
	s_delay_alu instid0(VALU_DEP_3) | instskip(NEXT) | instid1(VALU_DEP_3)
	v_fma_f32 v54, 0x3f317218, v48, -v55
	v_ldexp_f32 v49, v49, 1
	s_delay_alu instid0(VALU_DEP_2) | instskip(NEXT) | instid1(VALU_DEP_1)
	v_dual_sub_f32 v51, v53, v51 :: v_dual_fmac_f32 v54, 0xb102e308, v48
	v_dual_add_f32 v48, v49, v51 :: v_dual_add_f32 v49, v55, v54
	s_delay_alu instid0(VALU_DEP_1) | instskip(NEXT) | instid1(VALU_DEP_1)
	v_add_f32_e32 v51, v52, v48
	v_dual_add_f32 v53, v49, v51 :: v_dual_sub_f32 v52, v51, v52
	s_delay_alu instid0(VALU_DEP_1) | instskip(NEXT) | instid1(VALU_DEP_2)
	v_sub_f32_e32 v56, v53, v49
	v_dual_sub_f32 v55, v49, v55 :: v_dual_sub_f32 v48, v48, v52
	s_delay_alu instid0(VALU_DEP_1) | instskip(SKIP_1) | instid1(VALU_DEP_2)
	v_dual_sub_f32 v57, v53, v56 :: v_dual_sub_f32 v54, v54, v55
	v_sub_f32_e32 v51, v51, v56
	v_dual_sub_f32 v49, v49, v57 :: v_dual_add_f32 v52, v54, v48
	s_delay_alu instid0(VALU_DEP_1) | instskip(NEXT) | instid1(VALU_DEP_2)
	v_add_f32_e32 v49, v51, v49
	v_sub_f32_e32 v51, v52, v54
	s_delay_alu instid0(VALU_DEP_2) | instskip(NEXT) | instid1(VALU_DEP_2)
	v_add_f32_e32 v49, v52, v49
	v_sub_f32_e32 v52, v52, v51
	s_delay_alu instid0(VALU_DEP_2) | instskip(NEXT) | instid1(VALU_DEP_1)
	v_dual_sub_f32 v48, v48, v51 :: v_dual_add_f32 v55, v53, v49
	v_dual_sub_f32 v52, v54, v52 :: v_dual_sub_f32 v51, v55, v53
	s_delay_alu instid0(VALU_DEP_1) | instskip(NEXT) | instid1(VALU_DEP_1)
	v_dual_add_f32 v48, v48, v52 :: v_dual_sub_f32 v49, v49, v51
	v_add_f32_e32 v48, v48, v49
	s_delay_alu instid0(VALU_DEP_1) | instskip(NEXT) | instid1(VALU_DEP_1)
	v_add_f32_e32 v48, v55, v48
	v_cndmask_b32_e32 v137, v48, v50, vcc_lo
.LBB145_28:                             ;   in Loop: Header=BB145_12 Depth=1
	s_or_b32 exec_lo, exec_lo, s17
	v_add_f32_e32 v138, s57, v35
	s_delay_alu instid0(VALU_DEP_1) | instskip(SKIP_1) | instid1(SALU_CYCLE_1)
	v_cmp_ge_f32_e32 vcc_lo, 0x41a00000, v138
	s_and_b32 s14, s68, vcc_lo
	s_and_saveexec_b32 s17, s14
	s_cbranch_execz .LBB145_30
; %bb.29:                               ;   in Loop: Header=BB145_12 Depth=1
	v_mul_f32_e32 v48, 0x3fb8aa3b, v138
	v_cmp_ngt_f32_e32 vcc_lo, 0xc2ce8ed0, v138
	s_delay_alu instid0(VALU_DEP_2) | instskip(SKIP_1) | instid1(VALU_DEP_2)
	v_rndne_f32_e32 v49, v48
	v_fma_f32 v50, 0x3fb8aa3b, v138, -v48
	v_sub_f32_e32 v48, v48, v49
	s_delay_alu instid0(VALU_DEP_2) | instskip(SKIP_1) | instid1(VALU_DEP_2)
	v_fmac_f32_e32 v50, 0x32a5705f, v138
	v_cvt_i32_f32_e32 v49, v49
	v_add_f32_e32 v48, v48, v50
	s_delay_alu instid0(VALU_DEP_1) | instskip(SKIP_2) | instid1(VALU_DEP_1)
	v_exp_f32_e32 v48, v48
	s_waitcnt_depctr 0xfff
	v_ldexp_f32 v48, v48, v49
	v_cndmask_b32_e32 v48, 0, v48, vcc_lo
	v_cmp_nlt_f32_e32 vcc_lo, 0x42b17218, v138
	s_delay_alu instid0(VALU_DEP_2) | instskip(NEXT) | instid1(VALU_DEP_1)
	v_cndmask_b32_e32 v50, 0x7f800000, v48, vcc_lo
	v_add_f32_e32 v51, 1.0, v50
	s_delay_alu instid0(VALU_DEP_1) | instskip(NEXT) | instid1(VALU_DEP_1)
	v_cvt_f64_f32_e32 v[48:49], v51
	v_frexp_exp_i32_f64_e32 v48, v[48:49]
	v_frexp_mant_f32_e32 v49, v51
	s_delay_alu instid0(VALU_DEP_1) | instskip(SKIP_1) | instid1(VALU_DEP_1)
	v_cmp_gt_f32_e32 vcc_lo, 0x3f2aaaab, v49
	v_add_f32_e32 v49, -1.0, v51
	v_sub_f32_e32 v53, v49, v51
	v_sub_f32_e32 v49, v50, v49
	s_delay_alu instid0(VALU_DEP_2) | instskip(NEXT) | instid1(VALU_DEP_1)
	v_add_f32_e32 v53, 1.0, v53
	v_add_f32_e32 v49, v49, v53
	v_cmp_gt_f32_e64 s14, 0x33800000, v50
	v_subrev_co_ci_u32_e32 v48, vcc_lo, 0, v48, vcc_lo
	v_cmp_eq_f32_e32 vcc_lo, 0x7f800000, v50
	s_delay_alu instid0(VALU_DEP_2) | instskip(SKIP_2) | instid1(VALU_DEP_2)
	v_sub_nc_u32_e32 v52, 0, v48
	v_cvt_f32_i32_e32 v48, v48
	s_or_b32 vcc_lo, s14, vcc_lo
	v_ldexp_f32 v51, v51, v52
	v_ldexp_f32 v49, v49, v52
	s_delay_alu instid0(VALU_DEP_2) | instskip(NEXT) | instid1(VALU_DEP_1)
	v_add_f32_e32 v54, 1.0, v51
	v_dual_add_f32 v52, -1.0, v51 :: v_dual_add_f32 v53, -1.0, v54
	s_delay_alu instid0(VALU_DEP_1) | instskip(NEXT) | instid1(VALU_DEP_2)
	v_add_f32_e32 v55, 1.0, v52
	v_sub_f32_e32 v53, v51, v53
	s_delay_alu instid0(VALU_DEP_2) | instskip(NEXT) | instid1(VALU_DEP_2)
	v_sub_f32_e32 v51, v51, v55
	v_add_f32_e32 v53, v49, v53
	s_delay_alu instid0(VALU_DEP_2) | instskip(NEXT) | instid1(VALU_DEP_1)
	v_add_f32_e32 v49, v49, v51
	v_add_f32_e32 v56, v52, v49
	s_delay_alu instid0(VALU_DEP_1) | instskip(NEXT) | instid1(VALU_DEP_1)
	v_dual_add_f32 v55, v54, v53 :: v_dual_sub_f32 v52, v52, v56
	v_rcp_f32_e32 v51, v55
	v_sub_f32_e32 v54, v54, v55
	s_delay_alu instid0(VALU_DEP_1) | instskip(SKIP_2) | instid1(VALU_DEP_1)
	v_add_f32_e32 v53, v53, v54
	s_waitcnt_depctr 0xfff
	v_mul_f32_e32 v57, v56, v51
	v_mul_f32_e32 v58, v55, v57
	s_delay_alu instid0(VALU_DEP_1) | instskip(NEXT) | instid1(VALU_DEP_1)
	v_fma_f32 v54, v57, v55, -v58
	v_fmac_f32_e32 v54, v57, v53
	s_delay_alu instid0(VALU_DEP_1) | instskip(NEXT) | instid1(VALU_DEP_1)
	v_add_f32_e32 v59, v58, v54
	v_sub_f32_e32 v60, v56, v59
	s_delay_alu instid0(VALU_DEP_1) | instskip(SKIP_1) | instid1(VALU_DEP_2)
	v_sub_f32_e32 v56, v56, v60
	v_dual_add_f32 v49, v49, v52 :: v_dual_sub_f32 v52, v59, v58
	v_sub_f32_e32 v56, v56, v59
	s_delay_alu instid0(VALU_DEP_1) | instskip(NEXT) | instid1(VALU_DEP_1)
	v_dual_sub_f32 v52, v52, v54 :: v_dual_add_f32 v49, v49, v56
	v_add_f32_e32 v49, v52, v49
	s_delay_alu instid0(VALU_DEP_1) | instskip(NEXT) | instid1(VALU_DEP_1)
	v_add_f32_e32 v52, v60, v49
	v_mul_f32_e32 v54, v51, v52
	s_delay_alu instid0(VALU_DEP_1) | instskip(NEXT) | instid1(VALU_DEP_1)
	v_dual_sub_f32 v59, v60, v52 :: v_dual_mul_f32 v56, v55, v54
	v_add_f32_e32 v49, v49, v59
	s_delay_alu instid0(VALU_DEP_2) | instskip(NEXT) | instid1(VALU_DEP_1)
	v_fma_f32 v55, v54, v55, -v56
	v_fmac_f32_e32 v55, v54, v53
	s_delay_alu instid0(VALU_DEP_1) | instskip(NEXT) | instid1(VALU_DEP_1)
	v_add_f32_e32 v53, v56, v55
	v_sub_f32_e32 v58, v52, v53
	s_delay_alu instid0(VALU_DEP_1) | instskip(NEXT) | instid1(VALU_DEP_1)
	v_sub_f32_e32 v52, v52, v58
	v_sub_f32_e32 v52, v52, v53
	s_delay_alu instid0(VALU_DEP_1) | instskip(SKIP_2) | instid1(VALU_DEP_1)
	v_add_f32_e32 v49, v49, v52
	v_add_f32_e32 v52, v57, v54
	v_sub_f32_e32 v56, v53, v56
	v_sub_f32_e32 v53, v56, v55
	s_delay_alu instid0(VALU_DEP_1) | instskip(NEXT) | instid1(VALU_DEP_4)
	v_add_f32_e32 v49, v53, v49
	v_sub_f32_e32 v53, v52, v57
	s_delay_alu instid0(VALU_DEP_2) | instskip(NEXT) | instid1(VALU_DEP_2)
	v_add_f32_e32 v49, v58, v49
	v_sub_f32_e32 v53, v54, v53
	s_delay_alu instid0(VALU_DEP_2) | instskip(NEXT) | instid1(VALU_DEP_1)
	v_mul_f32_e32 v49, v51, v49
	v_add_f32_e32 v49, v53, v49
	s_delay_alu instid0(VALU_DEP_1) | instskip(NEXT) | instid1(VALU_DEP_1)
	v_add_f32_e32 v51, v52, v49
	v_mul_f32_e32 v53, v51, v51
	s_delay_alu instid0(VALU_DEP_1) | instskip(SKIP_1) | instid1(VALU_DEP_2)
	v_fmaak_f32 v54, s72, v53, 0x3ecc95a3
	v_mul_f32_e32 v55, v51, v53
	v_fmaak_f32 v53, v53, v54, 0x3f2aaada
	v_ldexp_f32 v54, v51, 1
	s_delay_alu instid0(VALU_DEP_2) | instskip(SKIP_1) | instid1(VALU_DEP_2)
	v_mul_f32_e32 v53, v55, v53
	v_sub_f32_e32 v51, v51, v52
	v_dual_mul_f32 v55, 0x3f317218, v48 :: v_dual_add_f32 v52, v54, v53
	s_delay_alu instid0(VALU_DEP_2) | instskip(NEXT) | instid1(VALU_DEP_2)
	v_sub_f32_e32 v49, v49, v51
	v_sub_f32_e32 v51, v52, v54
	s_delay_alu instid0(VALU_DEP_3) | instskip(NEXT) | instid1(VALU_DEP_3)
	v_fma_f32 v54, 0x3f317218, v48, -v55
	v_ldexp_f32 v49, v49, 1
	s_delay_alu instid0(VALU_DEP_2) | instskip(NEXT) | instid1(VALU_DEP_1)
	v_dual_sub_f32 v51, v53, v51 :: v_dual_fmac_f32 v54, 0xb102e308, v48
	v_dual_add_f32 v48, v49, v51 :: v_dual_add_f32 v49, v55, v54
	s_delay_alu instid0(VALU_DEP_1) | instskip(NEXT) | instid1(VALU_DEP_1)
	v_add_f32_e32 v51, v52, v48
	v_dual_add_f32 v53, v49, v51 :: v_dual_sub_f32 v52, v51, v52
	s_delay_alu instid0(VALU_DEP_1) | instskip(NEXT) | instid1(VALU_DEP_2)
	v_sub_f32_e32 v56, v53, v49
	v_dual_sub_f32 v55, v49, v55 :: v_dual_sub_f32 v48, v48, v52
	s_delay_alu instid0(VALU_DEP_1) | instskip(SKIP_1) | instid1(VALU_DEP_2)
	v_dual_sub_f32 v57, v53, v56 :: v_dual_sub_f32 v54, v54, v55
	v_sub_f32_e32 v51, v51, v56
	v_dual_sub_f32 v49, v49, v57 :: v_dual_add_f32 v52, v54, v48
	s_delay_alu instid0(VALU_DEP_1) | instskip(NEXT) | instid1(VALU_DEP_2)
	v_add_f32_e32 v49, v51, v49
	v_sub_f32_e32 v51, v52, v54
	s_delay_alu instid0(VALU_DEP_2) | instskip(NEXT) | instid1(VALU_DEP_2)
	v_add_f32_e32 v49, v52, v49
	v_sub_f32_e32 v52, v52, v51
	s_delay_alu instid0(VALU_DEP_2) | instskip(NEXT) | instid1(VALU_DEP_1)
	v_dual_sub_f32 v48, v48, v51 :: v_dual_add_f32 v55, v53, v49
	v_dual_sub_f32 v52, v54, v52 :: v_dual_sub_f32 v51, v55, v53
	s_delay_alu instid0(VALU_DEP_1) | instskip(NEXT) | instid1(VALU_DEP_1)
	v_dual_add_f32 v48, v48, v52 :: v_dual_sub_f32 v49, v49, v51
	v_add_f32_e32 v48, v48, v49
	s_delay_alu instid0(VALU_DEP_1) | instskip(NEXT) | instid1(VALU_DEP_1)
	v_add_f32_e32 v48, v55, v48
	v_cndmask_b32_e32 v138, v48, v50, vcc_lo
.LBB145_30:                             ;   in Loop: Header=BB145_12 Depth=1
	s_or_b32 exec_lo, exec_lo, s17
	s_waitcnt lgkmcnt(2)
	v_add_f32_e32 v139, s57, v16
	s_delay_alu instid0(VALU_DEP_1) | instskip(SKIP_1) | instid1(SALU_CYCLE_1)
	v_cmp_ge_f32_e32 vcc_lo, 0x41a00000, v139
	s_and_b32 s14, s68, vcc_lo
	s_and_saveexec_b32 s17, s14
	s_cbranch_execz .LBB145_32
; %bb.31:                               ;   in Loop: Header=BB145_12 Depth=1
	v_mul_f32_e32 v48, 0x3fb8aa3b, v139
	v_cmp_ngt_f32_e32 vcc_lo, 0xc2ce8ed0, v139
	s_delay_alu instid0(VALU_DEP_2) | instskip(SKIP_1) | instid1(VALU_DEP_2)
	v_rndne_f32_e32 v49, v48
	v_fma_f32 v50, 0x3fb8aa3b, v139, -v48
	v_sub_f32_e32 v48, v48, v49
	s_delay_alu instid0(VALU_DEP_2) | instskip(SKIP_1) | instid1(VALU_DEP_2)
	v_fmac_f32_e32 v50, 0x32a5705f, v139
	v_cvt_i32_f32_e32 v49, v49
	v_add_f32_e32 v48, v48, v50
	s_delay_alu instid0(VALU_DEP_1) | instskip(SKIP_2) | instid1(VALU_DEP_1)
	v_exp_f32_e32 v48, v48
	s_waitcnt_depctr 0xfff
	v_ldexp_f32 v48, v48, v49
	v_cndmask_b32_e32 v48, 0, v48, vcc_lo
	v_cmp_nlt_f32_e32 vcc_lo, 0x42b17218, v139
	s_delay_alu instid0(VALU_DEP_2) | instskip(NEXT) | instid1(VALU_DEP_1)
	v_cndmask_b32_e32 v50, 0x7f800000, v48, vcc_lo
	v_add_f32_e32 v51, 1.0, v50
	s_delay_alu instid0(VALU_DEP_1) | instskip(NEXT) | instid1(VALU_DEP_1)
	v_cvt_f64_f32_e32 v[48:49], v51
	v_frexp_exp_i32_f64_e32 v48, v[48:49]
	v_frexp_mant_f32_e32 v49, v51
	s_delay_alu instid0(VALU_DEP_1) | instskip(SKIP_1) | instid1(VALU_DEP_1)
	v_cmp_gt_f32_e32 vcc_lo, 0x3f2aaaab, v49
	v_add_f32_e32 v49, -1.0, v51
	v_sub_f32_e32 v53, v49, v51
	v_sub_f32_e32 v49, v50, v49
	s_delay_alu instid0(VALU_DEP_2) | instskip(NEXT) | instid1(VALU_DEP_1)
	v_add_f32_e32 v53, 1.0, v53
	v_add_f32_e32 v49, v49, v53
	v_cmp_gt_f32_e64 s14, 0x33800000, v50
	v_subrev_co_ci_u32_e32 v48, vcc_lo, 0, v48, vcc_lo
	v_cmp_eq_f32_e32 vcc_lo, 0x7f800000, v50
	s_delay_alu instid0(VALU_DEP_2) | instskip(SKIP_2) | instid1(VALU_DEP_2)
	v_sub_nc_u32_e32 v52, 0, v48
	v_cvt_f32_i32_e32 v48, v48
	s_or_b32 vcc_lo, s14, vcc_lo
	v_ldexp_f32 v51, v51, v52
	v_ldexp_f32 v49, v49, v52
	s_delay_alu instid0(VALU_DEP_2) | instskip(NEXT) | instid1(VALU_DEP_1)
	v_add_f32_e32 v54, 1.0, v51
	v_dual_add_f32 v52, -1.0, v51 :: v_dual_add_f32 v53, -1.0, v54
	s_delay_alu instid0(VALU_DEP_1) | instskip(NEXT) | instid1(VALU_DEP_2)
	v_add_f32_e32 v55, 1.0, v52
	v_sub_f32_e32 v53, v51, v53
	s_delay_alu instid0(VALU_DEP_2) | instskip(NEXT) | instid1(VALU_DEP_2)
	v_sub_f32_e32 v51, v51, v55
	v_add_f32_e32 v53, v49, v53
	s_delay_alu instid0(VALU_DEP_2) | instskip(NEXT) | instid1(VALU_DEP_1)
	v_add_f32_e32 v49, v49, v51
	v_add_f32_e32 v56, v52, v49
	s_delay_alu instid0(VALU_DEP_1) | instskip(NEXT) | instid1(VALU_DEP_1)
	v_dual_add_f32 v55, v54, v53 :: v_dual_sub_f32 v52, v52, v56
	v_rcp_f32_e32 v51, v55
	v_sub_f32_e32 v54, v54, v55
	s_delay_alu instid0(VALU_DEP_1) | instskip(SKIP_2) | instid1(VALU_DEP_1)
	v_add_f32_e32 v53, v53, v54
	s_waitcnt_depctr 0xfff
	v_mul_f32_e32 v57, v56, v51
	v_mul_f32_e32 v58, v55, v57
	s_delay_alu instid0(VALU_DEP_1) | instskip(NEXT) | instid1(VALU_DEP_1)
	v_fma_f32 v54, v57, v55, -v58
	v_fmac_f32_e32 v54, v57, v53
	s_delay_alu instid0(VALU_DEP_1) | instskip(NEXT) | instid1(VALU_DEP_1)
	v_add_f32_e32 v59, v58, v54
	v_sub_f32_e32 v60, v56, v59
	s_delay_alu instid0(VALU_DEP_1) | instskip(SKIP_1) | instid1(VALU_DEP_2)
	v_sub_f32_e32 v56, v56, v60
	v_dual_add_f32 v49, v49, v52 :: v_dual_sub_f32 v52, v59, v58
	v_sub_f32_e32 v56, v56, v59
	s_delay_alu instid0(VALU_DEP_1) | instskip(NEXT) | instid1(VALU_DEP_1)
	v_dual_sub_f32 v52, v52, v54 :: v_dual_add_f32 v49, v49, v56
	v_add_f32_e32 v49, v52, v49
	s_delay_alu instid0(VALU_DEP_1) | instskip(NEXT) | instid1(VALU_DEP_1)
	v_add_f32_e32 v52, v60, v49
	v_mul_f32_e32 v54, v51, v52
	s_delay_alu instid0(VALU_DEP_1) | instskip(NEXT) | instid1(VALU_DEP_1)
	v_dual_sub_f32 v59, v60, v52 :: v_dual_mul_f32 v56, v55, v54
	v_add_f32_e32 v49, v49, v59
	s_delay_alu instid0(VALU_DEP_2) | instskip(NEXT) | instid1(VALU_DEP_1)
	v_fma_f32 v55, v54, v55, -v56
	v_fmac_f32_e32 v55, v54, v53
	s_delay_alu instid0(VALU_DEP_1) | instskip(NEXT) | instid1(VALU_DEP_1)
	v_add_f32_e32 v53, v56, v55
	v_sub_f32_e32 v58, v52, v53
	s_delay_alu instid0(VALU_DEP_1) | instskip(NEXT) | instid1(VALU_DEP_1)
	v_sub_f32_e32 v52, v52, v58
	v_sub_f32_e32 v52, v52, v53
	s_delay_alu instid0(VALU_DEP_1) | instskip(SKIP_2) | instid1(VALU_DEP_1)
	v_add_f32_e32 v49, v49, v52
	v_add_f32_e32 v52, v57, v54
	v_sub_f32_e32 v56, v53, v56
	v_sub_f32_e32 v53, v56, v55
	s_delay_alu instid0(VALU_DEP_1) | instskip(NEXT) | instid1(VALU_DEP_4)
	v_add_f32_e32 v49, v53, v49
	v_sub_f32_e32 v53, v52, v57
	s_delay_alu instid0(VALU_DEP_2) | instskip(NEXT) | instid1(VALU_DEP_2)
	v_add_f32_e32 v49, v58, v49
	v_sub_f32_e32 v53, v54, v53
	s_delay_alu instid0(VALU_DEP_2) | instskip(NEXT) | instid1(VALU_DEP_1)
	v_mul_f32_e32 v49, v51, v49
	v_add_f32_e32 v49, v53, v49
	s_delay_alu instid0(VALU_DEP_1) | instskip(NEXT) | instid1(VALU_DEP_1)
	v_add_f32_e32 v51, v52, v49
	v_mul_f32_e32 v53, v51, v51
	s_delay_alu instid0(VALU_DEP_1) | instskip(SKIP_1) | instid1(VALU_DEP_2)
	v_fmaak_f32 v54, s72, v53, 0x3ecc95a3
	v_mul_f32_e32 v55, v51, v53
	v_fmaak_f32 v53, v53, v54, 0x3f2aaada
	v_ldexp_f32 v54, v51, 1
	s_delay_alu instid0(VALU_DEP_2) | instskip(SKIP_1) | instid1(VALU_DEP_2)
	v_mul_f32_e32 v53, v55, v53
	v_sub_f32_e32 v51, v51, v52
	v_dual_mul_f32 v55, 0x3f317218, v48 :: v_dual_add_f32 v52, v54, v53
	s_delay_alu instid0(VALU_DEP_2) | instskip(NEXT) | instid1(VALU_DEP_2)
	v_sub_f32_e32 v49, v49, v51
	v_sub_f32_e32 v51, v52, v54
	s_delay_alu instid0(VALU_DEP_3) | instskip(NEXT) | instid1(VALU_DEP_3)
	v_fma_f32 v54, 0x3f317218, v48, -v55
	v_ldexp_f32 v49, v49, 1
	s_delay_alu instid0(VALU_DEP_2) | instskip(NEXT) | instid1(VALU_DEP_1)
	v_dual_sub_f32 v51, v53, v51 :: v_dual_fmac_f32 v54, 0xb102e308, v48
	v_dual_add_f32 v48, v49, v51 :: v_dual_add_f32 v49, v55, v54
	s_delay_alu instid0(VALU_DEP_1) | instskip(NEXT) | instid1(VALU_DEP_1)
	v_add_f32_e32 v51, v52, v48
	v_dual_add_f32 v53, v49, v51 :: v_dual_sub_f32 v52, v51, v52
	s_delay_alu instid0(VALU_DEP_1) | instskip(NEXT) | instid1(VALU_DEP_2)
	v_sub_f32_e32 v56, v53, v49
	v_dual_sub_f32 v55, v49, v55 :: v_dual_sub_f32 v48, v48, v52
	s_delay_alu instid0(VALU_DEP_1) | instskip(SKIP_1) | instid1(VALU_DEP_2)
	v_dual_sub_f32 v57, v53, v56 :: v_dual_sub_f32 v54, v54, v55
	v_sub_f32_e32 v51, v51, v56
	v_dual_sub_f32 v49, v49, v57 :: v_dual_add_f32 v52, v54, v48
	s_delay_alu instid0(VALU_DEP_1) | instskip(NEXT) | instid1(VALU_DEP_2)
	v_add_f32_e32 v49, v51, v49
	v_sub_f32_e32 v51, v52, v54
	s_delay_alu instid0(VALU_DEP_2) | instskip(NEXT) | instid1(VALU_DEP_2)
	v_add_f32_e32 v49, v52, v49
	v_sub_f32_e32 v52, v52, v51
	s_delay_alu instid0(VALU_DEP_2) | instskip(NEXT) | instid1(VALU_DEP_1)
	v_dual_sub_f32 v48, v48, v51 :: v_dual_add_f32 v55, v53, v49
	v_dual_sub_f32 v52, v54, v52 :: v_dual_sub_f32 v51, v55, v53
	s_delay_alu instid0(VALU_DEP_1) | instskip(NEXT) | instid1(VALU_DEP_1)
	v_dual_add_f32 v48, v48, v52 :: v_dual_sub_f32 v49, v49, v51
	v_add_f32_e32 v48, v48, v49
	s_delay_alu instid0(VALU_DEP_1) | instskip(NEXT) | instid1(VALU_DEP_1)
	v_add_f32_e32 v48, v55, v48
	v_cndmask_b32_e32 v139, v48, v50, vcc_lo
.LBB145_32:                             ;   in Loop: Header=BB145_12 Depth=1
	s_or_b32 exec_lo, exec_lo, s17
	v_add_f32_e32 v140, s57, v17
	s_delay_alu instid0(VALU_DEP_1) | instskip(SKIP_1) | instid1(SALU_CYCLE_1)
	v_cmp_ge_f32_e32 vcc_lo, 0x41a00000, v140
	s_and_b32 s14, s68, vcc_lo
	s_and_saveexec_b32 s17, s14
	s_cbranch_execz .LBB145_34
; %bb.33:                               ;   in Loop: Header=BB145_12 Depth=1
	v_mul_f32_e32 v48, 0x3fb8aa3b, v140
	v_cmp_ngt_f32_e32 vcc_lo, 0xc2ce8ed0, v140
	s_delay_alu instid0(VALU_DEP_2) | instskip(SKIP_1) | instid1(VALU_DEP_2)
	v_rndne_f32_e32 v49, v48
	v_fma_f32 v50, 0x3fb8aa3b, v140, -v48
	v_sub_f32_e32 v48, v48, v49
	s_delay_alu instid0(VALU_DEP_2) | instskip(SKIP_1) | instid1(VALU_DEP_2)
	v_fmac_f32_e32 v50, 0x32a5705f, v140
	v_cvt_i32_f32_e32 v49, v49
	v_add_f32_e32 v48, v48, v50
	s_delay_alu instid0(VALU_DEP_1) | instskip(SKIP_2) | instid1(VALU_DEP_1)
	v_exp_f32_e32 v48, v48
	s_waitcnt_depctr 0xfff
	v_ldexp_f32 v48, v48, v49
	v_cndmask_b32_e32 v48, 0, v48, vcc_lo
	v_cmp_nlt_f32_e32 vcc_lo, 0x42b17218, v140
	s_delay_alu instid0(VALU_DEP_2) | instskip(NEXT) | instid1(VALU_DEP_1)
	v_cndmask_b32_e32 v50, 0x7f800000, v48, vcc_lo
	v_add_f32_e32 v51, 1.0, v50
	s_delay_alu instid0(VALU_DEP_1) | instskip(NEXT) | instid1(VALU_DEP_1)
	v_cvt_f64_f32_e32 v[48:49], v51
	v_frexp_exp_i32_f64_e32 v48, v[48:49]
	v_frexp_mant_f32_e32 v49, v51
	s_delay_alu instid0(VALU_DEP_1) | instskip(SKIP_1) | instid1(VALU_DEP_1)
	v_cmp_gt_f32_e32 vcc_lo, 0x3f2aaaab, v49
	v_add_f32_e32 v49, -1.0, v51
	v_sub_f32_e32 v53, v49, v51
	v_sub_f32_e32 v49, v50, v49
	s_delay_alu instid0(VALU_DEP_2) | instskip(NEXT) | instid1(VALU_DEP_1)
	v_add_f32_e32 v53, 1.0, v53
	v_add_f32_e32 v49, v49, v53
	v_cmp_gt_f32_e64 s14, 0x33800000, v50
	v_subrev_co_ci_u32_e32 v48, vcc_lo, 0, v48, vcc_lo
	v_cmp_eq_f32_e32 vcc_lo, 0x7f800000, v50
	s_delay_alu instid0(VALU_DEP_2) | instskip(SKIP_2) | instid1(VALU_DEP_2)
	v_sub_nc_u32_e32 v52, 0, v48
	v_cvt_f32_i32_e32 v48, v48
	s_or_b32 vcc_lo, s14, vcc_lo
	v_ldexp_f32 v51, v51, v52
	v_ldexp_f32 v49, v49, v52
	s_delay_alu instid0(VALU_DEP_2) | instskip(NEXT) | instid1(VALU_DEP_1)
	v_add_f32_e32 v54, 1.0, v51
	v_dual_add_f32 v52, -1.0, v51 :: v_dual_add_f32 v53, -1.0, v54
	s_delay_alu instid0(VALU_DEP_1) | instskip(NEXT) | instid1(VALU_DEP_2)
	v_add_f32_e32 v55, 1.0, v52
	v_sub_f32_e32 v53, v51, v53
	s_delay_alu instid0(VALU_DEP_2) | instskip(NEXT) | instid1(VALU_DEP_2)
	v_sub_f32_e32 v51, v51, v55
	v_add_f32_e32 v53, v49, v53
	s_delay_alu instid0(VALU_DEP_2) | instskip(NEXT) | instid1(VALU_DEP_1)
	v_add_f32_e32 v49, v49, v51
	v_add_f32_e32 v56, v52, v49
	s_delay_alu instid0(VALU_DEP_1) | instskip(NEXT) | instid1(VALU_DEP_1)
	v_dual_add_f32 v55, v54, v53 :: v_dual_sub_f32 v52, v52, v56
	v_rcp_f32_e32 v51, v55
	v_sub_f32_e32 v54, v54, v55
	s_delay_alu instid0(VALU_DEP_1) | instskip(SKIP_2) | instid1(VALU_DEP_1)
	v_add_f32_e32 v53, v53, v54
	s_waitcnt_depctr 0xfff
	v_mul_f32_e32 v57, v56, v51
	v_mul_f32_e32 v58, v55, v57
	s_delay_alu instid0(VALU_DEP_1) | instskip(NEXT) | instid1(VALU_DEP_1)
	v_fma_f32 v54, v57, v55, -v58
	v_fmac_f32_e32 v54, v57, v53
	s_delay_alu instid0(VALU_DEP_1) | instskip(NEXT) | instid1(VALU_DEP_1)
	v_add_f32_e32 v59, v58, v54
	v_sub_f32_e32 v60, v56, v59
	s_delay_alu instid0(VALU_DEP_1) | instskip(SKIP_1) | instid1(VALU_DEP_2)
	v_sub_f32_e32 v56, v56, v60
	v_dual_add_f32 v49, v49, v52 :: v_dual_sub_f32 v52, v59, v58
	v_sub_f32_e32 v56, v56, v59
	s_delay_alu instid0(VALU_DEP_1) | instskip(NEXT) | instid1(VALU_DEP_1)
	v_dual_sub_f32 v52, v52, v54 :: v_dual_add_f32 v49, v49, v56
	v_add_f32_e32 v49, v52, v49
	s_delay_alu instid0(VALU_DEP_1) | instskip(NEXT) | instid1(VALU_DEP_1)
	v_add_f32_e32 v52, v60, v49
	v_mul_f32_e32 v54, v51, v52
	s_delay_alu instid0(VALU_DEP_1) | instskip(NEXT) | instid1(VALU_DEP_1)
	v_dual_sub_f32 v59, v60, v52 :: v_dual_mul_f32 v56, v55, v54
	v_add_f32_e32 v49, v49, v59
	s_delay_alu instid0(VALU_DEP_2) | instskip(NEXT) | instid1(VALU_DEP_1)
	v_fma_f32 v55, v54, v55, -v56
	v_fmac_f32_e32 v55, v54, v53
	s_delay_alu instid0(VALU_DEP_1) | instskip(NEXT) | instid1(VALU_DEP_1)
	v_add_f32_e32 v53, v56, v55
	v_sub_f32_e32 v58, v52, v53
	s_delay_alu instid0(VALU_DEP_1) | instskip(NEXT) | instid1(VALU_DEP_1)
	v_sub_f32_e32 v52, v52, v58
	v_sub_f32_e32 v52, v52, v53
	s_delay_alu instid0(VALU_DEP_1) | instskip(SKIP_2) | instid1(VALU_DEP_1)
	v_add_f32_e32 v49, v49, v52
	v_add_f32_e32 v52, v57, v54
	v_sub_f32_e32 v56, v53, v56
	v_sub_f32_e32 v53, v56, v55
	s_delay_alu instid0(VALU_DEP_1) | instskip(NEXT) | instid1(VALU_DEP_4)
	v_add_f32_e32 v49, v53, v49
	v_sub_f32_e32 v53, v52, v57
	s_delay_alu instid0(VALU_DEP_2) | instskip(NEXT) | instid1(VALU_DEP_2)
	v_add_f32_e32 v49, v58, v49
	v_sub_f32_e32 v53, v54, v53
	s_delay_alu instid0(VALU_DEP_2) | instskip(NEXT) | instid1(VALU_DEP_1)
	v_mul_f32_e32 v49, v51, v49
	v_add_f32_e32 v49, v53, v49
	s_delay_alu instid0(VALU_DEP_1) | instskip(NEXT) | instid1(VALU_DEP_1)
	v_add_f32_e32 v51, v52, v49
	v_mul_f32_e32 v53, v51, v51
	s_delay_alu instid0(VALU_DEP_1) | instskip(SKIP_1) | instid1(VALU_DEP_2)
	v_fmaak_f32 v54, s72, v53, 0x3ecc95a3
	v_mul_f32_e32 v55, v51, v53
	v_fmaak_f32 v53, v53, v54, 0x3f2aaada
	v_ldexp_f32 v54, v51, 1
	s_delay_alu instid0(VALU_DEP_2) | instskip(SKIP_1) | instid1(VALU_DEP_2)
	v_mul_f32_e32 v53, v55, v53
	v_sub_f32_e32 v51, v51, v52
	v_dual_mul_f32 v55, 0x3f317218, v48 :: v_dual_add_f32 v52, v54, v53
	s_delay_alu instid0(VALU_DEP_2) | instskip(NEXT) | instid1(VALU_DEP_2)
	v_sub_f32_e32 v49, v49, v51
	v_sub_f32_e32 v51, v52, v54
	s_delay_alu instid0(VALU_DEP_3) | instskip(NEXT) | instid1(VALU_DEP_3)
	v_fma_f32 v54, 0x3f317218, v48, -v55
	v_ldexp_f32 v49, v49, 1
	s_delay_alu instid0(VALU_DEP_2) | instskip(NEXT) | instid1(VALU_DEP_1)
	v_dual_sub_f32 v51, v53, v51 :: v_dual_fmac_f32 v54, 0xb102e308, v48
	v_dual_add_f32 v48, v49, v51 :: v_dual_add_f32 v49, v55, v54
	s_delay_alu instid0(VALU_DEP_1) | instskip(NEXT) | instid1(VALU_DEP_1)
	v_add_f32_e32 v51, v52, v48
	v_dual_add_f32 v53, v49, v51 :: v_dual_sub_f32 v52, v51, v52
	s_delay_alu instid0(VALU_DEP_1) | instskip(NEXT) | instid1(VALU_DEP_2)
	v_sub_f32_e32 v56, v53, v49
	v_dual_sub_f32 v55, v49, v55 :: v_dual_sub_f32 v48, v48, v52
	s_delay_alu instid0(VALU_DEP_1) | instskip(SKIP_1) | instid1(VALU_DEP_2)
	v_dual_sub_f32 v57, v53, v56 :: v_dual_sub_f32 v54, v54, v55
	v_sub_f32_e32 v51, v51, v56
	v_dual_sub_f32 v49, v49, v57 :: v_dual_add_f32 v52, v54, v48
	s_delay_alu instid0(VALU_DEP_1) | instskip(NEXT) | instid1(VALU_DEP_2)
	v_add_f32_e32 v49, v51, v49
	v_sub_f32_e32 v51, v52, v54
	s_delay_alu instid0(VALU_DEP_2) | instskip(NEXT) | instid1(VALU_DEP_2)
	v_add_f32_e32 v49, v52, v49
	v_sub_f32_e32 v52, v52, v51
	s_delay_alu instid0(VALU_DEP_2) | instskip(NEXT) | instid1(VALU_DEP_1)
	v_dual_sub_f32 v48, v48, v51 :: v_dual_add_f32 v55, v53, v49
	v_dual_sub_f32 v52, v54, v52 :: v_dual_sub_f32 v51, v55, v53
	s_delay_alu instid0(VALU_DEP_1) | instskip(NEXT) | instid1(VALU_DEP_1)
	v_dual_add_f32 v48, v48, v52 :: v_dual_sub_f32 v49, v49, v51
	v_add_f32_e32 v48, v48, v49
	s_delay_alu instid0(VALU_DEP_1) | instskip(NEXT) | instid1(VALU_DEP_1)
	v_add_f32_e32 v48, v55, v48
	v_cndmask_b32_e32 v140, v48, v50, vcc_lo
.LBB145_34:                             ;   in Loop: Header=BB145_12 Depth=1
	s_or_b32 exec_lo, exec_lo, s17
	v_add_f32_e32 v141, s57, v18
	s_delay_alu instid0(VALU_DEP_1) | instskip(SKIP_1) | instid1(SALU_CYCLE_1)
	v_cmp_ge_f32_e32 vcc_lo, 0x41a00000, v141
	s_and_b32 s14, s68, vcc_lo
	s_and_saveexec_b32 s17, s14
	s_cbranch_execz .LBB145_36
; %bb.35:                               ;   in Loop: Header=BB145_12 Depth=1
	v_mul_f32_e32 v48, 0x3fb8aa3b, v141
	v_cmp_ngt_f32_e32 vcc_lo, 0xc2ce8ed0, v141
	s_delay_alu instid0(VALU_DEP_2) | instskip(SKIP_1) | instid1(VALU_DEP_2)
	v_rndne_f32_e32 v49, v48
	v_fma_f32 v50, 0x3fb8aa3b, v141, -v48
	v_sub_f32_e32 v48, v48, v49
	s_delay_alu instid0(VALU_DEP_2) | instskip(SKIP_1) | instid1(VALU_DEP_2)
	v_fmac_f32_e32 v50, 0x32a5705f, v141
	v_cvt_i32_f32_e32 v49, v49
	v_add_f32_e32 v48, v48, v50
	s_delay_alu instid0(VALU_DEP_1) | instskip(SKIP_2) | instid1(VALU_DEP_1)
	v_exp_f32_e32 v48, v48
	s_waitcnt_depctr 0xfff
	v_ldexp_f32 v48, v48, v49
	v_cndmask_b32_e32 v48, 0, v48, vcc_lo
	v_cmp_nlt_f32_e32 vcc_lo, 0x42b17218, v141
	s_delay_alu instid0(VALU_DEP_2) | instskip(NEXT) | instid1(VALU_DEP_1)
	v_cndmask_b32_e32 v50, 0x7f800000, v48, vcc_lo
	v_add_f32_e32 v51, 1.0, v50
	s_delay_alu instid0(VALU_DEP_1) | instskip(NEXT) | instid1(VALU_DEP_1)
	v_cvt_f64_f32_e32 v[48:49], v51
	v_frexp_exp_i32_f64_e32 v48, v[48:49]
	v_frexp_mant_f32_e32 v49, v51
	s_delay_alu instid0(VALU_DEP_1) | instskip(SKIP_1) | instid1(VALU_DEP_1)
	v_cmp_gt_f32_e32 vcc_lo, 0x3f2aaaab, v49
	v_add_f32_e32 v49, -1.0, v51
	v_sub_f32_e32 v53, v49, v51
	v_sub_f32_e32 v49, v50, v49
	s_delay_alu instid0(VALU_DEP_2) | instskip(NEXT) | instid1(VALU_DEP_1)
	v_add_f32_e32 v53, 1.0, v53
	v_add_f32_e32 v49, v49, v53
	v_cmp_gt_f32_e64 s14, 0x33800000, v50
	v_subrev_co_ci_u32_e32 v48, vcc_lo, 0, v48, vcc_lo
	v_cmp_eq_f32_e32 vcc_lo, 0x7f800000, v50
	s_delay_alu instid0(VALU_DEP_2) | instskip(SKIP_2) | instid1(VALU_DEP_2)
	v_sub_nc_u32_e32 v52, 0, v48
	v_cvt_f32_i32_e32 v48, v48
	s_or_b32 vcc_lo, s14, vcc_lo
	v_ldexp_f32 v51, v51, v52
	v_ldexp_f32 v49, v49, v52
	s_delay_alu instid0(VALU_DEP_2) | instskip(NEXT) | instid1(VALU_DEP_1)
	v_add_f32_e32 v54, 1.0, v51
	v_dual_add_f32 v52, -1.0, v51 :: v_dual_add_f32 v53, -1.0, v54
	s_delay_alu instid0(VALU_DEP_1) | instskip(NEXT) | instid1(VALU_DEP_2)
	v_add_f32_e32 v55, 1.0, v52
	v_sub_f32_e32 v53, v51, v53
	s_delay_alu instid0(VALU_DEP_2) | instskip(NEXT) | instid1(VALU_DEP_2)
	v_sub_f32_e32 v51, v51, v55
	v_add_f32_e32 v53, v49, v53
	s_delay_alu instid0(VALU_DEP_2) | instskip(NEXT) | instid1(VALU_DEP_1)
	v_add_f32_e32 v49, v49, v51
	v_add_f32_e32 v56, v52, v49
	s_delay_alu instid0(VALU_DEP_1) | instskip(NEXT) | instid1(VALU_DEP_1)
	v_dual_add_f32 v55, v54, v53 :: v_dual_sub_f32 v52, v52, v56
	v_rcp_f32_e32 v51, v55
	v_sub_f32_e32 v54, v54, v55
	s_delay_alu instid0(VALU_DEP_1) | instskip(SKIP_2) | instid1(VALU_DEP_1)
	v_add_f32_e32 v53, v53, v54
	s_waitcnt_depctr 0xfff
	v_mul_f32_e32 v57, v56, v51
	v_mul_f32_e32 v58, v55, v57
	s_delay_alu instid0(VALU_DEP_1) | instskip(NEXT) | instid1(VALU_DEP_1)
	v_fma_f32 v54, v57, v55, -v58
	v_fmac_f32_e32 v54, v57, v53
	s_delay_alu instid0(VALU_DEP_1) | instskip(NEXT) | instid1(VALU_DEP_1)
	v_add_f32_e32 v59, v58, v54
	v_sub_f32_e32 v60, v56, v59
	s_delay_alu instid0(VALU_DEP_1) | instskip(SKIP_1) | instid1(VALU_DEP_2)
	v_sub_f32_e32 v56, v56, v60
	v_dual_add_f32 v49, v49, v52 :: v_dual_sub_f32 v52, v59, v58
	v_sub_f32_e32 v56, v56, v59
	s_delay_alu instid0(VALU_DEP_1) | instskip(NEXT) | instid1(VALU_DEP_1)
	v_dual_sub_f32 v52, v52, v54 :: v_dual_add_f32 v49, v49, v56
	v_add_f32_e32 v49, v52, v49
	s_delay_alu instid0(VALU_DEP_1) | instskip(NEXT) | instid1(VALU_DEP_1)
	v_add_f32_e32 v52, v60, v49
	v_mul_f32_e32 v54, v51, v52
	s_delay_alu instid0(VALU_DEP_1) | instskip(NEXT) | instid1(VALU_DEP_1)
	v_dual_sub_f32 v59, v60, v52 :: v_dual_mul_f32 v56, v55, v54
	v_add_f32_e32 v49, v49, v59
	s_delay_alu instid0(VALU_DEP_2) | instskip(NEXT) | instid1(VALU_DEP_1)
	v_fma_f32 v55, v54, v55, -v56
	v_fmac_f32_e32 v55, v54, v53
	s_delay_alu instid0(VALU_DEP_1) | instskip(NEXT) | instid1(VALU_DEP_1)
	v_add_f32_e32 v53, v56, v55
	v_sub_f32_e32 v58, v52, v53
	s_delay_alu instid0(VALU_DEP_1) | instskip(NEXT) | instid1(VALU_DEP_1)
	v_sub_f32_e32 v52, v52, v58
	v_sub_f32_e32 v52, v52, v53
	s_delay_alu instid0(VALU_DEP_1) | instskip(SKIP_2) | instid1(VALU_DEP_1)
	v_add_f32_e32 v49, v49, v52
	v_add_f32_e32 v52, v57, v54
	v_sub_f32_e32 v56, v53, v56
	v_sub_f32_e32 v53, v56, v55
	s_delay_alu instid0(VALU_DEP_1) | instskip(NEXT) | instid1(VALU_DEP_4)
	v_add_f32_e32 v49, v53, v49
	v_sub_f32_e32 v53, v52, v57
	s_delay_alu instid0(VALU_DEP_2) | instskip(NEXT) | instid1(VALU_DEP_2)
	v_add_f32_e32 v49, v58, v49
	v_sub_f32_e32 v53, v54, v53
	s_delay_alu instid0(VALU_DEP_2) | instskip(NEXT) | instid1(VALU_DEP_1)
	v_mul_f32_e32 v49, v51, v49
	v_add_f32_e32 v49, v53, v49
	s_delay_alu instid0(VALU_DEP_1) | instskip(NEXT) | instid1(VALU_DEP_1)
	v_add_f32_e32 v51, v52, v49
	v_mul_f32_e32 v53, v51, v51
	s_delay_alu instid0(VALU_DEP_1) | instskip(SKIP_1) | instid1(VALU_DEP_2)
	v_fmaak_f32 v54, s72, v53, 0x3ecc95a3
	v_mul_f32_e32 v55, v51, v53
	v_fmaak_f32 v53, v53, v54, 0x3f2aaada
	v_ldexp_f32 v54, v51, 1
	s_delay_alu instid0(VALU_DEP_2) | instskip(SKIP_1) | instid1(VALU_DEP_2)
	v_mul_f32_e32 v53, v55, v53
	v_sub_f32_e32 v51, v51, v52
	v_dual_mul_f32 v55, 0x3f317218, v48 :: v_dual_add_f32 v52, v54, v53
	s_delay_alu instid0(VALU_DEP_2) | instskip(NEXT) | instid1(VALU_DEP_2)
	v_sub_f32_e32 v49, v49, v51
	v_sub_f32_e32 v51, v52, v54
	s_delay_alu instid0(VALU_DEP_3) | instskip(NEXT) | instid1(VALU_DEP_3)
	v_fma_f32 v54, 0x3f317218, v48, -v55
	v_ldexp_f32 v49, v49, 1
	s_delay_alu instid0(VALU_DEP_2) | instskip(NEXT) | instid1(VALU_DEP_1)
	v_dual_sub_f32 v51, v53, v51 :: v_dual_fmac_f32 v54, 0xb102e308, v48
	v_dual_add_f32 v48, v49, v51 :: v_dual_add_f32 v49, v55, v54
	s_delay_alu instid0(VALU_DEP_1) | instskip(NEXT) | instid1(VALU_DEP_1)
	v_add_f32_e32 v51, v52, v48
	v_dual_add_f32 v53, v49, v51 :: v_dual_sub_f32 v52, v51, v52
	s_delay_alu instid0(VALU_DEP_1) | instskip(NEXT) | instid1(VALU_DEP_2)
	v_sub_f32_e32 v56, v53, v49
	v_dual_sub_f32 v55, v49, v55 :: v_dual_sub_f32 v48, v48, v52
	s_delay_alu instid0(VALU_DEP_1) | instskip(SKIP_1) | instid1(VALU_DEP_2)
	v_dual_sub_f32 v57, v53, v56 :: v_dual_sub_f32 v54, v54, v55
	v_sub_f32_e32 v51, v51, v56
	v_dual_sub_f32 v49, v49, v57 :: v_dual_add_f32 v52, v54, v48
	s_delay_alu instid0(VALU_DEP_1) | instskip(NEXT) | instid1(VALU_DEP_2)
	v_add_f32_e32 v49, v51, v49
	v_sub_f32_e32 v51, v52, v54
	s_delay_alu instid0(VALU_DEP_2) | instskip(NEXT) | instid1(VALU_DEP_2)
	v_add_f32_e32 v49, v52, v49
	v_sub_f32_e32 v52, v52, v51
	s_delay_alu instid0(VALU_DEP_2) | instskip(NEXT) | instid1(VALU_DEP_1)
	v_dual_sub_f32 v48, v48, v51 :: v_dual_add_f32 v55, v53, v49
	v_dual_sub_f32 v52, v54, v52 :: v_dual_sub_f32 v51, v55, v53
	s_delay_alu instid0(VALU_DEP_1) | instskip(NEXT) | instid1(VALU_DEP_1)
	v_dual_add_f32 v48, v48, v52 :: v_dual_sub_f32 v49, v49, v51
	v_add_f32_e32 v48, v48, v49
	s_delay_alu instid0(VALU_DEP_1) | instskip(NEXT) | instid1(VALU_DEP_1)
	v_add_f32_e32 v48, v55, v48
	v_cndmask_b32_e32 v141, v48, v50, vcc_lo
.LBB145_36:                             ;   in Loop: Header=BB145_12 Depth=1
	s_or_b32 exec_lo, exec_lo, s17
	v_add_f32_e32 v142, s57, v19
	s_delay_alu instid0(VALU_DEP_1) | instskip(SKIP_1) | instid1(SALU_CYCLE_1)
	v_cmp_ge_f32_e32 vcc_lo, 0x41a00000, v142
	s_and_b32 s14, s68, vcc_lo
	s_and_saveexec_b32 s17, s14
	s_cbranch_execz .LBB145_38
; %bb.37:                               ;   in Loop: Header=BB145_12 Depth=1
	v_mul_f32_e32 v48, 0x3fb8aa3b, v142
	v_cmp_ngt_f32_e32 vcc_lo, 0xc2ce8ed0, v142
	s_delay_alu instid0(VALU_DEP_2) | instskip(SKIP_1) | instid1(VALU_DEP_2)
	v_rndne_f32_e32 v49, v48
	v_fma_f32 v50, 0x3fb8aa3b, v142, -v48
	v_sub_f32_e32 v48, v48, v49
	s_delay_alu instid0(VALU_DEP_2) | instskip(SKIP_1) | instid1(VALU_DEP_2)
	v_fmac_f32_e32 v50, 0x32a5705f, v142
	v_cvt_i32_f32_e32 v49, v49
	v_add_f32_e32 v48, v48, v50
	s_delay_alu instid0(VALU_DEP_1) | instskip(SKIP_2) | instid1(VALU_DEP_1)
	v_exp_f32_e32 v48, v48
	s_waitcnt_depctr 0xfff
	v_ldexp_f32 v48, v48, v49
	v_cndmask_b32_e32 v48, 0, v48, vcc_lo
	v_cmp_nlt_f32_e32 vcc_lo, 0x42b17218, v142
	s_delay_alu instid0(VALU_DEP_2) | instskip(NEXT) | instid1(VALU_DEP_1)
	v_cndmask_b32_e32 v50, 0x7f800000, v48, vcc_lo
	v_add_f32_e32 v51, 1.0, v50
	s_delay_alu instid0(VALU_DEP_1) | instskip(NEXT) | instid1(VALU_DEP_1)
	v_cvt_f64_f32_e32 v[48:49], v51
	v_frexp_exp_i32_f64_e32 v48, v[48:49]
	v_frexp_mant_f32_e32 v49, v51
	s_delay_alu instid0(VALU_DEP_1) | instskip(SKIP_1) | instid1(VALU_DEP_1)
	v_cmp_gt_f32_e32 vcc_lo, 0x3f2aaaab, v49
	v_add_f32_e32 v49, -1.0, v51
	v_sub_f32_e32 v53, v49, v51
	v_sub_f32_e32 v49, v50, v49
	s_delay_alu instid0(VALU_DEP_2) | instskip(NEXT) | instid1(VALU_DEP_1)
	v_add_f32_e32 v53, 1.0, v53
	v_add_f32_e32 v49, v49, v53
	v_cmp_gt_f32_e64 s14, 0x33800000, v50
	v_subrev_co_ci_u32_e32 v48, vcc_lo, 0, v48, vcc_lo
	v_cmp_eq_f32_e32 vcc_lo, 0x7f800000, v50
	s_delay_alu instid0(VALU_DEP_2) | instskip(SKIP_2) | instid1(VALU_DEP_2)
	v_sub_nc_u32_e32 v52, 0, v48
	v_cvt_f32_i32_e32 v48, v48
	s_or_b32 vcc_lo, s14, vcc_lo
	v_ldexp_f32 v51, v51, v52
	v_ldexp_f32 v49, v49, v52
	s_delay_alu instid0(VALU_DEP_2) | instskip(NEXT) | instid1(VALU_DEP_1)
	v_add_f32_e32 v54, 1.0, v51
	v_dual_add_f32 v52, -1.0, v51 :: v_dual_add_f32 v53, -1.0, v54
	s_delay_alu instid0(VALU_DEP_1) | instskip(NEXT) | instid1(VALU_DEP_2)
	v_add_f32_e32 v55, 1.0, v52
	v_sub_f32_e32 v53, v51, v53
	s_delay_alu instid0(VALU_DEP_2) | instskip(NEXT) | instid1(VALU_DEP_2)
	v_sub_f32_e32 v51, v51, v55
	v_add_f32_e32 v53, v49, v53
	s_delay_alu instid0(VALU_DEP_2) | instskip(NEXT) | instid1(VALU_DEP_1)
	v_add_f32_e32 v49, v49, v51
	v_add_f32_e32 v56, v52, v49
	s_delay_alu instid0(VALU_DEP_1) | instskip(NEXT) | instid1(VALU_DEP_1)
	v_dual_add_f32 v55, v54, v53 :: v_dual_sub_f32 v52, v52, v56
	v_rcp_f32_e32 v51, v55
	v_sub_f32_e32 v54, v54, v55
	s_delay_alu instid0(VALU_DEP_1) | instskip(SKIP_2) | instid1(VALU_DEP_1)
	v_add_f32_e32 v53, v53, v54
	s_waitcnt_depctr 0xfff
	v_mul_f32_e32 v57, v56, v51
	v_mul_f32_e32 v58, v55, v57
	s_delay_alu instid0(VALU_DEP_1) | instskip(NEXT) | instid1(VALU_DEP_1)
	v_fma_f32 v54, v57, v55, -v58
	v_fmac_f32_e32 v54, v57, v53
	s_delay_alu instid0(VALU_DEP_1) | instskip(NEXT) | instid1(VALU_DEP_1)
	v_add_f32_e32 v59, v58, v54
	v_sub_f32_e32 v60, v56, v59
	s_delay_alu instid0(VALU_DEP_1) | instskip(SKIP_1) | instid1(VALU_DEP_2)
	v_sub_f32_e32 v56, v56, v60
	v_dual_add_f32 v49, v49, v52 :: v_dual_sub_f32 v52, v59, v58
	v_sub_f32_e32 v56, v56, v59
	s_delay_alu instid0(VALU_DEP_1) | instskip(NEXT) | instid1(VALU_DEP_1)
	v_dual_sub_f32 v52, v52, v54 :: v_dual_add_f32 v49, v49, v56
	v_add_f32_e32 v49, v52, v49
	s_delay_alu instid0(VALU_DEP_1) | instskip(NEXT) | instid1(VALU_DEP_1)
	v_add_f32_e32 v52, v60, v49
	v_mul_f32_e32 v54, v51, v52
	s_delay_alu instid0(VALU_DEP_1) | instskip(NEXT) | instid1(VALU_DEP_1)
	v_dual_sub_f32 v59, v60, v52 :: v_dual_mul_f32 v56, v55, v54
	v_add_f32_e32 v49, v49, v59
	s_delay_alu instid0(VALU_DEP_2) | instskip(NEXT) | instid1(VALU_DEP_1)
	v_fma_f32 v55, v54, v55, -v56
	v_fmac_f32_e32 v55, v54, v53
	s_delay_alu instid0(VALU_DEP_1) | instskip(NEXT) | instid1(VALU_DEP_1)
	v_add_f32_e32 v53, v56, v55
	v_sub_f32_e32 v58, v52, v53
	s_delay_alu instid0(VALU_DEP_1) | instskip(NEXT) | instid1(VALU_DEP_1)
	v_sub_f32_e32 v52, v52, v58
	v_sub_f32_e32 v52, v52, v53
	s_delay_alu instid0(VALU_DEP_1) | instskip(SKIP_2) | instid1(VALU_DEP_1)
	v_add_f32_e32 v49, v49, v52
	v_add_f32_e32 v52, v57, v54
	v_sub_f32_e32 v56, v53, v56
	v_sub_f32_e32 v53, v56, v55
	s_delay_alu instid0(VALU_DEP_1) | instskip(NEXT) | instid1(VALU_DEP_4)
	v_add_f32_e32 v49, v53, v49
	v_sub_f32_e32 v53, v52, v57
	s_delay_alu instid0(VALU_DEP_2) | instskip(NEXT) | instid1(VALU_DEP_2)
	v_add_f32_e32 v49, v58, v49
	v_sub_f32_e32 v53, v54, v53
	s_delay_alu instid0(VALU_DEP_2) | instskip(NEXT) | instid1(VALU_DEP_1)
	v_mul_f32_e32 v49, v51, v49
	v_add_f32_e32 v49, v53, v49
	s_delay_alu instid0(VALU_DEP_1) | instskip(NEXT) | instid1(VALU_DEP_1)
	v_add_f32_e32 v51, v52, v49
	v_mul_f32_e32 v53, v51, v51
	s_delay_alu instid0(VALU_DEP_1) | instskip(SKIP_1) | instid1(VALU_DEP_2)
	v_fmaak_f32 v54, s72, v53, 0x3ecc95a3
	v_mul_f32_e32 v55, v51, v53
	v_fmaak_f32 v53, v53, v54, 0x3f2aaada
	v_ldexp_f32 v54, v51, 1
	s_delay_alu instid0(VALU_DEP_2) | instskip(SKIP_1) | instid1(VALU_DEP_2)
	v_mul_f32_e32 v53, v55, v53
	v_sub_f32_e32 v51, v51, v52
	v_dual_mul_f32 v55, 0x3f317218, v48 :: v_dual_add_f32 v52, v54, v53
	s_delay_alu instid0(VALU_DEP_2) | instskip(NEXT) | instid1(VALU_DEP_2)
	v_sub_f32_e32 v49, v49, v51
	v_sub_f32_e32 v51, v52, v54
	s_delay_alu instid0(VALU_DEP_3) | instskip(NEXT) | instid1(VALU_DEP_3)
	v_fma_f32 v54, 0x3f317218, v48, -v55
	v_ldexp_f32 v49, v49, 1
	s_delay_alu instid0(VALU_DEP_2) | instskip(NEXT) | instid1(VALU_DEP_1)
	v_dual_sub_f32 v51, v53, v51 :: v_dual_fmac_f32 v54, 0xb102e308, v48
	v_dual_add_f32 v48, v49, v51 :: v_dual_add_f32 v49, v55, v54
	s_delay_alu instid0(VALU_DEP_1) | instskip(NEXT) | instid1(VALU_DEP_1)
	v_add_f32_e32 v51, v52, v48
	v_dual_add_f32 v53, v49, v51 :: v_dual_sub_f32 v52, v51, v52
	s_delay_alu instid0(VALU_DEP_1) | instskip(NEXT) | instid1(VALU_DEP_2)
	v_sub_f32_e32 v56, v53, v49
	v_dual_sub_f32 v55, v49, v55 :: v_dual_sub_f32 v48, v48, v52
	s_delay_alu instid0(VALU_DEP_1) | instskip(SKIP_1) | instid1(VALU_DEP_2)
	v_dual_sub_f32 v57, v53, v56 :: v_dual_sub_f32 v54, v54, v55
	v_sub_f32_e32 v51, v51, v56
	v_dual_sub_f32 v49, v49, v57 :: v_dual_add_f32 v52, v54, v48
	s_delay_alu instid0(VALU_DEP_1) | instskip(NEXT) | instid1(VALU_DEP_2)
	v_add_f32_e32 v49, v51, v49
	v_sub_f32_e32 v51, v52, v54
	s_delay_alu instid0(VALU_DEP_2) | instskip(NEXT) | instid1(VALU_DEP_2)
	v_add_f32_e32 v49, v52, v49
	v_sub_f32_e32 v52, v52, v51
	s_delay_alu instid0(VALU_DEP_2) | instskip(NEXT) | instid1(VALU_DEP_1)
	v_dual_sub_f32 v48, v48, v51 :: v_dual_add_f32 v55, v53, v49
	v_dual_sub_f32 v52, v54, v52 :: v_dual_sub_f32 v51, v55, v53
	s_delay_alu instid0(VALU_DEP_1) | instskip(NEXT) | instid1(VALU_DEP_1)
	v_dual_add_f32 v48, v48, v52 :: v_dual_sub_f32 v49, v49, v51
	v_add_f32_e32 v48, v48, v49
	s_delay_alu instid0(VALU_DEP_1) | instskip(NEXT) | instid1(VALU_DEP_1)
	v_add_f32_e32 v48, v55, v48
	v_cndmask_b32_e32 v142, v48, v50, vcc_lo
.LBB145_38:                             ;   in Loop: Header=BB145_12 Depth=1
	s_or_b32 exec_lo, exec_lo, s17
	s_waitcnt lgkmcnt(1)
	v_add_f32_e32 v143, s57, v4
	s_delay_alu instid0(VALU_DEP_1) | instskip(SKIP_1) | instid1(SALU_CYCLE_1)
	v_cmp_ge_f32_e32 vcc_lo, 0x41a00000, v143
	s_and_b32 s14, s68, vcc_lo
	s_and_saveexec_b32 s17, s14
	s_cbranch_execz .LBB145_40
; %bb.39:                               ;   in Loop: Header=BB145_12 Depth=1
	v_mul_f32_e32 v48, 0x3fb8aa3b, v143
	v_cmp_ngt_f32_e32 vcc_lo, 0xc2ce8ed0, v143
	s_delay_alu instid0(VALU_DEP_2) | instskip(SKIP_1) | instid1(VALU_DEP_2)
	v_rndne_f32_e32 v49, v48
	v_fma_f32 v50, 0x3fb8aa3b, v143, -v48
	v_sub_f32_e32 v48, v48, v49
	s_delay_alu instid0(VALU_DEP_2) | instskip(SKIP_1) | instid1(VALU_DEP_2)
	v_fmac_f32_e32 v50, 0x32a5705f, v143
	v_cvt_i32_f32_e32 v49, v49
	v_add_f32_e32 v48, v48, v50
	s_delay_alu instid0(VALU_DEP_1) | instskip(SKIP_2) | instid1(VALU_DEP_1)
	v_exp_f32_e32 v48, v48
	s_waitcnt_depctr 0xfff
	v_ldexp_f32 v48, v48, v49
	v_cndmask_b32_e32 v48, 0, v48, vcc_lo
	v_cmp_nlt_f32_e32 vcc_lo, 0x42b17218, v143
	s_delay_alu instid0(VALU_DEP_2) | instskip(NEXT) | instid1(VALU_DEP_1)
	v_cndmask_b32_e32 v50, 0x7f800000, v48, vcc_lo
	v_add_f32_e32 v51, 1.0, v50
	s_delay_alu instid0(VALU_DEP_1) | instskip(NEXT) | instid1(VALU_DEP_1)
	v_cvt_f64_f32_e32 v[48:49], v51
	v_frexp_exp_i32_f64_e32 v48, v[48:49]
	v_frexp_mant_f32_e32 v49, v51
	s_delay_alu instid0(VALU_DEP_1) | instskip(SKIP_1) | instid1(VALU_DEP_1)
	v_cmp_gt_f32_e32 vcc_lo, 0x3f2aaaab, v49
	v_add_f32_e32 v49, -1.0, v51
	v_sub_f32_e32 v53, v49, v51
	v_sub_f32_e32 v49, v50, v49
	s_delay_alu instid0(VALU_DEP_2) | instskip(NEXT) | instid1(VALU_DEP_1)
	v_add_f32_e32 v53, 1.0, v53
	v_add_f32_e32 v49, v49, v53
	v_cmp_gt_f32_e64 s14, 0x33800000, v50
	v_subrev_co_ci_u32_e32 v48, vcc_lo, 0, v48, vcc_lo
	v_cmp_eq_f32_e32 vcc_lo, 0x7f800000, v50
	s_delay_alu instid0(VALU_DEP_2) | instskip(SKIP_2) | instid1(VALU_DEP_2)
	v_sub_nc_u32_e32 v52, 0, v48
	v_cvt_f32_i32_e32 v48, v48
	s_or_b32 vcc_lo, s14, vcc_lo
	v_ldexp_f32 v51, v51, v52
	v_ldexp_f32 v49, v49, v52
	s_delay_alu instid0(VALU_DEP_2) | instskip(NEXT) | instid1(VALU_DEP_1)
	v_add_f32_e32 v54, 1.0, v51
	v_dual_add_f32 v52, -1.0, v51 :: v_dual_add_f32 v53, -1.0, v54
	s_delay_alu instid0(VALU_DEP_1) | instskip(NEXT) | instid1(VALU_DEP_2)
	v_add_f32_e32 v55, 1.0, v52
	v_sub_f32_e32 v53, v51, v53
	s_delay_alu instid0(VALU_DEP_2) | instskip(NEXT) | instid1(VALU_DEP_2)
	v_sub_f32_e32 v51, v51, v55
	v_add_f32_e32 v53, v49, v53
	s_delay_alu instid0(VALU_DEP_2) | instskip(NEXT) | instid1(VALU_DEP_1)
	v_add_f32_e32 v49, v49, v51
	v_add_f32_e32 v56, v52, v49
	s_delay_alu instid0(VALU_DEP_1) | instskip(NEXT) | instid1(VALU_DEP_1)
	v_dual_add_f32 v55, v54, v53 :: v_dual_sub_f32 v52, v52, v56
	v_rcp_f32_e32 v51, v55
	v_sub_f32_e32 v54, v54, v55
	s_delay_alu instid0(VALU_DEP_1) | instskip(SKIP_2) | instid1(VALU_DEP_1)
	v_add_f32_e32 v53, v53, v54
	s_waitcnt_depctr 0xfff
	v_mul_f32_e32 v57, v56, v51
	v_mul_f32_e32 v58, v55, v57
	s_delay_alu instid0(VALU_DEP_1) | instskip(NEXT) | instid1(VALU_DEP_1)
	v_fma_f32 v54, v57, v55, -v58
	v_fmac_f32_e32 v54, v57, v53
	s_delay_alu instid0(VALU_DEP_1) | instskip(NEXT) | instid1(VALU_DEP_1)
	v_add_f32_e32 v59, v58, v54
	v_sub_f32_e32 v60, v56, v59
	s_delay_alu instid0(VALU_DEP_1) | instskip(SKIP_1) | instid1(VALU_DEP_2)
	v_sub_f32_e32 v56, v56, v60
	v_dual_add_f32 v49, v49, v52 :: v_dual_sub_f32 v52, v59, v58
	v_sub_f32_e32 v56, v56, v59
	s_delay_alu instid0(VALU_DEP_1) | instskip(NEXT) | instid1(VALU_DEP_1)
	v_dual_sub_f32 v52, v52, v54 :: v_dual_add_f32 v49, v49, v56
	v_add_f32_e32 v49, v52, v49
	s_delay_alu instid0(VALU_DEP_1) | instskip(NEXT) | instid1(VALU_DEP_1)
	v_add_f32_e32 v52, v60, v49
	v_mul_f32_e32 v54, v51, v52
	s_delay_alu instid0(VALU_DEP_1) | instskip(NEXT) | instid1(VALU_DEP_1)
	v_dual_sub_f32 v59, v60, v52 :: v_dual_mul_f32 v56, v55, v54
	v_add_f32_e32 v49, v49, v59
	s_delay_alu instid0(VALU_DEP_2) | instskip(NEXT) | instid1(VALU_DEP_1)
	v_fma_f32 v55, v54, v55, -v56
	v_fmac_f32_e32 v55, v54, v53
	s_delay_alu instid0(VALU_DEP_1) | instskip(NEXT) | instid1(VALU_DEP_1)
	v_add_f32_e32 v53, v56, v55
	v_sub_f32_e32 v58, v52, v53
	s_delay_alu instid0(VALU_DEP_1) | instskip(NEXT) | instid1(VALU_DEP_1)
	v_sub_f32_e32 v52, v52, v58
	v_sub_f32_e32 v52, v52, v53
	s_delay_alu instid0(VALU_DEP_1) | instskip(SKIP_2) | instid1(VALU_DEP_1)
	v_add_f32_e32 v49, v49, v52
	v_add_f32_e32 v52, v57, v54
	v_sub_f32_e32 v56, v53, v56
	v_sub_f32_e32 v53, v56, v55
	s_delay_alu instid0(VALU_DEP_1) | instskip(NEXT) | instid1(VALU_DEP_4)
	v_add_f32_e32 v49, v53, v49
	v_sub_f32_e32 v53, v52, v57
	s_delay_alu instid0(VALU_DEP_2) | instskip(NEXT) | instid1(VALU_DEP_2)
	v_add_f32_e32 v49, v58, v49
	v_sub_f32_e32 v53, v54, v53
	s_delay_alu instid0(VALU_DEP_2) | instskip(NEXT) | instid1(VALU_DEP_1)
	v_mul_f32_e32 v49, v51, v49
	v_add_f32_e32 v49, v53, v49
	s_delay_alu instid0(VALU_DEP_1) | instskip(NEXT) | instid1(VALU_DEP_1)
	v_add_f32_e32 v51, v52, v49
	v_mul_f32_e32 v53, v51, v51
	s_delay_alu instid0(VALU_DEP_1) | instskip(SKIP_1) | instid1(VALU_DEP_2)
	v_fmaak_f32 v54, s72, v53, 0x3ecc95a3
	v_mul_f32_e32 v55, v51, v53
	v_fmaak_f32 v53, v53, v54, 0x3f2aaada
	v_ldexp_f32 v54, v51, 1
	s_delay_alu instid0(VALU_DEP_2) | instskip(SKIP_1) | instid1(VALU_DEP_2)
	v_mul_f32_e32 v53, v55, v53
	v_sub_f32_e32 v51, v51, v52
	v_dual_mul_f32 v55, 0x3f317218, v48 :: v_dual_add_f32 v52, v54, v53
	s_delay_alu instid0(VALU_DEP_2) | instskip(NEXT) | instid1(VALU_DEP_2)
	v_sub_f32_e32 v49, v49, v51
	v_sub_f32_e32 v51, v52, v54
	s_delay_alu instid0(VALU_DEP_3) | instskip(NEXT) | instid1(VALU_DEP_3)
	v_fma_f32 v54, 0x3f317218, v48, -v55
	v_ldexp_f32 v49, v49, 1
	s_delay_alu instid0(VALU_DEP_2) | instskip(NEXT) | instid1(VALU_DEP_1)
	v_dual_sub_f32 v51, v53, v51 :: v_dual_fmac_f32 v54, 0xb102e308, v48
	v_dual_add_f32 v48, v49, v51 :: v_dual_add_f32 v49, v55, v54
	s_delay_alu instid0(VALU_DEP_1) | instskip(NEXT) | instid1(VALU_DEP_1)
	v_add_f32_e32 v51, v52, v48
	v_dual_add_f32 v53, v49, v51 :: v_dual_sub_f32 v52, v51, v52
	s_delay_alu instid0(VALU_DEP_1) | instskip(NEXT) | instid1(VALU_DEP_2)
	v_sub_f32_e32 v56, v53, v49
	v_dual_sub_f32 v55, v49, v55 :: v_dual_sub_f32 v48, v48, v52
	s_delay_alu instid0(VALU_DEP_1) | instskip(SKIP_1) | instid1(VALU_DEP_2)
	v_dual_sub_f32 v57, v53, v56 :: v_dual_sub_f32 v54, v54, v55
	v_sub_f32_e32 v51, v51, v56
	v_dual_sub_f32 v49, v49, v57 :: v_dual_add_f32 v52, v54, v48
	s_delay_alu instid0(VALU_DEP_1) | instskip(NEXT) | instid1(VALU_DEP_2)
	v_add_f32_e32 v49, v51, v49
	v_sub_f32_e32 v51, v52, v54
	s_delay_alu instid0(VALU_DEP_2) | instskip(NEXT) | instid1(VALU_DEP_2)
	v_add_f32_e32 v49, v52, v49
	v_sub_f32_e32 v52, v52, v51
	s_delay_alu instid0(VALU_DEP_2) | instskip(NEXT) | instid1(VALU_DEP_1)
	v_dual_sub_f32 v48, v48, v51 :: v_dual_add_f32 v55, v53, v49
	v_dual_sub_f32 v52, v54, v52 :: v_dual_sub_f32 v51, v55, v53
	s_delay_alu instid0(VALU_DEP_1) | instskip(NEXT) | instid1(VALU_DEP_1)
	v_dual_add_f32 v48, v48, v52 :: v_dual_sub_f32 v49, v49, v51
	v_add_f32_e32 v48, v48, v49
	s_delay_alu instid0(VALU_DEP_1) | instskip(NEXT) | instid1(VALU_DEP_1)
	v_add_f32_e32 v48, v55, v48
	v_cndmask_b32_e32 v143, v48, v50, vcc_lo
.LBB145_40:                             ;   in Loop: Header=BB145_12 Depth=1
	s_or_b32 exec_lo, exec_lo, s17
	v_add_f32_e32 v144, s57, v5
	s_delay_alu instid0(VALU_DEP_1) | instskip(SKIP_1) | instid1(SALU_CYCLE_1)
	v_cmp_ge_f32_e32 vcc_lo, 0x41a00000, v144
	s_and_b32 s14, s68, vcc_lo
	s_and_saveexec_b32 s17, s14
	s_cbranch_execz .LBB145_42
; %bb.41:                               ;   in Loop: Header=BB145_12 Depth=1
	v_mul_f32_e32 v48, 0x3fb8aa3b, v144
	v_cmp_ngt_f32_e32 vcc_lo, 0xc2ce8ed0, v144
	s_delay_alu instid0(VALU_DEP_2) | instskip(SKIP_1) | instid1(VALU_DEP_2)
	v_rndne_f32_e32 v49, v48
	v_fma_f32 v50, 0x3fb8aa3b, v144, -v48
	v_sub_f32_e32 v48, v48, v49
	s_delay_alu instid0(VALU_DEP_2) | instskip(SKIP_1) | instid1(VALU_DEP_2)
	v_fmac_f32_e32 v50, 0x32a5705f, v144
	v_cvt_i32_f32_e32 v49, v49
	v_add_f32_e32 v48, v48, v50
	s_delay_alu instid0(VALU_DEP_1) | instskip(SKIP_2) | instid1(VALU_DEP_1)
	v_exp_f32_e32 v48, v48
	s_waitcnt_depctr 0xfff
	v_ldexp_f32 v48, v48, v49
	v_cndmask_b32_e32 v48, 0, v48, vcc_lo
	v_cmp_nlt_f32_e32 vcc_lo, 0x42b17218, v144
	s_delay_alu instid0(VALU_DEP_2) | instskip(NEXT) | instid1(VALU_DEP_1)
	v_cndmask_b32_e32 v50, 0x7f800000, v48, vcc_lo
	v_add_f32_e32 v51, 1.0, v50
	s_delay_alu instid0(VALU_DEP_1) | instskip(NEXT) | instid1(VALU_DEP_1)
	v_cvt_f64_f32_e32 v[48:49], v51
	v_frexp_exp_i32_f64_e32 v48, v[48:49]
	v_frexp_mant_f32_e32 v49, v51
	s_delay_alu instid0(VALU_DEP_1) | instskip(SKIP_1) | instid1(VALU_DEP_1)
	v_cmp_gt_f32_e32 vcc_lo, 0x3f2aaaab, v49
	v_add_f32_e32 v49, -1.0, v51
	v_sub_f32_e32 v53, v49, v51
	v_sub_f32_e32 v49, v50, v49
	s_delay_alu instid0(VALU_DEP_2) | instskip(NEXT) | instid1(VALU_DEP_1)
	v_add_f32_e32 v53, 1.0, v53
	v_add_f32_e32 v49, v49, v53
	v_cmp_gt_f32_e64 s14, 0x33800000, v50
	v_subrev_co_ci_u32_e32 v48, vcc_lo, 0, v48, vcc_lo
	v_cmp_eq_f32_e32 vcc_lo, 0x7f800000, v50
	s_delay_alu instid0(VALU_DEP_2) | instskip(SKIP_2) | instid1(VALU_DEP_2)
	v_sub_nc_u32_e32 v52, 0, v48
	v_cvt_f32_i32_e32 v48, v48
	s_or_b32 vcc_lo, s14, vcc_lo
	v_ldexp_f32 v51, v51, v52
	v_ldexp_f32 v49, v49, v52
	s_delay_alu instid0(VALU_DEP_2) | instskip(NEXT) | instid1(VALU_DEP_1)
	v_add_f32_e32 v54, 1.0, v51
	v_dual_add_f32 v52, -1.0, v51 :: v_dual_add_f32 v53, -1.0, v54
	s_delay_alu instid0(VALU_DEP_1) | instskip(NEXT) | instid1(VALU_DEP_2)
	v_add_f32_e32 v55, 1.0, v52
	v_sub_f32_e32 v53, v51, v53
	s_delay_alu instid0(VALU_DEP_2) | instskip(NEXT) | instid1(VALU_DEP_2)
	v_sub_f32_e32 v51, v51, v55
	v_add_f32_e32 v53, v49, v53
	s_delay_alu instid0(VALU_DEP_2) | instskip(NEXT) | instid1(VALU_DEP_1)
	v_add_f32_e32 v49, v49, v51
	v_add_f32_e32 v56, v52, v49
	s_delay_alu instid0(VALU_DEP_1) | instskip(NEXT) | instid1(VALU_DEP_1)
	v_dual_add_f32 v55, v54, v53 :: v_dual_sub_f32 v52, v52, v56
	v_rcp_f32_e32 v51, v55
	v_sub_f32_e32 v54, v54, v55
	s_delay_alu instid0(VALU_DEP_1) | instskip(SKIP_2) | instid1(VALU_DEP_1)
	v_add_f32_e32 v53, v53, v54
	s_waitcnt_depctr 0xfff
	v_mul_f32_e32 v57, v56, v51
	v_mul_f32_e32 v58, v55, v57
	s_delay_alu instid0(VALU_DEP_1) | instskip(NEXT) | instid1(VALU_DEP_1)
	v_fma_f32 v54, v57, v55, -v58
	v_fmac_f32_e32 v54, v57, v53
	s_delay_alu instid0(VALU_DEP_1) | instskip(NEXT) | instid1(VALU_DEP_1)
	v_add_f32_e32 v59, v58, v54
	v_sub_f32_e32 v60, v56, v59
	s_delay_alu instid0(VALU_DEP_1) | instskip(SKIP_1) | instid1(VALU_DEP_2)
	v_sub_f32_e32 v56, v56, v60
	v_dual_add_f32 v49, v49, v52 :: v_dual_sub_f32 v52, v59, v58
	v_sub_f32_e32 v56, v56, v59
	s_delay_alu instid0(VALU_DEP_1) | instskip(NEXT) | instid1(VALU_DEP_1)
	v_dual_sub_f32 v52, v52, v54 :: v_dual_add_f32 v49, v49, v56
	v_add_f32_e32 v49, v52, v49
	s_delay_alu instid0(VALU_DEP_1) | instskip(NEXT) | instid1(VALU_DEP_1)
	v_add_f32_e32 v52, v60, v49
	v_mul_f32_e32 v54, v51, v52
	s_delay_alu instid0(VALU_DEP_1) | instskip(NEXT) | instid1(VALU_DEP_1)
	v_dual_sub_f32 v59, v60, v52 :: v_dual_mul_f32 v56, v55, v54
	v_add_f32_e32 v49, v49, v59
	s_delay_alu instid0(VALU_DEP_2) | instskip(NEXT) | instid1(VALU_DEP_1)
	v_fma_f32 v55, v54, v55, -v56
	v_fmac_f32_e32 v55, v54, v53
	s_delay_alu instid0(VALU_DEP_1) | instskip(NEXT) | instid1(VALU_DEP_1)
	v_add_f32_e32 v53, v56, v55
	v_sub_f32_e32 v58, v52, v53
	s_delay_alu instid0(VALU_DEP_1) | instskip(NEXT) | instid1(VALU_DEP_1)
	v_sub_f32_e32 v52, v52, v58
	v_sub_f32_e32 v52, v52, v53
	s_delay_alu instid0(VALU_DEP_1) | instskip(SKIP_2) | instid1(VALU_DEP_1)
	v_add_f32_e32 v49, v49, v52
	v_add_f32_e32 v52, v57, v54
	v_sub_f32_e32 v56, v53, v56
	v_sub_f32_e32 v53, v56, v55
	s_delay_alu instid0(VALU_DEP_1) | instskip(NEXT) | instid1(VALU_DEP_4)
	v_add_f32_e32 v49, v53, v49
	v_sub_f32_e32 v53, v52, v57
	s_delay_alu instid0(VALU_DEP_2) | instskip(NEXT) | instid1(VALU_DEP_2)
	v_add_f32_e32 v49, v58, v49
	v_sub_f32_e32 v53, v54, v53
	s_delay_alu instid0(VALU_DEP_2) | instskip(NEXT) | instid1(VALU_DEP_1)
	v_mul_f32_e32 v49, v51, v49
	v_add_f32_e32 v49, v53, v49
	s_delay_alu instid0(VALU_DEP_1) | instskip(NEXT) | instid1(VALU_DEP_1)
	v_add_f32_e32 v51, v52, v49
	v_mul_f32_e32 v53, v51, v51
	s_delay_alu instid0(VALU_DEP_1) | instskip(SKIP_1) | instid1(VALU_DEP_2)
	v_fmaak_f32 v54, s72, v53, 0x3ecc95a3
	v_mul_f32_e32 v55, v51, v53
	v_fmaak_f32 v53, v53, v54, 0x3f2aaada
	v_ldexp_f32 v54, v51, 1
	s_delay_alu instid0(VALU_DEP_2) | instskip(SKIP_1) | instid1(VALU_DEP_2)
	v_mul_f32_e32 v53, v55, v53
	v_sub_f32_e32 v51, v51, v52
	v_dual_mul_f32 v55, 0x3f317218, v48 :: v_dual_add_f32 v52, v54, v53
	s_delay_alu instid0(VALU_DEP_2) | instskip(NEXT) | instid1(VALU_DEP_2)
	v_sub_f32_e32 v49, v49, v51
	v_sub_f32_e32 v51, v52, v54
	s_delay_alu instid0(VALU_DEP_3) | instskip(NEXT) | instid1(VALU_DEP_3)
	v_fma_f32 v54, 0x3f317218, v48, -v55
	v_ldexp_f32 v49, v49, 1
	s_delay_alu instid0(VALU_DEP_2) | instskip(NEXT) | instid1(VALU_DEP_1)
	v_dual_sub_f32 v51, v53, v51 :: v_dual_fmac_f32 v54, 0xb102e308, v48
	v_dual_add_f32 v48, v49, v51 :: v_dual_add_f32 v49, v55, v54
	s_delay_alu instid0(VALU_DEP_1) | instskip(NEXT) | instid1(VALU_DEP_1)
	v_add_f32_e32 v51, v52, v48
	v_dual_add_f32 v53, v49, v51 :: v_dual_sub_f32 v52, v51, v52
	s_delay_alu instid0(VALU_DEP_1) | instskip(NEXT) | instid1(VALU_DEP_2)
	v_sub_f32_e32 v56, v53, v49
	v_dual_sub_f32 v55, v49, v55 :: v_dual_sub_f32 v48, v48, v52
	s_delay_alu instid0(VALU_DEP_1) | instskip(SKIP_1) | instid1(VALU_DEP_2)
	v_dual_sub_f32 v57, v53, v56 :: v_dual_sub_f32 v54, v54, v55
	v_sub_f32_e32 v51, v51, v56
	v_dual_sub_f32 v49, v49, v57 :: v_dual_add_f32 v52, v54, v48
	s_delay_alu instid0(VALU_DEP_1) | instskip(NEXT) | instid1(VALU_DEP_2)
	v_add_f32_e32 v49, v51, v49
	v_sub_f32_e32 v51, v52, v54
	s_delay_alu instid0(VALU_DEP_2) | instskip(NEXT) | instid1(VALU_DEP_2)
	v_add_f32_e32 v49, v52, v49
	v_sub_f32_e32 v52, v52, v51
	s_delay_alu instid0(VALU_DEP_2) | instskip(NEXT) | instid1(VALU_DEP_1)
	v_dual_sub_f32 v48, v48, v51 :: v_dual_add_f32 v55, v53, v49
	v_dual_sub_f32 v52, v54, v52 :: v_dual_sub_f32 v51, v55, v53
	s_delay_alu instid0(VALU_DEP_1) | instskip(NEXT) | instid1(VALU_DEP_1)
	v_dual_add_f32 v48, v48, v52 :: v_dual_sub_f32 v49, v49, v51
	v_add_f32_e32 v48, v48, v49
	s_delay_alu instid0(VALU_DEP_1) | instskip(NEXT) | instid1(VALU_DEP_1)
	v_add_f32_e32 v48, v55, v48
	v_cndmask_b32_e32 v144, v48, v50, vcc_lo
.LBB145_42:                             ;   in Loop: Header=BB145_12 Depth=1
	s_or_b32 exec_lo, exec_lo, s17
	v_add_f32_e32 v145, s57, v6
	s_delay_alu instid0(VALU_DEP_1) | instskip(SKIP_1) | instid1(SALU_CYCLE_1)
	v_cmp_ge_f32_e32 vcc_lo, 0x41a00000, v145
	s_and_b32 s14, s68, vcc_lo
	s_and_saveexec_b32 s17, s14
	s_cbranch_execz .LBB145_44
; %bb.43:                               ;   in Loop: Header=BB145_12 Depth=1
	v_mul_f32_e32 v48, 0x3fb8aa3b, v145
	v_cmp_ngt_f32_e32 vcc_lo, 0xc2ce8ed0, v145
	s_delay_alu instid0(VALU_DEP_2) | instskip(SKIP_1) | instid1(VALU_DEP_2)
	v_rndne_f32_e32 v49, v48
	v_fma_f32 v50, 0x3fb8aa3b, v145, -v48
	v_sub_f32_e32 v48, v48, v49
	s_delay_alu instid0(VALU_DEP_2) | instskip(SKIP_1) | instid1(VALU_DEP_2)
	v_fmac_f32_e32 v50, 0x32a5705f, v145
	v_cvt_i32_f32_e32 v49, v49
	v_add_f32_e32 v48, v48, v50
	s_delay_alu instid0(VALU_DEP_1) | instskip(SKIP_2) | instid1(VALU_DEP_1)
	v_exp_f32_e32 v48, v48
	s_waitcnt_depctr 0xfff
	v_ldexp_f32 v48, v48, v49
	v_cndmask_b32_e32 v48, 0, v48, vcc_lo
	v_cmp_nlt_f32_e32 vcc_lo, 0x42b17218, v145
	s_delay_alu instid0(VALU_DEP_2) | instskip(NEXT) | instid1(VALU_DEP_1)
	v_cndmask_b32_e32 v50, 0x7f800000, v48, vcc_lo
	v_add_f32_e32 v51, 1.0, v50
	s_delay_alu instid0(VALU_DEP_1) | instskip(NEXT) | instid1(VALU_DEP_1)
	v_cvt_f64_f32_e32 v[48:49], v51
	v_frexp_exp_i32_f64_e32 v48, v[48:49]
	v_frexp_mant_f32_e32 v49, v51
	s_delay_alu instid0(VALU_DEP_1) | instskip(SKIP_1) | instid1(VALU_DEP_1)
	v_cmp_gt_f32_e32 vcc_lo, 0x3f2aaaab, v49
	v_add_f32_e32 v49, -1.0, v51
	v_sub_f32_e32 v53, v49, v51
	v_sub_f32_e32 v49, v50, v49
	s_delay_alu instid0(VALU_DEP_2) | instskip(NEXT) | instid1(VALU_DEP_1)
	v_add_f32_e32 v53, 1.0, v53
	v_add_f32_e32 v49, v49, v53
	v_cmp_gt_f32_e64 s14, 0x33800000, v50
	v_subrev_co_ci_u32_e32 v48, vcc_lo, 0, v48, vcc_lo
	v_cmp_eq_f32_e32 vcc_lo, 0x7f800000, v50
	s_delay_alu instid0(VALU_DEP_2) | instskip(SKIP_2) | instid1(VALU_DEP_2)
	v_sub_nc_u32_e32 v52, 0, v48
	v_cvt_f32_i32_e32 v48, v48
	s_or_b32 vcc_lo, s14, vcc_lo
	v_ldexp_f32 v51, v51, v52
	v_ldexp_f32 v49, v49, v52
	s_delay_alu instid0(VALU_DEP_2) | instskip(NEXT) | instid1(VALU_DEP_1)
	v_add_f32_e32 v54, 1.0, v51
	v_dual_add_f32 v52, -1.0, v51 :: v_dual_add_f32 v53, -1.0, v54
	s_delay_alu instid0(VALU_DEP_1) | instskip(NEXT) | instid1(VALU_DEP_2)
	v_add_f32_e32 v55, 1.0, v52
	v_sub_f32_e32 v53, v51, v53
	s_delay_alu instid0(VALU_DEP_2) | instskip(NEXT) | instid1(VALU_DEP_2)
	v_sub_f32_e32 v51, v51, v55
	v_add_f32_e32 v53, v49, v53
	s_delay_alu instid0(VALU_DEP_2) | instskip(NEXT) | instid1(VALU_DEP_1)
	v_add_f32_e32 v49, v49, v51
	v_add_f32_e32 v56, v52, v49
	s_delay_alu instid0(VALU_DEP_1) | instskip(NEXT) | instid1(VALU_DEP_1)
	v_dual_add_f32 v55, v54, v53 :: v_dual_sub_f32 v52, v52, v56
	v_rcp_f32_e32 v51, v55
	v_sub_f32_e32 v54, v54, v55
	s_delay_alu instid0(VALU_DEP_1) | instskip(SKIP_2) | instid1(VALU_DEP_1)
	v_add_f32_e32 v53, v53, v54
	s_waitcnt_depctr 0xfff
	v_mul_f32_e32 v57, v56, v51
	v_mul_f32_e32 v58, v55, v57
	s_delay_alu instid0(VALU_DEP_1) | instskip(NEXT) | instid1(VALU_DEP_1)
	v_fma_f32 v54, v57, v55, -v58
	v_fmac_f32_e32 v54, v57, v53
	s_delay_alu instid0(VALU_DEP_1) | instskip(NEXT) | instid1(VALU_DEP_1)
	v_add_f32_e32 v59, v58, v54
	v_sub_f32_e32 v60, v56, v59
	s_delay_alu instid0(VALU_DEP_1) | instskip(SKIP_1) | instid1(VALU_DEP_2)
	v_sub_f32_e32 v56, v56, v60
	v_dual_add_f32 v49, v49, v52 :: v_dual_sub_f32 v52, v59, v58
	v_sub_f32_e32 v56, v56, v59
	s_delay_alu instid0(VALU_DEP_1) | instskip(NEXT) | instid1(VALU_DEP_1)
	v_dual_sub_f32 v52, v52, v54 :: v_dual_add_f32 v49, v49, v56
	v_add_f32_e32 v49, v52, v49
	s_delay_alu instid0(VALU_DEP_1) | instskip(NEXT) | instid1(VALU_DEP_1)
	v_add_f32_e32 v52, v60, v49
	v_mul_f32_e32 v54, v51, v52
	s_delay_alu instid0(VALU_DEP_1) | instskip(NEXT) | instid1(VALU_DEP_1)
	v_dual_sub_f32 v59, v60, v52 :: v_dual_mul_f32 v56, v55, v54
	v_add_f32_e32 v49, v49, v59
	s_delay_alu instid0(VALU_DEP_2) | instskip(NEXT) | instid1(VALU_DEP_1)
	v_fma_f32 v55, v54, v55, -v56
	v_fmac_f32_e32 v55, v54, v53
	s_delay_alu instid0(VALU_DEP_1) | instskip(NEXT) | instid1(VALU_DEP_1)
	v_add_f32_e32 v53, v56, v55
	v_sub_f32_e32 v58, v52, v53
	s_delay_alu instid0(VALU_DEP_1) | instskip(NEXT) | instid1(VALU_DEP_1)
	v_sub_f32_e32 v52, v52, v58
	v_sub_f32_e32 v52, v52, v53
	s_delay_alu instid0(VALU_DEP_1) | instskip(SKIP_2) | instid1(VALU_DEP_1)
	v_add_f32_e32 v49, v49, v52
	v_add_f32_e32 v52, v57, v54
	v_sub_f32_e32 v56, v53, v56
	v_sub_f32_e32 v53, v56, v55
	s_delay_alu instid0(VALU_DEP_1) | instskip(NEXT) | instid1(VALU_DEP_4)
	v_add_f32_e32 v49, v53, v49
	v_sub_f32_e32 v53, v52, v57
	s_delay_alu instid0(VALU_DEP_2) | instskip(NEXT) | instid1(VALU_DEP_2)
	v_add_f32_e32 v49, v58, v49
	v_sub_f32_e32 v53, v54, v53
	s_delay_alu instid0(VALU_DEP_2) | instskip(NEXT) | instid1(VALU_DEP_1)
	v_mul_f32_e32 v49, v51, v49
	v_add_f32_e32 v49, v53, v49
	s_delay_alu instid0(VALU_DEP_1) | instskip(NEXT) | instid1(VALU_DEP_1)
	v_add_f32_e32 v51, v52, v49
	v_mul_f32_e32 v53, v51, v51
	s_delay_alu instid0(VALU_DEP_1) | instskip(SKIP_1) | instid1(VALU_DEP_2)
	v_fmaak_f32 v54, s72, v53, 0x3ecc95a3
	v_mul_f32_e32 v55, v51, v53
	v_fmaak_f32 v53, v53, v54, 0x3f2aaada
	v_ldexp_f32 v54, v51, 1
	s_delay_alu instid0(VALU_DEP_2) | instskip(SKIP_1) | instid1(VALU_DEP_2)
	v_mul_f32_e32 v53, v55, v53
	v_sub_f32_e32 v51, v51, v52
	v_dual_mul_f32 v55, 0x3f317218, v48 :: v_dual_add_f32 v52, v54, v53
	s_delay_alu instid0(VALU_DEP_2) | instskip(NEXT) | instid1(VALU_DEP_2)
	v_sub_f32_e32 v49, v49, v51
	v_sub_f32_e32 v51, v52, v54
	s_delay_alu instid0(VALU_DEP_3) | instskip(NEXT) | instid1(VALU_DEP_3)
	v_fma_f32 v54, 0x3f317218, v48, -v55
	v_ldexp_f32 v49, v49, 1
	s_delay_alu instid0(VALU_DEP_2) | instskip(NEXT) | instid1(VALU_DEP_1)
	v_dual_sub_f32 v51, v53, v51 :: v_dual_fmac_f32 v54, 0xb102e308, v48
	v_dual_add_f32 v48, v49, v51 :: v_dual_add_f32 v49, v55, v54
	s_delay_alu instid0(VALU_DEP_1) | instskip(NEXT) | instid1(VALU_DEP_1)
	v_add_f32_e32 v51, v52, v48
	v_dual_add_f32 v53, v49, v51 :: v_dual_sub_f32 v52, v51, v52
	s_delay_alu instid0(VALU_DEP_1) | instskip(NEXT) | instid1(VALU_DEP_2)
	v_sub_f32_e32 v56, v53, v49
	v_dual_sub_f32 v55, v49, v55 :: v_dual_sub_f32 v48, v48, v52
	s_delay_alu instid0(VALU_DEP_1) | instskip(SKIP_1) | instid1(VALU_DEP_2)
	v_dual_sub_f32 v57, v53, v56 :: v_dual_sub_f32 v54, v54, v55
	v_sub_f32_e32 v51, v51, v56
	v_dual_sub_f32 v49, v49, v57 :: v_dual_add_f32 v52, v54, v48
	s_delay_alu instid0(VALU_DEP_1) | instskip(NEXT) | instid1(VALU_DEP_2)
	v_add_f32_e32 v49, v51, v49
	v_sub_f32_e32 v51, v52, v54
	s_delay_alu instid0(VALU_DEP_2) | instskip(NEXT) | instid1(VALU_DEP_2)
	v_add_f32_e32 v49, v52, v49
	v_sub_f32_e32 v52, v52, v51
	s_delay_alu instid0(VALU_DEP_2) | instskip(NEXT) | instid1(VALU_DEP_1)
	v_dual_sub_f32 v48, v48, v51 :: v_dual_add_f32 v55, v53, v49
	v_dual_sub_f32 v52, v54, v52 :: v_dual_sub_f32 v51, v55, v53
	s_delay_alu instid0(VALU_DEP_1) | instskip(NEXT) | instid1(VALU_DEP_1)
	v_dual_add_f32 v48, v48, v52 :: v_dual_sub_f32 v49, v49, v51
	v_add_f32_e32 v48, v48, v49
	s_delay_alu instid0(VALU_DEP_1) | instskip(NEXT) | instid1(VALU_DEP_1)
	v_add_f32_e32 v48, v55, v48
	v_cndmask_b32_e32 v145, v48, v50, vcc_lo
.LBB145_44:                             ;   in Loop: Header=BB145_12 Depth=1
	s_or_b32 exec_lo, exec_lo, s17
	v_add_f32_e32 v146, s57, v7
	s_delay_alu instid0(VALU_DEP_1) | instskip(SKIP_1) | instid1(SALU_CYCLE_1)
	v_cmp_ge_f32_e32 vcc_lo, 0x41a00000, v146
	s_and_b32 s14, s68, vcc_lo
	s_and_saveexec_b32 s17, s14
	s_cbranch_execz .LBB145_46
; %bb.45:                               ;   in Loop: Header=BB145_12 Depth=1
	v_mul_f32_e32 v48, 0x3fb8aa3b, v146
	v_cmp_ngt_f32_e32 vcc_lo, 0xc2ce8ed0, v146
	s_delay_alu instid0(VALU_DEP_2) | instskip(SKIP_1) | instid1(VALU_DEP_2)
	v_rndne_f32_e32 v49, v48
	v_fma_f32 v50, 0x3fb8aa3b, v146, -v48
	v_sub_f32_e32 v48, v48, v49
	s_delay_alu instid0(VALU_DEP_2) | instskip(SKIP_1) | instid1(VALU_DEP_2)
	v_fmac_f32_e32 v50, 0x32a5705f, v146
	v_cvt_i32_f32_e32 v49, v49
	v_add_f32_e32 v48, v48, v50
	s_delay_alu instid0(VALU_DEP_1) | instskip(SKIP_2) | instid1(VALU_DEP_1)
	v_exp_f32_e32 v48, v48
	s_waitcnt_depctr 0xfff
	v_ldexp_f32 v48, v48, v49
	v_cndmask_b32_e32 v48, 0, v48, vcc_lo
	v_cmp_nlt_f32_e32 vcc_lo, 0x42b17218, v146
	s_delay_alu instid0(VALU_DEP_2) | instskip(NEXT) | instid1(VALU_DEP_1)
	v_cndmask_b32_e32 v50, 0x7f800000, v48, vcc_lo
	v_add_f32_e32 v51, 1.0, v50
	s_delay_alu instid0(VALU_DEP_1) | instskip(NEXT) | instid1(VALU_DEP_1)
	v_cvt_f64_f32_e32 v[48:49], v51
	v_frexp_exp_i32_f64_e32 v48, v[48:49]
	v_frexp_mant_f32_e32 v49, v51
	s_delay_alu instid0(VALU_DEP_1) | instskip(SKIP_1) | instid1(VALU_DEP_1)
	v_cmp_gt_f32_e32 vcc_lo, 0x3f2aaaab, v49
	v_add_f32_e32 v49, -1.0, v51
	v_sub_f32_e32 v53, v49, v51
	v_sub_f32_e32 v49, v50, v49
	s_delay_alu instid0(VALU_DEP_2) | instskip(NEXT) | instid1(VALU_DEP_1)
	v_add_f32_e32 v53, 1.0, v53
	v_add_f32_e32 v49, v49, v53
	v_cmp_gt_f32_e64 s14, 0x33800000, v50
	v_subrev_co_ci_u32_e32 v48, vcc_lo, 0, v48, vcc_lo
	v_cmp_eq_f32_e32 vcc_lo, 0x7f800000, v50
	s_delay_alu instid0(VALU_DEP_2) | instskip(SKIP_2) | instid1(VALU_DEP_2)
	v_sub_nc_u32_e32 v52, 0, v48
	v_cvt_f32_i32_e32 v48, v48
	s_or_b32 vcc_lo, s14, vcc_lo
	v_ldexp_f32 v51, v51, v52
	v_ldexp_f32 v49, v49, v52
	s_delay_alu instid0(VALU_DEP_2) | instskip(NEXT) | instid1(VALU_DEP_1)
	v_add_f32_e32 v54, 1.0, v51
	v_dual_add_f32 v52, -1.0, v51 :: v_dual_add_f32 v53, -1.0, v54
	s_delay_alu instid0(VALU_DEP_1) | instskip(NEXT) | instid1(VALU_DEP_2)
	v_add_f32_e32 v55, 1.0, v52
	v_sub_f32_e32 v53, v51, v53
	s_delay_alu instid0(VALU_DEP_2) | instskip(NEXT) | instid1(VALU_DEP_2)
	v_sub_f32_e32 v51, v51, v55
	v_add_f32_e32 v53, v49, v53
	s_delay_alu instid0(VALU_DEP_2) | instskip(NEXT) | instid1(VALU_DEP_1)
	v_add_f32_e32 v49, v49, v51
	v_add_f32_e32 v56, v52, v49
	s_delay_alu instid0(VALU_DEP_1) | instskip(NEXT) | instid1(VALU_DEP_1)
	v_dual_add_f32 v55, v54, v53 :: v_dual_sub_f32 v52, v52, v56
	v_rcp_f32_e32 v51, v55
	v_sub_f32_e32 v54, v54, v55
	s_delay_alu instid0(VALU_DEP_1) | instskip(SKIP_2) | instid1(VALU_DEP_1)
	v_add_f32_e32 v53, v53, v54
	s_waitcnt_depctr 0xfff
	v_mul_f32_e32 v57, v56, v51
	v_mul_f32_e32 v58, v55, v57
	s_delay_alu instid0(VALU_DEP_1) | instskip(NEXT) | instid1(VALU_DEP_1)
	v_fma_f32 v54, v57, v55, -v58
	v_fmac_f32_e32 v54, v57, v53
	s_delay_alu instid0(VALU_DEP_1) | instskip(NEXT) | instid1(VALU_DEP_1)
	v_add_f32_e32 v59, v58, v54
	v_sub_f32_e32 v60, v56, v59
	s_delay_alu instid0(VALU_DEP_1) | instskip(SKIP_1) | instid1(VALU_DEP_2)
	v_sub_f32_e32 v56, v56, v60
	v_dual_add_f32 v49, v49, v52 :: v_dual_sub_f32 v52, v59, v58
	v_sub_f32_e32 v56, v56, v59
	s_delay_alu instid0(VALU_DEP_1) | instskip(NEXT) | instid1(VALU_DEP_1)
	v_dual_sub_f32 v52, v52, v54 :: v_dual_add_f32 v49, v49, v56
	v_add_f32_e32 v49, v52, v49
	s_delay_alu instid0(VALU_DEP_1) | instskip(NEXT) | instid1(VALU_DEP_1)
	v_add_f32_e32 v52, v60, v49
	v_mul_f32_e32 v54, v51, v52
	s_delay_alu instid0(VALU_DEP_1) | instskip(NEXT) | instid1(VALU_DEP_1)
	v_dual_sub_f32 v59, v60, v52 :: v_dual_mul_f32 v56, v55, v54
	v_add_f32_e32 v49, v49, v59
	s_delay_alu instid0(VALU_DEP_2) | instskip(NEXT) | instid1(VALU_DEP_1)
	v_fma_f32 v55, v54, v55, -v56
	v_fmac_f32_e32 v55, v54, v53
	s_delay_alu instid0(VALU_DEP_1) | instskip(NEXT) | instid1(VALU_DEP_1)
	v_add_f32_e32 v53, v56, v55
	v_sub_f32_e32 v58, v52, v53
	s_delay_alu instid0(VALU_DEP_1) | instskip(NEXT) | instid1(VALU_DEP_1)
	v_sub_f32_e32 v52, v52, v58
	v_sub_f32_e32 v52, v52, v53
	s_delay_alu instid0(VALU_DEP_1) | instskip(SKIP_2) | instid1(VALU_DEP_1)
	v_add_f32_e32 v49, v49, v52
	v_add_f32_e32 v52, v57, v54
	v_sub_f32_e32 v56, v53, v56
	v_sub_f32_e32 v53, v56, v55
	s_delay_alu instid0(VALU_DEP_1) | instskip(NEXT) | instid1(VALU_DEP_4)
	v_add_f32_e32 v49, v53, v49
	v_sub_f32_e32 v53, v52, v57
	s_delay_alu instid0(VALU_DEP_2) | instskip(NEXT) | instid1(VALU_DEP_2)
	v_add_f32_e32 v49, v58, v49
	v_sub_f32_e32 v53, v54, v53
	s_delay_alu instid0(VALU_DEP_2) | instskip(NEXT) | instid1(VALU_DEP_1)
	v_mul_f32_e32 v49, v51, v49
	v_add_f32_e32 v49, v53, v49
	s_delay_alu instid0(VALU_DEP_1) | instskip(NEXT) | instid1(VALU_DEP_1)
	v_add_f32_e32 v51, v52, v49
	v_mul_f32_e32 v53, v51, v51
	s_delay_alu instid0(VALU_DEP_1) | instskip(SKIP_1) | instid1(VALU_DEP_2)
	v_fmaak_f32 v54, s72, v53, 0x3ecc95a3
	v_mul_f32_e32 v55, v51, v53
	v_fmaak_f32 v53, v53, v54, 0x3f2aaada
	v_ldexp_f32 v54, v51, 1
	s_delay_alu instid0(VALU_DEP_2) | instskip(SKIP_1) | instid1(VALU_DEP_2)
	v_mul_f32_e32 v53, v55, v53
	v_sub_f32_e32 v51, v51, v52
	v_dual_mul_f32 v55, 0x3f317218, v48 :: v_dual_add_f32 v52, v54, v53
	s_delay_alu instid0(VALU_DEP_2) | instskip(NEXT) | instid1(VALU_DEP_2)
	v_sub_f32_e32 v49, v49, v51
	v_sub_f32_e32 v51, v52, v54
	s_delay_alu instid0(VALU_DEP_3) | instskip(NEXT) | instid1(VALU_DEP_3)
	v_fma_f32 v54, 0x3f317218, v48, -v55
	v_ldexp_f32 v49, v49, 1
	s_delay_alu instid0(VALU_DEP_2) | instskip(NEXT) | instid1(VALU_DEP_1)
	v_dual_sub_f32 v51, v53, v51 :: v_dual_fmac_f32 v54, 0xb102e308, v48
	v_dual_add_f32 v48, v49, v51 :: v_dual_add_f32 v49, v55, v54
	s_delay_alu instid0(VALU_DEP_1) | instskip(NEXT) | instid1(VALU_DEP_1)
	v_add_f32_e32 v51, v52, v48
	v_dual_add_f32 v53, v49, v51 :: v_dual_sub_f32 v52, v51, v52
	s_delay_alu instid0(VALU_DEP_1) | instskip(NEXT) | instid1(VALU_DEP_2)
	v_sub_f32_e32 v56, v53, v49
	v_dual_sub_f32 v55, v49, v55 :: v_dual_sub_f32 v48, v48, v52
	s_delay_alu instid0(VALU_DEP_1) | instskip(SKIP_1) | instid1(VALU_DEP_2)
	v_dual_sub_f32 v57, v53, v56 :: v_dual_sub_f32 v54, v54, v55
	v_sub_f32_e32 v51, v51, v56
	v_dual_sub_f32 v49, v49, v57 :: v_dual_add_f32 v52, v54, v48
	s_delay_alu instid0(VALU_DEP_1) | instskip(NEXT) | instid1(VALU_DEP_2)
	v_add_f32_e32 v49, v51, v49
	v_sub_f32_e32 v51, v52, v54
	s_delay_alu instid0(VALU_DEP_2) | instskip(NEXT) | instid1(VALU_DEP_2)
	v_add_f32_e32 v49, v52, v49
	v_sub_f32_e32 v52, v52, v51
	s_delay_alu instid0(VALU_DEP_2) | instskip(NEXT) | instid1(VALU_DEP_1)
	v_dual_sub_f32 v48, v48, v51 :: v_dual_add_f32 v55, v53, v49
	v_dual_sub_f32 v52, v54, v52 :: v_dual_sub_f32 v51, v55, v53
	s_delay_alu instid0(VALU_DEP_1) | instskip(NEXT) | instid1(VALU_DEP_1)
	v_dual_add_f32 v48, v48, v52 :: v_dual_sub_f32 v49, v49, v51
	v_add_f32_e32 v48, v48, v49
	s_delay_alu instid0(VALU_DEP_1) | instskip(NEXT) | instid1(VALU_DEP_1)
	v_add_f32_e32 v48, v55, v48
	v_cndmask_b32_e32 v146, v48, v50, vcc_lo
.LBB145_46:                             ;   in Loop: Header=BB145_12 Depth=1
	s_or_b32 exec_lo, exec_lo, s17
	s_waitcnt lgkmcnt(0)
	v_add_f32_e32 v147, s57, v0
	s_delay_alu instid0(VALU_DEP_1) | instskip(SKIP_1) | instid1(SALU_CYCLE_1)
	v_cmp_ge_f32_e32 vcc_lo, 0x41a00000, v147
	s_and_b32 s14, s68, vcc_lo
	s_and_saveexec_b32 s17, s14
	s_cbranch_execz .LBB145_48
; %bb.47:                               ;   in Loop: Header=BB145_12 Depth=1
	v_mul_f32_e32 v48, 0x3fb8aa3b, v147
	v_cmp_ngt_f32_e32 vcc_lo, 0xc2ce8ed0, v147
	s_delay_alu instid0(VALU_DEP_2) | instskip(SKIP_1) | instid1(VALU_DEP_2)
	v_rndne_f32_e32 v49, v48
	v_fma_f32 v50, 0x3fb8aa3b, v147, -v48
	v_sub_f32_e32 v48, v48, v49
	s_delay_alu instid0(VALU_DEP_2) | instskip(SKIP_1) | instid1(VALU_DEP_2)
	v_fmac_f32_e32 v50, 0x32a5705f, v147
	v_cvt_i32_f32_e32 v49, v49
	v_add_f32_e32 v48, v48, v50
	s_delay_alu instid0(VALU_DEP_1) | instskip(SKIP_2) | instid1(VALU_DEP_1)
	v_exp_f32_e32 v48, v48
	s_waitcnt_depctr 0xfff
	v_ldexp_f32 v48, v48, v49
	v_cndmask_b32_e32 v48, 0, v48, vcc_lo
	v_cmp_nlt_f32_e32 vcc_lo, 0x42b17218, v147
	s_delay_alu instid0(VALU_DEP_2) | instskip(NEXT) | instid1(VALU_DEP_1)
	v_cndmask_b32_e32 v50, 0x7f800000, v48, vcc_lo
	v_add_f32_e32 v51, 1.0, v50
	s_delay_alu instid0(VALU_DEP_1) | instskip(NEXT) | instid1(VALU_DEP_1)
	v_cvt_f64_f32_e32 v[48:49], v51
	v_frexp_exp_i32_f64_e32 v48, v[48:49]
	v_frexp_mant_f32_e32 v49, v51
	s_delay_alu instid0(VALU_DEP_1) | instskip(SKIP_1) | instid1(VALU_DEP_1)
	v_cmp_gt_f32_e32 vcc_lo, 0x3f2aaaab, v49
	v_add_f32_e32 v49, -1.0, v51
	v_sub_f32_e32 v53, v49, v51
	v_sub_f32_e32 v49, v50, v49
	s_delay_alu instid0(VALU_DEP_2) | instskip(NEXT) | instid1(VALU_DEP_1)
	v_add_f32_e32 v53, 1.0, v53
	v_add_f32_e32 v49, v49, v53
	v_cmp_gt_f32_e64 s14, 0x33800000, v50
	v_subrev_co_ci_u32_e32 v48, vcc_lo, 0, v48, vcc_lo
	v_cmp_eq_f32_e32 vcc_lo, 0x7f800000, v50
	s_delay_alu instid0(VALU_DEP_2) | instskip(SKIP_2) | instid1(VALU_DEP_2)
	v_sub_nc_u32_e32 v52, 0, v48
	v_cvt_f32_i32_e32 v48, v48
	s_or_b32 vcc_lo, s14, vcc_lo
	v_ldexp_f32 v51, v51, v52
	v_ldexp_f32 v49, v49, v52
	s_delay_alu instid0(VALU_DEP_2) | instskip(NEXT) | instid1(VALU_DEP_1)
	v_add_f32_e32 v54, 1.0, v51
	v_dual_add_f32 v52, -1.0, v51 :: v_dual_add_f32 v53, -1.0, v54
	s_delay_alu instid0(VALU_DEP_1) | instskip(NEXT) | instid1(VALU_DEP_2)
	v_add_f32_e32 v55, 1.0, v52
	v_sub_f32_e32 v53, v51, v53
	s_delay_alu instid0(VALU_DEP_2) | instskip(NEXT) | instid1(VALU_DEP_2)
	v_sub_f32_e32 v51, v51, v55
	v_add_f32_e32 v53, v49, v53
	s_delay_alu instid0(VALU_DEP_2) | instskip(NEXT) | instid1(VALU_DEP_1)
	v_add_f32_e32 v49, v49, v51
	v_add_f32_e32 v56, v52, v49
	s_delay_alu instid0(VALU_DEP_1) | instskip(NEXT) | instid1(VALU_DEP_1)
	v_dual_add_f32 v55, v54, v53 :: v_dual_sub_f32 v52, v52, v56
	v_rcp_f32_e32 v51, v55
	v_sub_f32_e32 v54, v54, v55
	s_delay_alu instid0(VALU_DEP_1) | instskip(SKIP_2) | instid1(VALU_DEP_1)
	v_add_f32_e32 v53, v53, v54
	s_waitcnt_depctr 0xfff
	v_mul_f32_e32 v57, v56, v51
	v_mul_f32_e32 v58, v55, v57
	s_delay_alu instid0(VALU_DEP_1) | instskip(NEXT) | instid1(VALU_DEP_1)
	v_fma_f32 v54, v57, v55, -v58
	v_fmac_f32_e32 v54, v57, v53
	s_delay_alu instid0(VALU_DEP_1) | instskip(NEXT) | instid1(VALU_DEP_1)
	v_add_f32_e32 v59, v58, v54
	v_sub_f32_e32 v60, v56, v59
	s_delay_alu instid0(VALU_DEP_1) | instskip(SKIP_1) | instid1(VALU_DEP_2)
	v_sub_f32_e32 v56, v56, v60
	v_dual_add_f32 v49, v49, v52 :: v_dual_sub_f32 v52, v59, v58
	v_sub_f32_e32 v56, v56, v59
	s_delay_alu instid0(VALU_DEP_1) | instskip(NEXT) | instid1(VALU_DEP_1)
	v_dual_sub_f32 v52, v52, v54 :: v_dual_add_f32 v49, v49, v56
	v_add_f32_e32 v49, v52, v49
	s_delay_alu instid0(VALU_DEP_1) | instskip(NEXT) | instid1(VALU_DEP_1)
	v_add_f32_e32 v52, v60, v49
	v_mul_f32_e32 v54, v51, v52
	s_delay_alu instid0(VALU_DEP_1) | instskip(NEXT) | instid1(VALU_DEP_1)
	v_dual_sub_f32 v59, v60, v52 :: v_dual_mul_f32 v56, v55, v54
	v_add_f32_e32 v49, v49, v59
	s_delay_alu instid0(VALU_DEP_2) | instskip(NEXT) | instid1(VALU_DEP_1)
	v_fma_f32 v55, v54, v55, -v56
	v_fmac_f32_e32 v55, v54, v53
	s_delay_alu instid0(VALU_DEP_1) | instskip(NEXT) | instid1(VALU_DEP_1)
	v_add_f32_e32 v53, v56, v55
	v_sub_f32_e32 v58, v52, v53
	s_delay_alu instid0(VALU_DEP_1) | instskip(NEXT) | instid1(VALU_DEP_1)
	v_sub_f32_e32 v52, v52, v58
	v_sub_f32_e32 v52, v52, v53
	s_delay_alu instid0(VALU_DEP_1) | instskip(SKIP_2) | instid1(VALU_DEP_1)
	v_add_f32_e32 v49, v49, v52
	v_add_f32_e32 v52, v57, v54
	v_sub_f32_e32 v56, v53, v56
	v_sub_f32_e32 v53, v56, v55
	s_delay_alu instid0(VALU_DEP_1) | instskip(NEXT) | instid1(VALU_DEP_4)
	v_add_f32_e32 v49, v53, v49
	v_sub_f32_e32 v53, v52, v57
	s_delay_alu instid0(VALU_DEP_2) | instskip(NEXT) | instid1(VALU_DEP_2)
	v_add_f32_e32 v49, v58, v49
	v_sub_f32_e32 v53, v54, v53
	s_delay_alu instid0(VALU_DEP_2) | instskip(NEXT) | instid1(VALU_DEP_1)
	v_mul_f32_e32 v49, v51, v49
	v_add_f32_e32 v49, v53, v49
	s_delay_alu instid0(VALU_DEP_1) | instskip(NEXT) | instid1(VALU_DEP_1)
	v_add_f32_e32 v51, v52, v49
	v_mul_f32_e32 v53, v51, v51
	s_delay_alu instid0(VALU_DEP_1) | instskip(SKIP_1) | instid1(VALU_DEP_2)
	v_fmaak_f32 v54, s72, v53, 0x3ecc95a3
	v_mul_f32_e32 v55, v51, v53
	v_fmaak_f32 v53, v53, v54, 0x3f2aaada
	v_ldexp_f32 v54, v51, 1
	s_delay_alu instid0(VALU_DEP_2) | instskip(SKIP_1) | instid1(VALU_DEP_2)
	v_mul_f32_e32 v53, v55, v53
	v_sub_f32_e32 v51, v51, v52
	v_dual_mul_f32 v55, 0x3f317218, v48 :: v_dual_add_f32 v52, v54, v53
	s_delay_alu instid0(VALU_DEP_2) | instskip(NEXT) | instid1(VALU_DEP_2)
	v_sub_f32_e32 v49, v49, v51
	v_sub_f32_e32 v51, v52, v54
	s_delay_alu instid0(VALU_DEP_3) | instskip(NEXT) | instid1(VALU_DEP_3)
	v_fma_f32 v54, 0x3f317218, v48, -v55
	v_ldexp_f32 v49, v49, 1
	s_delay_alu instid0(VALU_DEP_2) | instskip(NEXT) | instid1(VALU_DEP_1)
	v_dual_sub_f32 v51, v53, v51 :: v_dual_fmac_f32 v54, 0xb102e308, v48
	v_dual_add_f32 v48, v49, v51 :: v_dual_add_f32 v49, v55, v54
	s_delay_alu instid0(VALU_DEP_1) | instskip(NEXT) | instid1(VALU_DEP_1)
	v_add_f32_e32 v51, v52, v48
	v_dual_add_f32 v53, v49, v51 :: v_dual_sub_f32 v52, v51, v52
	s_delay_alu instid0(VALU_DEP_1) | instskip(NEXT) | instid1(VALU_DEP_2)
	v_sub_f32_e32 v56, v53, v49
	v_dual_sub_f32 v55, v49, v55 :: v_dual_sub_f32 v48, v48, v52
	s_delay_alu instid0(VALU_DEP_1) | instskip(SKIP_1) | instid1(VALU_DEP_2)
	v_dual_sub_f32 v57, v53, v56 :: v_dual_sub_f32 v54, v54, v55
	v_sub_f32_e32 v51, v51, v56
	v_dual_sub_f32 v49, v49, v57 :: v_dual_add_f32 v52, v54, v48
	s_delay_alu instid0(VALU_DEP_1) | instskip(NEXT) | instid1(VALU_DEP_2)
	v_add_f32_e32 v49, v51, v49
	v_sub_f32_e32 v51, v52, v54
	s_delay_alu instid0(VALU_DEP_2) | instskip(NEXT) | instid1(VALU_DEP_2)
	v_add_f32_e32 v49, v52, v49
	v_sub_f32_e32 v52, v52, v51
	s_delay_alu instid0(VALU_DEP_2) | instskip(NEXT) | instid1(VALU_DEP_1)
	v_dual_sub_f32 v48, v48, v51 :: v_dual_add_f32 v55, v53, v49
	v_dual_sub_f32 v52, v54, v52 :: v_dual_sub_f32 v51, v55, v53
	s_delay_alu instid0(VALU_DEP_1) | instskip(NEXT) | instid1(VALU_DEP_1)
	v_dual_add_f32 v48, v48, v52 :: v_dual_sub_f32 v49, v49, v51
	v_add_f32_e32 v48, v48, v49
	s_delay_alu instid0(VALU_DEP_1) | instskip(NEXT) | instid1(VALU_DEP_1)
	v_add_f32_e32 v48, v55, v48
	v_cndmask_b32_e32 v147, v48, v50, vcc_lo
.LBB145_48:                             ;   in Loop: Header=BB145_12 Depth=1
	s_or_b32 exec_lo, exec_lo, s17
	v_add_f32_e32 v148, s57, v1
	s_delay_alu instid0(VALU_DEP_1) | instskip(SKIP_1) | instid1(SALU_CYCLE_1)
	v_cmp_ge_f32_e32 vcc_lo, 0x41a00000, v148
	s_and_b32 s14, s68, vcc_lo
	s_and_saveexec_b32 s17, s14
	s_cbranch_execz .LBB145_50
; %bb.49:                               ;   in Loop: Header=BB145_12 Depth=1
	v_mul_f32_e32 v48, 0x3fb8aa3b, v148
	v_cmp_ngt_f32_e32 vcc_lo, 0xc2ce8ed0, v148
	s_delay_alu instid0(VALU_DEP_2) | instskip(SKIP_1) | instid1(VALU_DEP_2)
	v_rndne_f32_e32 v49, v48
	v_fma_f32 v50, 0x3fb8aa3b, v148, -v48
	v_sub_f32_e32 v48, v48, v49
	s_delay_alu instid0(VALU_DEP_2) | instskip(SKIP_1) | instid1(VALU_DEP_2)
	v_fmac_f32_e32 v50, 0x32a5705f, v148
	v_cvt_i32_f32_e32 v49, v49
	v_add_f32_e32 v48, v48, v50
	s_delay_alu instid0(VALU_DEP_1) | instskip(SKIP_2) | instid1(VALU_DEP_1)
	v_exp_f32_e32 v48, v48
	s_waitcnt_depctr 0xfff
	v_ldexp_f32 v48, v48, v49
	v_cndmask_b32_e32 v48, 0, v48, vcc_lo
	v_cmp_nlt_f32_e32 vcc_lo, 0x42b17218, v148
	s_delay_alu instid0(VALU_DEP_2) | instskip(NEXT) | instid1(VALU_DEP_1)
	v_cndmask_b32_e32 v50, 0x7f800000, v48, vcc_lo
	v_add_f32_e32 v51, 1.0, v50
	s_delay_alu instid0(VALU_DEP_1) | instskip(NEXT) | instid1(VALU_DEP_1)
	v_cvt_f64_f32_e32 v[48:49], v51
	v_frexp_exp_i32_f64_e32 v48, v[48:49]
	v_frexp_mant_f32_e32 v49, v51
	s_delay_alu instid0(VALU_DEP_1) | instskip(SKIP_1) | instid1(VALU_DEP_1)
	v_cmp_gt_f32_e32 vcc_lo, 0x3f2aaaab, v49
	v_add_f32_e32 v49, -1.0, v51
	v_sub_f32_e32 v53, v49, v51
	v_sub_f32_e32 v49, v50, v49
	s_delay_alu instid0(VALU_DEP_2) | instskip(NEXT) | instid1(VALU_DEP_1)
	v_add_f32_e32 v53, 1.0, v53
	v_add_f32_e32 v49, v49, v53
	v_cmp_gt_f32_e64 s14, 0x33800000, v50
	v_subrev_co_ci_u32_e32 v48, vcc_lo, 0, v48, vcc_lo
	v_cmp_eq_f32_e32 vcc_lo, 0x7f800000, v50
	s_delay_alu instid0(VALU_DEP_2) | instskip(SKIP_2) | instid1(VALU_DEP_2)
	v_sub_nc_u32_e32 v52, 0, v48
	v_cvt_f32_i32_e32 v48, v48
	s_or_b32 vcc_lo, s14, vcc_lo
	v_ldexp_f32 v51, v51, v52
	v_ldexp_f32 v49, v49, v52
	s_delay_alu instid0(VALU_DEP_2) | instskip(NEXT) | instid1(VALU_DEP_1)
	v_add_f32_e32 v54, 1.0, v51
	v_dual_add_f32 v52, -1.0, v51 :: v_dual_add_f32 v53, -1.0, v54
	s_delay_alu instid0(VALU_DEP_1) | instskip(NEXT) | instid1(VALU_DEP_2)
	v_add_f32_e32 v55, 1.0, v52
	v_sub_f32_e32 v53, v51, v53
	s_delay_alu instid0(VALU_DEP_2) | instskip(NEXT) | instid1(VALU_DEP_2)
	v_sub_f32_e32 v51, v51, v55
	v_add_f32_e32 v53, v49, v53
	s_delay_alu instid0(VALU_DEP_2) | instskip(NEXT) | instid1(VALU_DEP_1)
	v_add_f32_e32 v49, v49, v51
	v_add_f32_e32 v56, v52, v49
	s_delay_alu instid0(VALU_DEP_1) | instskip(NEXT) | instid1(VALU_DEP_1)
	v_dual_add_f32 v55, v54, v53 :: v_dual_sub_f32 v52, v52, v56
	v_rcp_f32_e32 v51, v55
	v_sub_f32_e32 v54, v54, v55
	s_delay_alu instid0(VALU_DEP_1) | instskip(SKIP_2) | instid1(VALU_DEP_1)
	v_add_f32_e32 v53, v53, v54
	s_waitcnt_depctr 0xfff
	v_mul_f32_e32 v57, v56, v51
	v_mul_f32_e32 v58, v55, v57
	s_delay_alu instid0(VALU_DEP_1) | instskip(NEXT) | instid1(VALU_DEP_1)
	v_fma_f32 v54, v57, v55, -v58
	v_fmac_f32_e32 v54, v57, v53
	s_delay_alu instid0(VALU_DEP_1) | instskip(NEXT) | instid1(VALU_DEP_1)
	v_add_f32_e32 v59, v58, v54
	v_sub_f32_e32 v60, v56, v59
	s_delay_alu instid0(VALU_DEP_1) | instskip(SKIP_1) | instid1(VALU_DEP_2)
	v_sub_f32_e32 v56, v56, v60
	v_dual_add_f32 v49, v49, v52 :: v_dual_sub_f32 v52, v59, v58
	v_sub_f32_e32 v56, v56, v59
	s_delay_alu instid0(VALU_DEP_1) | instskip(NEXT) | instid1(VALU_DEP_1)
	v_dual_sub_f32 v52, v52, v54 :: v_dual_add_f32 v49, v49, v56
	v_add_f32_e32 v49, v52, v49
	s_delay_alu instid0(VALU_DEP_1) | instskip(NEXT) | instid1(VALU_DEP_1)
	v_add_f32_e32 v52, v60, v49
	v_mul_f32_e32 v54, v51, v52
	s_delay_alu instid0(VALU_DEP_1) | instskip(NEXT) | instid1(VALU_DEP_1)
	v_dual_sub_f32 v59, v60, v52 :: v_dual_mul_f32 v56, v55, v54
	v_add_f32_e32 v49, v49, v59
	s_delay_alu instid0(VALU_DEP_2) | instskip(NEXT) | instid1(VALU_DEP_1)
	v_fma_f32 v55, v54, v55, -v56
	v_fmac_f32_e32 v55, v54, v53
	s_delay_alu instid0(VALU_DEP_1) | instskip(NEXT) | instid1(VALU_DEP_1)
	v_add_f32_e32 v53, v56, v55
	v_sub_f32_e32 v58, v52, v53
	s_delay_alu instid0(VALU_DEP_1) | instskip(NEXT) | instid1(VALU_DEP_1)
	v_sub_f32_e32 v52, v52, v58
	v_sub_f32_e32 v52, v52, v53
	s_delay_alu instid0(VALU_DEP_1) | instskip(SKIP_2) | instid1(VALU_DEP_1)
	v_add_f32_e32 v49, v49, v52
	v_add_f32_e32 v52, v57, v54
	v_sub_f32_e32 v56, v53, v56
	v_sub_f32_e32 v53, v56, v55
	s_delay_alu instid0(VALU_DEP_1) | instskip(NEXT) | instid1(VALU_DEP_4)
	v_add_f32_e32 v49, v53, v49
	v_sub_f32_e32 v53, v52, v57
	s_delay_alu instid0(VALU_DEP_2) | instskip(NEXT) | instid1(VALU_DEP_2)
	v_add_f32_e32 v49, v58, v49
	v_sub_f32_e32 v53, v54, v53
	s_delay_alu instid0(VALU_DEP_2) | instskip(NEXT) | instid1(VALU_DEP_1)
	v_mul_f32_e32 v49, v51, v49
	v_add_f32_e32 v49, v53, v49
	s_delay_alu instid0(VALU_DEP_1) | instskip(NEXT) | instid1(VALU_DEP_1)
	v_add_f32_e32 v51, v52, v49
	v_mul_f32_e32 v53, v51, v51
	s_delay_alu instid0(VALU_DEP_1) | instskip(SKIP_1) | instid1(VALU_DEP_2)
	v_fmaak_f32 v54, s72, v53, 0x3ecc95a3
	v_mul_f32_e32 v55, v51, v53
	v_fmaak_f32 v53, v53, v54, 0x3f2aaada
	v_ldexp_f32 v54, v51, 1
	s_delay_alu instid0(VALU_DEP_2) | instskip(SKIP_1) | instid1(VALU_DEP_2)
	v_mul_f32_e32 v53, v55, v53
	v_sub_f32_e32 v51, v51, v52
	v_dual_mul_f32 v55, 0x3f317218, v48 :: v_dual_add_f32 v52, v54, v53
	s_delay_alu instid0(VALU_DEP_2) | instskip(NEXT) | instid1(VALU_DEP_2)
	v_sub_f32_e32 v49, v49, v51
	v_sub_f32_e32 v51, v52, v54
	s_delay_alu instid0(VALU_DEP_3) | instskip(NEXT) | instid1(VALU_DEP_3)
	v_fma_f32 v54, 0x3f317218, v48, -v55
	v_ldexp_f32 v49, v49, 1
	s_delay_alu instid0(VALU_DEP_2) | instskip(NEXT) | instid1(VALU_DEP_1)
	v_dual_sub_f32 v51, v53, v51 :: v_dual_fmac_f32 v54, 0xb102e308, v48
	v_dual_add_f32 v48, v49, v51 :: v_dual_add_f32 v49, v55, v54
	s_delay_alu instid0(VALU_DEP_1) | instskip(NEXT) | instid1(VALU_DEP_1)
	v_add_f32_e32 v51, v52, v48
	v_dual_add_f32 v53, v49, v51 :: v_dual_sub_f32 v52, v51, v52
	s_delay_alu instid0(VALU_DEP_1) | instskip(NEXT) | instid1(VALU_DEP_2)
	v_sub_f32_e32 v56, v53, v49
	v_dual_sub_f32 v55, v49, v55 :: v_dual_sub_f32 v48, v48, v52
	s_delay_alu instid0(VALU_DEP_1) | instskip(SKIP_1) | instid1(VALU_DEP_2)
	v_dual_sub_f32 v57, v53, v56 :: v_dual_sub_f32 v54, v54, v55
	v_sub_f32_e32 v51, v51, v56
	v_dual_sub_f32 v49, v49, v57 :: v_dual_add_f32 v52, v54, v48
	s_delay_alu instid0(VALU_DEP_1) | instskip(NEXT) | instid1(VALU_DEP_2)
	v_add_f32_e32 v49, v51, v49
	v_sub_f32_e32 v51, v52, v54
	s_delay_alu instid0(VALU_DEP_2) | instskip(NEXT) | instid1(VALU_DEP_2)
	v_add_f32_e32 v49, v52, v49
	v_sub_f32_e32 v52, v52, v51
	s_delay_alu instid0(VALU_DEP_2) | instskip(NEXT) | instid1(VALU_DEP_1)
	v_dual_sub_f32 v48, v48, v51 :: v_dual_add_f32 v55, v53, v49
	v_dual_sub_f32 v52, v54, v52 :: v_dual_sub_f32 v51, v55, v53
	s_delay_alu instid0(VALU_DEP_1) | instskip(NEXT) | instid1(VALU_DEP_1)
	v_dual_add_f32 v48, v48, v52 :: v_dual_sub_f32 v49, v49, v51
	v_add_f32_e32 v48, v48, v49
	s_delay_alu instid0(VALU_DEP_1) | instskip(NEXT) | instid1(VALU_DEP_1)
	v_add_f32_e32 v48, v55, v48
	v_cndmask_b32_e32 v148, v48, v50, vcc_lo
.LBB145_50:                             ;   in Loop: Header=BB145_12 Depth=1
	s_or_b32 exec_lo, exec_lo, s17
	v_add_f32_e32 v149, s57, v2
	s_delay_alu instid0(VALU_DEP_1) | instskip(SKIP_1) | instid1(SALU_CYCLE_1)
	v_cmp_ge_f32_e32 vcc_lo, 0x41a00000, v149
	s_and_b32 s14, s68, vcc_lo
	s_and_saveexec_b32 s17, s14
	s_cbranch_execz .LBB145_52
; %bb.51:                               ;   in Loop: Header=BB145_12 Depth=1
	v_mul_f32_e32 v48, 0x3fb8aa3b, v149
	v_cmp_ngt_f32_e32 vcc_lo, 0xc2ce8ed0, v149
	s_delay_alu instid0(VALU_DEP_2) | instskip(SKIP_1) | instid1(VALU_DEP_2)
	v_rndne_f32_e32 v49, v48
	v_fma_f32 v50, 0x3fb8aa3b, v149, -v48
	v_sub_f32_e32 v48, v48, v49
	s_delay_alu instid0(VALU_DEP_2) | instskip(SKIP_1) | instid1(VALU_DEP_2)
	v_fmac_f32_e32 v50, 0x32a5705f, v149
	v_cvt_i32_f32_e32 v49, v49
	v_add_f32_e32 v48, v48, v50
	s_delay_alu instid0(VALU_DEP_1) | instskip(SKIP_2) | instid1(VALU_DEP_1)
	v_exp_f32_e32 v48, v48
	s_waitcnt_depctr 0xfff
	v_ldexp_f32 v48, v48, v49
	v_cndmask_b32_e32 v48, 0, v48, vcc_lo
	v_cmp_nlt_f32_e32 vcc_lo, 0x42b17218, v149
	s_delay_alu instid0(VALU_DEP_2) | instskip(NEXT) | instid1(VALU_DEP_1)
	v_cndmask_b32_e32 v50, 0x7f800000, v48, vcc_lo
	v_add_f32_e32 v51, 1.0, v50
	s_delay_alu instid0(VALU_DEP_1) | instskip(NEXT) | instid1(VALU_DEP_1)
	v_cvt_f64_f32_e32 v[48:49], v51
	v_frexp_exp_i32_f64_e32 v48, v[48:49]
	v_frexp_mant_f32_e32 v49, v51
	s_delay_alu instid0(VALU_DEP_1) | instskip(SKIP_1) | instid1(VALU_DEP_1)
	v_cmp_gt_f32_e32 vcc_lo, 0x3f2aaaab, v49
	v_add_f32_e32 v49, -1.0, v51
	v_sub_f32_e32 v53, v49, v51
	v_sub_f32_e32 v49, v50, v49
	s_delay_alu instid0(VALU_DEP_2) | instskip(NEXT) | instid1(VALU_DEP_1)
	v_add_f32_e32 v53, 1.0, v53
	v_add_f32_e32 v49, v49, v53
	v_cmp_gt_f32_e64 s14, 0x33800000, v50
	v_subrev_co_ci_u32_e32 v48, vcc_lo, 0, v48, vcc_lo
	v_cmp_eq_f32_e32 vcc_lo, 0x7f800000, v50
	s_delay_alu instid0(VALU_DEP_2) | instskip(SKIP_2) | instid1(VALU_DEP_2)
	v_sub_nc_u32_e32 v52, 0, v48
	v_cvt_f32_i32_e32 v48, v48
	s_or_b32 vcc_lo, s14, vcc_lo
	v_ldexp_f32 v51, v51, v52
	v_ldexp_f32 v49, v49, v52
	s_delay_alu instid0(VALU_DEP_2) | instskip(NEXT) | instid1(VALU_DEP_1)
	v_add_f32_e32 v54, 1.0, v51
	v_dual_add_f32 v52, -1.0, v51 :: v_dual_add_f32 v53, -1.0, v54
	s_delay_alu instid0(VALU_DEP_1) | instskip(NEXT) | instid1(VALU_DEP_2)
	v_add_f32_e32 v55, 1.0, v52
	v_sub_f32_e32 v53, v51, v53
	s_delay_alu instid0(VALU_DEP_2) | instskip(NEXT) | instid1(VALU_DEP_2)
	v_sub_f32_e32 v51, v51, v55
	v_add_f32_e32 v53, v49, v53
	s_delay_alu instid0(VALU_DEP_2) | instskip(NEXT) | instid1(VALU_DEP_1)
	v_add_f32_e32 v49, v49, v51
	v_add_f32_e32 v56, v52, v49
	s_delay_alu instid0(VALU_DEP_1) | instskip(NEXT) | instid1(VALU_DEP_1)
	v_dual_add_f32 v55, v54, v53 :: v_dual_sub_f32 v52, v52, v56
	v_rcp_f32_e32 v51, v55
	v_sub_f32_e32 v54, v54, v55
	s_delay_alu instid0(VALU_DEP_1) | instskip(SKIP_2) | instid1(VALU_DEP_1)
	v_add_f32_e32 v53, v53, v54
	s_waitcnt_depctr 0xfff
	v_mul_f32_e32 v57, v56, v51
	v_mul_f32_e32 v58, v55, v57
	s_delay_alu instid0(VALU_DEP_1) | instskip(NEXT) | instid1(VALU_DEP_1)
	v_fma_f32 v54, v57, v55, -v58
	v_fmac_f32_e32 v54, v57, v53
	s_delay_alu instid0(VALU_DEP_1) | instskip(NEXT) | instid1(VALU_DEP_1)
	v_add_f32_e32 v59, v58, v54
	v_sub_f32_e32 v60, v56, v59
	s_delay_alu instid0(VALU_DEP_1) | instskip(SKIP_1) | instid1(VALU_DEP_2)
	v_sub_f32_e32 v56, v56, v60
	v_dual_add_f32 v49, v49, v52 :: v_dual_sub_f32 v52, v59, v58
	v_sub_f32_e32 v56, v56, v59
	s_delay_alu instid0(VALU_DEP_1) | instskip(NEXT) | instid1(VALU_DEP_1)
	v_dual_sub_f32 v52, v52, v54 :: v_dual_add_f32 v49, v49, v56
	v_add_f32_e32 v49, v52, v49
	s_delay_alu instid0(VALU_DEP_1) | instskip(NEXT) | instid1(VALU_DEP_1)
	v_add_f32_e32 v52, v60, v49
	v_mul_f32_e32 v54, v51, v52
	s_delay_alu instid0(VALU_DEP_1) | instskip(NEXT) | instid1(VALU_DEP_1)
	v_dual_sub_f32 v59, v60, v52 :: v_dual_mul_f32 v56, v55, v54
	v_add_f32_e32 v49, v49, v59
	s_delay_alu instid0(VALU_DEP_2) | instskip(NEXT) | instid1(VALU_DEP_1)
	v_fma_f32 v55, v54, v55, -v56
	v_fmac_f32_e32 v55, v54, v53
	s_delay_alu instid0(VALU_DEP_1) | instskip(NEXT) | instid1(VALU_DEP_1)
	v_add_f32_e32 v53, v56, v55
	v_sub_f32_e32 v58, v52, v53
	s_delay_alu instid0(VALU_DEP_1) | instskip(NEXT) | instid1(VALU_DEP_1)
	v_sub_f32_e32 v52, v52, v58
	v_sub_f32_e32 v52, v52, v53
	s_delay_alu instid0(VALU_DEP_1) | instskip(SKIP_2) | instid1(VALU_DEP_1)
	v_add_f32_e32 v49, v49, v52
	v_add_f32_e32 v52, v57, v54
	v_sub_f32_e32 v56, v53, v56
	v_sub_f32_e32 v53, v56, v55
	s_delay_alu instid0(VALU_DEP_1) | instskip(NEXT) | instid1(VALU_DEP_4)
	v_add_f32_e32 v49, v53, v49
	v_sub_f32_e32 v53, v52, v57
	s_delay_alu instid0(VALU_DEP_2) | instskip(NEXT) | instid1(VALU_DEP_2)
	v_add_f32_e32 v49, v58, v49
	v_sub_f32_e32 v53, v54, v53
	s_delay_alu instid0(VALU_DEP_2) | instskip(NEXT) | instid1(VALU_DEP_1)
	v_mul_f32_e32 v49, v51, v49
	v_add_f32_e32 v49, v53, v49
	s_delay_alu instid0(VALU_DEP_1) | instskip(NEXT) | instid1(VALU_DEP_1)
	v_add_f32_e32 v51, v52, v49
	v_mul_f32_e32 v53, v51, v51
	s_delay_alu instid0(VALU_DEP_1) | instskip(SKIP_1) | instid1(VALU_DEP_2)
	v_fmaak_f32 v54, s72, v53, 0x3ecc95a3
	v_mul_f32_e32 v55, v51, v53
	v_fmaak_f32 v53, v53, v54, 0x3f2aaada
	v_ldexp_f32 v54, v51, 1
	s_delay_alu instid0(VALU_DEP_2) | instskip(SKIP_1) | instid1(VALU_DEP_2)
	v_mul_f32_e32 v53, v55, v53
	v_sub_f32_e32 v51, v51, v52
	v_dual_mul_f32 v55, 0x3f317218, v48 :: v_dual_add_f32 v52, v54, v53
	s_delay_alu instid0(VALU_DEP_2) | instskip(NEXT) | instid1(VALU_DEP_2)
	v_sub_f32_e32 v49, v49, v51
	v_sub_f32_e32 v51, v52, v54
	s_delay_alu instid0(VALU_DEP_3) | instskip(NEXT) | instid1(VALU_DEP_3)
	v_fma_f32 v54, 0x3f317218, v48, -v55
	v_ldexp_f32 v49, v49, 1
	s_delay_alu instid0(VALU_DEP_2) | instskip(NEXT) | instid1(VALU_DEP_1)
	v_dual_sub_f32 v51, v53, v51 :: v_dual_fmac_f32 v54, 0xb102e308, v48
	v_dual_add_f32 v48, v49, v51 :: v_dual_add_f32 v49, v55, v54
	s_delay_alu instid0(VALU_DEP_1) | instskip(NEXT) | instid1(VALU_DEP_1)
	v_add_f32_e32 v51, v52, v48
	v_dual_add_f32 v53, v49, v51 :: v_dual_sub_f32 v52, v51, v52
	s_delay_alu instid0(VALU_DEP_1) | instskip(NEXT) | instid1(VALU_DEP_2)
	v_sub_f32_e32 v56, v53, v49
	v_dual_sub_f32 v55, v49, v55 :: v_dual_sub_f32 v48, v48, v52
	s_delay_alu instid0(VALU_DEP_1) | instskip(SKIP_1) | instid1(VALU_DEP_2)
	v_dual_sub_f32 v57, v53, v56 :: v_dual_sub_f32 v54, v54, v55
	v_sub_f32_e32 v51, v51, v56
	v_dual_sub_f32 v49, v49, v57 :: v_dual_add_f32 v52, v54, v48
	s_delay_alu instid0(VALU_DEP_1) | instskip(NEXT) | instid1(VALU_DEP_2)
	v_add_f32_e32 v49, v51, v49
	v_sub_f32_e32 v51, v52, v54
	s_delay_alu instid0(VALU_DEP_2) | instskip(NEXT) | instid1(VALU_DEP_2)
	v_add_f32_e32 v49, v52, v49
	v_sub_f32_e32 v52, v52, v51
	s_delay_alu instid0(VALU_DEP_2) | instskip(NEXT) | instid1(VALU_DEP_1)
	v_dual_sub_f32 v48, v48, v51 :: v_dual_add_f32 v55, v53, v49
	v_dual_sub_f32 v52, v54, v52 :: v_dual_sub_f32 v51, v55, v53
	s_delay_alu instid0(VALU_DEP_1) | instskip(NEXT) | instid1(VALU_DEP_1)
	v_dual_add_f32 v48, v48, v52 :: v_dual_sub_f32 v49, v49, v51
	v_add_f32_e32 v48, v48, v49
	s_delay_alu instid0(VALU_DEP_1) | instskip(NEXT) | instid1(VALU_DEP_1)
	v_add_f32_e32 v48, v55, v48
	v_cndmask_b32_e32 v149, v48, v50, vcc_lo
.LBB145_52:                             ;   in Loop: Header=BB145_12 Depth=1
	s_or_b32 exec_lo, exec_lo, s17
	v_add_f32_e32 v150, s57, v3
	s_delay_alu instid0(VALU_DEP_1) | instskip(SKIP_1) | instid1(SALU_CYCLE_1)
	v_cmp_ge_f32_e32 vcc_lo, 0x41a00000, v150
	s_and_b32 s14, s68, vcc_lo
	s_and_saveexec_b32 s17, s14
	s_cbranch_execz .LBB145_54
; %bb.53:                               ;   in Loop: Header=BB145_12 Depth=1
	v_mul_f32_e32 v48, 0x3fb8aa3b, v150
	v_cmp_ngt_f32_e32 vcc_lo, 0xc2ce8ed0, v150
	s_delay_alu instid0(VALU_DEP_2) | instskip(SKIP_1) | instid1(VALU_DEP_2)
	v_rndne_f32_e32 v49, v48
	v_fma_f32 v50, 0x3fb8aa3b, v150, -v48
	v_sub_f32_e32 v48, v48, v49
	s_delay_alu instid0(VALU_DEP_2) | instskip(SKIP_1) | instid1(VALU_DEP_2)
	v_fmac_f32_e32 v50, 0x32a5705f, v150
	v_cvt_i32_f32_e32 v49, v49
	v_add_f32_e32 v48, v48, v50
	s_delay_alu instid0(VALU_DEP_1) | instskip(SKIP_2) | instid1(VALU_DEP_1)
	v_exp_f32_e32 v48, v48
	s_waitcnt_depctr 0xfff
	v_ldexp_f32 v48, v48, v49
	v_cndmask_b32_e32 v48, 0, v48, vcc_lo
	v_cmp_nlt_f32_e32 vcc_lo, 0x42b17218, v150
	s_delay_alu instid0(VALU_DEP_2) | instskip(NEXT) | instid1(VALU_DEP_1)
	v_cndmask_b32_e32 v50, 0x7f800000, v48, vcc_lo
	v_add_f32_e32 v51, 1.0, v50
	s_delay_alu instid0(VALU_DEP_1) | instskip(NEXT) | instid1(VALU_DEP_1)
	v_cvt_f64_f32_e32 v[48:49], v51
	v_frexp_exp_i32_f64_e32 v48, v[48:49]
	v_frexp_mant_f32_e32 v49, v51
	s_delay_alu instid0(VALU_DEP_1) | instskip(SKIP_1) | instid1(VALU_DEP_1)
	v_cmp_gt_f32_e32 vcc_lo, 0x3f2aaaab, v49
	v_add_f32_e32 v49, -1.0, v51
	v_sub_f32_e32 v53, v49, v51
	v_sub_f32_e32 v49, v50, v49
	s_delay_alu instid0(VALU_DEP_2) | instskip(NEXT) | instid1(VALU_DEP_1)
	v_add_f32_e32 v53, 1.0, v53
	v_add_f32_e32 v49, v49, v53
	v_cmp_gt_f32_e64 s14, 0x33800000, v50
	v_subrev_co_ci_u32_e32 v48, vcc_lo, 0, v48, vcc_lo
	v_cmp_eq_f32_e32 vcc_lo, 0x7f800000, v50
	s_delay_alu instid0(VALU_DEP_2) | instskip(SKIP_2) | instid1(VALU_DEP_2)
	v_sub_nc_u32_e32 v52, 0, v48
	v_cvt_f32_i32_e32 v48, v48
	s_or_b32 vcc_lo, s14, vcc_lo
	v_ldexp_f32 v51, v51, v52
	v_ldexp_f32 v49, v49, v52
	s_delay_alu instid0(VALU_DEP_2) | instskip(NEXT) | instid1(VALU_DEP_1)
	v_add_f32_e32 v54, 1.0, v51
	v_dual_add_f32 v52, -1.0, v51 :: v_dual_add_f32 v53, -1.0, v54
	s_delay_alu instid0(VALU_DEP_1) | instskip(NEXT) | instid1(VALU_DEP_2)
	v_add_f32_e32 v55, 1.0, v52
	v_sub_f32_e32 v53, v51, v53
	s_delay_alu instid0(VALU_DEP_2) | instskip(NEXT) | instid1(VALU_DEP_2)
	v_sub_f32_e32 v51, v51, v55
	v_add_f32_e32 v53, v49, v53
	s_delay_alu instid0(VALU_DEP_2) | instskip(NEXT) | instid1(VALU_DEP_1)
	v_add_f32_e32 v49, v49, v51
	v_add_f32_e32 v56, v52, v49
	s_delay_alu instid0(VALU_DEP_1) | instskip(NEXT) | instid1(VALU_DEP_1)
	v_dual_add_f32 v55, v54, v53 :: v_dual_sub_f32 v52, v52, v56
	v_rcp_f32_e32 v51, v55
	v_sub_f32_e32 v54, v54, v55
	s_delay_alu instid0(VALU_DEP_1) | instskip(SKIP_2) | instid1(VALU_DEP_1)
	v_add_f32_e32 v53, v53, v54
	s_waitcnt_depctr 0xfff
	v_mul_f32_e32 v57, v56, v51
	v_mul_f32_e32 v58, v55, v57
	s_delay_alu instid0(VALU_DEP_1) | instskip(NEXT) | instid1(VALU_DEP_1)
	v_fma_f32 v54, v57, v55, -v58
	v_fmac_f32_e32 v54, v57, v53
	s_delay_alu instid0(VALU_DEP_1) | instskip(NEXT) | instid1(VALU_DEP_1)
	v_add_f32_e32 v59, v58, v54
	v_sub_f32_e32 v60, v56, v59
	s_delay_alu instid0(VALU_DEP_1) | instskip(SKIP_1) | instid1(VALU_DEP_2)
	v_sub_f32_e32 v56, v56, v60
	v_dual_add_f32 v49, v49, v52 :: v_dual_sub_f32 v52, v59, v58
	v_sub_f32_e32 v56, v56, v59
	s_delay_alu instid0(VALU_DEP_1) | instskip(NEXT) | instid1(VALU_DEP_1)
	v_dual_sub_f32 v52, v52, v54 :: v_dual_add_f32 v49, v49, v56
	v_add_f32_e32 v49, v52, v49
	s_delay_alu instid0(VALU_DEP_1) | instskip(NEXT) | instid1(VALU_DEP_1)
	v_add_f32_e32 v52, v60, v49
	v_mul_f32_e32 v54, v51, v52
	s_delay_alu instid0(VALU_DEP_1) | instskip(NEXT) | instid1(VALU_DEP_1)
	v_dual_sub_f32 v59, v60, v52 :: v_dual_mul_f32 v56, v55, v54
	v_add_f32_e32 v49, v49, v59
	s_delay_alu instid0(VALU_DEP_2) | instskip(NEXT) | instid1(VALU_DEP_1)
	v_fma_f32 v55, v54, v55, -v56
	v_fmac_f32_e32 v55, v54, v53
	s_delay_alu instid0(VALU_DEP_1) | instskip(NEXT) | instid1(VALU_DEP_1)
	v_add_f32_e32 v53, v56, v55
	v_sub_f32_e32 v58, v52, v53
	s_delay_alu instid0(VALU_DEP_1) | instskip(NEXT) | instid1(VALU_DEP_1)
	v_sub_f32_e32 v52, v52, v58
	v_sub_f32_e32 v52, v52, v53
	s_delay_alu instid0(VALU_DEP_1) | instskip(SKIP_2) | instid1(VALU_DEP_1)
	v_add_f32_e32 v49, v49, v52
	v_add_f32_e32 v52, v57, v54
	v_sub_f32_e32 v56, v53, v56
	v_sub_f32_e32 v53, v56, v55
	s_delay_alu instid0(VALU_DEP_1) | instskip(NEXT) | instid1(VALU_DEP_4)
	v_add_f32_e32 v49, v53, v49
	v_sub_f32_e32 v53, v52, v57
	s_delay_alu instid0(VALU_DEP_2) | instskip(NEXT) | instid1(VALU_DEP_2)
	v_add_f32_e32 v49, v58, v49
	v_sub_f32_e32 v53, v54, v53
	s_delay_alu instid0(VALU_DEP_2) | instskip(NEXT) | instid1(VALU_DEP_1)
	v_mul_f32_e32 v49, v51, v49
	v_add_f32_e32 v49, v53, v49
	s_delay_alu instid0(VALU_DEP_1) | instskip(NEXT) | instid1(VALU_DEP_1)
	v_add_f32_e32 v51, v52, v49
	v_mul_f32_e32 v53, v51, v51
	s_delay_alu instid0(VALU_DEP_1) | instskip(SKIP_1) | instid1(VALU_DEP_2)
	v_fmaak_f32 v54, s72, v53, 0x3ecc95a3
	v_mul_f32_e32 v55, v51, v53
	v_fmaak_f32 v53, v53, v54, 0x3f2aaada
	v_ldexp_f32 v54, v51, 1
	s_delay_alu instid0(VALU_DEP_2) | instskip(SKIP_1) | instid1(VALU_DEP_2)
	v_mul_f32_e32 v53, v55, v53
	v_sub_f32_e32 v51, v51, v52
	v_dual_mul_f32 v55, 0x3f317218, v48 :: v_dual_add_f32 v52, v54, v53
	s_delay_alu instid0(VALU_DEP_2) | instskip(NEXT) | instid1(VALU_DEP_2)
	v_sub_f32_e32 v49, v49, v51
	v_sub_f32_e32 v51, v52, v54
	s_delay_alu instid0(VALU_DEP_3) | instskip(NEXT) | instid1(VALU_DEP_3)
	v_fma_f32 v54, 0x3f317218, v48, -v55
	v_ldexp_f32 v49, v49, 1
	s_delay_alu instid0(VALU_DEP_2) | instskip(NEXT) | instid1(VALU_DEP_1)
	v_dual_sub_f32 v51, v53, v51 :: v_dual_fmac_f32 v54, 0xb102e308, v48
	v_dual_add_f32 v48, v49, v51 :: v_dual_add_f32 v49, v55, v54
	s_delay_alu instid0(VALU_DEP_1) | instskip(NEXT) | instid1(VALU_DEP_1)
	v_add_f32_e32 v51, v52, v48
	v_dual_add_f32 v53, v49, v51 :: v_dual_sub_f32 v52, v51, v52
	s_delay_alu instid0(VALU_DEP_1) | instskip(NEXT) | instid1(VALU_DEP_2)
	v_sub_f32_e32 v56, v53, v49
	v_dual_sub_f32 v55, v49, v55 :: v_dual_sub_f32 v48, v48, v52
	s_delay_alu instid0(VALU_DEP_1) | instskip(SKIP_1) | instid1(VALU_DEP_2)
	v_dual_sub_f32 v57, v53, v56 :: v_dual_sub_f32 v54, v54, v55
	v_sub_f32_e32 v51, v51, v56
	v_dual_sub_f32 v49, v49, v57 :: v_dual_add_f32 v52, v54, v48
	s_delay_alu instid0(VALU_DEP_1) | instskip(NEXT) | instid1(VALU_DEP_2)
	v_add_f32_e32 v49, v51, v49
	v_sub_f32_e32 v51, v52, v54
	s_delay_alu instid0(VALU_DEP_2) | instskip(NEXT) | instid1(VALU_DEP_2)
	v_add_f32_e32 v49, v52, v49
	v_sub_f32_e32 v52, v52, v51
	s_delay_alu instid0(VALU_DEP_2) | instskip(NEXT) | instid1(VALU_DEP_1)
	v_dual_sub_f32 v48, v48, v51 :: v_dual_add_f32 v55, v53, v49
	v_dual_sub_f32 v52, v54, v52 :: v_dual_sub_f32 v51, v55, v53
	s_delay_alu instid0(VALU_DEP_1) | instskip(NEXT) | instid1(VALU_DEP_1)
	v_dual_add_f32 v48, v48, v52 :: v_dual_sub_f32 v49, v49, v51
	v_add_f32_e32 v48, v48, v49
	s_delay_alu instid0(VALU_DEP_1) | instskip(NEXT) | instid1(VALU_DEP_1)
	v_add_f32_e32 v48, v55, v48
	v_cndmask_b32_e32 v150, v48, v50, vcc_lo
.LBB145_54:                             ;   in Loop: Header=BB145_12 Depth=1
	s_or_b32 exec_lo, exec_lo, s17
	v_dual_mul_f32 v50, s58, v10 :: v_dual_mul_f32 v49, s58, v9
	v_dual_mul_f32 v48, s58, v8 :: v_dual_mul_f32 v55, s58, v23
	;; [unrolled: 1-line block ×8, first 2 shown]
	s_lshl_b32 s38, s74, 10
	s_and_b32 vcc_lo, exec_lo, s69
	s_barrier
	buffer_gl0_inv
	s_cbranch_vccz .LBB145_86
; %bb.55:                               ;   in Loop: Header=BB145_12 Depth=1
	v_add_co_u32 v64, s14, s49, v134
	s_delay_alu instid0(VALU_DEP_1) | instskip(SKIP_1) | instid1(VALU_DEP_1)
	v_add_co_ci_u32_e64 v65, null, s50, 0, s14
	v_add_co_u32 v66, s14, s37, v134
	v_add_co_ci_u32_e64 v67, null, s63, 0, s14
	s_delay_alu instid0(VALU_DEP_4) | instskip(NEXT) | instid1(VALU_DEP_4)
	v_add_co_u32 v152, vcc_lo, v64, v133
	v_add_co_ci_u32_e32 v153, vcc_lo, 0, v65, vcc_lo
	s_delay_alu instid0(VALU_DEP_4)
	v_add_co_u32 v154, vcc_lo, v66, v133
	s_sub_i32 s27, s52, s38
	v_add_co_ci_u32_e32 v155, vcc_lo, 0, v67, vcc_lo
	v_cmp_gt_u32_e32 vcc_lo, s27, v108
	s_cmp_lg_u32 s74, 0
	v_cmp_gt_u32_e64 s18, s27, v119
	s_cselect_b32 s39, -1, 0
	s_cmp_eq_u32 s74, s71
	v_cmp_gt_u32_e64 s19, s27, v120
	s_cselect_b32 s75, -1, 0
	s_or_b32 s14, s70, vcc_lo
	v_cmp_gt_u32_e32 vcc_lo, s27, v118
	v_cmp_gt_u32_e64 s20, s27, v121
	v_cmp_gt_u32_e64 s21, s27, v122
	;; [unrolled: 1-line block ×4, first 2 shown]
	s_or_b32 s17, s70, vcc_lo
	v_cmp_gt_u32_e32 vcc_lo, s27, v123
	v_cmp_gt_u32_e64 s25, s27, v126
	v_cmp_gt_u32_e64 s26, s27, v127
	;; [unrolled: 1-line block ×4, first 2 shown]
	s_or_b32 s22, s70, vcc_lo
	v_cmp_gt_u32_e32 vcc_lo, s27, v128
	v_cmp_gt_u32_e64 s30, s27, v131
	v_cmp_gt_u32_e64 s31, s27, v132
	v_dual_mul_f32 v151, v11, v150 :: v_dual_mul_f32 v156, v10, v149
	v_dual_mul_f32 v157, v9, v148 :: v_dual_mul_f32 v158, v8, v147
	;; [unrolled: 1-line block ×8, first 2 shown]
	s_mov_b32 s54, 0
	s_or_b32 s18, s70, s18
	s_or_b32 s19, s70, s19
	;; [unrolled: 1-line block ×8, first 2 shown]
	s_or_b32 s27, s70, vcc_lo
	s_or_b32 s28, s70, s28
	s_or_b32 s29, s70, s29
	;; [unrolled: 1-line block ×4, first 2 shown]
	s_mov_b32 s40, s54
	s_mov_b32 s42, s54
	s_mov_b32 s46, s54
	s_mov_b32 s76, s53
	s_mov_b32 s77, s73
	s_branch .LBB145_57
.LBB145_56:                             ;   in Loop: Header=BB145_57 Depth=2
	s_or_b32 exec_lo, exec_lo, s33
	v_cndmask_b32_e64 v81, v192, v83, s16
	v_cndmask_b32_e64 v82, v191, v82, s16
	s_add_i32 s76, s76, -1
	s_add_i32 s77, s77, 8
	s_add_i32 s46, s46, s64
	v_fma_f32 v81, v81, v173, v171
	v_mul_f32_e32 v82, v82, v173
	s_add_i32 s42, s42, s36
	s_add_i32 s40, s40, s48
	;; [unrolled: 1-line block ×3, first 2 shown]
	v_cndmask_b32_e64 v81, v81, v171, s15
	v_cndmask_b32_e64 v82, v82, v173, s15
	s_cmp_eq_u32 s76, 0
	s_waitcnt lgkmcnt(0)
	s_delay_alu instid0(VALU_DEP_1) | instskip(NEXT) | instid1(VALU_DEP_1)
	v_fmac_f32_e32 v81, v80, v82
	v_fmac_f32_e32 v92, v81, v172
	s_delay_alu instid0(VALU_DEP_1) | instskip(NEXT) | instid1(VALU_DEP_1)
	v_fmac_f32_e32 v93, v92, v174
	v_fmac_f32_e32 v94, v93, v95
	s_delay_alu instid0(VALU_DEP_1) | instskip(SKIP_1) | instid1(VALU_DEP_1)
	v_dual_fmac_f32 v62, v78, v93 :: v_dual_fmac_f32 v63, v79, v94
	v_fmac_f32_e32 v88, v94, v175
	v_fmac_f32_e32 v89, v88, v176
	s_delay_alu instid0(VALU_DEP_1) | instskip(NEXT) | instid1(VALU_DEP_1)
	v_fmac_f32_e32 v90, v89, v177
	v_dual_fmac_f32 v91, v90, v178 :: v_dual_fmac_f32 v60, v76, v81
	s_delay_alu instid0(VALU_DEP_1) | instskip(SKIP_2) | instid1(VALU_DEP_3)
	v_dual_fmac_f32 v61, v77, v92 :: v_dual_fmac_f32 v84, v91, v179
	v_fmac_f32_e32 v59, v75, v91
	v_fmac_f32_e32 v57, v73, v89
	;; [unrolled: 1-line block ×4, first 2 shown]
	s_delay_alu instid0(VALU_DEP_2) | instskip(SKIP_1) | instid1(VALU_DEP_1)
	v_dual_fmac_f32 v52, v68, v84 :: v_dual_fmac_f32 v53, v69, v85
	v_fmac_f32_e32 v86, v85, v181
	v_fmac_f32_e32 v87, v86, v190
	s_delay_alu instid0(VALU_DEP_1) | instskip(NEXT) | instid1(VALU_DEP_1)
	v_fmac_f32_e32 v182, v87, v184
	v_dual_fmac_f32 v55, v71, v87 :: v_dual_fmac_f32 v48, v64, v182
	v_fmac_f32_e32 v183, v182, v186
	s_delay_alu instid0(VALU_DEP_1) | instskip(SKIP_1) | instid1(VALU_DEP_2)
	v_dual_fmac_f32 v58, v74, v90 :: v_dual_fmac_f32 v185, v183, v188
	v_dual_fmac_f32 v54, v70, v86 :: v_dual_fmac_f32 v49, v65, v183
	v_fmac_f32_e32 v50, v66, v185
	v_fmac_f32_e32 v187, v185, v189
	s_delay_alu instid0(VALU_DEP_1)
	v_fmac_f32_e32 v51, v67, v187
	s_cbranch_scc1 .LBB145_86
.LBB145_57:                             ;   Parent Loop BB145_12 Depth=1
                                        ; =>  This Inner Loop Header: Depth=2
	s_lshl_b64 s[34:35], s[54:55], 2
	s_mov_b32 s41, s55
	s_add_u32 s34, s61, s34
	s_addc_u32 s35, s62, s35
	s_lshl_b64 s[78:79], s[40:41], 2
	s_mov_b32 s43, s55
	v_add_co_u32 v76, vcc_lo, v152, s78
	v_add_co_ci_u32_e32 v77, vcc_lo, s79, v153, vcc_lo
	s_lshl_b64 s[78:79], s[42:43], 2
	s_clause 0x3
	global_load_b128 v[64:67], v[76:77], off
	global_load_b128 v[68:71], v[76:77], off offset:512
	global_load_b128 v[72:75], v[76:77], off offset:1024
	;; [unrolled: 1-line block ×3, first 2 shown]
	v_add_co_u32 v80, vcc_lo, v154, s78
	v_add_co_ci_u32_e32 v81, vcc_lo, s79, v155, vcc_lo
	global_load_b32 v171, v98, s[34:35]
	s_and_not1_b32 vcc_lo, exec_lo, s39
	s_waitcnt vmcnt(4)
	ds_store_b128 v99, v[64:67]
	s_waitcnt vmcnt(3)
	ds_store_b128 v100, v[68:71] offset:512
	s_waitcnt vmcnt(2)
	ds_store_b128 v101, v[72:75] offset:1024
	;; [unrolled: 2-line block ×3, first 2 shown]
	; wave barrier
	s_clause 0x3
	global_load_b128 v[64:67], v[80:81], off
	global_load_b128 v[68:71], v[80:81], off offset:512
	global_load_b128 v[72:75], v[80:81], off offset:1024
	;; [unrolled: 1-line block ×3, first 2 shown]
	ds_load_b128 v[92:95], v103
	ds_load_b128 v[88:91], v103 offset:16
	ds_load_b128 v[84:87], v103 offset:32
	;; [unrolled: 1-line block ×3, first 2 shown]
	s_waitcnt vmcnt(3)
	ds_store_b128 v99, v[64:67] offset:4224
	s_waitcnt vmcnt(2)
	ds_store_b128 v104, v[68:71] offset:512
	;; [unrolled: 2-line block ×4, first 2 shown]
	; wave barrier
	ds_load_b128 v[76:79], v103 offset:4224
	ds_load_b128 v[72:75], v107 offset:16
	;; [unrolled: 1-line block ×4, first 2 shown]
	s_cbranch_vccnz .LBB145_59
; %bb.58:                               ;   in Loop: Header=BB145_57 Depth=2
	v_mov_b32_e32 v96, s77
	ds_load_b64 v[96:97], v96
	s_cbranch_execz .LBB145_60
	s_branch .LBB145_63
.LBB145_59:                             ;   in Loop: Header=BB145_57 Depth=2
                                        ; implicit-def: $vgpr96
.LBB145_60:                             ;   in Loop: Header=BB145_57 Depth=2
	s_waitcnt lgkmcnt(0)
	v_mov_b32_e32 v97, 0
	s_and_not1_b32 vcc_lo, exec_lo, s56
	s_cbranch_vccnz .LBB145_62
; %bb.61:                               ;   in Loop: Header=BB145_57 Depth=2
	s_mov_b32 s47, s55
	s_delay_alu instid0(SALU_CYCLE_1) | instskip(NEXT) | instid1(SALU_CYCLE_1)
	s_lshl_b64 s[34:35], s[46:47], 2
	s_add_u32 s34, s65, s34
	s_addc_u32 s35, s66, s35
	global_load_b32 v97, v98, s[34:35]
.LBB145_62:                             ;   in Loop: Header=BB145_57 Depth=2
	v_mov_b32_e32 v96, 1.0
.LBB145_63:                             ;   in Loop: Header=BB145_57 Depth=2
	s_waitcnt lgkmcnt(11)
	v_dual_mul_f32 v185, 0x3fb8aa3b, v171 :: v_dual_mul_f32 v92, v92, v170
	v_dual_mul_f32 v93, v93, v169 :: v_dual_mul_f32 v94, v94, v168
	v_mul_f32_e32 v95, v95, v167
	s_delay_alu instid0(VALU_DEP_3)
	v_mul_f32_e32 v171, v185, v135
	v_mul_f32_e32 v174, v185, v137
	s_waitcnt lgkmcnt(10)
	v_dual_mul_f32 v177, v185, v139 :: v_dual_mul_f32 v88, v88, v166
	s_waitcnt lgkmcnt(9)
	v_dual_mul_f32 v179, v185, v142 :: v_dual_mul_f32 v86, v86, v160
	v_cmp_gt_f32_e32 vcc_lo, 0xc2fc0000, v171
	v_cndmask_b32_e64 v171, 0, v92, s14
	v_mul_f32_e32 v92, v185, v138
	v_cmp_gt_f32_e64 s34, 0xc2fc0000, v174
	v_mul_f32_e32 v186, v185, v147
	v_cndmask_b32_e64 v173, 0, 0x42800000, vcc_lo
	v_cndmask_b32_e64 v88, 0, v88, s20
	v_cmp_gt_f32_e64 s35, 0xc2fc0000, v92
	v_cndmask_b32_e64 v174, 0, 0x42800000, s34
	v_cndmask_b32_e64 v92, 0, v93, s17
	v_cndmask_b32_e64 v93, 1.0, 0x1f800000, vcc_lo
	v_cmp_gt_f32_e32 vcc_lo, 0xc2fc0000, v177
	v_cndmask_b32_e64 v175, 0, 0x42800000, s35
	v_fmac_f32_e32 v174, v185, v137
	v_cndmask_b32_e64 v177, 1.0, 0x1f800000, s35
	v_cndmask_b32_e64 v178, 1.0, 0x1f800000, s34
	v_cmp_gt_f32_e64 s34, 0xc2fc0000, v179
	v_fmac_f32_e32 v175, v185, v138
	v_exp_f32_e32 v174, v174
	v_fmac_f32_e32 v173, v185, v135
	s_waitcnt lgkmcnt(8)
	v_dual_mul_f32 v189, v185, v150 :: v_dual_mul_f32 v82, v82, v156
	v_exp_f32_e32 v175, v175
	v_mul_f32_e32 v172, v185, v136
	v_cndmask_b32_e64 v86, 0, v86, s26
	v_dual_mul_f32 v90, v90, v164 :: v_dual_mul_f32 v91, v91, v163
	s_delay_alu instid0(TRANS32_DEP_2) | instskip(SKIP_2) | instid1(VALU_DEP_3)
	v_dual_mul_f32 v87, v87, v159 :: v_dual_mul_f32 v174, v174, v178
	v_exp_f32_e32 v173, v173
	v_mul_f32_e32 v178, v185, v141
	v_cndmask_b32_e64 v90, 0, v90, s22
	s_delay_alu instid0(TRANS32_DEP_2)
	v_mul_f32_e32 v175, v175, v177
	v_cmp_gt_f32_e64 s33, 0xc2fc0000, v172
	v_cndmask_b32_e64 v174, 1.0, v174, s18
	v_cndmask_b32_e64 v91, 0, v91, s23
	v_cndmask_b32_e64 v87, 0, v87, s27
	v_mul_f32_e32 v84, v84, v162
	v_cndmask_b32_e64 v172, 0, 0x42800000, s33
	v_mul_f32_e32 v93, v173, v93
	v_cndmask_b32_e64 v176, 1.0, 0x1f800000, s33
	v_dual_mul_f32 v83, v83, v151 :: v_dual_mul_f32 v80, v80, v158
	s_delay_alu instid0(VALU_DEP_4) | instskip(NEXT) | instid1(VALU_DEP_4)
	v_fmac_f32_e32 v172, v185, v136
	v_cndmask_b32_e64 v173, 1.0, v93, s14
	v_cndmask_b32_e64 v93, 0, v94, s18
	v_mul_f32_e32 v94, v185, v140
	v_cndmask_b32_e64 v84, 0, v84, s24
	v_exp_f32_e32 v172, v172
	v_mul_f32_e32 v81, v81, v157
	s_delay_alu instid0(VALU_DEP_3) | instskip(SKIP_3) | instid1(VALU_DEP_4)
	v_cmp_gt_f32_e64 s33, 0xc2fc0000, v94
	v_cndmask_b32_e64 v94, 0, v95, s19
	v_cndmask_b32_e64 v95, 1.0, v175, s19
	v_cndmask_b32_e64 v175, 1.0, 0x1f800000, vcc_lo
	v_cndmask_b32_e64 v177, 0, 0x42800000, s33
	v_cndmask_b32_e64 v179, 1.0, 0x1f800000, s33
	s_delay_alu instid0(TRANS32_DEP_1) | instskip(SKIP_2) | instid1(VALU_DEP_3)
	v_mul_f32_e32 v172, v172, v176
	v_cndmask_b32_e64 v176, 0, 0x42800000, vcc_lo
	v_cmp_gt_f32_e32 vcc_lo, 0xc2fc0000, v178
	v_cndmask_b32_e64 v172, 1.0, v172, s17
	s_delay_alu instid0(VALU_DEP_3) | instskip(SKIP_1) | instid1(VALU_DEP_2)
	v_fmac_f32_e32 v176, v185, v139
	v_cndmask_b32_e64 v178, 0, 0x42800000, vcc_lo
	v_exp_f32_e32 v176, v176
	s_delay_alu instid0(VALU_DEP_1) | instskip(NEXT) | instid1(VALU_DEP_1)
	v_fmac_f32_e32 v178, v185, v141
	v_exp_f32_e32 v178, v178
	v_fmac_f32_e32 v177, v185, v140
	s_waitcnt_depctr 0xfff
	v_mul_f32_e32 v175, v176, v175
	v_exp_f32_e32 v176, v177
	v_cndmask_b32_e64 v177, 0, 0x42800000, s34
	s_delay_alu instid0(VALU_DEP_2) | instskip(SKIP_3) | instid1(VALU_DEP_2)
	v_cndmask_b32_e64 v175, 1.0, v175, s20
	s_waitcnt_depctr 0xfff
	v_dual_fmac_f32 v177, v185, v142 :: v_dual_mul_f32 v176, v176, v179
	v_cndmask_b32_e64 v179, 1.0, 0x1f800000, vcc_lo
	v_exp_f32_e32 v180, v177
	v_mul_f32_e32 v177, v185, v143
	s_delay_alu instid0(VALU_DEP_3) | instskip(NEXT) | instid1(VALU_DEP_3)
	v_cndmask_b32_e64 v176, 1.0, v176, s21
	v_mul_f32_e32 v178, v178, v179
	v_cndmask_b32_e64 v179, 1.0, 0x1f800000, s34
	v_mul_f32_e32 v89, v89, v165
	v_cmp_gt_f32_e32 vcc_lo, 0xc2fc0000, v177
	s_delay_alu instid0(VALU_DEP_4)
	v_cndmask_b32_e64 v177, 1.0, v178, s22
	s_delay_alu instid0(TRANS32_DEP_1) | instid1(VALU_DEP_4)
	v_dual_mul_f32 v178, v180, v179 :: v_dual_mul_f32 v179, v185, v144
	v_cndmask_b32_e64 v181, 0, 0x42800000, vcc_lo
	v_mul_f32_e32 v182, v185, v146
	v_cndmask_b32_e64 v183, 1.0, 0x1f800000, vcc_lo
	s_delay_alu instid0(VALU_DEP_4)
	v_cndmask_b32_e64 v178, 1.0, v178, s23
	v_cmp_gt_f32_e64 s33, 0xc2fc0000, v179
	v_fmac_f32_e32 v181, v185, v143
	v_mul_f32_e32 v180, v185, v145
	v_cmp_gt_f32_e32 vcc_lo, 0xc2fc0000, v182
	v_cndmask_b32_e64 v89, 0, v89, s21
	v_cndmask_b32_e64 v179, 0, 0x42800000, s33
	v_exp_f32_e32 v181, v181
	v_cmp_gt_f32_e64 s34, 0xc2fc0000, v180
	v_cndmask_b32_e64 v182, 0, 0x42800000, vcc_lo
	s_delay_alu instid0(VALU_DEP_3) | instskip(NEXT) | instid1(VALU_DEP_3)
	v_fmac_f32_e32 v179, v185, v144
	v_cndmask_b32_e64 v180, 0, 0x42800000, s34
	s_delay_alu instid0(VALU_DEP_3) | instskip(NEXT) | instid1(VALU_DEP_3)
	v_fmac_f32_e32 v182, v185, v146
	v_exp_f32_e32 v184, v179
	s_delay_alu instid0(TRANS32_DEP_2) | instskip(NEXT) | instid1(VALU_DEP_3)
	v_mul_f32_e32 v179, v181, v183
	v_fmac_f32_e32 v180, v185, v145
	v_cndmask_b32_e64 v181, 1.0, 0x1f800000, s33
	v_exp_f32_e32 v182, v182
	v_cndmask_b32_e64 v183, 1.0, 0x1f800000, s34
	v_cndmask_b32_e64 v179, 1.0, v179, s24
	v_exp_f32_e32 v180, v180
	s_delay_alu instid0(TRANS32_DEP_3)
	v_mul_f32_e32 v181, v184, v181
	v_cndmask_b32_e64 v184, 1.0, 0x1f800000, vcc_lo
	v_cmp_gt_f32_e32 vcc_lo, 0xc2fc0000, v186
	v_fma_f32 v186, v172, v171, v92
	s_delay_alu instid0(TRANS32_DEP_2) | instid1(VALU_DEP_3)
	v_mul_f32_e32 v182, v182, v184
	v_mul_f32_e32 v184, v172, v173
	s_delay_alu instid0(TRANS32_DEP_1)
	v_mul_f32_e32 v183, v180, v183
	v_cndmask_b32_e64 v180, 1.0, v181, s25
	v_fma_f32 v186, v186, v174, v93
	v_cndmask_b32_e64 v190, 1.0, v182, s27
	v_mul_f32_e32 v184, v184, v174
	v_cndmask_b32_e64 v181, 1.0, v183, s26
	v_cndmask_b32_e64 v183, 0, 0x42800000, vcc_lo
	v_cndmask_b32_e64 v182, 1.0, 0x1f800000, vcc_lo
	s_delay_alu instid0(VALU_DEP_4) | instskip(SKIP_2) | instid1(VALU_DEP_3)
	v_dual_mul_f32 v187, v185, v148 :: v_dual_mul_f32 v184, v184, v95
	v_mul_f32_e32 v85, v85, v161
	v_fma_f32 v186, v186, v95, v94
	v_cmp_gt_f32_e64 s33, 0xc2fc0000, v187
	s_delay_alu instid0(VALU_DEP_4) | instskip(SKIP_1) | instid1(VALU_DEP_4)
	v_mul_f32_e32 v184, v184, v175
	v_fmac_f32_e32 v183, v185, v147
	v_fma_f32 v186, v186, v175, v88
	v_cndmask_b32_e64 v85, 0, v85, s25
	v_cndmask_b32_e64 v187, 0, 0x42800000, s33
	v_mul_f32_e32 v188, v184, v176
	v_exp_f32_e32 v183, v183
	v_fma_f32 v186, v186, v176, v89
	s_delay_alu instid0(VALU_DEP_1)
	v_fma_f32 v186, v186, v177, v90
	s_waitcnt_depctr 0xfff
	v_mul_f32_e32 v183, v183, v182
	v_cndmask_b32_e64 v182, 0, v80, s28
	v_cndmask_b32_e64 v80, 1.0, 0x1f800000, s33
	v_cmp_gt_f32_e64 s33, 0xc2fc0000, v189
	v_fma_f32 v186, v186, v178, v91
	v_cndmask_b32_e64 v184, 1.0, v183, s28
	v_mul_f32_e32 v183, v188, v177
	v_mul_f32_e32 v188, v185, v149
	s_delay_alu instid0(VALU_DEP_4) | instskip(NEXT) | instid1(VALU_DEP_2)
	v_fma_f32 v186, v186, v179, v84
	v_cmp_gt_f32_e32 vcc_lo, 0xc2fc0000, v188
	s_delay_alu instid0(VALU_DEP_2) | instskip(SKIP_1) | instid1(VALU_DEP_1)
	v_fma_f32 v189, v186, v180, v85
	v_cndmask_b32_e64 v188, 0, 0x42800000, vcc_lo
	v_fmac_f32_e32 v188, v185, v149
	s_delay_alu instid0(VALU_DEP_1) | instskip(SKIP_1) | instid1(VALU_DEP_1)
	v_exp_f32_e32 v188, v188
	v_fmac_f32_e32 v187, v185, v148
	v_exp_f32_e32 v187, v187
	s_waitcnt_depctr 0xfff
	v_mul_f32_e32 v80, v187, v80
	v_mul_f32_e32 v187, v183, v178
	v_cndmask_b32_e64 v183, 0, v81, s29
	s_delay_alu instid0(VALU_DEP_3) | instskip(NEXT) | instid1(VALU_DEP_3)
	v_cndmask_b32_e64 v186, 1.0, v80, s29
	v_mul_f32_e32 v81, v187, v179
	v_cndmask_b32_e64 v187, 0, 0x42800000, s33
	s_delay_alu instid0(VALU_DEP_1) | instskip(SKIP_1) | instid1(VALU_DEP_2)
	v_fmac_f32_e32 v187, v185, v150
	v_cndmask_b32_e64 v185, 1.0, 0x1f800000, vcc_lo
	v_exp_f32_e32 v187, v187
	s_delay_alu instid0(VALU_DEP_1) | instskip(SKIP_3) | instid1(VALU_DEP_4)
	v_mul_f32_e32 v188, v188, v185
	v_cndmask_b32_e64 v185, 0, v82, s30
	v_cndmask_b32_e64 v82, 1.0, 0x1f800000, s33
	v_mul_f32_e32 v81, v81, v180
	v_cndmask_b32_e64 v188, 1.0, v188, s30
	s_waitcnt_depctr 0xfff
	v_mul_f32_e32 v82, v187, v82
	v_mul_f32_e32 v80, v81, v181
	v_fma_f32 v81, v189, v181, v86
	v_cndmask_b32_e64 v187, 0, v83, s31
	s_delay_alu instid0(VALU_DEP_4) | instskip(NEXT) | instid1(VALU_DEP_4)
	v_cndmask_b32_e64 v189, 1.0, v82, s31
	v_mul_f32_e32 v80, v80, v190
	s_delay_alu instid0(VALU_DEP_4) | instskip(NEXT) | instid1(VALU_DEP_2)
	v_fma_f32 v81, v81, v190, v87
	v_mul_f32_e32 v80, v80, v184
	s_delay_alu instid0(VALU_DEP_2) | instskip(NEXT) | instid1(VALU_DEP_2)
	v_fma_f32 v81, v81, v184, v182
	v_mul_f32_e32 v80, v80, v186
	s_delay_alu instid0(VALU_DEP_2) | instskip(NEXT) | instid1(VALU_DEP_2)
	;; [unrolled: 3-line block ×4, first 2 shown]
	v_fma_f32 v81, v81, v189, v187
	v_mov_b32_dpp v83, v80 row_shr:1 row_mask:0xf bank_mask:0xf
	s_delay_alu instid0(VALU_DEP_2)
	v_mov_b32_dpp v82, v81 row_shr:1 row_mask:0xf bank_mask:0xf
	s_and_saveexec_b32 s33, s4
; %bb.64:                               ;   in Loop: Header=BB145_57 Depth=2
	s_delay_alu instid0(VALU_DEP_2) | instskip(NEXT) | instid1(VALU_DEP_1)
	v_mul_f32_e32 v83, v80, v83
	v_dual_fmac_f32 v81, v80, v82 :: v_dual_mov_b32 v80, v83
; %bb.65:                               ;   in Loop: Header=BB145_57 Depth=2
	s_or_b32 exec_lo, exec_lo, s33
	s_delay_alu instid0(VALU_DEP_1) | instskip(NEXT) | instid1(VALU_DEP_2)
	v_mov_b32_dpp v82, v80 row_shr:2 row_mask:0xf bank_mask:0xf
	v_mov_b32_dpp v83, v81 row_shr:2 row_mask:0xf bank_mask:0xf
	s_and_saveexec_b32 s33, s5
; %bb.66:                               ;   in Loop: Header=BB145_57 Depth=2
	s_delay_alu instid0(VALU_DEP_1) | instskip(NEXT) | instid1(VALU_DEP_3)
	v_fmac_f32_e32 v81, v80, v83
	v_mul_f32_e32 v80, v80, v82
; %bb.67:                               ;   in Loop: Header=BB145_57 Depth=2
	s_or_b32 exec_lo, exec_lo, s33
	s_delay_alu instid0(VALU_DEP_1) | instskip(NEXT) | instid1(VALU_DEP_3)
	v_mov_b32_dpp v82, v80 row_shr:4 row_mask:0xf bank_mask:0xf
	v_mov_b32_dpp v83, v81 row_shr:4 row_mask:0xf bank_mask:0xf
	s_and_saveexec_b32 s33, s6
; %bb.68:                               ;   in Loop: Header=BB145_57 Depth=2
	s_delay_alu instid0(VALU_DEP_1) | instskip(NEXT) | instid1(VALU_DEP_3)
	v_fmac_f32_e32 v81, v80, v83
	v_mul_f32_e32 v80, v80, v82
; %bb.69:                               ;   in Loop: Header=BB145_57 Depth=2
	s_or_b32 exec_lo, exec_lo, s33
	s_delay_alu instid0(VALU_DEP_1) | instskip(NEXT) | instid1(VALU_DEP_3)
	v_mov_b32_dpp v82, v80 row_shr:8 row_mask:0xf bank_mask:0xf
	v_mov_b32_dpp v83, v81 row_shr:8 row_mask:0xf bank_mask:0xf
	s_and_saveexec_b32 s33, s7
; %bb.70:                               ;   in Loop: Header=BB145_57 Depth=2
	s_delay_alu instid0(VALU_DEP_1) | instskip(NEXT) | instid1(VALU_DEP_3)
	v_fmac_f32_e32 v81, v80, v83
	v_mul_f32_e32 v80, v80, v82
; %bb.71:                               ;   in Loop: Header=BB145_57 Depth=2
	s_or_b32 exec_lo, exec_lo, s33
	ds_swizzle_b32 v83, v80 offset:swizzle(BROADCAST,32,15)
	ds_swizzle_b32 v82, v81 offset:swizzle(BROADCAST,32,15)
	s_and_saveexec_b32 s33, s8
	s_cbranch_execz .LBB145_73
; %bb.72:                               ;   in Loop: Header=BB145_57 Depth=2
	s_waitcnt lgkmcnt(1)
	v_mul_f32_e32 v83, v80, v83
	s_waitcnt lgkmcnt(0)
	s_delay_alu instid0(VALU_DEP_1)
	v_dual_fmac_f32 v81, v80, v82 :: v_dual_mov_b32 v80, v83
.LBB145_73:                             ;   in Loop: Header=BB145_57 Depth=2
	s_or_b32 exec_lo, exec_lo, s33
	s_and_saveexec_b32 s33, s9
	s_cbranch_execz .LBB145_75
; %bb.74:                               ;   in Loop: Header=BB145_57 Depth=2
	ds_store_b64 v109, v[80:81] offset:8448
.LBB145_75:                             ;   in Loop: Header=BB145_57 Depth=2
	s_or_b32 exec_lo, exec_lo, s33
	s_waitcnt vmcnt(0) lgkmcnt(0)
	s_waitcnt_vscnt null, 0x0
	s_barrier
	buffer_gl0_inv
	s_and_saveexec_b32 s33, s10
	s_cbranch_execz .LBB145_77
; %bb.76:                               ;   in Loop: Header=BB145_57 Depth=2
	ds_load_b64 v[82:83], v110 offset:8448
	s_waitcnt lgkmcnt(0)
	v_mov_b32_dpp v191, v82 row_shr:1 row_mask:0xf bank_mask:0xf
	v_mov_b32_dpp v192, v83 row_shr:1 row_mask:0xf bank_mask:0xf
	s_delay_alu instid0(VALU_DEP_2) | instskip(NEXT) | instid1(VALU_DEP_2)
	v_mul_f32_e32 v191, v82, v191
	v_fma_f32 v192, v82, v192, v83
	s_delay_alu instid0(VALU_DEP_2) | instskip(NEXT) | instid1(VALU_DEP_2)
	v_cndmask_b32_e64 v82, v191, v82, s11
	v_cndmask_b32_e64 v83, v192, v83, s11
	ds_store_b64 v110, v[82:83] offset:8448
.LBB145_77:                             ;   in Loop: Header=BB145_57 Depth=2
	s_or_b32 exec_lo, exec_lo, s33
	s_waitcnt lgkmcnt(0)
	s_barrier
	buffer_gl0_inv
                                        ; implicit-def: $vgpr83
	s_and_saveexec_b32 s33, s13
	s_cbranch_execz .LBB145_79
; %bb.78:                               ;   in Loop: Header=BB145_57 Depth=2
	ds_load_b64 v[82:83], v109 offset:8440
	s_waitcnt lgkmcnt(0)
	v_mul_f32_e32 v191, v80, v82
	s_delay_alu instid0(VALU_DEP_1)
	v_dual_fmac_f32 v81, v80, v83 :: v_dual_mov_b32 v80, v191
.LBB145_79:                             ;   in Loop: Header=BB145_57 Depth=2
	s_or_b32 exec_lo, exec_lo, s33
	ds_bpermute_b32 v191, v111, v80
	ds_bpermute_b32 v192, v111, v81
	s_and_saveexec_b32 s33, s12
	s_cbranch_execz .LBB145_83
; %bb.80:                               ;   in Loop: Header=BB145_57 Depth=2
	ds_load_b64 v[80:81], v98 offset:8456
	s_and_saveexec_b32 s34, s15
	s_cbranch_execz .LBB145_82
; %bb.81:                               ;   in Loop: Header=BB145_57 Depth=2
	ds_store_b64 v98, v[96:97] offset:8456
.LBB145_82:                             ;   in Loop: Header=BB145_57 Depth=2
	s_or_b32 exec_lo, exec_lo, s34
	s_waitcnt lgkmcnt(0)
	v_fmac_f32_e32 v81, v97, v80
	s_delay_alu instid0(VALU_DEP_1)
	v_dual_mul_f32 v96, v96, v80 :: v_dual_mov_b32 v97, v81
.LBB145_83:                             ;   in Loop: Header=BB145_57 Depth=2
	s_or_b32 exec_lo, exec_lo, s33
	s_waitcnt lgkmcnt(0)
	s_barrier
	buffer_gl0_inv
	ds_load_b32 v80, v98 offset:8460
	s_and_saveexec_b32 s33, s15
	s_cbranch_execz .LBB145_56
; %bb.84:                               ;   in Loop: Header=BB145_57 Depth=2
	v_mov_b32_e32 v81, s77
	s_and_not1_b32 vcc_lo, exec_lo, s75
	ds_store_b64 v81, v[96:97]
	s_cbranch_vccnz .LBB145_56
; %bb.85:                               ;   in Loop: Header=BB145_57 Depth=2
	s_mov_b32 s47, s55
	s_delay_alu instid0(SALU_CYCLE_1) | instskip(NEXT) | instid1(SALU_CYCLE_1)
	s_lshl_b64 s[34:35], s[46:47], 2
	s_add_u32 s34, s65, s34
	s_addc_u32 s35, s66, s35
	global_store_b32 v98, v97, s[34:35]
	s_branch .LBB145_56
.LBB145_86:                             ;   in Loop: Header=BB145_12 Depth=1
	s_waitcnt_vscnt null, 0x0
	s_barrier
	buffer_gl0_inv
	ds_store_b128 v103, v[60:63]
	ds_store_b128 v103, v[56:59] offset:16
	ds_store_b128 v103, v[52:55] offset:32
	;; [unrolled: 1-line block ×3, first 2 shown]
	; wave barrier
	ds_load_b128 v[64:67], v99
	ds_load_b128 v[68:71], v100 offset:512
	ds_load_b128 v[72:75], v101 offset:1024
	;; [unrolled: 1-line block ×3, first 2 shown]
	s_mov_b32 s39, s55
	s_delay_alu instid0(SALU_CYCLE_1) | instskip(NEXT) | instid1(SALU_CYCLE_1)
	s_lshl_b64 s[20:21], s[38:39], 2
	v_add_co_u32 v80, vcc_lo, v112, s20
	v_add_co_ci_u32_e32 v81, vcc_lo, s21, v113, vcc_lo
	s_waitcnt lgkmcnt(3)
	global_store_b128 v[80:81], v[64:67], off
	s_waitcnt lgkmcnt(2)
	global_store_b128 v[80:81], v[68:71], off offset:512
	v_add_co_u32 v64, vcc_lo, v114, s20
	v_add_co_ci_u32_e32 v65, vcc_lo, s21, v115, vcc_lo
	s_waitcnt lgkmcnt(1)
	global_store_b128 v[80:81], v[72:75], off offset:1024
	s_waitcnt lgkmcnt(0)
	global_store_b128 v[80:81], v[76:79], off offset:1536
	s_waitcnt_vscnt null, 0x0
	s_barrier
	buffer_gl0_inv
	s_and_saveexec_b32 s14, s0
	s_cbranch_execnz .LBB145_96
; %bb.87:                               ;   in Loop: Header=BB145_12 Depth=1
	s_or_b32 exec_lo, exec_lo, s14
	s_and_saveexec_b32 s14, s1
	s_cbranch_execnz .LBB145_97
.LBB145_88:                             ;   in Loop: Header=BB145_12 Depth=1
	s_or_b32 exec_lo, exec_lo, s14
	s_and_saveexec_b32 s14, s2
	s_cbranch_execnz .LBB145_98
.LBB145_89:                             ;   in Loop: Header=BB145_12 Depth=1
	s_or_b32 exec_lo, exec_lo, s14
	s_and_saveexec_b32 s14, s3
	s_cbranch_execz .LBB145_11
	s_branch .LBB145_99
.LBB145_90:                             ;   in Loop: Header=BB145_12 Depth=1
	global_load_b128 v[36:39], v[48:49], off
	s_or_b32 exec_lo, exec_lo, s14
	s_and_saveexec_b32 s14, s1
	s_cbranch_execz .LBB145_14
.LBB145_91:                             ;   in Loop: Header=BB145_12 Depth=1
	global_load_b128 v[28:31], v[48:49], off offset:512
	s_or_b32 exec_lo, exec_lo, s14
	s_and_saveexec_b32 s14, s2
	s_cbranch_execz .LBB145_15
.LBB145_92:                             ;   in Loop: Header=BB145_12 Depth=1
	global_load_b128 v[20:23], v[48:49], off offset:1024
	s_or_b32 exec_lo, exec_lo, s14
	s_and_saveexec_b32 s14, s3
	s_cbranch_execnz .LBB145_16
	s_branch .LBB145_17
.LBB145_93:                             ;   in Loop: Header=BB145_12 Depth=1
	global_load_b128 v[32:35], v[48:49], off
	s_or_b32 exec_lo, exec_lo, s14
	s_and_saveexec_b32 s14, s1
	s_cbranch_execz .LBB145_19
.LBB145_94:                             ;   in Loop: Header=BB145_12 Depth=1
	global_load_b128 v[16:19], v[48:49], off offset:512
	s_or_b32 exec_lo, exec_lo, s14
	s_and_saveexec_b32 s14, s2
	s_cbranch_execz .LBB145_20
.LBB145_95:                             ;   in Loop: Header=BB145_12 Depth=1
	global_load_b128 v[4:7], v[48:49], off offset:1024
	s_or_b32 exec_lo, exec_lo, s14
	s_and_saveexec_b32 s14, s3
	s_cbranch_execnz .LBB145_21
	s_branch .LBB145_22
.LBB145_96:                             ;   in Loop: Header=BB145_12 Depth=1
	global_load_b128 v[44:47], v[64:65], off
	s_or_b32 exec_lo, exec_lo, s14
	s_and_saveexec_b32 s14, s1
	s_cbranch_execz .LBB145_88
.LBB145_97:                             ;   in Loop: Header=BB145_12 Depth=1
	global_load_b128 v[40:43], v[64:65], off offset:512
	s_or_b32 exec_lo, exec_lo, s14
	s_and_saveexec_b32 s14, s2
	s_cbranch_execz .LBB145_89
.LBB145_98:                             ;   in Loop: Header=BB145_12 Depth=1
	global_load_b128 v[24:27], v[64:65], off offset:1024
	s_or_b32 exec_lo, exec_lo, s14
	s_and_saveexec_b32 s14, s3
	s_cbranch_execz .LBB145_11
.LBB145_99:                             ;   in Loop: Header=BB145_12 Depth=1
	global_load_b128 v[12:15], v[64:65], off offset:1536
	s_branch .LBB145_11
.LBB145_100:
	s_nop 0
	s_sendmsg sendmsg(MSG_DEALLOC_VGPRS)
	s_endpgm
	.section	.rodata,"a",@progbits
	.p2align	6, 0x0
	.amdhsa_kernel _Z25selective_scan_fwd_kernelI32Selective_Scan_fwd_kernel_traitsILi64ELi16ELi1ELb1ELb1ELb1ELb1ELb0EfffEEv13SSMParamsBase
		.amdhsa_group_segment_fixed_size 0
		.amdhsa_private_segment_fixed_size 0
		.amdhsa_kernarg_size 248
		.amdhsa_user_sgpr_count 14
		.amdhsa_user_sgpr_dispatch_ptr 0
		.amdhsa_user_sgpr_queue_ptr 0
		.amdhsa_user_sgpr_kernarg_segment_ptr 1
		.amdhsa_user_sgpr_dispatch_id 0
		.amdhsa_user_sgpr_private_segment_size 0
		.amdhsa_wavefront_size32 1
		.amdhsa_uses_dynamic_stack 0
		.amdhsa_enable_private_segment 0
		.amdhsa_system_sgpr_workgroup_id_x 1
		.amdhsa_system_sgpr_workgroup_id_y 1
		.amdhsa_system_sgpr_workgroup_id_z 0
		.amdhsa_system_sgpr_workgroup_info 0
		.amdhsa_system_vgpr_workitem_id 0
		.amdhsa_next_free_vgpr 193
		.amdhsa_next_free_sgpr 80
		.amdhsa_reserve_vcc 1
		.amdhsa_float_round_mode_32 0
		.amdhsa_float_round_mode_16_64 0
		.amdhsa_float_denorm_mode_32 3
		.amdhsa_float_denorm_mode_16_64 3
		.amdhsa_dx10_clamp 1
		.amdhsa_ieee_mode 1
		.amdhsa_fp16_overflow 0
		.amdhsa_workgroup_processor_mode 1
		.amdhsa_memory_ordered 1
		.amdhsa_forward_progress 0
		.amdhsa_shared_vgpr_count 0
		.amdhsa_exception_fp_ieee_invalid_op 0
		.amdhsa_exception_fp_denorm_src 0
		.amdhsa_exception_fp_ieee_div_zero 0
		.amdhsa_exception_fp_ieee_overflow 0
		.amdhsa_exception_fp_ieee_underflow 0
		.amdhsa_exception_fp_ieee_inexact 0
		.amdhsa_exception_int_div_zero 0
	.end_amdhsa_kernel
	.section	.text._Z25selective_scan_fwd_kernelI32Selective_Scan_fwd_kernel_traitsILi64ELi16ELi1ELb1ELb1ELb1ELb1ELb0EfffEEv13SSMParamsBase,"axG",@progbits,_Z25selective_scan_fwd_kernelI32Selective_Scan_fwd_kernel_traitsILi64ELi16ELi1ELb1ELb1ELb1ELb1ELb0EfffEEv13SSMParamsBase,comdat
.Lfunc_end145:
	.size	_Z25selective_scan_fwd_kernelI32Selective_Scan_fwd_kernel_traitsILi64ELi16ELi1ELb1ELb1ELb1ELb1ELb0EfffEEv13SSMParamsBase, .Lfunc_end145-_Z25selective_scan_fwd_kernelI32Selective_Scan_fwd_kernel_traitsILi64ELi16ELi1ELb1ELb1ELb1ELb1ELb0EfffEEv13SSMParamsBase
                                        ; -- End function
	.section	.AMDGPU.csdata,"",@progbits
; Kernel info:
; codeLenInByte = 21176
; NumSgprs: 82
; NumVgprs: 193
; ScratchSize: 0
; MemoryBound: 1
; FloatMode: 240
; IeeeMode: 1
; LDSByteSize: 0 bytes/workgroup (compile time only)
; SGPRBlocks: 10
; VGPRBlocks: 24
; NumSGPRsForWavesPerEU: 82
; NumVGPRsForWavesPerEU: 193
; Occupancy: 7
; WaveLimiterHint : 1
; COMPUTE_PGM_RSRC2:SCRATCH_EN: 0
; COMPUTE_PGM_RSRC2:USER_SGPR: 14
; COMPUTE_PGM_RSRC2:TRAP_HANDLER: 0
; COMPUTE_PGM_RSRC2:TGID_X_EN: 1
; COMPUTE_PGM_RSRC2:TGID_Y_EN: 1
; COMPUTE_PGM_RSRC2:TGID_Z_EN: 0
; COMPUTE_PGM_RSRC2:TIDIG_COMP_CNT: 0
	.section	.text._Z25selective_scan_fwd_kernelI32Selective_Scan_fwd_kernel_traitsILi64ELi16ELi1ELb1ELb1ELb1ELb0ELb1EfffEEv13SSMParamsBase,"axG",@progbits,_Z25selective_scan_fwd_kernelI32Selective_Scan_fwd_kernel_traitsILi64ELi16ELi1ELb1ELb1ELb1ELb0ELb1EfffEEv13SSMParamsBase,comdat
	.protected	_Z25selective_scan_fwd_kernelI32Selective_Scan_fwd_kernel_traitsILi64ELi16ELi1ELb1ELb1ELb1ELb0ELb1EfffEEv13SSMParamsBase ; -- Begin function _Z25selective_scan_fwd_kernelI32Selective_Scan_fwd_kernel_traitsILi64ELi16ELi1ELb1ELb1ELb1ELb0ELb1EfffEEv13SSMParamsBase
	.globl	_Z25selective_scan_fwd_kernelI32Selective_Scan_fwd_kernel_traitsILi64ELi16ELi1ELb1ELb1ELb1ELb0ELb1EfffEEv13SSMParamsBase
	.p2align	8
	.type	_Z25selective_scan_fwd_kernelI32Selective_Scan_fwd_kernel_traitsILi64ELi16ELi1ELb1ELb1ELb1ELb0ELb1EfffEEv13SSMParamsBase,@function
_Z25selective_scan_fwd_kernelI32Selective_Scan_fwd_kernel_traitsILi64ELi16ELi1ELb1ELb1ELb1ELb0ELb1EfffEEv13SSMParamsBase: ; @_Z25selective_scan_fwd_kernelI32Selective_Scan_fwd_kernel_traitsILi64ELi16ELi1ELb1ELb1ELb1ELb0ELb1EfffEEv13SSMParamsBase
; %bb.0:
	s_clause 0x2
	s_load_b32 s34, s[0:1], 0x18
	s_load_b128 s[4:7], s[0:1], 0xe0
	s_load_b64 s[10:11], s[0:1], 0xf0
	s_mov_b32 s12, s15
	s_ashr_i32 s15, s14, 31
	s_mov_b32 s66, 0
	s_lshl_b64 s[8:9], s[14:15], 2
	s_waitcnt lgkmcnt(0)
	s_abs_i32 s33, s34
	s_add_u32 s2, s4, s8
	v_cvt_f32_u32_e32 v1, s33
	s_addc_u32 s3, s5, s9
	s_cmp_eq_u64 s[10:11], 0
	s_delay_alu instid0(VALU_DEP_1) | instskip(SKIP_2) | instid1(VALU_DEP_1)
	v_rcp_iflag_f32_e32 v1, v1
	s_waitcnt_depctr 0xfff
	v_mul_f32_e32 v1, 0x4f7ffffe, v1
	v_cvt_u32_f32_e32 v1, v1
	s_delay_alu instid0(VALU_DEP_1)
	v_readfirstlane_b32 s35, v1
	s_cbranch_scc1 .LBB146_2
; %bb.1:
	v_mov_b32_e32 v1, 0
	s_add_u32 s4, s10, s14
	s_addc_u32 s5, s11, s15
	global_load_u8 v1, v1, s[4:5]
	s_waitcnt vmcnt(0)
	v_and_b32_e32 v1, 1, v1
	s_delay_alu instid0(VALU_DEP_1)
	v_cmp_eq_u32_e64 s66, 1, v1
.LBB146_2:
	s_load_b64 s[4:5], s[0:1], 0x20
	s_cmp_eq_u64 s[6:7], 0
	s_cbranch_scc1 .LBB146_4
; %bb.3:
	s_add_u32 s6, s6, s8
	s_addc_u32 s7, s7, s9
	s_load_b32 s14, s[6:7], 0x0
	s_waitcnt lgkmcnt(0)
	s_ashr_i32 s15, s14, 31
.LBB146_4:
	s_waitcnt lgkmcnt(0)
	s_cmp_eq_u64 s[4:5], s[14:15]
	s_cbranch_scc1 .LBB146_236
; %bb.5:
	s_load_b512 s[16:31], s[0:1], 0x88
	s_load_b64 s[10:11], s[2:3], 0x0
	s_mov_b32 s67, 0
	s_mov_b32 s68, 0
	s_waitcnt lgkmcnt(0)
	s_cmp_eq_u64 s[22:23], 0
	s_cbranch_scc1 .LBB146_7
; %bb.6:
	s_ashr_i32 s13, s12, 31
	s_delay_alu instid0(SALU_CYCLE_1) | instskip(NEXT) | instid1(SALU_CYCLE_1)
	s_lshl_b64 s[2:3], s[12:13], 2
	s_add_u32 s2, s22, s2
	s_addc_u32 s3, s23, s3
	s_load_b32 s68, s[2:3], 0x0
.LBB146_7:
	s_cmp_eq_u64 s[28:29], 0
	s_cbranch_scc1 .LBB146_9
; %bb.8:
	s_ashr_i32 s13, s12, 31
	s_delay_alu instid0(SALU_CYCLE_1) | instskip(NEXT) | instid1(SALU_CYCLE_1)
	s_lshl_b64 s[2:3], s[12:13], 2
	s_add_u32 s2, s28, s2
	s_addc_u32 s3, s29, s3
	s_load_b32 s67, s[2:3], 0x0
.LBB146_9:
	s_sub_i32 s69, s11, s10
	s_delay_alu instid0(SALU_CYCLE_1)
	s_cmp_lt_i32 s69, 1
	s_cbranch_scc1 .LBB146_236
; %bb.10:
	s_sub_i32 s2, 0, s33
	s_abs_i32 s5, s12
	s_mul_i32 s4, s2, s35
	s_clause 0x1
	s_load_b64 s[2:3], s[0:1], 0x5c
	s_load_b128 s[56:59], s[0:1], 0x4c
	s_mul_hi_u32 s4, s35, s4
	s_ashr_i32 s7, s34, 31
	s_add_i32 s35, s35, s4
	s_ashr_i32 s4, s12, 31
	s_mul_hi_u32 s6, s5, s35
	s_xor_b32 s7, s4, s7
	s_mul_i32 s8, s6, s33
	s_load_b256 s[48:55], s[0:1], 0x2c
	s_sub_i32 s4, s5, s8
	s_add_i32 s5, s6, 1
	s_sub_i32 s8, s4, s33
	s_cmp_ge_u32 s4, s33
	s_mov_b32 s65, 0
	s_cselect_b32 s5, s5, s6
	s_cselect_b32 s4, s8, s4
	s_add_i32 s6, s5, 1
	s_cmp_ge_u32 s4, s33
	s_load_b128 s[60:63], s[0:1], 0x7c
	s_cselect_b32 s4, s6, s5
	s_waitcnt lgkmcnt(0)
	s_mul_i32 s64, s10, s58
	s_xor_b32 s6, s4, s7
	s_lshl_b64 s[4:5], s[64:65], 2
	s_sub_i32 s6, s6, s7
	s_mul_i32 s64, s59, s12
	s_add_u32 s7, s24, s4
	s_addc_u32 s8, s25, s5
	s_lshl_b64 s[4:5], s[64:65], 2
	s_mul_i32 s64, s10, s2
	s_add_u32 s70, s7, s4
	s_addc_u32 s71, s8, s5
	s_lshl_b64 s[4:5], s[64:65], 2
	;; [unrolled: 4-line block ×3, first 2 shown]
	s_mul_i32 s64, s48, s12
	s_add_u32 s72, s4, s2
	s_addc_u32 s48, s5, s3
	s_load_b64 s[4:5], s[0:1], 0xc8
	s_lshl_b64 s[2:3], s[64:65], 2
	v_dual_mov_b32 v37, 0 :: v_dual_lshlrev_b32 v34, 4, v0
	s_mul_i32 s64, s10, s50
	s_add_u32 s73, s16, s2
	s_addc_u32 s63, s17, s3
	s_lshl_b64 s[2:3], s[64:65], 2
	s_mul_i32 s64, s6, s53
	s_clause 0x2
	s_load_b64 s[16:17], s[0:1], 0x6c
	s_load_b32 s78, s[0:1], 0xc
	s_load_b32 s0, s[0:1], 0x28
	s_add_u32 s7, s18, s2
	v_mbcnt_lo_u32_b32 v35, -1, 0
	v_and_b32_e32 v1, 0x200, v34
	s_addc_u32 s8, s19, s3
	s_lshl_b64 s[2:3], s[64:65], 2
	s_mul_i32 s64, s10, s54
	s_add_u32 s53, s7, s2
	s_addc_u32 s74, s8, s3
	s_lshl_b64 s[2:3], s[64:65], 2
	s_mul_i32 s64, s6, s57
	v_or_b32_e32 v36, v35, v1
	s_add_u32 s7, s20, s2
	s_addc_u32 s6, s21, s3
	s_lshl_b64 s[2:3], s[64:65], 2
	s_mul_i32 s64, s14, s60
	s_add_u32 s57, s7, s2
	s_addc_u32 s75, s6, s3
	s_lshl_b64 s[2:3], s[64:65], 2
	v_or_b32_e32 v38, 32, v36
	v_lshrrev_b32_e32 v2, 5, v1
	v_and_b32_e32 v14, 32, v0
	s_mul_i32 s64, s61, s12
	s_waitcnt lgkmcnt(0)
	s_add_u32 s4, s4, s2
	s_addc_u32 s5, s5, s3
	s_lshl_b64 s[2:3], s[64:65], 2
	v_or_b32_e32 v39, 64, v36
	s_add_u32 s76, s4, s2
	v_or_b32_e32 v40, 0x60, v36
	v_or_b32_e32 v41, 0x80, v36
	;; [unrolled: 1-line block ×11, first 2 shown]
	v_add_nc_u32_e32 v2, v2, v36
	v_lshrrev_b32_e32 v3, 5, v38
	v_or_b32_e32 v51, 0x1c0, v36
	v_or_b32_e32 v52, 0x1e0, v36
	;; [unrolled: 1-line block ×3, first 2 shown]
	s_addc_u32 s77, s5, s3
	s_add_i32 s2, s69, 0x7ff
	v_lshrrev_b32_e32 v4, 5, v39
	s_lshr_b32 s79, s2, 11
	s_bitcmp1_b32 s0, 0
	v_lshl_add_u32 v53, v2, 2, 0
	v_add_lshl_u32 v2, v3, v36, 2
	v_lshrrev_b32_e32 v3, 5, v40
	v_lshrrev_b32_e32 v5, 5, v41
	;; [unrolled: 1-line block ×13, first 2 shown]
	v_lshlrev_b32_e32 v19, 4, v17
	v_bfe_u32 v17, v17, 1, 27
	s_cselect_b32 s80, -1, 0
	s_cmp_gt_i32 s78, 0
	v_add_lshl_u32 v4, v4, v36, 2
	s_cselect_b32 s81, -1, 0
	s_add_i32 s0, 0, 0x1080
	v_add_nc_u32_e32 v54, 0, v2
	v_add_lshl_u32 v3, v3, v36, 2
	v_add_lshl_u32 v5, v5, v36, 2
	;; [unrolled: 1-line block ×14, first 2 shown]
	v_add_nc_u32_e32 v70, s0, v2
	v_and_b32_e32 v2, 15, v35
	s_and_b32 s1, s69, 0x3ff
	v_add_nc_u32_e32 v71, s0, v4
	v_add_nc_u32_e32 v72, s0, v3
	;; [unrolled: 1-line block ×14, first 2 shown]
	s_cmp_eq_u32 s1, 0
	v_add_nc_u32_e32 v85, s0, v17
	v_cmp_ne_u32_e64 s0, 0, v2
	v_cmp_lt_u32_e64 s1, 1, v2
	v_cmp_lt_u32_e64 s2, 3, v2
	;; [unrolled: 1-line block ×3, first 2 shown]
	v_add_nc_u32_e32 v2, -1, v35
	v_add_nc_u32_e32 v56, 0, v3
	v_lshrrev_b32_e32 v3, 2, v0
	v_add_nc_u32_e32 v57, 0, v5
	v_or_b32_e32 v5, 31, v14
	v_cmp_gt_i32_e32 vcc_lo, 0, v2
	s_mul_i32 s64, s10, s16
	v_and_b32_e32 v3, 8, v3
	s_cselect_b32 s82, -1, 0
	s_lshl_b64 s[14:15], s[64:65], 2
	v_cndmask_b32_e32 v2, v2, v35, vcc_lo
	s_add_i32 s83, s79, -1
	s_mul_i32 s64, s17, s12
	v_cmp_eq_u32_e64 s5, v5, v0
	v_cmp_gt_u32_e64 s6, 2, v0
	v_lshl_add_u32 v87, v0, 3, 0
	v_cmp_gt_u32_e64 s8, 32, v0
	v_cmp_lt_u32_e64 s9, 31, v0
	v_cmp_eq_u32_e64 s10, 0, v0
	s_add_u32 s11, s30, s14
	v_lshlrev_b32_e32 v0, 2, v35
	s_addc_u32 s14, s31, s15
	s_lshl_b64 s[12:13], s[64:65], 2
	v_add_nc_u32_e32 v86, 0, v3
	v_and_b32_e32 v3, 1, v35
	s_add_u32 s11, s11, s12
	v_lshlrev_b32_e32 v88, 2, v2
	s_addc_u32 s12, s14, s13
	v_lshlrev_b32_e32 v2, 2, v1
	v_add_co_u32 v0, s11, s11, v0
	v_add_nc_u32_e32 v55, 0, v4
	v_and_b32_e32 v4, 16, v35
	v_cmp_eq_u32_e64 s7, 0, v3
	v_add_co_ci_u32_e64 v3, null, s12, 0, s11
	v_add_co_u32 v89, vcc_lo, v0, v2
	v_add_nc_u32_e32 v58, 0, v6
	v_add_nc_u32_e32 v59, 0, v7
	;; [unrolled: 1-line block ×12, first 2 shown]
	v_cmp_ne_u32_e64 s4, 0, v4
	v_cmp_eq_u32_e64 s11, 0, v35
	v_add_co_ci_u32_e32 v90, vcc_lo, 0, v3, vcc_lo
	v_or_b32_e32 v91, 1, v34
	v_or_b32_e32 v92, 2, v34
	;; [unrolled: 1-line block ×15, first 2 shown]
	v_lshlrev_b32_e32 v106, 2, v1
	s_mov_b32 s84, 0x3e9b6dac
	s_add_i32 s85, 0, 0x2110
	s_mov_b32 s86, 0
	s_branch .LBB146_12
.LBB146_11:                             ;   in Loop: Header=BB146_12 Depth=1
	s_or_b32 exec_lo, exec_lo, s12
	s_add_u32 s72, s72, 0x1000
	s_addc_u32 s48, s48, 0
	s_add_u32 s70, s70, 0x1000
	s_addc_u32 s71, s71, 0
	;; [unrolled: 2-line block ×4, first 2 shown]
	s_add_i32 s86, s86, 1
	s_delay_alu instid0(SALU_CYCLE_1)
	s_cmp_eq_u32 s86, s79
	s_cbranch_scc1 .LBB146_236
.LBB146_12:                             ; =>This Loop Header: Depth=1
                                        ;     Child Loop BB146_109 Depth 2
	v_lshlrev_b32_e32 v32, 2, v35
	s_lshl_b32 s50, s86, 10
	s_waitcnt lgkmcnt(0)
	v_mov_b32_e32 v2, 0
	s_sub_i32 s40, s69, s50
	v_add_co_u32 v0, s12, s70, v32
	s_delay_alu instid0(VALU_DEP_1) | instskip(SKIP_1) | instid1(VALU_DEP_3)
	v_add_co_ci_u32_e64 v1, null, s71, 0, s12
	v_cmp_gt_u32_e64 s12, s40, v36
	v_add_co_u32 v0, vcc_lo, v0, v106
	s_delay_alu instid0(VALU_DEP_3)
	v_add_co_ci_u32_e32 v1, vcc_lo, 0, v1, vcc_lo
	s_waitcnt_vscnt null, 0x0
	s_barrier
	buffer_gl0_inv
	s_and_saveexec_b32 s13, s12
	s_cbranch_execz .LBB146_14
; %bb.13:                               ;   in Loop: Header=BB146_12 Depth=1
	global_load_b32 v2, v[0:1], off
.LBB146_14:                             ;   in Loop: Header=BB146_12 Depth=1
	s_or_b32 exec_lo, exec_lo, s13
	v_cmp_gt_u32_e64 s13, s40, v38
	v_dual_mov_b32 v3, 0 :: v_dual_mov_b32 v4, 0
	s_delay_alu instid0(VALU_DEP_2)
	s_and_saveexec_b32 s14, s13
	s_cbranch_execz .LBB146_16
; %bb.15:                               ;   in Loop: Header=BB146_12 Depth=1
	global_load_b32 v4, v[0:1], off offset:128
.LBB146_16:                             ;   in Loop: Header=BB146_12 Depth=1
	s_or_b32 exec_lo, exec_lo, s14
	v_cmp_gt_u32_e64 s14, s40, v39
	s_delay_alu instid0(VALU_DEP_1)
	s_and_saveexec_b32 s15, s14
	s_cbranch_execz .LBB146_18
; %bb.17:                               ;   in Loop: Header=BB146_12 Depth=1
	global_load_b32 v3, v[0:1], off offset:256
.LBB146_18:                             ;   in Loop: Header=BB146_12 Depth=1
	s_or_b32 exec_lo, exec_lo, s15
	v_cmp_gt_u32_e64 s15, s40, v40
	v_dual_mov_b32 v5, 0 :: v_dual_mov_b32 v6, 0
	s_delay_alu instid0(VALU_DEP_2)
	s_and_saveexec_b32 s16, s15
	s_cbranch_execz .LBB146_20
; %bb.19:                               ;   in Loop: Header=BB146_12 Depth=1
	global_load_b32 v6, v[0:1], off offset:384
.LBB146_20:                             ;   in Loop: Header=BB146_12 Depth=1
	s_or_b32 exec_lo, exec_lo, s16
	v_cmp_gt_u32_e64 s16, s40, v41
	s_delay_alu instid0(VALU_DEP_1)
	s_and_saveexec_b32 s17, s16
	s_cbranch_execz .LBB146_22
; %bb.21:                               ;   in Loop: Header=BB146_12 Depth=1
	global_load_b32 v5, v[0:1], off offset:512
.LBB146_22:                             ;   in Loop: Header=BB146_12 Depth=1
	;; [unrolled: 17-line block ×7, first 2 shown]
	s_or_b32 exec_lo, exec_lo, s27
	v_cmp_gt_u32_e64 s27, s40, v52
	v_dual_mov_b32 v18, 0 :: v_dual_mov_b32 v17, 0
	s_delay_alu instid0(VALU_DEP_2)
	s_and_saveexec_b32 s28, s27
	s_cbranch_execz .LBB146_44
; %bb.43:                               ;   in Loop: Header=BB146_12 Depth=1
	global_load_b32 v17, v[0:1], off offset:1920
.LBB146_44:                             ;   in Loop: Header=BB146_12 Depth=1
	s_or_b32 exec_lo, exec_lo, s28
	s_waitcnt vmcnt(0)
	ds_store_b32 v53, v2
	ds_store_b32 v54, v4 offset:128
	ds_store_b32 v55, v3 offset:256
	;; [unrolled: 1-line block ×15, first 2 shown]
	; wave barrier
	ds_load_2addr_b32 v[0:1], v69 offset1:1
	ds_load_2addr_b32 v[2:3], v69 offset0:2 offset1:3
	ds_load_2addr_b32 v[4:5], v69 offset0:4 offset1:5
	;; [unrolled: 1-line block ×7, first 2 shown]
	v_add_co_u32 v16, s28, s72, v32
	s_delay_alu instid0(VALU_DEP_1) | instskip(SKIP_1) | instid1(VALU_DEP_2)
	v_add_co_ci_u32_e64 v17, null, s48, 0, s28
	s_waitcnt lgkmcnt(0)
	v_add_co_u32 v16, vcc_lo, v16, v106
	s_delay_alu instid0(VALU_DEP_2)
	v_add_co_ci_u32_e32 v17, vcc_lo, 0, v17, vcc_lo
	s_barrier
	buffer_gl0_inv
	s_and_saveexec_b32 s28, s12
	s_cbranch_execz .LBB146_46
; %bb.45:                               ;   in Loop: Header=BB146_12 Depth=1
	global_load_b32 v18, v[16:17], off
.LBB146_46:                             ;   in Loop: Header=BB146_12 Depth=1
	s_or_b32 exec_lo, exec_lo, s28
	v_dual_mov_b32 v19, 0 :: v_dual_mov_b32 v20, 0
	s_and_saveexec_b32 s28, s13
	s_cbranch_execz .LBB146_48
; %bb.47:                               ;   in Loop: Header=BB146_12 Depth=1
	global_load_b32 v20, v[16:17], off offset:128
.LBB146_48:                             ;   in Loop: Header=BB146_12 Depth=1
	s_or_b32 exec_lo, exec_lo, s28
	s_and_saveexec_b32 s28, s14
	s_cbranch_execz .LBB146_50
; %bb.49:                               ;   in Loop: Header=BB146_12 Depth=1
	global_load_b32 v19, v[16:17], off offset:256
.LBB146_50:                             ;   in Loop: Header=BB146_12 Depth=1
	s_or_b32 exec_lo, exec_lo, s28
	v_dual_mov_b32 v21, 0 :: v_dual_mov_b32 v22, 0
	s_and_saveexec_b32 s28, s15
	s_cbranch_execz .LBB146_52
; %bb.51:                               ;   in Loop: Header=BB146_12 Depth=1
	global_load_b32 v22, v[16:17], off offset:384
.LBB146_52:                             ;   in Loop: Header=BB146_12 Depth=1
	s_or_b32 exec_lo, exec_lo, s28
	s_and_saveexec_b32 s28, s16
	s_cbranch_execz .LBB146_54
; %bb.53:                               ;   in Loop: Header=BB146_12 Depth=1
	global_load_b32 v21, v[16:17], off offset:512
.LBB146_54:                             ;   in Loop: Header=BB146_12 Depth=1
	;; [unrolled: 13-line block ×6, first 2 shown]
	s_or_b32 exec_lo, exec_lo, s28
	v_mov_b32_e32 v31, 0
	v_mov_b32_e32 v33, 0
	s_and_saveexec_b32 s28, s25
	s_cbranch_execnz .LBB146_218
; %bb.71:                               ;   in Loop: Header=BB146_12 Depth=1
	s_or_b32 exec_lo, exec_lo, s28
	s_and_saveexec_b32 s28, s26
	s_cbranch_execnz .LBB146_219
.LBB146_72:                             ;   in Loop: Header=BB146_12 Depth=1
	s_or_b32 exec_lo, exec_lo, s28
	v_mov_b32_e32 v107, 0
	s_and_saveexec_b32 s28, s27
	s_cbranch_execz .LBB146_74
.LBB146_73:                             ;   in Loop: Header=BB146_12 Depth=1
	global_load_b32 v107, v[16:17], off offset:1920
.LBB146_74:                             ;   in Loop: Header=BB146_12 Depth=1
	s_or_b32 exec_lo, exec_lo, s28
	s_waitcnt vmcnt(0)
	ds_store_b32 v53, v18
	ds_store_b32 v54, v20 offset:128
	ds_store_b32 v55, v19 offset:256
	;; [unrolled: 1-line block ×15, first 2 shown]
	; wave barrier
	ds_load_2addr_b32 v[30:31], v69 offset1:1
	ds_load_2addr_b32 v[28:29], v69 offset0:2 offset1:3
	ds_load_2addr_b32 v[26:27], v69 offset0:4 offset1:5
	;; [unrolled: 1-line block ×7, first 2 shown]
	s_waitcnt lgkmcnt(7)
	v_add_f32_e32 v107, s67, v30
	s_delay_alu instid0(VALU_DEP_1) | instskip(SKIP_1) | instid1(SALU_CYCLE_1)
	v_cmp_ge_f32_e32 vcc_lo, 0x41a00000, v107
	s_and_b32 s28, s80, vcc_lo
	s_and_saveexec_b32 s29, s28
	s_cbranch_execz .LBB146_76
; %bb.75:                               ;   in Loop: Header=BB146_12 Depth=1
	v_mul_f32_e32 v30, 0x3fb8aa3b, v107
	v_cmp_ngt_f32_e32 vcc_lo, 0xc2ce8ed0, v107
	s_delay_alu instid0(VALU_DEP_2) | instskip(SKIP_1) | instid1(VALU_DEP_2)
	v_rndne_f32_e32 v33, v30
	v_fma_f32 v108, 0x3fb8aa3b, v107, -v30
	v_sub_f32_e32 v30, v30, v33
	s_delay_alu instid0(VALU_DEP_2) | instskip(SKIP_1) | instid1(VALU_DEP_2)
	v_fmac_f32_e32 v108, 0x32a5705f, v107
	v_cvt_i32_f32_e32 v33, v33
	v_add_f32_e32 v30, v30, v108
	s_delay_alu instid0(VALU_DEP_1) | instskip(SKIP_2) | instid1(VALU_DEP_1)
	v_exp_f32_e32 v30, v30
	s_waitcnt_depctr 0xfff
	v_ldexp_f32 v30, v30, v33
	v_cndmask_b32_e32 v30, 0, v30, vcc_lo
	v_cmp_nlt_f32_e32 vcc_lo, 0x42b17218, v107
	s_delay_alu instid0(VALU_DEP_2) | instskip(NEXT) | instid1(VALU_DEP_1)
	v_cndmask_b32_e32 v30, 0x7f800000, v30, vcc_lo
	v_add_f32_e32 v33, 1.0, v30
	s_delay_alu instid0(VALU_DEP_1) | instskip(NEXT) | instid1(VALU_DEP_1)
	v_cvt_f64_f32_e32 v[107:108], v33
	v_frexp_exp_i32_f64_e32 v107, v[107:108]
	v_frexp_mant_f32_e32 v108, v33
	s_delay_alu instid0(VALU_DEP_1) | instskip(SKIP_1) | instid1(VALU_DEP_1)
	v_cmp_gt_f32_e32 vcc_lo, 0x3f2aaaab, v108
	v_add_f32_e32 v108, -1.0, v33
	v_sub_f32_e32 v110, v108, v33
	v_sub_f32_e32 v108, v30, v108
	s_delay_alu instid0(VALU_DEP_2) | instskip(NEXT) | instid1(VALU_DEP_1)
	v_add_f32_e32 v110, 1.0, v110
	v_add_f32_e32 v108, v108, v110
	v_subrev_co_ci_u32_e32 v107, vcc_lo, 0, v107, vcc_lo
	s_delay_alu instid0(VALU_DEP_1) | instskip(SKIP_1) | instid1(VALU_DEP_2)
	v_sub_nc_u32_e32 v109, 0, v107
	v_cvt_f32_i32_e32 v107, v107
	v_ldexp_f32 v33, v33, v109
	v_ldexp_f32 v108, v108, v109
	s_delay_alu instid0(VALU_DEP_2) | instskip(NEXT) | instid1(VALU_DEP_1)
	v_add_f32_e32 v111, 1.0, v33
	v_dual_add_f32 v109, -1.0, v33 :: v_dual_add_f32 v110, -1.0, v111
	s_delay_alu instid0(VALU_DEP_1) | instskip(NEXT) | instid1(VALU_DEP_2)
	v_add_f32_e32 v112, 1.0, v109
	v_sub_f32_e32 v110, v33, v110
	s_delay_alu instid0(VALU_DEP_1) | instskip(NEXT) | instid1(VALU_DEP_1)
	v_dual_sub_f32 v33, v33, v112 :: v_dual_add_f32 v110, v108, v110
	v_dual_add_f32 v33, v108, v33 :: v_dual_add_f32 v112, v111, v110
	s_delay_alu instid0(VALU_DEP_1) | instskip(SKIP_2) | instid1(VALU_DEP_4)
	v_add_f32_e32 v113, v109, v33
	v_cmp_eq_f32_e32 vcc_lo, 0x7f800000, v30
	v_cmp_gt_f32_e64 s28, 0x33800000, v30
	v_rcp_f32_e32 v108, v112
	v_sub_f32_e32 v111, v111, v112
	v_sub_f32_e32 v109, v109, v113
	s_delay_alu instid0(VALU_DEP_3) | instskip(NEXT) | instid1(VALU_DEP_1)
	s_or_b32 vcc_lo, s28, vcc_lo
	v_dual_add_f32 v33, v33, v109 :: v_dual_add_f32 v110, v110, v111
	s_waitcnt_depctr 0xfff
	v_mul_f32_e32 v114, v113, v108
	s_delay_alu instid0(VALU_DEP_1) | instskip(NEXT) | instid1(VALU_DEP_1)
	v_mul_f32_e32 v115, v112, v114
	v_fma_f32 v111, v114, v112, -v115
	s_delay_alu instid0(VALU_DEP_1) | instskip(NEXT) | instid1(VALU_DEP_1)
	v_fmac_f32_e32 v111, v114, v110
	v_add_f32_e32 v116, v115, v111
	s_delay_alu instid0(VALU_DEP_1) | instskip(SKIP_1) | instid1(VALU_DEP_2)
	v_sub_f32_e32 v117, v113, v116
	v_sub_f32_e32 v109, v116, v115
	;; [unrolled: 1-line block ×3, first 2 shown]
	s_delay_alu instid0(VALU_DEP_2) | instskip(NEXT) | instid1(VALU_DEP_2)
	v_sub_f32_e32 v109, v109, v111
	v_sub_f32_e32 v113, v113, v116
	s_delay_alu instid0(VALU_DEP_1) | instskip(NEXT) | instid1(VALU_DEP_1)
	v_add_f32_e32 v33, v33, v113
	v_add_f32_e32 v33, v109, v33
	s_delay_alu instid0(VALU_DEP_1) | instskip(NEXT) | instid1(VALU_DEP_1)
	v_add_f32_e32 v109, v117, v33
	v_mul_f32_e32 v111, v108, v109
	s_delay_alu instid0(VALU_DEP_1) | instskip(NEXT) | instid1(VALU_DEP_1)
	v_mul_f32_e32 v113, v112, v111
	v_fma_f32 v112, v111, v112, -v113
	s_delay_alu instid0(VALU_DEP_1) | instskip(SKIP_1) | instid1(VALU_DEP_2)
	v_fmac_f32_e32 v112, v111, v110
	v_sub_f32_e32 v116, v117, v109
	v_add_f32_e32 v110, v113, v112
	s_delay_alu instid0(VALU_DEP_2) | instskip(NEXT) | instid1(VALU_DEP_2)
	v_add_f32_e32 v33, v33, v116
	v_sub_f32_e32 v115, v109, v110
	s_delay_alu instid0(VALU_DEP_1) | instskip(NEXT) | instid1(VALU_DEP_1)
	v_sub_f32_e32 v109, v109, v115
	v_sub_f32_e32 v109, v109, v110
	s_delay_alu instid0(VALU_DEP_1) | instskip(SKIP_2) | instid1(VALU_DEP_1)
	v_add_f32_e32 v33, v33, v109
	v_add_f32_e32 v109, v114, v111
	v_sub_f32_e32 v113, v110, v113
	v_sub_f32_e32 v110, v113, v112
	s_delay_alu instid0(VALU_DEP_1) | instskip(NEXT) | instid1(VALU_DEP_1)
	v_dual_add_f32 v33, v110, v33 :: v_dual_sub_f32 v110, v109, v114
	v_add_f32_e32 v33, v115, v33
	s_delay_alu instid0(VALU_DEP_1) | instskip(NEXT) | instid1(VALU_DEP_1)
	v_dual_sub_f32 v110, v111, v110 :: v_dual_mul_f32 v33, v108, v33
	v_add_f32_e32 v33, v110, v33
	s_delay_alu instid0(VALU_DEP_1) | instskip(NEXT) | instid1(VALU_DEP_1)
	v_add_f32_e32 v108, v109, v33
	v_mul_f32_e32 v110, v108, v108
	s_delay_alu instid0(VALU_DEP_1) | instskip(SKIP_1) | instid1(VALU_DEP_2)
	v_fmaak_f32 v111, s84, v110, 0x3ecc95a3
	v_mul_f32_e32 v112, v108, v110
	v_fmaak_f32 v110, v110, v111, 0x3f2aaada
	v_ldexp_f32 v111, v108, 1
	s_delay_alu instid0(VALU_DEP_2) | instskip(SKIP_1) | instid1(VALU_DEP_2)
	v_mul_f32_e32 v110, v112, v110
	v_sub_f32_e32 v108, v108, v109
	v_dual_mul_f32 v112, 0x3f317218, v107 :: v_dual_add_f32 v109, v111, v110
	s_delay_alu instid0(VALU_DEP_2) | instskip(NEXT) | instid1(VALU_DEP_2)
	v_sub_f32_e32 v33, v33, v108
	v_sub_f32_e32 v108, v109, v111
	s_delay_alu instid0(VALU_DEP_3) | instskip(NEXT) | instid1(VALU_DEP_3)
	v_fma_f32 v111, 0x3f317218, v107, -v112
	v_ldexp_f32 v33, v33, 1
	s_delay_alu instid0(VALU_DEP_2) | instskip(NEXT) | instid1(VALU_DEP_1)
	v_dual_sub_f32 v108, v110, v108 :: v_dual_fmac_f32 v111, 0xb102e308, v107
	v_add_f32_e32 v33, v33, v108
	s_delay_alu instid0(VALU_DEP_1) | instskip(NEXT) | instid1(VALU_DEP_1)
	v_dual_add_f32 v107, v112, v111 :: v_dual_add_f32 v108, v109, v33
	v_sub_f32_e32 v112, v107, v112
	s_delay_alu instid0(VALU_DEP_2) | instskip(NEXT) | instid1(VALU_DEP_2)
	v_dual_add_f32 v110, v107, v108 :: v_dual_sub_f32 v109, v108, v109
	v_sub_f32_e32 v111, v111, v112
	s_delay_alu instid0(VALU_DEP_2) | instskip(NEXT) | instid1(VALU_DEP_1)
	v_sub_f32_e32 v113, v110, v107
	v_sub_f32_e32 v114, v110, v113
	;; [unrolled: 1-line block ×4, first 2 shown]
	s_delay_alu instid0(VALU_DEP_1) | instskip(NEXT) | instid1(VALU_DEP_4)
	v_add_f32_e32 v109, v111, v33
	v_sub_f32_e32 v107, v107, v114
	s_delay_alu instid0(VALU_DEP_1) | instskip(NEXT) | instid1(VALU_DEP_3)
	v_add_f32_e32 v107, v108, v107
	v_sub_f32_e32 v108, v109, v111
	s_delay_alu instid0(VALU_DEP_2) | instskip(NEXT) | instid1(VALU_DEP_2)
	v_add_f32_e32 v107, v109, v107
	v_sub_f32_e32 v109, v109, v108
	s_delay_alu instid0(VALU_DEP_2) | instskip(NEXT) | instid1(VALU_DEP_1)
	v_dual_sub_f32 v33, v33, v108 :: v_dual_add_f32 v112, v110, v107
	v_dual_sub_f32 v108, v112, v110 :: v_dual_sub_f32 v109, v111, v109
	s_delay_alu instid0(VALU_DEP_1) | instskip(NEXT) | instid1(VALU_DEP_2)
	v_sub_f32_e32 v107, v107, v108
	v_add_f32_e32 v33, v33, v109
	s_delay_alu instid0(VALU_DEP_1) | instskip(NEXT) | instid1(VALU_DEP_1)
	v_add_f32_e32 v33, v33, v107
	v_add_f32_e32 v33, v112, v33
	s_delay_alu instid0(VALU_DEP_1)
	v_cndmask_b32_e32 v107, v33, v30, vcc_lo
.LBB146_76:                             ;   in Loop: Header=BB146_12 Depth=1
	s_or_b32 exec_lo, exec_lo, s29
	v_add_f32_e32 v108, s67, v31
	s_delay_alu instid0(VALU_DEP_1) | instskip(SKIP_1) | instid1(SALU_CYCLE_1)
	v_cmp_ge_f32_e32 vcc_lo, 0x41a00000, v108
	s_and_b32 s28, s80, vcc_lo
	s_and_saveexec_b32 s29, s28
	s_cbranch_execz .LBB146_78
; %bb.77:                               ;   in Loop: Header=BB146_12 Depth=1
	v_mul_f32_e32 v30, 0x3fb8aa3b, v108
	v_cmp_ngt_f32_e32 vcc_lo, 0xc2ce8ed0, v108
	s_delay_alu instid0(VALU_DEP_2) | instskip(SKIP_1) | instid1(VALU_DEP_1)
	v_rndne_f32_e32 v31, v30
	v_fma_f32 v33, 0x3fb8aa3b, v108, -v30
	v_dual_sub_f32 v30, v30, v31 :: v_dual_fmac_f32 v33, 0x32a5705f, v108
	v_cvt_i32_f32_e32 v31, v31
	s_delay_alu instid0(VALU_DEP_2) | instskip(NEXT) | instid1(VALU_DEP_1)
	v_add_f32_e32 v30, v30, v33
	v_exp_f32_e32 v30, v30
	s_waitcnt_depctr 0xfff
	v_ldexp_f32 v30, v30, v31
	s_delay_alu instid0(VALU_DEP_1) | instskip(SKIP_1) | instid1(VALU_DEP_2)
	v_cndmask_b32_e32 v30, 0, v30, vcc_lo
	v_cmp_nlt_f32_e32 vcc_lo, 0x42b17218, v108
	v_cndmask_b32_e32 v33, 0x7f800000, v30, vcc_lo
	s_delay_alu instid0(VALU_DEP_1) | instskip(NEXT) | instid1(VALU_DEP_1)
	v_add_f32_e32 v108, 1.0, v33
	v_cvt_f64_f32_e32 v[30:31], v108
	s_delay_alu instid0(VALU_DEP_1) | instskip(SKIP_1) | instid1(VALU_DEP_1)
	v_frexp_exp_i32_f64_e32 v30, v[30:31]
	v_frexp_mant_f32_e32 v31, v108
	v_cmp_gt_f32_e32 vcc_lo, 0x3f2aaaab, v31
	v_add_f32_e32 v31, -1.0, v108
	s_delay_alu instid0(VALU_DEP_1) | instskip(SKIP_1) | instid1(VALU_DEP_2)
	v_dual_sub_f32 v110, v31, v108 :: v_dual_sub_f32 v31, v33, v31
	v_cmp_gt_f32_e64 s28, 0x33800000, v33
	v_add_f32_e32 v110, 1.0, v110
	s_delay_alu instid0(VALU_DEP_1) | instskip(SKIP_2) | instid1(VALU_DEP_2)
	v_add_f32_e32 v31, v31, v110
	v_subrev_co_ci_u32_e32 v30, vcc_lo, 0, v30, vcc_lo
	v_cmp_eq_f32_e32 vcc_lo, 0x7f800000, v33
	v_sub_nc_u32_e32 v109, 0, v30
	v_cvt_f32_i32_e32 v30, v30
	s_or_b32 vcc_lo, s28, vcc_lo
	s_delay_alu instid0(VALU_DEP_2) | instskip(SKIP_1) | instid1(VALU_DEP_2)
	v_ldexp_f32 v108, v108, v109
	v_ldexp_f32 v31, v31, v109
	v_add_f32_e32 v109, -1.0, v108
	s_delay_alu instid0(VALU_DEP_1) | instskip(NEXT) | instid1(VALU_DEP_1)
	v_dual_add_f32 v111, 1.0, v108 :: v_dual_add_f32 v112, 1.0, v109
	v_add_f32_e32 v110, -1.0, v111
	s_delay_alu instid0(VALU_DEP_1) | instskip(NEXT) | instid1(VALU_DEP_3)
	v_sub_f32_e32 v110, v108, v110
	v_sub_f32_e32 v108, v108, v112
	s_delay_alu instid0(VALU_DEP_2) | instskip(NEXT) | instid1(VALU_DEP_2)
	v_add_f32_e32 v110, v31, v110
	v_add_f32_e32 v31, v31, v108
	s_delay_alu instid0(VALU_DEP_1) | instskip(NEXT) | instid1(VALU_DEP_1)
	v_dual_add_f32 v113, v109, v31 :: v_dual_add_f32 v112, v111, v110
	v_sub_f32_e32 v109, v109, v113
	s_delay_alu instid0(VALU_DEP_2) | instskip(SKIP_1) | instid1(VALU_DEP_1)
	v_rcp_f32_e32 v108, v112
	v_sub_f32_e32 v111, v111, v112
	v_dual_add_f32 v31, v31, v109 :: v_dual_add_f32 v110, v110, v111
	s_waitcnt_depctr 0xfff
	v_mul_f32_e32 v114, v113, v108
	s_delay_alu instid0(VALU_DEP_1) | instskip(NEXT) | instid1(VALU_DEP_1)
	v_mul_f32_e32 v115, v112, v114
	v_fma_f32 v111, v114, v112, -v115
	s_delay_alu instid0(VALU_DEP_1) | instskip(NEXT) | instid1(VALU_DEP_1)
	v_fmac_f32_e32 v111, v114, v110
	v_add_f32_e32 v116, v115, v111
	s_delay_alu instid0(VALU_DEP_1) | instskip(SKIP_1) | instid1(VALU_DEP_2)
	v_sub_f32_e32 v117, v113, v116
	v_sub_f32_e32 v109, v116, v115
	;; [unrolled: 1-line block ×3, first 2 shown]
	s_delay_alu instid0(VALU_DEP_2) | instskip(NEXT) | instid1(VALU_DEP_2)
	v_sub_f32_e32 v109, v109, v111
	v_sub_f32_e32 v113, v113, v116
	s_delay_alu instid0(VALU_DEP_1) | instskip(NEXT) | instid1(VALU_DEP_1)
	v_add_f32_e32 v31, v31, v113
	v_add_f32_e32 v31, v109, v31
	s_delay_alu instid0(VALU_DEP_1) | instskip(NEXT) | instid1(VALU_DEP_1)
	v_add_f32_e32 v109, v117, v31
	v_mul_f32_e32 v111, v108, v109
	s_delay_alu instid0(VALU_DEP_1) | instskip(NEXT) | instid1(VALU_DEP_1)
	v_dual_sub_f32 v116, v117, v109 :: v_dual_mul_f32 v113, v112, v111
	v_add_f32_e32 v31, v31, v116
	s_delay_alu instid0(VALU_DEP_2) | instskip(NEXT) | instid1(VALU_DEP_1)
	v_fma_f32 v112, v111, v112, -v113
	v_fmac_f32_e32 v112, v111, v110
	s_delay_alu instid0(VALU_DEP_1) | instskip(NEXT) | instid1(VALU_DEP_1)
	v_add_f32_e32 v110, v113, v112
	v_sub_f32_e32 v115, v109, v110
	s_delay_alu instid0(VALU_DEP_1) | instskip(NEXT) | instid1(VALU_DEP_1)
	v_sub_f32_e32 v109, v109, v115
	v_sub_f32_e32 v109, v109, v110
	s_delay_alu instid0(VALU_DEP_1) | instskip(SKIP_2) | instid1(VALU_DEP_1)
	v_add_f32_e32 v31, v31, v109
	v_add_f32_e32 v109, v114, v111
	v_sub_f32_e32 v113, v110, v113
	v_sub_f32_e32 v110, v113, v112
	s_delay_alu instid0(VALU_DEP_1) | instskip(NEXT) | instid1(VALU_DEP_1)
	v_dual_add_f32 v31, v110, v31 :: v_dual_sub_f32 v110, v109, v114
	v_add_f32_e32 v31, v115, v31
	s_delay_alu instid0(VALU_DEP_1) | instskip(NEXT) | instid1(VALU_DEP_1)
	v_dual_sub_f32 v110, v111, v110 :: v_dual_mul_f32 v31, v108, v31
	v_add_f32_e32 v31, v110, v31
	s_delay_alu instid0(VALU_DEP_1) | instskip(NEXT) | instid1(VALU_DEP_1)
	v_add_f32_e32 v108, v109, v31
	v_mul_f32_e32 v110, v108, v108
	s_delay_alu instid0(VALU_DEP_1) | instskip(SKIP_1) | instid1(VALU_DEP_2)
	v_fmaak_f32 v111, s84, v110, 0x3ecc95a3
	v_mul_f32_e32 v112, v108, v110
	v_fmaak_f32 v110, v110, v111, 0x3f2aaada
	v_ldexp_f32 v111, v108, 1
	v_sub_f32_e32 v108, v108, v109
	s_delay_alu instid0(VALU_DEP_3) | instskip(NEXT) | instid1(VALU_DEP_2)
	v_mul_f32_e32 v110, v112, v110
	v_dual_mul_f32 v112, 0x3f317218, v30 :: v_dual_sub_f32 v31, v31, v108
	s_delay_alu instid0(VALU_DEP_2) | instskip(NEXT) | instid1(VALU_DEP_2)
	v_add_f32_e32 v109, v111, v110
	v_ldexp_f32 v31, v31, 1
	s_delay_alu instid0(VALU_DEP_2) | instskip(NEXT) | instid1(VALU_DEP_4)
	v_sub_f32_e32 v108, v109, v111
	v_fma_f32 v111, 0x3f317218, v30, -v112
	s_delay_alu instid0(VALU_DEP_1) | instskip(NEXT) | instid1(VALU_DEP_1)
	v_dual_sub_f32 v108, v110, v108 :: v_dual_fmac_f32 v111, 0xb102e308, v30
	v_add_f32_e32 v30, v31, v108
	s_delay_alu instid0(VALU_DEP_1) | instskip(NEXT) | instid1(VALU_DEP_1)
	v_add_f32_e32 v108, v109, v30
	v_sub_f32_e32 v109, v108, v109
	s_delay_alu instid0(VALU_DEP_1) | instskip(NEXT) | instid1(VALU_DEP_1)
	v_dual_sub_f32 v30, v30, v109 :: v_dual_add_f32 v31, v112, v111
	v_add_f32_e32 v110, v31, v108
	s_delay_alu instid0(VALU_DEP_1) | instskip(NEXT) | instid1(VALU_DEP_1)
	v_dual_sub_f32 v112, v31, v112 :: v_dual_sub_f32 v113, v110, v31
	v_dual_sub_f32 v111, v111, v112 :: v_dual_sub_f32 v114, v110, v113
	s_delay_alu instid0(VALU_DEP_1) | instskip(NEXT) | instid1(VALU_DEP_2)
	v_dual_sub_f32 v108, v108, v113 :: v_dual_add_f32 v109, v111, v30
	v_sub_f32_e32 v31, v31, v114
	s_delay_alu instid0(VALU_DEP_1) | instskip(NEXT) | instid1(VALU_DEP_3)
	v_add_f32_e32 v31, v108, v31
	v_sub_f32_e32 v108, v109, v111
	s_delay_alu instid0(VALU_DEP_2) | instskip(NEXT) | instid1(VALU_DEP_2)
	v_add_f32_e32 v31, v109, v31
	v_sub_f32_e32 v109, v109, v108
	v_sub_f32_e32 v30, v30, v108
	s_delay_alu instid0(VALU_DEP_2) | instskip(NEXT) | instid1(VALU_DEP_1)
	v_dual_add_f32 v112, v110, v31 :: v_dual_sub_f32 v109, v111, v109
	v_sub_f32_e32 v108, v112, v110
	s_delay_alu instid0(VALU_DEP_1) | instskip(NEXT) | instid1(VALU_DEP_1)
	v_dual_add_f32 v30, v30, v109 :: v_dual_sub_f32 v31, v31, v108
	v_add_f32_e32 v30, v30, v31
	s_delay_alu instid0(VALU_DEP_1) | instskip(NEXT) | instid1(VALU_DEP_1)
	v_add_f32_e32 v30, v112, v30
	v_cndmask_b32_e32 v108, v30, v33, vcc_lo
.LBB146_78:                             ;   in Loop: Header=BB146_12 Depth=1
	s_or_b32 exec_lo, exec_lo, s29
	s_waitcnt lgkmcnt(6)
	v_add_f32_e32 v109, s67, v28
	s_delay_alu instid0(VALU_DEP_1) | instskip(SKIP_1) | instid1(SALU_CYCLE_1)
	v_cmp_ge_f32_e32 vcc_lo, 0x41a00000, v109
	s_and_b32 s28, s80, vcc_lo
	s_and_saveexec_b32 s29, s28
	s_cbranch_execz .LBB146_80
; %bb.79:                               ;   in Loop: Header=BB146_12 Depth=1
	v_mul_f32_e32 v28, 0x3fb8aa3b, v109
	v_cmp_ngt_f32_e32 vcc_lo, 0xc2ce8ed0, v109
	s_delay_alu instid0(VALU_DEP_2) | instskip(SKIP_1) | instid1(VALU_DEP_1)
	v_rndne_f32_e32 v30, v28
	v_fma_f32 v31, 0x3fb8aa3b, v109, -v28
	v_dual_sub_f32 v28, v28, v30 :: v_dual_fmac_f32 v31, 0x32a5705f, v109
	v_cvt_i32_f32_e32 v30, v30
	s_delay_alu instid0(VALU_DEP_2) | instskip(NEXT) | instid1(VALU_DEP_1)
	v_add_f32_e32 v28, v28, v31
	v_exp_f32_e32 v28, v28
	s_waitcnt_depctr 0xfff
	v_ldexp_f32 v28, v28, v30
	s_delay_alu instid0(VALU_DEP_1) | instskip(SKIP_1) | instid1(VALU_DEP_2)
	v_cndmask_b32_e32 v28, 0, v28, vcc_lo
	v_cmp_nlt_f32_e32 vcc_lo, 0x42b17218, v109
	v_cndmask_b32_e32 v28, 0x7f800000, v28, vcc_lo
	s_delay_alu instid0(VALU_DEP_1) | instskip(NEXT) | instid1(VALU_DEP_1)
	v_add_f32_e32 v33, 1.0, v28
	v_cvt_f64_f32_e32 v[30:31], v33
	s_delay_alu instid0(VALU_DEP_1) | instskip(SKIP_1) | instid1(VALU_DEP_1)
	v_frexp_exp_i32_f64_e32 v30, v[30:31]
	v_frexp_mant_f32_e32 v31, v33
	v_cmp_gt_f32_e32 vcc_lo, 0x3f2aaaab, v31
	v_add_f32_e32 v31, -1.0, v33
	s_delay_alu instid0(VALU_DEP_1) | instskip(NEXT) | instid1(VALU_DEP_1)
	v_dual_sub_f32 v110, v31, v33 :: v_dual_sub_f32 v31, v28, v31
	v_add_f32_e32 v110, 1.0, v110
	s_delay_alu instid0(VALU_DEP_1) | instskip(SKIP_1) | instid1(VALU_DEP_1)
	v_add_f32_e32 v31, v31, v110
	v_subrev_co_ci_u32_e32 v30, vcc_lo, 0, v30, vcc_lo
	v_sub_nc_u32_e32 v109, 0, v30
	v_cvt_f32_i32_e32 v30, v30
	s_delay_alu instid0(VALU_DEP_2) | instskip(SKIP_1) | instid1(VALU_DEP_2)
	v_ldexp_f32 v33, v33, v109
	v_ldexp_f32 v31, v31, v109
	v_add_f32_e32 v111, 1.0, v33
	v_add_f32_e32 v109, -1.0, v33
	v_cmp_eq_f32_e32 vcc_lo, 0x7f800000, v28
	v_cmp_gt_f32_e64 s28, 0x33800000, v28
	s_delay_alu instid0(VALU_DEP_3) | instskip(SKIP_1) | instid1(VALU_DEP_3)
	v_add_f32_e32 v112, 1.0, v109
	v_add_f32_e32 v110, -1.0, v111
	s_or_b32 vcc_lo, s28, vcc_lo
	s_delay_alu instid0(VALU_DEP_1) | instskip(NEXT) | instid1(VALU_DEP_1)
	v_sub_f32_e32 v110, v33, v110
	v_dual_sub_f32 v33, v33, v112 :: v_dual_add_f32 v110, v31, v110
	s_delay_alu instid0(VALU_DEP_1) | instskip(NEXT) | instid1(VALU_DEP_1)
	v_add_f32_e32 v31, v31, v33
	v_dual_add_f32 v113, v109, v31 :: v_dual_add_f32 v112, v111, v110
	s_delay_alu instid0(VALU_DEP_1) | instskip(NEXT) | instid1(VALU_DEP_2)
	v_sub_f32_e32 v109, v109, v113
	v_rcp_f32_e32 v33, v112
	v_sub_f32_e32 v111, v111, v112
	s_delay_alu instid0(VALU_DEP_1) | instskip(SKIP_2) | instid1(VALU_DEP_1)
	v_dual_add_f32 v31, v31, v109 :: v_dual_add_f32 v110, v110, v111
	s_waitcnt_depctr 0xfff
	v_mul_f32_e32 v114, v113, v33
	v_mul_f32_e32 v115, v112, v114
	s_delay_alu instid0(VALU_DEP_1) | instskip(NEXT) | instid1(VALU_DEP_1)
	v_fma_f32 v111, v114, v112, -v115
	v_fmac_f32_e32 v111, v114, v110
	s_delay_alu instid0(VALU_DEP_1) | instskip(NEXT) | instid1(VALU_DEP_1)
	v_add_f32_e32 v116, v115, v111
	v_sub_f32_e32 v117, v113, v116
	s_delay_alu instid0(VALU_DEP_1) | instskip(SKIP_1) | instid1(VALU_DEP_2)
	v_sub_f32_e32 v113, v113, v117
	v_sub_f32_e32 v109, v116, v115
	v_sub_f32_e32 v113, v113, v116
	s_delay_alu instid0(VALU_DEP_2) | instskip(NEXT) | instid1(VALU_DEP_2)
	v_sub_f32_e32 v109, v109, v111
	v_add_f32_e32 v31, v31, v113
	s_delay_alu instid0(VALU_DEP_1) | instskip(NEXT) | instid1(VALU_DEP_1)
	v_add_f32_e32 v31, v109, v31
	v_add_f32_e32 v109, v117, v31
	s_delay_alu instid0(VALU_DEP_1) | instskip(NEXT) | instid1(VALU_DEP_1)
	v_mul_f32_e32 v111, v33, v109
	v_dual_sub_f32 v116, v117, v109 :: v_dual_mul_f32 v113, v112, v111
	s_delay_alu instid0(VALU_DEP_1) | instskip(NEXT) | instid1(VALU_DEP_2)
	v_add_f32_e32 v31, v31, v116
	v_fma_f32 v112, v111, v112, -v113
	s_delay_alu instid0(VALU_DEP_1) | instskip(NEXT) | instid1(VALU_DEP_1)
	v_fmac_f32_e32 v112, v111, v110
	v_add_f32_e32 v110, v113, v112
	s_delay_alu instid0(VALU_DEP_1) | instskip(SKIP_1) | instid1(VALU_DEP_2)
	v_sub_f32_e32 v115, v109, v110
	v_sub_f32_e32 v113, v110, v113
	;; [unrolled: 1-line block ×3, first 2 shown]
	s_delay_alu instid0(VALU_DEP_1) | instskip(NEXT) | instid1(VALU_DEP_1)
	v_sub_f32_e32 v109, v109, v110
	v_dual_sub_f32 v110, v113, v112 :: v_dual_add_f32 v31, v31, v109
	v_add_f32_e32 v109, v114, v111
	s_delay_alu instid0(VALU_DEP_1) | instskip(NEXT) | instid1(VALU_DEP_1)
	v_dual_add_f32 v31, v110, v31 :: v_dual_sub_f32 v110, v109, v114
	v_add_f32_e32 v31, v115, v31
	s_delay_alu instid0(VALU_DEP_1) | instskip(NEXT) | instid1(VALU_DEP_1)
	v_dual_sub_f32 v110, v111, v110 :: v_dual_mul_f32 v31, v33, v31
	v_add_f32_e32 v31, v110, v31
	s_delay_alu instid0(VALU_DEP_1) | instskip(NEXT) | instid1(VALU_DEP_1)
	v_add_f32_e32 v33, v109, v31
	v_mul_f32_e32 v110, v33, v33
	s_delay_alu instid0(VALU_DEP_1) | instskip(SKIP_1) | instid1(VALU_DEP_2)
	v_fmaak_f32 v111, s84, v110, 0x3ecc95a3
	v_mul_f32_e32 v112, v33, v110
	v_fmaak_f32 v110, v110, v111, 0x3f2aaada
	v_ldexp_f32 v111, v33, 1
	s_delay_alu instid0(VALU_DEP_2) | instskip(NEXT) | instid1(VALU_DEP_1)
	v_dual_sub_f32 v33, v33, v109 :: v_dual_mul_f32 v110, v112, v110
	v_dual_mul_f32 v112, 0x3f317218, v30 :: v_dual_sub_f32 v31, v31, v33
	s_delay_alu instid0(VALU_DEP_2) | instskip(NEXT) | instid1(VALU_DEP_2)
	v_add_f32_e32 v109, v111, v110
	v_ldexp_f32 v31, v31, 1
	s_delay_alu instid0(VALU_DEP_2) | instskip(NEXT) | instid1(VALU_DEP_4)
	v_sub_f32_e32 v33, v109, v111
	v_fma_f32 v111, 0x3f317218, v30, -v112
	s_delay_alu instid0(VALU_DEP_2) | instskip(NEXT) | instid1(VALU_DEP_1)
	v_sub_f32_e32 v33, v110, v33
	v_dual_fmac_f32 v111, 0xb102e308, v30 :: v_dual_add_f32 v30, v31, v33
	s_delay_alu instid0(VALU_DEP_1) | instskip(NEXT) | instid1(VALU_DEP_1)
	v_add_f32_e32 v31, v112, v111
	v_dual_add_f32 v33, v109, v30 :: v_dual_sub_f32 v112, v31, v112
	s_delay_alu instid0(VALU_DEP_1) | instskip(SKIP_1) | instid1(VALU_DEP_3)
	v_add_f32_e32 v110, v31, v33
	v_sub_f32_e32 v109, v33, v109
	v_sub_f32_e32 v111, v111, v112
	s_delay_alu instid0(VALU_DEP_3) | instskip(NEXT) | instid1(VALU_DEP_3)
	v_sub_f32_e32 v113, v110, v31
	v_sub_f32_e32 v30, v30, v109
	s_delay_alu instid0(VALU_DEP_2) | instskip(SKIP_1) | instid1(VALU_DEP_3)
	v_sub_f32_e32 v114, v110, v113
	v_sub_f32_e32 v33, v33, v113
	v_add_f32_e32 v109, v111, v30
	s_delay_alu instid0(VALU_DEP_3) | instskip(NEXT) | instid1(VALU_DEP_1)
	v_sub_f32_e32 v31, v31, v114
	v_add_f32_e32 v31, v33, v31
	s_delay_alu instid0(VALU_DEP_3) | instskip(NEXT) | instid1(VALU_DEP_2)
	v_sub_f32_e32 v33, v109, v111
	v_add_f32_e32 v31, v109, v31
	s_delay_alu instid0(VALU_DEP_2) | instskip(SKIP_1) | instid1(VALU_DEP_2)
	v_sub_f32_e32 v109, v109, v33
	v_sub_f32_e32 v30, v30, v33
	v_dual_add_f32 v112, v110, v31 :: v_dual_sub_f32 v109, v111, v109
	s_delay_alu instid0(VALU_DEP_1) | instskip(NEXT) | instid1(VALU_DEP_1)
	v_dual_sub_f32 v33, v112, v110 :: v_dual_add_f32 v30, v30, v109
	v_sub_f32_e32 v31, v31, v33
	s_delay_alu instid0(VALU_DEP_1) | instskip(NEXT) | instid1(VALU_DEP_1)
	v_add_f32_e32 v30, v30, v31
	v_add_f32_e32 v30, v112, v30
	s_delay_alu instid0(VALU_DEP_1)
	v_cndmask_b32_e32 v109, v30, v28, vcc_lo
.LBB146_80:                             ;   in Loop: Header=BB146_12 Depth=1
	s_or_b32 exec_lo, exec_lo, s29
	v_add_f32_e32 v110, s67, v29
	s_delay_alu instid0(VALU_DEP_1) | instskip(SKIP_1) | instid1(SALU_CYCLE_1)
	v_cmp_ge_f32_e32 vcc_lo, 0x41a00000, v110
	s_and_b32 s28, s80, vcc_lo
	s_and_saveexec_b32 s29, s28
	s_cbranch_execz .LBB146_82
; %bb.81:                               ;   in Loop: Header=BB146_12 Depth=1
	v_mul_f32_e32 v28, 0x3fb8aa3b, v110
	v_cmp_ngt_f32_e32 vcc_lo, 0xc2ce8ed0, v110
	s_delay_alu instid0(VALU_DEP_2) | instskip(SKIP_1) | instid1(VALU_DEP_2)
	v_rndne_f32_e32 v29, v28
	v_fma_f32 v30, 0x3fb8aa3b, v110, -v28
	v_sub_f32_e32 v28, v28, v29
	s_delay_alu instid0(VALU_DEP_2) | instskip(SKIP_1) | instid1(VALU_DEP_2)
	v_fmac_f32_e32 v30, 0x32a5705f, v110
	v_cvt_i32_f32_e32 v29, v29
	v_add_f32_e32 v28, v28, v30
	s_delay_alu instid0(VALU_DEP_1) | instskip(SKIP_2) | instid1(VALU_DEP_1)
	v_exp_f32_e32 v28, v28
	s_waitcnt_depctr 0xfff
	v_ldexp_f32 v28, v28, v29
	v_cndmask_b32_e32 v28, 0, v28, vcc_lo
	v_cmp_nlt_f32_e32 vcc_lo, 0x42b17218, v110
	s_delay_alu instid0(VALU_DEP_2) | instskip(NEXT) | instid1(VALU_DEP_1)
	v_cndmask_b32_e32 v30, 0x7f800000, v28, vcc_lo
	v_add_f32_e32 v31, 1.0, v30
	s_delay_alu instid0(VALU_DEP_1) | instskip(NEXT) | instid1(VALU_DEP_1)
	v_cvt_f64_f32_e32 v[28:29], v31
	v_frexp_exp_i32_f64_e32 v28, v[28:29]
	v_frexp_mant_f32_e32 v29, v31
	s_delay_alu instid0(VALU_DEP_1) | instskip(SKIP_1) | instid1(VALU_DEP_1)
	v_cmp_gt_f32_e32 vcc_lo, 0x3f2aaaab, v29
	v_add_f32_e32 v29, -1.0, v31
	v_dual_sub_f32 v110, v29, v31 :: v_dual_sub_f32 v29, v30, v29
	s_delay_alu instid0(VALU_DEP_1) | instskip(NEXT) | instid1(VALU_DEP_1)
	v_add_f32_e32 v110, 1.0, v110
	v_add_f32_e32 v29, v29, v110
	v_subrev_co_ci_u32_e32 v28, vcc_lo, 0, v28, vcc_lo
	s_delay_alu instid0(VALU_DEP_1) | instskip(SKIP_1) | instid1(VALU_DEP_2)
	v_sub_nc_u32_e32 v33, 0, v28
	v_cvt_f32_i32_e32 v28, v28
	v_ldexp_f32 v31, v31, v33
	v_ldexp_f32 v29, v29, v33
	s_delay_alu instid0(VALU_DEP_2) | instskip(SKIP_3) | instid1(VALU_DEP_4)
	v_add_f32_e32 v111, 1.0, v31
	v_add_f32_e32 v33, -1.0, v31
	v_cmp_eq_f32_e32 vcc_lo, 0x7f800000, v30
	v_cmp_gt_f32_e64 s28, 0x33800000, v30
	v_add_f32_e32 v110, -1.0, v111
	s_delay_alu instid0(VALU_DEP_4) | instskip(NEXT) | instid1(VALU_DEP_3)
	v_add_f32_e32 v112, 1.0, v33
	s_or_b32 vcc_lo, s28, vcc_lo
	s_delay_alu instid0(VALU_DEP_2) | instskip(NEXT) | instid1(VALU_DEP_1)
	v_sub_f32_e32 v110, v31, v110
	v_dual_sub_f32 v31, v31, v112 :: v_dual_add_f32 v110, v29, v110
	s_delay_alu instid0(VALU_DEP_1) | instskip(NEXT) | instid1(VALU_DEP_1)
	v_add_f32_e32 v29, v29, v31
	v_dual_add_f32 v113, v33, v29 :: v_dual_add_f32 v112, v111, v110
	s_delay_alu instid0(VALU_DEP_1) | instskip(NEXT) | instid1(VALU_DEP_2)
	v_sub_f32_e32 v33, v33, v113
	v_rcp_f32_e32 v31, v112
	v_sub_f32_e32 v111, v111, v112
	s_delay_alu instid0(VALU_DEP_1) | instskip(SKIP_2) | instid1(VALU_DEP_1)
	v_dual_add_f32 v110, v110, v111 :: v_dual_add_f32 v29, v29, v33
	s_waitcnt_depctr 0xfff
	v_mul_f32_e32 v114, v113, v31
	v_mul_f32_e32 v115, v112, v114
	s_delay_alu instid0(VALU_DEP_1) | instskip(NEXT) | instid1(VALU_DEP_1)
	v_fma_f32 v111, v114, v112, -v115
	v_fmac_f32_e32 v111, v114, v110
	s_delay_alu instid0(VALU_DEP_1) | instskip(NEXT) | instid1(VALU_DEP_1)
	v_add_f32_e32 v116, v115, v111
	v_sub_f32_e32 v117, v113, v116
	s_delay_alu instid0(VALU_DEP_1) | instskip(SKIP_1) | instid1(VALU_DEP_2)
	v_sub_f32_e32 v113, v113, v117
	v_sub_f32_e32 v33, v116, v115
	;; [unrolled: 1-line block ×3, first 2 shown]
	s_delay_alu instid0(VALU_DEP_2) | instskip(NEXT) | instid1(VALU_DEP_2)
	v_sub_f32_e32 v33, v33, v111
	v_add_f32_e32 v29, v29, v113
	s_delay_alu instid0(VALU_DEP_1) | instskip(NEXT) | instid1(VALU_DEP_1)
	v_add_f32_e32 v29, v33, v29
	v_add_f32_e32 v33, v117, v29
	s_delay_alu instid0(VALU_DEP_1) | instskip(NEXT) | instid1(VALU_DEP_1)
	v_mul_f32_e32 v111, v31, v33
	v_dual_sub_f32 v116, v117, v33 :: v_dual_mul_f32 v113, v112, v111
	s_delay_alu instid0(VALU_DEP_1) | instskip(NEXT) | instid1(VALU_DEP_2)
	v_add_f32_e32 v29, v29, v116
	v_fma_f32 v112, v111, v112, -v113
	s_delay_alu instid0(VALU_DEP_1) | instskip(NEXT) | instid1(VALU_DEP_1)
	v_fmac_f32_e32 v112, v111, v110
	v_add_f32_e32 v110, v113, v112
	s_delay_alu instid0(VALU_DEP_1) | instskip(NEXT) | instid1(VALU_DEP_1)
	v_sub_f32_e32 v115, v33, v110
	v_sub_f32_e32 v33, v33, v115
	s_delay_alu instid0(VALU_DEP_1) | instskip(NEXT) | instid1(VALU_DEP_1)
	v_sub_f32_e32 v33, v33, v110
	v_add_f32_e32 v29, v29, v33
	v_add_f32_e32 v33, v114, v111
	v_sub_f32_e32 v113, v110, v113
	s_delay_alu instid0(VALU_DEP_1) | instskip(NEXT) | instid1(VALU_DEP_1)
	v_sub_f32_e32 v110, v113, v112
	v_dual_add_f32 v29, v110, v29 :: v_dual_sub_f32 v110, v33, v114
	s_delay_alu instid0(VALU_DEP_1) | instskip(NEXT) | instid1(VALU_DEP_2)
	v_add_f32_e32 v29, v115, v29
	v_sub_f32_e32 v110, v111, v110
	s_delay_alu instid0(VALU_DEP_2) | instskip(NEXT) | instid1(VALU_DEP_1)
	v_mul_f32_e32 v29, v31, v29
	v_add_f32_e32 v29, v110, v29
	s_delay_alu instid0(VALU_DEP_1) | instskip(NEXT) | instid1(VALU_DEP_1)
	v_add_f32_e32 v31, v33, v29
	v_mul_f32_e32 v110, v31, v31
	s_delay_alu instid0(VALU_DEP_1) | instskip(SKIP_1) | instid1(VALU_DEP_2)
	v_fmaak_f32 v111, s84, v110, 0x3ecc95a3
	v_mul_f32_e32 v112, v31, v110
	v_fmaak_f32 v110, v110, v111, 0x3f2aaada
	v_ldexp_f32 v111, v31, 1
	s_delay_alu instid0(VALU_DEP_2) | instskip(NEXT) | instid1(VALU_DEP_1)
	v_dual_sub_f32 v31, v31, v33 :: v_dual_mul_f32 v110, v112, v110
	v_dual_mul_f32 v112, 0x3f317218, v28 :: v_dual_sub_f32 v29, v29, v31
	s_delay_alu instid0(VALU_DEP_2) | instskip(NEXT) | instid1(VALU_DEP_2)
	v_add_f32_e32 v33, v111, v110
	v_ldexp_f32 v29, v29, 1
	s_delay_alu instid0(VALU_DEP_2) | instskip(NEXT) | instid1(VALU_DEP_4)
	v_sub_f32_e32 v31, v33, v111
	v_fma_f32 v111, 0x3f317218, v28, -v112
	s_delay_alu instid0(VALU_DEP_2) | instskip(NEXT) | instid1(VALU_DEP_1)
	v_sub_f32_e32 v31, v110, v31
	v_dual_fmac_f32 v111, 0xb102e308, v28 :: v_dual_add_f32 v28, v29, v31
	s_delay_alu instid0(VALU_DEP_1) | instskip(NEXT) | instid1(VALU_DEP_2)
	v_add_f32_e32 v29, v112, v111
	v_add_f32_e32 v31, v33, v28
	s_delay_alu instid0(VALU_DEP_2) | instskip(NEXT) | instid1(VALU_DEP_2)
	v_sub_f32_e32 v112, v29, v112
	v_dual_add_f32 v110, v29, v31 :: v_dual_sub_f32 v33, v31, v33
	s_delay_alu instid0(VALU_DEP_2) | instskip(NEXT) | instid1(VALU_DEP_2)
	v_sub_f32_e32 v111, v111, v112
	v_sub_f32_e32 v113, v110, v29
	s_delay_alu instid0(VALU_DEP_3) | instskip(NEXT) | instid1(VALU_DEP_2)
	v_sub_f32_e32 v28, v28, v33
	v_sub_f32_e32 v114, v110, v113
	;; [unrolled: 1-line block ×3, first 2 shown]
	s_delay_alu instid0(VALU_DEP_3) | instskip(NEXT) | instid1(VALU_DEP_3)
	v_add_f32_e32 v33, v111, v28
	v_sub_f32_e32 v29, v29, v114
	s_delay_alu instid0(VALU_DEP_1) | instskip(NEXT) | instid1(VALU_DEP_3)
	v_add_f32_e32 v29, v31, v29
	v_sub_f32_e32 v31, v33, v111
	s_delay_alu instid0(VALU_DEP_2) | instskip(NEXT) | instid1(VALU_DEP_2)
	v_add_f32_e32 v29, v33, v29
	v_sub_f32_e32 v33, v33, v31
	v_sub_f32_e32 v28, v28, v31
	s_delay_alu instid0(VALU_DEP_3) | instskip(NEXT) | instid1(VALU_DEP_3)
	v_add_f32_e32 v112, v110, v29
	v_sub_f32_e32 v33, v111, v33
	s_delay_alu instid0(VALU_DEP_2) | instskip(NEXT) | instid1(VALU_DEP_1)
	v_sub_f32_e32 v31, v112, v110
	v_dual_add_f32 v28, v28, v33 :: v_dual_sub_f32 v29, v29, v31
	s_delay_alu instid0(VALU_DEP_1) | instskip(NEXT) | instid1(VALU_DEP_1)
	v_add_f32_e32 v28, v28, v29
	v_add_f32_e32 v28, v112, v28
	s_delay_alu instid0(VALU_DEP_1)
	v_cndmask_b32_e32 v110, v28, v30, vcc_lo
.LBB146_82:                             ;   in Loop: Header=BB146_12 Depth=1
	s_or_b32 exec_lo, exec_lo, s29
	s_waitcnt lgkmcnt(5)
	v_add_f32_e32 v111, s67, v26
	s_delay_alu instid0(VALU_DEP_1) | instskip(SKIP_1) | instid1(SALU_CYCLE_1)
	v_cmp_ge_f32_e32 vcc_lo, 0x41a00000, v111
	s_and_b32 s28, s80, vcc_lo
	s_and_saveexec_b32 s29, s28
	s_cbranch_execz .LBB146_84
; %bb.83:                               ;   in Loop: Header=BB146_12 Depth=1
	v_mul_f32_e32 v26, 0x3fb8aa3b, v111
	v_cmp_ngt_f32_e32 vcc_lo, 0xc2ce8ed0, v111
	s_delay_alu instid0(VALU_DEP_2) | instskip(SKIP_1) | instid1(VALU_DEP_1)
	v_rndne_f32_e32 v28, v26
	v_fma_f32 v29, 0x3fb8aa3b, v111, -v26
	v_dual_sub_f32 v26, v26, v28 :: v_dual_fmac_f32 v29, 0x32a5705f, v111
	v_cvt_i32_f32_e32 v28, v28
	s_delay_alu instid0(VALU_DEP_2) | instskip(NEXT) | instid1(VALU_DEP_1)
	v_add_f32_e32 v26, v26, v29
	v_exp_f32_e32 v26, v26
	s_waitcnt_depctr 0xfff
	v_ldexp_f32 v26, v26, v28
	s_delay_alu instid0(VALU_DEP_1) | instskip(SKIP_1) | instid1(VALU_DEP_2)
	v_cndmask_b32_e32 v26, 0, v26, vcc_lo
	v_cmp_nlt_f32_e32 vcc_lo, 0x42b17218, v111
	v_cndmask_b32_e32 v26, 0x7f800000, v26, vcc_lo
	s_delay_alu instid0(VALU_DEP_1) | instskip(NEXT) | instid1(VALU_DEP_1)
	v_add_f32_e32 v30, 1.0, v26
	v_cvt_f64_f32_e32 v[28:29], v30
	s_delay_alu instid0(VALU_DEP_1) | instskip(SKIP_1) | instid1(VALU_DEP_1)
	v_frexp_exp_i32_f64_e32 v28, v[28:29]
	v_frexp_mant_f32_e32 v29, v30
	v_cmp_gt_f32_e32 vcc_lo, 0x3f2aaaab, v29
	v_add_f32_e32 v29, -1.0, v30
	s_delay_alu instid0(VALU_DEP_1) | instskip(SKIP_1) | instid1(VALU_DEP_2)
	v_sub_f32_e32 v33, v29, v30
	v_sub_f32_e32 v29, v26, v29
	v_add_f32_e32 v33, 1.0, v33
	s_delay_alu instid0(VALU_DEP_1) | instskip(SKIP_3) | instid1(VALU_DEP_2)
	v_add_f32_e32 v29, v29, v33
	v_cmp_gt_f32_e64 s28, 0x33800000, v26
	v_subrev_co_ci_u32_e32 v28, vcc_lo, 0, v28, vcc_lo
	v_cmp_eq_f32_e32 vcc_lo, 0x7f800000, v26
	v_sub_nc_u32_e32 v31, 0, v28
	v_cvt_f32_i32_e32 v28, v28
	s_or_b32 vcc_lo, s28, vcc_lo
	s_delay_alu instid0(VALU_DEP_2) | instskip(SKIP_1) | instid1(VALU_DEP_2)
	v_ldexp_f32 v30, v30, v31
	v_ldexp_f32 v29, v29, v31
	v_add_f32_e32 v31, -1.0, v30
	s_delay_alu instid0(VALU_DEP_1) | instskip(NEXT) | instid1(VALU_DEP_1)
	v_dual_add_f32 v111, 1.0, v30 :: v_dual_add_f32 v112, 1.0, v31
	v_add_f32_e32 v33, -1.0, v111
	s_delay_alu instid0(VALU_DEP_1) | instskip(NEXT) | instid1(VALU_DEP_1)
	v_sub_f32_e32 v33, v30, v33
	v_dual_sub_f32 v30, v30, v112 :: v_dual_add_f32 v33, v29, v33
	s_delay_alu instid0(VALU_DEP_1) | instskip(NEXT) | instid1(VALU_DEP_1)
	v_add_f32_e32 v112, v111, v33
	v_sub_f32_e32 v111, v111, v112
	s_delay_alu instid0(VALU_DEP_1) | instskip(NEXT) | instid1(VALU_DEP_4)
	v_add_f32_e32 v33, v33, v111
	v_add_f32_e32 v29, v29, v30
	v_rcp_f32_e32 v30, v112
	s_delay_alu instid0(VALU_DEP_1) | instskip(SKIP_2) | instid1(VALU_DEP_1)
	v_add_f32_e32 v113, v31, v29
	s_waitcnt_depctr 0xfff
	v_dual_sub_f32 v31, v31, v113 :: v_dual_mul_f32 v114, v113, v30
	v_add_f32_e32 v29, v29, v31
	s_delay_alu instid0(VALU_DEP_2) | instskip(NEXT) | instid1(VALU_DEP_1)
	v_mul_f32_e32 v115, v112, v114
	v_fma_f32 v111, v114, v112, -v115
	s_delay_alu instid0(VALU_DEP_1) | instskip(NEXT) | instid1(VALU_DEP_1)
	v_fmac_f32_e32 v111, v114, v33
	v_add_f32_e32 v116, v115, v111
	s_delay_alu instid0(VALU_DEP_1) | instskip(SKIP_1) | instid1(VALU_DEP_2)
	v_sub_f32_e32 v117, v113, v116
	v_sub_f32_e32 v31, v116, v115
	;; [unrolled: 1-line block ×3, first 2 shown]
	s_delay_alu instid0(VALU_DEP_2) | instskip(NEXT) | instid1(VALU_DEP_2)
	v_sub_f32_e32 v31, v31, v111
	v_sub_f32_e32 v113, v113, v116
	s_delay_alu instid0(VALU_DEP_1) | instskip(NEXT) | instid1(VALU_DEP_1)
	v_add_f32_e32 v29, v29, v113
	v_add_f32_e32 v29, v31, v29
	s_delay_alu instid0(VALU_DEP_1) | instskip(NEXT) | instid1(VALU_DEP_1)
	v_add_f32_e32 v31, v117, v29
	v_mul_f32_e32 v111, v30, v31
	v_sub_f32_e32 v116, v117, v31
	s_delay_alu instid0(VALU_DEP_2) | instskip(NEXT) | instid1(VALU_DEP_2)
	v_mul_f32_e32 v113, v112, v111
	v_add_f32_e32 v29, v29, v116
	s_delay_alu instid0(VALU_DEP_2) | instskip(NEXT) | instid1(VALU_DEP_1)
	v_fma_f32 v112, v111, v112, -v113
	v_fmac_f32_e32 v112, v111, v33
	s_delay_alu instid0(VALU_DEP_1) | instskip(NEXT) | instid1(VALU_DEP_1)
	v_add_f32_e32 v33, v113, v112
	v_sub_f32_e32 v115, v31, v33
	v_sub_f32_e32 v113, v33, v113
	s_delay_alu instid0(VALU_DEP_2) | instskip(NEXT) | instid1(VALU_DEP_1)
	v_sub_f32_e32 v31, v31, v115
	v_sub_f32_e32 v31, v31, v33
	s_delay_alu instid0(VALU_DEP_3) | instskip(NEXT) | instid1(VALU_DEP_2)
	v_sub_f32_e32 v33, v113, v112
	v_add_f32_e32 v29, v29, v31
	v_add_f32_e32 v31, v114, v111
	s_delay_alu instid0(VALU_DEP_2) | instskip(NEXT) | instid1(VALU_DEP_2)
	v_add_f32_e32 v29, v33, v29
	v_sub_f32_e32 v33, v31, v114
	s_delay_alu instid0(VALU_DEP_2) | instskip(NEXT) | instid1(VALU_DEP_2)
	v_add_f32_e32 v29, v115, v29
	v_sub_f32_e32 v33, v111, v33
	s_delay_alu instid0(VALU_DEP_2) | instskip(NEXT) | instid1(VALU_DEP_1)
	v_mul_f32_e32 v29, v30, v29
	v_add_f32_e32 v29, v33, v29
	s_delay_alu instid0(VALU_DEP_1) | instskip(NEXT) | instid1(VALU_DEP_1)
	v_add_f32_e32 v30, v31, v29
	v_mul_f32_e32 v33, v30, v30
	s_delay_alu instid0(VALU_DEP_1) | instskip(NEXT) | instid1(VALU_DEP_1)
	v_fmaak_f32 v111, s84, v33, 0x3ecc95a3
	v_dual_mul_f32 v112, v30, v33 :: v_dual_fmaak_f32 v33, v33, v111, 0x3f2aaada
	v_ldexp_f32 v111, v30, 1
	s_delay_alu instid0(VALU_DEP_2) | instskip(NEXT) | instid1(VALU_DEP_1)
	v_dual_sub_f32 v30, v30, v31 :: v_dual_mul_f32 v33, v112, v33
	v_dual_mul_f32 v112, 0x3f317218, v28 :: v_dual_sub_f32 v29, v29, v30
	s_delay_alu instid0(VALU_DEP_2) | instskip(NEXT) | instid1(VALU_DEP_2)
	v_add_f32_e32 v31, v111, v33
	v_ldexp_f32 v29, v29, 1
	s_delay_alu instid0(VALU_DEP_2) | instskip(NEXT) | instid1(VALU_DEP_4)
	v_sub_f32_e32 v30, v31, v111
	v_fma_f32 v111, 0x3f317218, v28, -v112
	s_delay_alu instid0(VALU_DEP_1) | instskip(NEXT) | instid1(VALU_DEP_1)
	v_dual_sub_f32 v30, v33, v30 :: v_dual_fmac_f32 v111, 0xb102e308, v28
	v_dual_add_f32 v28, v29, v30 :: v_dual_add_f32 v29, v112, v111
	s_delay_alu instid0(VALU_DEP_1) | instskip(NEXT) | instid1(VALU_DEP_2)
	v_add_f32_e32 v30, v31, v28
	v_sub_f32_e32 v112, v29, v112
	s_delay_alu instid0(VALU_DEP_2) | instskip(SKIP_1) | instid1(VALU_DEP_3)
	v_add_f32_e32 v33, v29, v30
	v_sub_f32_e32 v31, v30, v31
	v_sub_f32_e32 v111, v111, v112
	s_delay_alu instid0(VALU_DEP_2) | instskip(NEXT) | instid1(VALU_DEP_1)
	v_dual_sub_f32 v113, v33, v29 :: v_dual_sub_f32 v28, v28, v31
	v_sub_f32_e32 v114, v33, v113
	s_delay_alu instid0(VALU_DEP_2) | instskip(NEXT) | instid1(VALU_DEP_2)
	v_dual_sub_f32 v30, v30, v113 :: v_dual_add_f32 v31, v111, v28
	v_sub_f32_e32 v29, v29, v114
	s_delay_alu instid0(VALU_DEP_1) | instskip(NEXT) | instid1(VALU_DEP_1)
	v_dual_add_f32 v29, v30, v29 :: v_dual_sub_f32 v30, v31, v111
	v_add_f32_e32 v29, v31, v29
	s_delay_alu instid0(VALU_DEP_2) | instskip(SKIP_1) | instid1(VALU_DEP_2)
	v_sub_f32_e32 v31, v31, v30
	v_sub_f32_e32 v28, v28, v30
	v_dual_add_f32 v112, v33, v29 :: v_dual_sub_f32 v31, v111, v31
	s_delay_alu instid0(VALU_DEP_1) | instskip(NEXT) | instid1(VALU_DEP_1)
	v_sub_f32_e32 v30, v112, v33
	v_dual_add_f32 v28, v28, v31 :: v_dual_sub_f32 v29, v29, v30
	s_delay_alu instid0(VALU_DEP_1) | instskip(NEXT) | instid1(VALU_DEP_1)
	v_add_f32_e32 v28, v28, v29
	v_add_f32_e32 v28, v112, v28
	s_delay_alu instid0(VALU_DEP_1)
	v_cndmask_b32_e32 v111, v28, v26, vcc_lo
.LBB146_84:                             ;   in Loop: Header=BB146_12 Depth=1
	s_or_b32 exec_lo, exec_lo, s29
	v_add_f32_e32 v112, s67, v27
	s_delay_alu instid0(VALU_DEP_1) | instskip(SKIP_1) | instid1(SALU_CYCLE_1)
	v_cmp_ge_f32_e32 vcc_lo, 0x41a00000, v112
	s_and_b32 s28, s80, vcc_lo
	s_and_saveexec_b32 s29, s28
	s_cbranch_execz .LBB146_86
; %bb.85:                               ;   in Loop: Header=BB146_12 Depth=1
	v_mul_f32_e32 v26, 0x3fb8aa3b, v112
	v_cmp_ngt_f32_e32 vcc_lo, 0xc2ce8ed0, v112
	s_delay_alu instid0(VALU_DEP_2) | instskip(SKIP_1) | instid1(VALU_DEP_2)
	v_rndne_f32_e32 v27, v26
	v_fma_f32 v28, 0x3fb8aa3b, v112, -v26
	v_sub_f32_e32 v26, v26, v27
	s_delay_alu instid0(VALU_DEP_2) | instskip(SKIP_1) | instid1(VALU_DEP_2)
	v_fmac_f32_e32 v28, 0x32a5705f, v112
	v_cvt_i32_f32_e32 v27, v27
	v_add_f32_e32 v26, v26, v28
	s_delay_alu instid0(VALU_DEP_1) | instskip(SKIP_2) | instid1(VALU_DEP_1)
	v_exp_f32_e32 v26, v26
	s_waitcnt_depctr 0xfff
	v_ldexp_f32 v26, v26, v27
	v_cndmask_b32_e32 v26, 0, v26, vcc_lo
	v_cmp_nlt_f32_e32 vcc_lo, 0x42b17218, v112
	s_delay_alu instid0(VALU_DEP_2) | instskip(NEXT) | instid1(VALU_DEP_1)
	v_cndmask_b32_e32 v28, 0x7f800000, v26, vcc_lo
	v_add_f32_e32 v29, 1.0, v28
	s_delay_alu instid0(VALU_DEP_1) | instskip(NEXT) | instid1(VALU_DEP_1)
	v_cvt_f64_f32_e32 v[26:27], v29
	v_frexp_exp_i32_f64_e32 v26, v[26:27]
	v_frexp_mant_f32_e32 v27, v29
	s_delay_alu instid0(VALU_DEP_1) | instskip(SKIP_1) | instid1(VALU_DEP_1)
	v_cmp_gt_f32_e32 vcc_lo, 0x3f2aaaab, v27
	v_add_f32_e32 v27, -1.0, v29
	v_sub_f32_e32 v31, v27, v29
	s_delay_alu instid0(VALU_DEP_1) | instskip(SKIP_1) | instid1(VALU_DEP_1)
	v_add_f32_e32 v31, 1.0, v31
	v_subrev_co_ci_u32_e32 v26, vcc_lo, 0, v26, vcc_lo
	v_sub_nc_u32_e32 v30, 0, v26
	v_cvt_f32_i32_e32 v26, v26
	s_delay_alu instid0(VALU_DEP_2) | instskip(NEXT) | instid1(VALU_DEP_1)
	v_ldexp_f32 v29, v29, v30
	v_add_f32_e32 v33, 1.0, v29
	v_sub_f32_e32 v27, v28, v27
	v_cmp_eq_f32_e32 vcc_lo, 0x7f800000, v28
	v_cmp_gt_f32_e64 s28, 0x33800000, v28
	s_delay_alu instid0(VALU_DEP_3) | instskip(NEXT) | instid1(VALU_DEP_2)
	v_add_f32_e32 v27, v27, v31
	s_or_b32 vcc_lo, s28, vcc_lo
	s_delay_alu instid0(VALU_DEP_1) | instskip(SKIP_1) | instid1(VALU_DEP_1)
	v_ldexp_f32 v27, v27, v30
	v_add_f32_e32 v30, -1.0, v29
	v_dual_add_f32 v31, -1.0, v33 :: v_dual_add_f32 v112, 1.0, v30
	s_delay_alu instid0(VALU_DEP_1) | instskip(NEXT) | instid1(VALU_DEP_2)
	v_sub_f32_e32 v31, v29, v31
	v_sub_f32_e32 v29, v29, v112
	s_delay_alu instid0(VALU_DEP_2) | instskip(NEXT) | instid1(VALU_DEP_1)
	v_add_f32_e32 v31, v27, v31
	v_dual_add_f32 v27, v27, v29 :: v_dual_add_f32 v112, v33, v31
	s_delay_alu instid0(VALU_DEP_1) | instskip(NEXT) | instid1(VALU_DEP_2)
	v_add_f32_e32 v113, v30, v27
	v_rcp_f32_e32 v29, v112
	s_delay_alu instid0(VALU_DEP_1) | instskip(SKIP_2) | instid1(VALU_DEP_1)
	v_sub_f32_e32 v30, v30, v113
	s_waitcnt_depctr 0xfff
	v_mul_f32_e32 v114, v113, v29
	v_mul_f32_e32 v115, v112, v114
	v_sub_f32_e32 v33, v33, v112
	s_delay_alu instid0(VALU_DEP_1) | instskip(NEXT) | instid1(VALU_DEP_3)
	v_add_f32_e32 v31, v31, v33
	v_fma_f32 v33, v114, v112, -v115
	v_add_f32_e32 v27, v27, v30
	s_delay_alu instid0(VALU_DEP_2) | instskip(NEXT) | instid1(VALU_DEP_1)
	v_fmac_f32_e32 v33, v114, v31
	v_add_f32_e32 v116, v115, v33
	s_delay_alu instid0(VALU_DEP_1) | instskip(NEXT) | instid1(VALU_DEP_1)
	v_dual_sub_f32 v117, v113, v116 :: v_dual_sub_f32 v30, v116, v115
	v_sub_f32_e32 v113, v113, v117
	s_delay_alu instid0(VALU_DEP_1) | instskip(NEXT) | instid1(VALU_DEP_1)
	v_dual_sub_f32 v30, v30, v33 :: v_dual_sub_f32 v113, v113, v116
	v_add_f32_e32 v27, v27, v113
	s_delay_alu instid0(VALU_DEP_1) | instskip(NEXT) | instid1(VALU_DEP_1)
	v_add_f32_e32 v27, v30, v27
	v_add_f32_e32 v30, v117, v27
	s_delay_alu instid0(VALU_DEP_1) | instskip(NEXT) | instid1(VALU_DEP_1)
	v_mul_f32_e32 v33, v29, v30
	v_dual_sub_f32 v116, v117, v30 :: v_dual_mul_f32 v113, v112, v33
	s_delay_alu instid0(VALU_DEP_1) | instskip(NEXT) | instid1(VALU_DEP_2)
	v_add_f32_e32 v27, v27, v116
	v_fma_f32 v112, v33, v112, -v113
	s_delay_alu instid0(VALU_DEP_1) | instskip(NEXT) | instid1(VALU_DEP_1)
	v_fmac_f32_e32 v112, v33, v31
	v_add_f32_e32 v31, v113, v112
	s_delay_alu instid0(VALU_DEP_1) | instskip(NEXT) | instid1(VALU_DEP_1)
	v_sub_f32_e32 v115, v30, v31
	v_dual_sub_f32 v113, v31, v113 :: v_dual_sub_f32 v30, v30, v115
	s_delay_alu instid0(VALU_DEP_1) | instskip(NEXT) | instid1(VALU_DEP_1)
	v_dual_sub_f32 v30, v30, v31 :: v_dual_sub_f32 v31, v113, v112
	v_dual_add_f32 v27, v27, v30 :: v_dual_add_f32 v30, v114, v33
	s_delay_alu instid0(VALU_DEP_1) | instskip(NEXT) | instid1(VALU_DEP_2)
	v_add_f32_e32 v27, v31, v27
	v_sub_f32_e32 v31, v30, v114
	s_delay_alu instid0(VALU_DEP_2) | instskip(NEXT) | instid1(VALU_DEP_2)
	v_add_f32_e32 v27, v115, v27
	v_sub_f32_e32 v31, v33, v31
	s_delay_alu instid0(VALU_DEP_2) | instskip(NEXT) | instid1(VALU_DEP_1)
	v_mul_f32_e32 v27, v29, v27
	v_add_f32_e32 v27, v31, v27
	s_delay_alu instid0(VALU_DEP_1) | instskip(NEXT) | instid1(VALU_DEP_1)
	v_add_f32_e32 v29, v30, v27
	v_mul_f32_e32 v31, v29, v29
	s_delay_alu instid0(VALU_DEP_1) | instskip(NEXT) | instid1(VALU_DEP_1)
	v_fmaak_f32 v33, s84, v31, 0x3ecc95a3
	v_dual_mul_f32 v112, v29, v31 :: v_dual_fmaak_f32 v31, v31, v33, 0x3f2aaada
	v_ldexp_f32 v33, v29, 1
	v_sub_f32_e32 v29, v29, v30
	s_delay_alu instid0(VALU_DEP_3) | instskip(NEXT) | instid1(VALU_DEP_1)
	v_dual_mul_f32 v31, v112, v31 :: v_dual_mul_f32 v112, 0x3f317218, v26
	v_dual_sub_f32 v27, v27, v29 :: v_dual_add_f32 v30, v33, v31
	s_delay_alu instid0(VALU_DEP_1) | instskip(NEXT) | instid1(VALU_DEP_2)
	v_ldexp_f32 v27, v27, 1
	v_sub_f32_e32 v29, v30, v33
	s_delay_alu instid0(VALU_DEP_4) | instskip(NEXT) | instid1(VALU_DEP_2)
	v_fma_f32 v33, 0x3f317218, v26, -v112
	v_sub_f32_e32 v29, v31, v29
	s_delay_alu instid0(VALU_DEP_1) | instskip(NEXT) | instid1(VALU_DEP_1)
	v_dual_fmac_f32 v33, 0xb102e308, v26 :: v_dual_add_f32 v26, v27, v29
	v_add_f32_e32 v27, v112, v33
	s_delay_alu instid0(VALU_DEP_1) | instskip(NEXT) | instid1(VALU_DEP_1)
	v_dual_add_f32 v29, v30, v26 :: v_dual_sub_f32 v112, v27, v112
	v_dual_add_f32 v31, v27, v29 :: v_dual_sub_f32 v30, v29, v30
	s_delay_alu instid0(VALU_DEP_2) | instskip(NEXT) | instid1(VALU_DEP_2)
	v_sub_f32_e32 v33, v33, v112
	v_dual_sub_f32 v113, v31, v27 :: v_dual_sub_f32 v26, v26, v30
	s_delay_alu instid0(VALU_DEP_1) | instskip(SKIP_1) | instid1(VALU_DEP_3)
	v_sub_f32_e32 v114, v31, v113
	v_sub_f32_e32 v29, v29, v113
	v_add_f32_e32 v30, v33, v26
	s_delay_alu instid0(VALU_DEP_3) | instskip(NEXT) | instid1(VALU_DEP_1)
	v_sub_f32_e32 v27, v27, v114
	v_add_f32_e32 v27, v29, v27
	s_delay_alu instid0(VALU_DEP_3) | instskip(NEXT) | instid1(VALU_DEP_2)
	v_sub_f32_e32 v29, v30, v33
	v_add_f32_e32 v27, v30, v27
	s_delay_alu instid0(VALU_DEP_2) | instskip(SKIP_1) | instid1(VALU_DEP_3)
	v_sub_f32_e32 v30, v30, v29
	v_sub_f32_e32 v26, v26, v29
	v_add_f32_e32 v112, v31, v27
	s_delay_alu instid0(VALU_DEP_1) | instskip(NEXT) | instid1(VALU_DEP_1)
	v_dual_sub_f32 v30, v33, v30 :: v_dual_sub_f32 v29, v112, v31
	v_dual_add_f32 v26, v26, v30 :: v_dual_sub_f32 v27, v27, v29
	s_delay_alu instid0(VALU_DEP_1) | instskip(NEXT) | instid1(VALU_DEP_1)
	v_add_f32_e32 v26, v26, v27
	v_add_f32_e32 v26, v112, v26
	s_delay_alu instid0(VALU_DEP_1)
	v_cndmask_b32_e32 v112, v26, v28, vcc_lo
.LBB146_86:                             ;   in Loop: Header=BB146_12 Depth=1
	s_or_b32 exec_lo, exec_lo, s29
	s_waitcnt lgkmcnt(4)
	v_add_f32_e32 v113, s67, v24
	s_delay_alu instid0(VALU_DEP_1) | instskip(SKIP_1) | instid1(SALU_CYCLE_1)
	v_cmp_ge_f32_e32 vcc_lo, 0x41a00000, v113
	s_and_b32 s28, s80, vcc_lo
	s_and_saveexec_b32 s29, s28
	s_cbranch_execz .LBB146_88
; %bb.87:                               ;   in Loop: Header=BB146_12 Depth=1
	v_mul_f32_e32 v24, 0x3fb8aa3b, v113
	v_cmp_ngt_f32_e32 vcc_lo, 0xc2ce8ed0, v113
	s_delay_alu instid0(VALU_DEP_2) | instskip(SKIP_1) | instid1(VALU_DEP_1)
	v_rndne_f32_e32 v26, v24
	v_fma_f32 v27, 0x3fb8aa3b, v113, -v24
	v_dual_sub_f32 v24, v24, v26 :: v_dual_fmac_f32 v27, 0x32a5705f, v113
	v_cvt_i32_f32_e32 v26, v26
	s_delay_alu instid0(VALU_DEP_2) | instskip(NEXT) | instid1(VALU_DEP_1)
	v_add_f32_e32 v24, v24, v27
	v_exp_f32_e32 v24, v24
	s_waitcnt_depctr 0xfff
	v_ldexp_f32 v24, v24, v26
	s_delay_alu instid0(VALU_DEP_1) | instskip(SKIP_1) | instid1(VALU_DEP_2)
	v_cndmask_b32_e32 v24, 0, v24, vcc_lo
	v_cmp_nlt_f32_e32 vcc_lo, 0x42b17218, v113
	v_cndmask_b32_e32 v24, 0x7f800000, v24, vcc_lo
	s_delay_alu instid0(VALU_DEP_1) | instskip(NEXT) | instid1(VALU_DEP_1)
	v_add_f32_e32 v28, 1.0, v24
	v_cvt_f64_f32_e32 v[26:27], v28
	s_delay_alu instid0(VALU_DEP_1) | instskip(SKIP_1) | instid1(VALU_DEP_1)
	v_frexp_exp_i32_f64_e32 v26, v[26:27]
	v_frexp_mant_f32_e32 v27, v28
	v_cmp_gt_f32_e32 vcc_lo, 0x3f2aaaab, v27
	v_add_f32_e32 v27, -1.0, v28
	s_delay_alu instid0(VALU_DEP_1) | instskip(SKIP_1) | instid1(VALU_DEP_1)
	v_dual_sub_f32 v30, v27, v28 :: v_dual_sub_f32 v27, v24, v27
	v_subrev_co_ci_u32_e32 v26, vcc_lo, 0, v26, vcc_lo
	v_sub_nc_u32_e32 v29, 0, v26
	v_cvt_f32_i32_e32 v26, v26
	s_delay_alu instid0(VALU_DEP_2) | instskip(NEXT) | instid1(VALU_DEP_1)
	v_ldexp_f32 v28, v28, v29
	v_dual_add_f32 v30, 1.0, v30 :: v_dual_add_f32 v31, 1.0, v28
	s_delay_alu instid0(VALU_DEP_1) | instskip(NEXT) | instid1(VALU_DEP_1)
	v_add_f32_e32 v27, v27, v30
	v_ldexp_f32 v27, v27, v29
	s_delay_alu instid0(VALU_DEP_3) | instskip(NEXT) | instid1(VALU_DEP_1)
	v_dual_add_f32 v29, -1.0, v28 :: v_dual_add_f32 v30, -1.0, v31
	v_dual_add_f32 v33, 1.0, v29 :: v_dual_sub_f32 v30, v28, v30
	v_cmp_eq_f32_e32 vcc_lo, 0x7f800000, v24
	v_cmp_gt_f32_e64 s28, 0x33800000, v24
	s_delay_alu instid0(VALU_DEP_3) | instskip(NEXT) | instid1(VALU_DEP_4)
	v_add_f32_e32 v30, v27, v30
	v_sub_f32_e32 v28, v28, v33
	s_delay_alu instid0(VALU_DEP_3) | instskip(NEXT) | instid1(VALU_DEP_2)
	s_or_b32 vcc_lo, s28, vcc_lo
	v_add_f32_e32 v33, v31, v30
	s_delay_alu instid0(VALU_DEP_2) | instskip(NEXT) | instid1(VALU_DEP_2)
	v_add_f32_e32 v27, v27, v28
	v_rcp_f32_e32 v28, v33
	s_delay_alu instid0(VALU_DEP_1) | instskip(SKIP_1) | instid1(VALU_DEP_1)
	v_add_f32_e32 v113, v29, v27
	v_sub_f32_e32 v31, v31, v33
	v_dual_sub_f32 v29, v29, v113 :: v_dual_add_f32 v30, v30, v31
	s_waitcnt_depctr 0xfff
	v_dual_mul_f32 v114, v113, v28 :: v_dual_add_f32 v27, v27, v29
	s_delay_alu instid0(VALU_DEP_1) | instskip(NEXT) | instid1(VALU_DEP_1)
	v_mul_f32_e32 v115, v33, v114
	v_fma_f32 v31, v114, v33, -v115
	s_delay_alu instid0(VALU_DEP_1) | instskip(NEXT) | instid1(VALU_DEP_1)
	v_fmac_f32_e32 v31, v114, v30
	v_add_f32_e32 v116, v115, v31
	s_delay_alu instid0(VALU_DEP_1) | instskip(NEXT) | instid1(VALU_DEP_1)
	v_sub_f32_e32 v117, v113, v116
	v_sub_f32_e32 v113, v113, v117
	;; [unrolled: 1-line block ×3, first 2 shown]
	s_delay_alu instid0(VALU_DEP_2) | instskip(NEXT) | instid1(VALU_DEP_2)
	v_sub_f32_e32 v113, v113, v116
	v_sub_f32_e32 v29, v29, v31
	s_delay_alu instid0(VALU_DEP_2) | instskip(NEXT) | instid1(VALU_DEP_1)
	v_add_f32_e32 v27, v27, v113
	v_add_f32_e32 v27, v29, v27
	s_delay_alu instid0(VALU_DEP_1) | instskip(NEXT) | instid1(VALU_DEP_1)
	v_add_f32_e32 v29, v117, v27
	v_mul_f32_e32 v31, v28, v29
	v_sub_f32_e32 v116, v117, v29
	s_delay_alu instid0(VALU_DEP_2) | instskip(NEXT) | instid1(VALU_DEP_2)
	v_mul_f32_e32 v113, v33, v31
	v_add_f32_e32 v27, v27, v116
	s_delay_alu instid0(VALU_DEP_2) | instskip(NEXT) | instid1(VALU_DEP_1)
	v_fma_f32 v33, v31, v33, -v113
	v_fmac_f32_e32 v33, v31, v30
	s_delay_alu instid0(VALU_DEP_1) | instskip(NEXT) | instid1(VALU_DEP_1)
	v_add_f32_e32 v30, v113, v33
	v_sub_f32_e32 v115, v29, v30
	v_sub_f32_e32 v113, v30, v113
	s_delay_alu instid0(VALU_DEP_2) | instskip(NEXT) | instid1(VALU_DEP_1)
	v_sub_f32_e32 v29, v29, v115
	v_sub_f32_e32 v29, v29, v30
	s_delay_alu instid0(VALU_DEP_3) | instskip(NEXT) | instid1(VALU_DEP_2)
	v_sub_f32_e32 v30, v113, v33
	v_add_f32_e32 v27, v27, v29
	v_add_f32_e32 v29, v114, v31
	s_delay_alu instid0(VALU_DEP_1) | instskip(NEXT) | instid1(VALU_DEP_1)
	v_dual_add_f32 v27, v30, v27 :: v_dual_sub_f32 v30, v29, v114
	v_add_f32_e32 v27, v115, v27
	s_delay_alu instid0(VALU_DEP_1) | instskip(NEXT) | instid1(VALU_DEP_1)
	v_dual_sub_f32 v30, v31, v30 :: v_dual_mul_f32 v27, v28, v27
	v_add_f32_e32 v27, v30, v27
	s_delay_alu instid0(VALU_DEP_1) | instskip(NEXT) | instid1(VALU_DEP_1)
	v_add_f32_e32 v28, v29, v27
	v_mul_f32_e32 v30, v28, v28
	s_delay_alu instid0(VALU_DEP_1) | instskip(NEXT) | instid1(VALU_DEP_1)
	v_fmaak_f32 v31, s84, v30, 0x3ecc95a3
	v_dual_mul_f32 v33, v28, v30 :: v_dual_fmaak_f32 v30, v30, v31, 0x3f2aaada
	v_ldexp_f32 v31, v28, 1
	v_sub_f32_e32 v28, v28, v29
	s_delay_alu instid0(VALU_DEP_3) | instskip(SKIP_1) | instid1(VALU_DEP_3)
	v_mul_f32_e32 v30, v33, v30
	v_mul_f32_e32 v33, 0x3f317218, v26
	v_sub_f32_e32 v27, v27, v28
	s_delay_alu instid0(VALU_DEP_3) | instskip(NEXT) | instid1(VALU_DEP_2)
	v_add_f32_e32 v29, v31, v30
	v_ldexp_f32 v27, v27, 1
	s_delay_alu instid0(VALU_DEP_2) | instskip(SKIP_1) | instid1(VALU_DEP_1)
	v_sub_f32_e32 v28, v29, v31
	v_fma_f32 v31, 0x3f317218, v26, -v33
	v_dual_sub_f32 v28, v30, v28 :: v_dual_fmac_f32 v31, 0xb102e308, v26
	s_delay_alu instid0(VALU_DEP_1) | instskip(NEXT) | instid1(VALU_DEP_1)
	v_dual_add_f32 v26, v27, v28 :: v_dual_add_f32 v27, v33, v31
	v_dual_add_f32 v28, v29, v26 :: v_dual_sub_f32 v33, v27, v33
	s_delay_alu instid0(VALU_DEP_1) | instskip(NEXT) | instid1(VALU_DEP_2)
	v_dual_add_f32 v30, v27, v28 :: v_dual_sub_f32 v29, v28, v29
	v_sub_f32_e32 v31, v31, v33
	s_delay_alu instid0(VALU_DEP_2) | instskip(NEXT) | instid1(VALU_DEP_3)
	v_sub_f32_e32 v113, v30, v27
	v_sub_f32_e32 v26, v26, v29
	s_delay_alu instid0(VALU_DEP_2) | instskip(NEXT) | instid1(VALU_DEP_2)
	v_sub_f32_e32 v114, v30, v113
	v_dual_sub_f32 v28, v28, v113 :: v_dual_add_f32 v29, v31, v26
	s_delay_alu instid0(VALU_DEP_2) | instskip(NEXT) | instid1(VALU_DEP_1)
	v_sub_f32_e32 v27, v27, v114
	v_add_f32_e32 v27, v28, v27
	s_delay_alu instid0(VALU_DEP_3) | instskip(NEXT) | instid1(VALU_DEP_2)
	v_sub_f32_e32 v28, v29, v31
	v_add_f32_e32 v27, v29, v27
	s_delay_alu instid0(VALU_DEP_2) | instskip(SKIP_1) | instid1(VALU_DEP_3)
	v_sub_f32_e32 v29, v29, v28
	v_sub_f32_e32 v26, v26, v28
	v_add_f32_e32 v33, v30, v27
	s_delay_alu instid0(VALU_DEP_1) | instskip(NEXT) | instid1(VALU_DEP_1)
	v_dual_sub_f32 v29, v31, v29 :: v_dual_sub_f32 v28, v33, v30
	v_dual_add_f32 v26, v26, v29 :: v_dual_sub_f32 v27, v27, v28
	s_delay_alu instid0(VALU_DEP_1) | instskip(NEXT) | instid1(VALU_DEP_1)
	v_add_f32_e32 v26, v26, v27
	v_add_f32_e32 v26, v33, v26
	s_delay_alu instid0(VALU_DEP_1)
	v_cndmask_b32_e32 v113, v26, v24, vcc_lo
.LBB146_88:                             ;   in Loop: Header=BB146_12 Depth=1
	s_or_b32 exec_lo, exec_lo, s29
	v_add_f32_e32 v114, s67, v25
	s_delay_alu instid0(VALU_DEP_1) | instskip(SKIP_1) | instid1(SALU_CYCLE_1)
	v_cmp_ge_f32_e32 vcc_lo, 0x41a00000, v114
	s_and_b32 s28, s80, vcc_lo
	s_and_saveexec_b32 s29, s28
	s_cbranch_execz .LBB146_90
; %bb.89:                               ;   in Loop: Header=BB146_12 Depth=1
	v_mul_f32_e32 v24, 0x3fb8aa3b, v114
	v_cmp_ngt_f32_e32 vcc_lo, 0xc2ce8ed0, v114
	s_delay_alu instid0(VALU_DEP_2) | instskip(SKIP_1) | instid1(VALU_DEP_2)
	v_rndne_f32_e32 v25, v24
	v_fma_f32 v26, 0x3fb8aa3b, v114, -v24
	v_sub_f32_e32 v24, v24, v25
	s_delay_alu instid0(VALU_DEP_2) | instskip(SKIP_1) | instid1(VALU_DEP_2)
	v_fmac_f32_e32 v26, 0x32a5705f, v114
	v_cvt_i32_f32_e32 v25, v25
	v_add_f32_e32 v24, v24, v26
	s_delay_alu instid0(VALU_DEP_1) | instskip(SKIP_2) | instid1(VALU_DEP_1)
	v_exp_f32_e32 v24, v24
	s_waitcnt_depctr 0xfff
	v_ldexp_f32 v24, v24, v25
	v_cndmask_b32_e32 v24, 0, v24, vcc_lo
	v_cmp_nlt_f32_e32 vcc_lo, 0x42b17218, v114
	s_delay_alu instid0(VALU_DEP_2) | instskip(NEXT) | instid1(VALU_DEP_1)
	v_cndmask_b32_e32 v26, 0x7f800000, v24, vcc_lo
	v_add_f32_e32 v27, 1.0, v26
	s_delay_alu instid0(VALU_DEP_1) | instskip(NEXT) | instid1(VALU_DEP_1)
	v_cvt_f64_f32_e32 v[24:25], v27
	v_frexp_exp_i32_f64_e32 v24, v[24:25]
	v_frexp_mant_f32_e32 v25, v27
	s_delay_alu instid0(VALU_DEP_1) | instskip(SKIP_1) | instid1(VALU_DEP_1)
	v_cmp_gt_f32_e32 vcc_lo, 0x3f2aaaab, v25
	v_add_f32_e32 v25, -1.0, v27
	v_sub_f32_e32 v29, v25, v27
	v_sub_f32_e32 v25, v26, v25
	s_delay_alu instid0(VALU_DEP_2) | instskip(NEXT) | instid1(VALU_DEP_1)
	v_add_f32_e32 v29, 1.0, v29
	v_add_f32_e32 v25, v25, v29
	v_cmp_gt_f32_e64 s28, 0x33800000, v26
	v_subrev_co_ci_u32_e32 v24, vcc_lo, 0, v24, vcc_lo
	v_cmp_eq_f32_e32 vcc_lo, 0x7f800000, v26
	s_delay_alu instid0(VALU_DEP_2) | instskip(SKIP_2) | instid1(VALU_DEP_2)
	v_sub_nc_u32_e32 v28, 0, v24
	v_cvt_f32_i32_e32 v24, v24
	s_or_b32 vcc_lo, s28, vcc_lo
	v_ldexp_f32 v27, v27, v28
	v_ldexp_f32 v25, v25, v28
	s_delay_alu instid0(VALU_DEP_2) | instskip(NEXT) | instid1(VALU_DEP_1)
	v_add_f32_e32 v30, 1.0, v27
	v_dual_add_f32 v28, -1.0, v27 :: v_dual_add_f32 v29, -1.0, v30
	s_delay_alu instid0(VALU_DEP_1) | instskip(NEXT) | instid1(VALU_DEP_2)
	v_add_f32_e32 v31, 1.0, v28
	v_sub_f32_e32 v29, v27, v29
	s_delay_alu instid0(VALU_DEP_2) | instskip(NEXT) | instid1(VALU_DEP_2)
	v_sub_f32_e32 v27, v27, v31
	v_add_f32_e32 v29, v25, v29
	s_delay_alu instid0(VALU_DEP_2) | instskip(NEXT) | instid1(VALU_DEP_2)
	v_add_f32_e32 v25, v25, v27
	v_add_f32_e32 v31, v30, v29
	s_delay_alu instid0(VALU_DEP_1) | instskip(NEXT) | instid1(VALU_DEP_2)
	v_rcp_f32_e32 v27, v31
	v_dual_add_f32 v33, v28, v25 :: v_dual_sub_f32 v30, v30, v31
	s_delay_alu instid0(VALU_DEP_1) | instskip(SKIP_3) | instid1(VALU_DEP_2)
	v_sub_f32_e32 v28, v28, v33
	s_waitcnt_depctr 0xfff
	v_mul_f32_e32 v114, v33, v27
	v_add_f32_e32 v25, v25, v28
	v_mul_f32_e32 v115, v31, v114
	v_add_f32_e32 v29, v29, v30
	s_delay_alu instid0(VALU_DEP_2) | instskip(NEXT) | instid1(VALU_DEP_1)
	v_fma_f32 v30, v114, v31, -v115
	v_fmac_f32_e32 v30, v114, v29
	s_delay_alu instid0(VALU_DEP_1) | instskip(NEXT) | instid1(VALU_DEP_1)
	v_add_f32_e32 v116, v115, v30
	v_dual_sub_f32 v28, v116, v115 :: v_dual_sub_f32 v117, v33, v116
	s_delay_alu instid0(VALU_DEP_1) | instskip(NEXT) | instid1(VALU_DEP_1)
	v_dual_sub_f32 v28, v28, v30 :: v_dual_sub_f32 v33, v33, v117
	v_sub_f32_e32 v33, v33, v116
	s_delay_alu instid0(VALU_DEP_1) | instskip(NEXT) | instid1(VALU_DEP_1)
	v_add_f32_e32 v25, v25, v33
	v_add_f32_e32 v25, v28, v25
	s_delay_alu instid0(VALU_DEP_1) | instskip(NEXT) | instid1(VALU_DEP_1)
	v_add_f32_e32 v28, v117, v25
	v_sub_f32_e32 v116, v117, v28
	v_mul_f32_e32 v30, v27, v28
	s_delay_alu instid0(VALU_DEP_2) | instskip(NEXT) | instid1(VALU_DEP_2)
	v_add_f32_e32 v25, v25, v116
	v_mul_f32_e32 v33, v31, v30
	s_delay_alu instid0(VALU_DEP_1) | instskip(NEXT) | instid1(VALU_DEP_1)
	v_fma_f32 v31, v30, v31, -v33
	v_fmac_f32_e32 v31, v30, v29
	s_delay_alu instid0(VALU_DEP_1) | instskip(NEXT) | instid1(VALU_DEP_1)
	v_add_f32_e32 v29, v33, v31
	v_sub_f32_e32 v115, v28, v29
	s_delay_alu instid0(VALU_DEP_1) | instskip(NEXT) | instid1(VALU_DEP_1)
	v_dual_sub_f32 v33, v29, v33 :: v_dual_sub_f32 v28, v28, v115
	v_dual_sub_f32 v28, v28, v29 :: v_dual_sub_f32 v29, v33, v31
	s_delay_alu instid0(VALU_DEP_1) | instskip(NEXT) | instid1(VALU_DEP_1)
	v_dual_add_f32 v25, v25, v28 :: v_dual_add_f32 v28, v114, v30
	v_add_f32_e32 v25, v29, v25
	s_delay_alu instid0(VALU_DEP_2) | instskip(NEXT) | instid1(VALU_DEP_2)
	v_sub_f32_e32 v29, v28, v114
	v_add_f32_e32 v25, v115, v25
	s_delay_alu instid0(VALU_DEP_2) | instskip(NEXT) | instid1(VALU_DEP_2)
	v_sub_f32_e32 v29, v30, v29
	v_mul_f32_e32 v25, v27, v25
	s_delay_alu instid0(VALU_DEP_1) | instskip(NEXT) | instid1(VALU_DEP_1)
	v_add_f32_e32 v25, v29, v25
	v_add_f32_e32 v27, v28, v25
	s_delay_alu instid0(VALU_DEP_1) | instskip(NEXT) | instid1(VALU_DEP_1)
	v_mul_f32_e32 v29, v27, v27
	v_fmaak_f32 v30, s84, v29, 0x3ecc95a3
	v_mul_f32_e32 v31, v27, v29
	s_delay_alu instid0(VALU_DEP_2) | instskip(SKIP_2) | instid1(VALU_DEP_3)
	v_fmaak_f32 v29, v29, v30, 0x3f2aaada
	v_ldexp_f32 v30, v27, 1
	v_sub_f32_e32 v27, v27, v28
	v_mul_f32_e32 v29, v31, v29
	v_mul_f32_e32 v31, 0x3f317218, v24
	s_delay_alu instid0(VALU_DEP_2) | instskip(NEXT) | instid1(VALU_DEP_1)
	v_dual_sub_f32 v25, v25, v27 :: v_dual_add_f32 v28, v30, v29
	v_ldexp_f32 v25, v25, 1
	s_delay_alu instid0(VALU_DEP_2) | instskip(NEXT) | instid1(VALU_DEP_4)
	v_sub_f32_e32 v27, v28, v30
	v_fma_f32 v30, 0x3f317218, v24, -v31
	s_delay_alu instid0(VALU_DEP_1) | instskip(NEXT) | instid1(VALU_DEP_1)
	v_dual_sub_f32 v27, v29, v27 :: v_dual_fmac_f32 v30, 0xb102e308, v24
	v_dual_add_f32 v24, v25, v27 :: v_dual_add_f32 v25, v31, v30
	s_delay_alu instid0(VALU_DEP_1) | instskip(NEXT) | instid1(VALU_DEP_2)
	v_add_f32_e32 v27, v28, v24
	v_sub_f32_e32 v31, v25, v31
	s_delay_alu instid0(VALU_DEP_2) | instskip(NEXT) | instid1(VALU_DEP_1)
	v_dual_add_f32 v29, v25, v27 :: v_dual_sub_f32 v28, v27, v28
	v_dual_sub_f32 v30, v30, v31 :: v_dual_sub_f32 v33, v29, v25
	s_delay_alu instid0(VALU_DEP_2) | instskip(NEXT) | instid1(VALU_DEP_2)
	v_sub_f32_e32 v24, v24, v28
	v_sub_f32_e32 v114, v29, v33
	s_delay_alu instid0(VALU_DEP_2) | instskip(NEXT) | instid1(VALU_DEP_2)
	v_dual_sub_f32 v27, v27, v33 :: v_dual_add_f32 v28, v30, v24
	v_sub_f32_e32 v25, v25, v114
	s_delay_alu instid0(VALU_DEP_1) | instskip(NEXT) | instid1(VALU_DEP_3)
	v_add_f32_e32 v25, v27, v25
	v_sub_f32_e32 v27, v28, v30
	s_delay_alu instid0(VALU_DEP_2) | instskip(NEXT) | instid1(VALU_DEP_2)
	v_add_f32_e32 v25, v28, v25
	v_sub_f32_e32 v28, v28, v27
	s_delay_alu instid0(VALU_DEP_2) | instskip(NEXT) | instid1(VALU_DEP_1)
	v_dual_sub_f32 v24, v24, v27 :: v_dual_add_f32 v31, v29, v25
	v_dual_sub_f32 v28, v30, v28 :: v_dual_sub_f32 v27, v31, v29
	s_delay_alu instid0(VALU_DEP_1) | instskip(NEXT) | instid1(VALU_DEP_1)
	v_dual_add_f32 v24, v24, v28 :: v_dual_sub_f32 v25, v25, v27
	v_add_f32_e32 v24, v24, v25
	s_delay_alu instid0(VALU_DEP_1) | instskip(NEXT) | instid1(VALU_DEP_1)
	v_add_f32_e32 v24, v31, v24
	v_cndmask_b32_e32 v114, v24, v26, vcc_lo
.LBB146_90:                             ;   in Loop: Header=BB146_12 Depth=1
	s_or_b32 exec_lo, exec_lo, s29
	s_waitcnt lgkmcnt(3)
	v_add_f32_e32 v115, s67, v22
	s_delay_alu instid0(VALU_DEP_1) | instskip(SKIP_1) | instid1(SALU_CYCLE_1)
	v_cmp_ge_f32_e32 vcc_lo, 0x41a00000, v115
	s_and_b32 s28, s80, vcc_lo
	s_and_saveexec_b32 s29, s28
	s_cbranch_execz .LBB146_92
; %bb.91:                               ;   in Loop: Header=BB146_12 Depth=1
	v_mul_f32_e32 v22, 0x3fb8aa3b, v115
	v_cmp_ngt_f32_e32 vcc_lo, 0xc2ce8ed0, v115
	s_delay_alu instid0(VALU_DEP_2) | instskip(SKIP_1) | instid1(VALU_DEP_1)
	v_rndne_f32_e32 v24, v22
	v_fma_f32 v25, 0x3fb8aa3b, v115, -v22
	v_dual_sub_f32 v22, v22, v24 :: v_dual_fmac_f32 v25, 0x32a5705f, v115
	v_cvt_i32_f32_e32 v24, v24
	s_delay_alu instid0(VALU_DEP_2) | instskip(NEXT) | instid1(VALU_DEP_1)
	v_add_f32_e32 v22, v22, v25
	v_exp_f32_e32 v22, v22
	s_waitcnt_depctr 0xfff
	v_ldexp_f32 v22, v22, v24
	s_delay_alu instid0(VALU_DEP_1) | instskip(SKIP_1) | instid1(VALU_DEP_2)
	v_cndmask_b32_e32 v22, 0, v22, vcc_lo
	v_cmp_nlt_f32_e32 vcc_lo, 0x42b17218, v115
	v_cndmask_b32_e32 v22, 0x7f800000, v22, vcc_lo
	s_delay_alu instid0(VALU_DEP_1) | instskip(NEXT) | instid1(VALU_DEP_1)
	v_add_f32_e32 v26, 1.0, v22
	v_cvt_f64_f32_e32 v[24:25], v26
	s_delay_alu instid0(VALU_DEP_1) | instskip(SKIP_1) | instid1(VALU_DEP_1)
	v_frexp_exp_i32_f64_e32 v24, v[24:25]
	v_frexp_mant_f32_e32 v25, v26
	v_cmp_gt_f32_e32 vcc_lo, 0x3f2aaaab, v25
	v_add_f32_e32 v25, -1.0, v26
	s_delay_alu instid0(VALU_DEP_1) | instskip(SKIP_1) | instid1(VALU_DEP_1)
	v_dual_sub_f32 v28, v25, v26 :: v_dual_sub_f32 v25, v22, v25
	v_subrev_co_ci_u32_e32 v24, vcc_lo, 0, v24, vcc_lo
	v_sub_nc_u32_e32 v27, 0, v24
	v_cvt_f32_i32_e32 v24, v24
	s_delay_alu instid0(VALU_DEP_2) | instskip(NEXT) | instid1(VALU_DEP_1)
	v_ldexp_f32 v26, v26, v27
	v_dual_add_f32 v28, 1.0, v28 :: v_dual_add_f32 v29, 1.0, v26
	s_delay_alu instid0(VALU_DEP_1) | instskip(NEXT) | instid1(VALU_DEP_1)
	v_add_f32_e32 v25, v25, v28
	v_ldexp_f32 v25, v25, v27
	s_delay_alu instid0(VALU_DEP_3) | instskip(NEXT) | instid1(VALU_DEP_1)
	v_dual_add_f32 v27, -1.0, v26 :: v_dual_add_f32 v28, -1.0, v29
	v_add_f32_e32 v30, 1.0, v27
	s_delay_alu instid0(VALU_DEP_2) | instskip(NEXT) | instid1(VALU_DEP_2)
	v_sub_f32_e32 v28, v26, v28
	v_sub_f32_e32 v26, v26, v30
	s_delay_alu instid0(VALU_DEP_2) | instskip(NEXT) | instid1(VALU_DEP_2)
	v_add_f32_e32 v28, v25, v28
	v_add_f32_e32 v25, v25, v26
	s_delay_alu instid0(VALU_DEP_1) | instskip(SKIP_2) | instid1(VALU_DEP_3)
	v_add_f32_e32 v31, v27, v25
	v_cmp_eq_f32_e32 vcc_lo, 0x7f800000, v22
	v_cmp_gt_f32_e64 s28, 0x33800000, v22
	v_dual_sub_f32 v27, v27, v31 :: v_dual_add_f32 v30, v29, v28
	s_delay_alu instid0(VALU_DEP_2) | instskip(NEXT) | instid1(VALU_DEP_1)
	s_or_b32 vcc_lo, s28, vcc_lo
	v_add_f32_e32 v25, v25, v27
	s_delay_alu instid0(VALU_DEP_2) | instskip(SKIP_3) | instid1(VALU_DEP_2)
	v_rcp_f32_e32 v26, v30
	s_waitcnt_depctr 0xfff
	v_mul_f32_e32 v33, v31, v26
	v_sub_f32_e32 v29, v29, v30
	v_mul_f32_e32 v115, v30, v33
	s_delay_alu instid0(VALU_DEP_2) | instskip(NEXT) | instid1(VALU_DEP_2)
	v_add_f32_e32 v28, v28, v29
	v_fma_f32 v29, v33, v30, -v115
	s_delay_alu instid0(VALU_DEP_1) | instskip(NEXT) | instid1(VALU_DEP_1)
	v_fmac_f32_e32 v29, v33, v28
	v_add_f32_e32 v116, v115, v29
	s_delay_alu instid0(VALU_DEP_1) | instskip(NEXT) | instid1(VALU_DEP_1)
	v_sub_f32_e32 v117, v31, v116
	v_sub_f32_e32 v31, v31, v117
	s_delay_alu instid0(VALU_DEP_1) | instskip(NEXT) | instid1(VALU_DEP_1)
	v_sub_f32_e32 v31, v31, v116
	v_add_f32_e32 v25, v25, v31
	v_sub_f32_e32 v27, v116, v115
	s_delay_alu instid0(VALU_DEP_1) | instskip(NEXT) | instid1(VALU_DEP_1)
	v_sub_f32_e32 v27, v27, v29
	v_add_f32_e32 v25, v27, v25
	s_delay_alu instid0(VALU_DEP_1) | instskip(NEXT) | instid1(VALU_DEP_1)
	v_add_f32_e32 v27, v117, v25
	v_mul_f32_e32 v29, v26, v27
	s_delay_alu instid0(VALU_DEP_1) | instskip(NEXT) | instid1(VALU_DEP_1)
	v_mul_f32_e32 v31, v30, v29
	v_fma_f32 v30, v29, v30, -v31
	s_delay_alu instid0(VALU_DEP_1) | instskip(NEXT) | instid1(VALU_DEP_1)
	v_fmac_f32_e32 v30, v29, v28
	v_add_f32_e32 v28, v31, v30
	s_delay_alu instid0(VALU_DEP_1) | instskip(NEXT) | instid1(VALU_DEP_1)
	v_dual_sub_f32 v116, v117, v27 :: v_dual_sub_f32 v115, v27, v28
	v_add_f32_e32 v25, v25, v116
	v_sub_f32_e32 v31, v28, v31
	s_delay_alu instid0(VALU_DEP_3) | instskip(NEXT) | instid1(VALU_DEP_1)
	v_sub_f32_e32 v27, v27, v115
	v_sub_f32_e32 v27, v27, v28
	s_delay_alu instid0(VALU_DEP_1) | instskip(SKIP_1) | instid1(VALU_DEP_2)
	v_dual_sub_f32 v28, v31, v30 :: v_dual_add_f32 v25, v25, v27
	v_add_f32_e32 v27, v33, v29
	v_add_f32_e32 v25, v28, v25
	s_delay_alu instid0(VALU_DEP_2) | instskip(NEXT) | instid1(VALU_DEP_1)
	v_sub_f32_e32 v28, v27, v33
	v_dual_add_f32 v25, v115, v25 :: v_dual_sub_f32 v28, v29, v28
	s_delay_alu instid0(VALU_DEP_1) | instskip(NEXT) | instid1(VALU_DEP_1)
	v_mul_f32_e32 v25, v26, v25
	v_add_f32_e32 v25, v28, v25
	s_delay_alu instid0(VALU_DEP_1) | instskip(NEXT) | instid1(VALU_DEP_1)
	v_add_f32_e32 v26, v27, v25
	v_mul_f32_e32 v28, v26, v26
	s_delay_alu instid0(VALU_DEP_1) | instskip(SKIP_1) | instid1(VALU_DEP_2)
	v_fmaak_f32 v29, s84, v28, 0x3ecc95a3
	v_mul_f32_e32 v30, v26, v28
	v_fmaak_f32 v28, v28, v29, 0x3f2aaada
	v_ldexp_f32 v29, v26, 1
	v_sub_f32_e32 v26, v26, v27
	s_delay_alu instid0(VALU_DEP_3) | instskip(SKIP_1) | instid1(VALU_DEP_2)
	v_mul_f32_e32 v28, v30, v28
	v_mul_f32_e32 v30, 0x3f317218, v24
	v_add_f32_e32 v27, v29, v28
	s_delay_alu instid0(VALU_DEP_1) | instskip(NEXT) | instid1(VALU_DEP_3)
	v_dual_sub_f32 v25, v25, v26 :: v_dual_sub_f32 v26, v27, v29
	v_fma_f32 v29, 0x3f317218, v24, -v30
	s_delay_alu instid0(VALU_DEP_2) | instskip(NEXT) | instid1(VALU_DEP_2)
	v_ldexp_f32 v25, v25, 1
	v_dual_sub_f32 v26, v28, v26 :: v_dual_fmac_f32 v29, 0xb102e308, v24
	s_delay_alu instid0(VALU_DEP_1) | instskip(NEXT) | instid1(VALU_DEP_1)
	v_dual_add_f32 v24, v25, v26 :: v_dual_add_f32 v25, v30, v29
	v_add_f32_e32 v26, v27, v24
	s_delay_alu instid0(VALU_DEP_2) | instskip(NEXT) | instid1(VALU_DEP_2)
	v_sub_f32_e32 v30, v25, v30
	v_dual_add_f32 v28, v25, v26 :: v_dual_sub_f32 v27, v26, v27
	s_delay_alu instid0(VALU_DEP_2) | instskip(NEXT) | instid1(VALU_DEP_2)
	v_sub_f32_e32 v29, v29, v30
	v_sub_f32_e32 v31, v28, v25
	s_delay_alu instid0(VALU_DEP_3) | instskip(NEXT) | instid1(VALU_DEP_1)
	v_sub_f32_e32 v24, v24, v27
	v_dual_sub_f32 v26, v26, v31 :: v_dual_add_f32 v27, v29, v24
	v_sub_f32_e32 v33, v28, v31
	s_delay_alu instid0(VALU_DEP_1) | instskip(NEXT) | instid1(VALU_DEP_1)
	v_sub_f32_e32 v25, v25, v33
	v_add_f32_e32 v25, v26, v25
	s_delay_alu instid0(VALU_DEP_4) | instskip(NEXT) | instid1(VALU_DEP_2)
	v_sub_f32_e32 v26, v27, v29
	v_add_f32_e32 v25, v27, v25
	s_delay_alu instid0(VALU_DEP_2) | instskip(SKIP_1) | instid1(VALU_DEP_2)
	v_sub_f32_e32 v27, v27, v26
	v_sub_f32_e32 v24, v24, v26
	v_dual_add_f32 v30, v28, v25 :: v_dual_sub_f32 v27, v29, v27
	s_delay_alu instid0(VALU_DEP_1) | instskip(NEXT) | instid1(VALU_DEP_1)
	v_sub_f32_e32 v26, v30, v28
	v_dual_add_f32 v24, v24, v27 :: v_dual_sub_f32 v25, v25, v26
	s_delay_alu instid0(VALU_DEP_1) | instskip(NEXT) | instid1(VALU_DEP_1)
	v_add_f32_e32 v24, v24, v25
	v_add_f32_e32 v24, v30, v24
	s_delay_alu instid0(VALU_DEP_1)
	v_cndmask_b32_e32 v115, v24, v22, vcc_lo
.LBB146_92:                             ;   in Loop: Header=BB146_12 Depth=1
	s_or_b32 exec_lo, exec_lo, s29
	v_add_f32_e32 v116, s67, v23
	s_delay_alu instid0(VALU_DEP_1) | instskip(SKIP_1) | instid1(SALU_CYCLE_1)
	v_cmp_ge_f32_e32 vcc_lo, 0x41a00000, v116
	s_and_b32 s28, s80, vcc_lo
	s_and_saveexec_b32 s29, s28
	s_cbranch_execz .LBB146_94
; %bb.93:                               ;   in Loop: Header=BB146_12 Depth=1
	v_mul_f32_e32 v22, 0x3fb8aa3b, v116
	v_cmp_ngt_f32_e32 vcc_lo, 0xc2ce8ed0, v116
	s_delay_alu instid0(VALU_DEP_2) | instskip(SKIP_1) | instid1(VALU_DEP_2)
	v_rndne_f32_e32 v23, v22
	v_fma_f32 v24, 0x3fb8aa3b, v116, -v22
	v_sub_f32_e32 v22, v22, v23
	s_delay_alu instid0(VALU_DEP_2) | instskip(SKIP_1) | instid1(VALU_DEP_2)
	v_fmac_f32_e32 v24, 0x32a5705f, v116
	v_cvt_i32_f32_e32 v23, v23
	v_add_f32_e32 v22, v22, v24
	s_delay_alu instid0(VALU_DEP_1) | instskip(SKIP_2) | instid1(VALU_DEP_1)
	v_exp_f32_e32 v22, v22
	s_waitcnt_depctr 0xfff
	v_ldexp_f32 v22, v22, v23
	v_cndmask_b32_e32 v22, 0, v22, vcc_lo
	v_cmp_nlt_f32_e32 vcc_lo, 0x42b17218, v116
	s_delay_alu instid0(VALU_DEP_2) | instskip(NEXT) | instid1(VALU_DEP_1)
	v_cndmask_b32_e32 v24, 0x7f800000, v22, vcc_lo
	v_add_f32_e32 v25, 1.0, v24
	s_delay_alu instid0(VALU_DEP_1) | instskip(NEXT) | instid1(VALU_DEP_1)
	v_cvt_f64_f32_e32 v[22:23], v25
	v_frexp_exp_i32_f64_e32 v22, v[22:23]
	v_frexp_mant_f32_e32 v23, v25
	s_delay_alu instid0(VALU_DEP_1) | instskip(SKIP_1) | instid1(VALU_DEP_1)
	v_cmp_gt_f32_e32 vcc_lo, 0x3f2aaaab, v23
	v_add_f32_e32 v23, -1.0, v25
	v_sub_f32_e32 v27, v23, v25
	v_sub_f32_e32 v23, v24, v23
	s_delay_alu instid0(VALU_DEP_2) | instskip(NEXT) | instid1(VALU_DEP_1)
	v_add_f32_e32 v27, 1.0, v27
	v_add_f32_e32 v23, v23, v27
	v_cmp_gt_f32_e64 s28, 0x33800000, v24
	v_subrev_co_ci_u32_e32 v22, vcc_lo, 0, v22, vcc_lo
	v_cmp_eq_f32_e32 vcc_lo, 0x7f800000, v24
	s_delay_alu instid0(VALU_DEP_2) | instskip(SKIP_2) | instid1(VALU_DEP_2)
	v_sub_nc_u32_e32 v26, 0, v22
	v_cvt_f32_i32_e32 v22, v22
	s_or_b32 vcc_lo, s28, vcc_lo
	v_ldexp_f32 v25, v25, v26
	v_ldexp_f32 v23, v23, v26
	s_delay_alu instid0(VALU_DEP_2) | instskip(NEXT) | instid1(VALU_DEP_1)
	v_add_f32_e32 v28, 1.0, v25
	v_dual_add_f32 v26, -1.0, v25 :: v_dual_add_f32 v27, -1.0, v28
	s_delay_alu instid0(VALU_DEP_1) | instskip(NEXT) | instid1(VALU_DEP_2)
	v_add_f32_e32 v29, 1.0, v26
	v_sub_f32_e32 v27, v25, v27
	s_delay_alu instid0(VALU_DEP_2) | instskip(NEXT) | instid1(VALU_DEP_2)
	v_sub_f32_e32 v25, v25, v29
	v_add_f32_e32 v27, v23, v27
	s_delay_alu instid0(VALU_DEP_2) | instskip(NEXT) | instid1(VALU_DEP_2)
	v_add_f32_e32 v23, v23, v25
	v_add_f32_e32 v29, v28, v27
	s_delay_alu instid0(VALU_DEP_2) | instskip(NEXT) | instid1(VALU_DEP_2)
	v_add_f32_e32 v30, v26, v23
	v_rcp_f32_e32 v25, v29
	v_sub_f32_e32 v28, v28, v29
	s_delay_alu instid0(VALU_DEP_2) | instskip(SKIP_2) | instid1(VALU_DEP_1)
	v_sub_f32_e32 v26, v26, v30
	s_waitcnt_depctr 0xfff
	v_mul_f32_e32 v31, v30, v25
	v_mul_f32_e32 v33, v29, v31
	v_add_f32_e32 v27, v27, v28
	s_delay_alu instid0(VALU_DEP_2) | instskip(NEXT) | instid1(VALU_DEP_1)
	v_fma_f32 v28, v31, v29, -v33
	v_fmac_f32_e32 v28, v31, v27
	s_delay_alu instid0(VALU_DEP_1) | instskip(NEXT) | instid1(VALU_DEP_1)
	v_add_f32_e32 v116, v33, v28
	v_sub_f32_e32 v117, v30, v116
	s_delay_alu instid0(VALU_DEP_1) | instskip(SKIP_1) | instid1(VALU_DEP_2)
	v_dual_sub_f32 v30, v30, v117 :: v_dual_add_f32 v23, v23, v26
	v_sub_f32_e32 v26, v116, v33
	v_sub_f32_e32 v30, v30, v116
	s_delay_alu instid0(VALU_DEP_1) | instskip(NEXT) | instid1(VALU_DEP_1)
	v_dual_sub_f32 v26, v26, v28 :: v_dual_add_f32 v23, v23, v30
	v_add_f32_e32 v23, v26, v23
	s_delay_alu instid0(VALU_DEP_1) | instskip(NEXT) | instid1(VALU_DEP_1)
	v_add_f32_e32 v26, v117, v23
	v_mul_f32_e32 v28, v25, v26
	v_sub_f32_e32 v116, v117, v26
	s_delay_alu instid0(VALU_DEP_2) | instskip(NEXT) | instid1(VALU_DEP_2)
	v_mul_f32_e32 v30, v29, v28
	v_add_f32_e32 v23, v23, v116
	s_delay_alu instid0(VALU_DEP_2) | instskip(NEXT) | instid1(VALU_DEP_1)
	v_fma_f32 v29, v28, v29, -v30
	v_fmac_f32_e32 v29, v28, v27
	s_delay_alu instid0(VALU_DEP_1) | instskip(NEXT) | instid1(VALU_DEP_1)
	v_add_f32_e32 v27, v30, v29
	v_sub_f32_e32 v33, v26, v27
	s_delay_alu instid0(VALU_DEP_1) | instskip(NEXT) | instid1(VALU_DEP_1)
	v_sub_f32_e32 v26, v26, v33
	v_sub_f32_e32 v26, v26, v27
	s_delay_alu instid0(VALU_DEP_1) | instskip(SKIP_2) | instid1(VALU_DEP_1)
	v_add_f32_e32 v23, v23, v26
	v_add_f32_e32 v26, v31, v28
	v_sub_f32_e32 v30, v27, v30
	v_sub_f32_e32 v27, v30, v29
	s_delay_alu instid0(VALU_DEP_1) | instskip(NEXT) | instid1(VALU_DEP_4)
	v_add_f32_e32 v23, v27, v23
	v_sub_f32_e32 v27, v26, v31
	s_delay_alu instid0(VALU_DEP_2) | instskip(NEXT) | instid1(VALU_DEP_2)
	v_add_f32_e32 v23, v33, v23
	v_sub_f32_e32 v27, v28, v27
	s_delay_alu instid0(VALU_DEP_2) | instskip(NEXT) | instid1(VALU_DEP_1)
	v_mul_f32_e32 v23, v25, v23
	v_add_f32_e32 v23, v27, v23
	s_delay_alu instid0(VALU_DEP_1) | instskip(NEXT) | instid1(VALU_DEP_1)
	v_add_f32_e32 v25, v26, v23
	v_mul_f32_e32 v27, v25, v25
	s_delay_alu instid0(VALU_DEP_1) | instskip(SKIP_1) | instid1(VALU_DEP_2)
	v_fmaak_f32 v28, s84, v27, 0x3ecc95a3
	v_mul_f32_e32 v29, v25, v27
	v_fmaak_f32 v27, v27, v28, 0x3f2aaada
	v_ldexp_f32 v28, v25, 1
	s_delay_alu instid0(VALU_DEP_2) | instskip(SKIP_1) | instid1(VALU_DEP_2)
	v_mul_f32_e32 v27, v29, v27
	v_sub_f32_e32 v25, v25, v26
	v_dual_mul_f32 v29, 0x3f317218, v22 :: v_dual_add_f32 v26, v28, v27
	s_delay_alu instid0(VALU_DEP_2) | instskip(NEXT) | instid1(VALU_DEP_2)
	v_sub_f32_e32 v23, v23, v25
	v_sub_f32_e32 v25, v26, v28
	s_delay_alu instid0(VALU_DEP_3) | instskip(NEXT) | instid1(VALU_DEP_3)
	v_fma_f32 v28, 0x3f317218, v22, -v29
	v_ldexp_f32 v23, v23, 1
	s_delay_alu instid0(VALU_DEP_2) | instskip(NEXT) | instid1(VALU_DEP_1)
	v_dual_sub_f32 v25, v27, v25 :: v_dual_fmac_f32 v28, 0xb102e308, v22
	v_dual_add_f32 v22, v23, v25 :: v_dual_add_f32 v23, v29, v28
	s_delay_alu instid0(VALU_DEP_1) | instskip(NEXT) | instid1(VALU_DEP_1)
	v_add_f32_e32 v25, v26, v22
	v_dual_add_f32 v27, v23, v25 :: v_dual_sub_f32 v26, v25, v26
	s_delay_alu instid0(VALU_DEP_1) | instskip(NEXT) | instid1(VALU_DEP_2)
	v_sub_f32_e32 v30, v27, v23
	v_dual_sub_f32 v29, v23, v29 :: v_dual_sub_f32 v22, v22, v26
	s_delay_alu instid0(VALU_DEP_1) | instskip(SKIP_1) | instid1(VALU_DEP_2)
	v_dual_sub_f32 v31, v27, v30 :: v_dual_sub_f32 v28, v28, v29
	v_sub_f32_e32 v25, v25, v30
	v_dual_sub_f32 v23, v23, v31 :: v_dual_add_f32 v26, v28, v22
	s_delay_alu instid0(VALU_DEP_1) | instskip(NEXT) | instid1(VALU_DEP_2)
	v_add_f32_e32 v23, v25, v23
	v_sub_f32_e32 v25, v26, v28
	s_delay_alu instid0(VALU_DEP_2) | instskip(NEXT) | instid1(VALU_DEP_2)
	v_add_f32_e32 v23, v26, v23
	v_sub_f32_e32 v26, v26, v25
	s_delay_alu instid0(VALU_DEP_2) | instskip(NEXT) | instid1(VALU_DEP_1)
	v_dual_sub_f32 v22, v22, v25 :: v_dual_add_f32 v29, v27, v23
	v_dual_sub_f32 v26, v28, v26 :: v_dual_sub_f32 v25, v29, v27
	s_delay_alu instid0(VALU_DEP_1) | instskip(NEXT) | instid1(VALU_DEP_1)
	v_dual_add_f32 v22, v22, v26 :: v_dual_sub_f32 v23, v23, v25
	v_add_f32_e32 v22, v22, v23
	s_delay_alu instid0(VALU_DEP_1) | instskip(NEXT) | instid1(VALU_DEP_1)
	v_add_f32_e32 v22, v29, v22
	v_cndmask_b32_e32 v116, v22, v24, vcc_lo
.LBB146_94:                             ;   in Loop: Header=BB146_12 Depth=1
	s_or_b32 exec_lo, exec_lo, s29
	s_waitcnt lgkmcnt(2)
	v_add_f32_e32 v117, s67, v20
	s_delay_alu instid0(VALU_DEP_1) | instskip(SKIP_1) | instid1(SALU_CYCLE_1)
	v_cmp_ge_f32_e32 vcc_lo, 0x41a00000, v117
	s_and_b32 s28, s80, vcc_lo
	s_and_saveexec_b32 s29, s28
	s_cbranch_execz .LBB146_96
; %bb.95:                               ;   in Loop: Header=BB146_12 Depth=1
	v_mul_f32_e32 v20, 0x3fb8aa3b, v117
	v_cmp_ngt_f32_e32 vcc_lo, 0xc2ce8ed0, v117
	s_delay_alu instid0(VALU_DEP_2) | instskip(SKIP_1) | instid1(VALU_DEP_1)
	v_rndne_f32_e32 v22, v20
	v_fma_f32 v23, 0x3fb8aa3b, v117, -v20
	v_dual_sub_f32 v20, v20, v22 :: v_dual_fmac_f32 v23, 0x32a5705f, v117
	v_cvt_i32_f32_e32 v22, v22
	s_delay_alu instid0(VALU_DEP_2) | instskip(NEXT) | instid1(VALU_DEP_1)
	v_add_f32_e32 v20, v20, v23
	v_exp_f32_e32 v20, v20
	s_waitcnt_depctr 0xfff
	v_ldexp_f32 v20, v20, v22
	s_delay_alu instid0(VALU_DEP_1) | instskip(SKIP_1) | instid1(VALU_DEP_2)
	v_cndmask_b32_e32 v20, 0, v20, vcc_lo
	v_cmp_nlt_f32_e32 vcc_lo, 0x42b17218, v117
	v_cndmask_b32_e32 v20, 0x7f800000, v20, vcc_lo
	s_delay_alu instid0(VALU_DEP_1) | instskip(NEXT) | instid1(VALU_DEP_1)
	v_add_f32_e32 v24, 1.0, v20
	v_cvt_f64_f32_e32 v[22:23], v24
	s_delay_alu instid0(VALU_DEP_1) | instskip(SKIP_1) | instid1(VALU_DEP_1)
	v_frexp_exp_i32_f64_e32 v22, v[22:23]
	v_frexp_mant_f32_e32 v23, v24
	v_cmp_gt_f32_e32 vcc_lo, 0x3f2aaaab, v23
	v_add_f32_e32 v23, -1.0, v24
	s_delay_alu instid0(VALU_DEP_1) | instskip(SKIP_1) | instid1(VALU_DEP_1)
	v_dual_sub_f32 v26, v23, v24 :: v_dual_sub_f32 v23, v20, v23
	v_subrev_co_ci_u32_e32 v22, vcc_lo, 0, v22, vcc_lo
	v_sub_nc_u32_e32 v25, 0, v22
	v_cvt_f32_i32_e32 v22, v22
	s_delay_alu instid0(VALU_DEP_2) | instskip(NEXT) | instid1(VALU_DEP_1)
	v_ldexp_f32 v24, v24, v25
	v_dual_add_f32 v26, 1.0, v26 :: v_dual_add_f32 v27, 1.0, v24
	s_delay_alu instid0(VALU_DEP_1) | instskip(NEXT) | instid1(VALU_DEP_1)
	v_add_f32_e32 v23, v23, v26
	v_ldexp_f32 v23, v23, v25
	s_delay_alu instid0(VALU_DEP_3) | instskip(NEXT) | instid1(VALU_DEP_1)
	v_dual_add_f32 v25, -1.0, v24 :: v_dual_add_f32 v26, -1.0, v27
	v_add_f32_e32 v28, 1.0, v25
	s_delay_alu instid0(VALU_DEP_2) | instskip(NEXT) | instid1(VALU_DEP_2)
	v_sub_f32_e32 v26, v24, v26
	v_sub_f32_e32 v24, v24, v28
	s_delay_alu instid0(VALU_DEP_2) | instskip(NEXT) | instid1(VALU_DEP_2)
	v_add_f32_e32 v26, v23, v26
	v_add_f32_e32 v23, v23, v24
	s_delay_alu instid0(VALU_DEP_1) | instskip(SKIP_2) | instid1(VALU_DEP_3)
	v_dual_add_f32 v29, v25, v23 :: v_dual_add_f32 v28, v27, v26
	v_cmp_eq_f32_e32 vcc_lo, 0x7f800000, v20
	v_cmp_gt_f32_e64 s28, 0x33800000, v20
	v_sub_f32_e32 v25, v25, v29
	s_delay_alu instid0(VALU_DEP_4) | instskip(SKIP_1) | instid1(VALU_DEP_3)
	v_rcp_f32_e32 v24, v28
	v_sub_f32_e32 v27, v27, v28
	s_or_b32 vcc_lo, s28, vcc_lo
	s_delay_alu instid0(VALU_DEP_1) | instskip(SKIP_2) | instid1(VALU_DEP_1)
	v_dual_add_f32 v23, v23, v25 :: v_dual_add_f32 v26, v26, v27
	s_waitcnt_depctr 0xfff
	v_mul_f32_e32 v30, v29, v24
	v_mul_f32_e32 v31, v28, v30
	s_delay_alu instid0(VALU_DEP_1) | instskip(NEXT) | instid1(VALU_DEP_1)
	v_fma_f32 v27, v30, v28, -v31
	v_fmac_f32_e32 v27, v30, v26
	s_delay_alu instid0(VALU_DEP_1) | instskip(NEXT) | instid1(VALU_DEP_1)
	v_add_f32_e32 v33, v31, v27
	v_sub_f32_e32 v117, v29, v33
	s_delay_alu instid0(VALU_DEP_1) | instskip(SKIP_1) | instid1(VALU_DEP_2)
	v_sub_f32_e32 v29, v29, v117
	v_sub_f32_e32 v25, v33, v31
	;; [unrolled: 1-line block ×3, first 2 shown]
	s_delay_alu instid0(VALU_DEP_2) | instskip(NEXT) | instid1(VALU_DEP_2)
	v_sub_f32_e32 v25, v25, v27
	v_add_f32_e32 v23, v23, v29
	s_delay_alu instid0(VALU_DEP_1) | instskip(NEXT) | instid1(VALU_DEP_1)
	v_add_f32_e32 v23, v25, v23
	v_add_f32_e32 v25, v117, v23
	s_delay_alu instid0(VALU_DEP_1) | instskip(SKIP_1) | instid1(VALU_DEP_2)
	v_mul_f32_e32 v27, v24, v25
	v_sub_f32_e32 v33, v117, v25
	v_mul_f32_e32 v29, v28, v27
	s_delay_alu instid0(VALU_DEP_2) | instskip(NEXT) | instid1(VALU_DEP_2)
	v_add_f32_e32 v23, v23, v33
	v_fma_f32 v28, v27, v28, -v29
	s_delay_alu instid0(VALU_DEP_1) | instskip(NEXT) | instid1(VALU_DEP_1)
	v_fmac_f32_e32 v28, v27, v26
	v_add_f32_e32 v26, v29, v28
	s_delay_alu instid0(VALU_DEP_1) | instskip(SKIP_1) | instid1(VALU_DEP_2)
	v_sub_f32_e32 v31, v25, v26
	v_sub_f32_e32 v29, v26, v29
	;; [unrolled: 1-line block ×3, first 2 shown]
	s_delay_alu instid0(VALU_DEP_1) | instskip(NEXT) | instid1(VALU_DEP_1)
	v_sub_f32_e32 v25, v25, v26
	v_dual_sub_f32 v26, v29, v28 :: v_dual_add_f32 v23, v23, v25
	v_add_f32_e32 v25, v30, v27
	s_delay_alu instid0(VALU_DEP_1) | instskip(NEXT) | instid1(VALU_DEP_1)
	v_dual_add_f32 v23, v26, v23 :: v_dual_sub_f32 v26, v25, v30
	v_add_f32_e32 v23, v31, v23
	s_delay_alu instid0(VALU_DEP_1) | instskip(NEXT) | instid1(VALU_DEP_1)
	v_dual_sub_f32 v26, v27, v26 :: v_dual_mul_f32 v23, v24, v23
	v_add_f32_e32 v23, v26, v23
	s_delay_alu instid0(VALU_DEP_1) | instskip(NEXT) | instid1(VALU_DEP_1)
	v_add_f32_e32 v24, v25, v23
	v_mul_f32_e32 v26, v24, v24
	s_delay_alu instid0(VALU_DEP_1) | instskip(SKIP_1) | instid1(VALU_DEP_2)
	v_fmaak_f32 v27, s84, v26, 0x3ecc95a3
	v_mul_f32_e32 v28, v24, v26
	v_fmaak_f32 v26, v26, v27, 0x3f2aaada
	v_ldexp_f32 v27, v24, 1
	v_sub_f32_e32 v24, v24, v25
	s_delay_alu instid0(VALU_DEP_3) | instskip(NEXT) | instid1(VALU_DEP_2)
	v_mul_f32_e32 v26, v28, v26
	v_dual_mul_f32 v28, 0x3f317218, v22 :: v_dual_sub_f32 v23, v23, v24
	s_delay_alu instid0(VALU_DEP_2) | instskip(NEXT) | instid1(VALU_DEP_2)
	v_add_f32_e32 v25, v27, v26
	v_ldexp_f32 v23, v23, 1
	s_delay_alu instid0(VALU_DEP_2) | instskip(NEXT) | instid1(VALU_DEP_4)
	v_sub_f32_e32 v24, v25, v27
	v_fma_f32 v27, 0x3f317218, v22, -v28
	s_delay_alu instid0(VALU_DEP_1) | instskip(NEXT) | instid1(VALU_DEP_1)
	v_dual_sub_f32 v24, v26, v24 :: v_dual_fmac_f32 v27, 0xb102e308, v22
	v_dual_add_f32 v22, v23, v24 :: v_dual_add_f32 v23, v28, v27
	s_delay_alu instid0(VALU_DEP_1) | instskip(NEXT) | instid1(VALU_DEP_2)
	v_add_f32_e32 v24, v25, v22
	v_sub_f32_e32 v28, v23, v28
	s_delay_alu instid0(VALU_DEP_2) | instskip(NEXT) | instid1(VALU_DEP_2)
	v_dual_add_f32 v26, v23, v24 :: v_dual_sub_f32 v25, v24, v25
	v_sub_f32_e32 v27, v27, v28
	s_delay_alu instid0(VALU_DEP_2) | instskip(NEXT) | instid1(VALU_DEP_3)
	v_sub_f32_e32 v29, v26, v23
	v_sub_f32_e32 v22, v22, v25
	s_delay_alu instid0(VALU_DEP_2) | instskip(NEXT) | instid1(VALU_DEP_2)
	v_sub_f32_e32 v30, v26, v29
	v_dual_sub_f32 v24, v24, v29 :: v_dual_add_f32 v25, v27, v22
	s_delay_alu instid0(VALU_DEP_2) | instskip(NEXT) | instid1(VALU_DEP_1)
	v_sub_f32_e32 v23, v23, v30
	v_add_f32_e32 v23, v24, v23
	s_delay_alu instid0(VALU_DEP_3) | instskip(NEXT) | instid1(VALU_DEP_2)
	v_sub_f32_e32 v24, v25, v27
	v_add_f32_e32 v23, v25, v23
	s_delay_alu instid0(VALU_DEP_2) | instskip(SKIP_1) | instid1(VALU_DEP_2)
	v_sub_f32_e32 v25, v25, v24
	v_sub_f32_e32 v22, v22, v24
	v_dual_add_f32 v28, v26, v23 :: v_dual_sub_f32 v25, v27, v25
	s_delay_alu instid0(VALU_DEP_1) | instskip(NEXT) | instid1(VALU_DEP_1)
	v_sub_f32_e32 v24, v28, v26
	v_dual_add_f32 v22, v22, v25 :: v_dual_sub_f32 v23, v23, v24
	s_delay_alu instid0(VALU_DEP_1) | instskip(NEXT) | instid1(VALU_DEP_1)
	v_add_f32_e32 v22, v22, v23
	v_add_f32_e32 v22, v28, v22
	s_delay_alu instid0(VALU_DEP_1)
	v_cndmask_b32_e32 v117, v22, v20, vcc_lo
.LBB146_96:                             ;   in Loop: Header=BB146_12 Depth=1
	s_or_b32 exec_lo, exec_lo, s29
	v_add_f32_e32 v118, s67, v21
	s_delay_alu instid0(VALU_DEP_1) | instskip(SKIP_1) | instid1(SALU_CYCLE_1)
	v_cmp_ge_f32_e32 vcc_lo, 0x41a00000, v118
	s_and_b32 s28, s80, vcc_lo
	s_and_saveexec_b32 s29, s28
	s_cbranch_execz .LBB146_98
; %bb.97:                               ;   in Loop: Header=BB146_12 Depth=1
	v_mul_f32_e32 v20, 0x3fb8aa3b, v118
	v_cmp_ngt_f32_e32 vcc_lo, 0xc2ce8ed0, v118
	s_delay_alu instid0(VALU_DEP_2) | instskip(SKIP_1) | instid1(VALU_DEP_2)
	v_rndne_f32_e32 v21, v20
	v_fma_f32 v22, 0x3fb8aa3b, v118, -v20
	v_sub_f32_e32 v20, v20, v21
	s_delay_alu instid0(VALU_DEP_2) | instskip(SKIP_1) | instid1(VALU_DEP_2)
	v_fmac_f32_e32 v22, 0x32a5705f, v118
	v_cvt_i32_f32_e32 v21, v21
	v_add_f32_e32 v20, v20, v22
	s_delay_alu instid0(VALU_DEP_1) | instskip(SKIP_2) | instid1(VALU_DEP_1)
	v_exp_f32_e32 v20, v20
	s_waitcnt_depctr 0xfff
	v_ldexp_f32 v20, v20, v21
	v_cndmask_b32_e32 v20, 0, v20, vcc_lo
	v_cmp_nlt_f32_e32 vcc_lo, 0x42b17218, v118
	s_delay_alu instid0(VALU_DEP_2) | instskip(NEXT) | instid1(VALU_DEP_1)
	v_cndmask_b32_e32 v22, 0x7f800000, v20, vcc_lo
	v_add_f32_e32 v23, 1.0, v22
	s_delay_alu instid0(VALU_DEP_1) | instskip(NEXT) | instid1(VALU_DEP_1)
	v_cvt_f64_f32_e32 v[20:21], v23
	v_frexp_exp_i32_f64_e32 v20, v[20:21]
	v_frexp_mant_f32_e32 v21, v23
	s_delay_alu instid0(VALU_DEP_1) | instskip(SKIP_1) | instid1(VALU_DEP_1)
	v_cmp_gt_f32_e32 vcc_lo, 0x3f2aaaab, v21
	v_add_f32_e32 v21, -1.0, v23
	v_sub_f32_e32 v25, v21, v23
	v_sub_f32_e32 v21, v22, v21
	s_delay_alu instid0(VALU_DEP_2) | instskip(NEXT) | instid1(VALU_DEP_1)
	v_add_f32_e32 v25, 1.0, v25
	v_add_f32_e32 v21, v21, v25
	v_cmp_gt_f32_e64 s28, 0x33800000, v22
	v_subrev_co_ci_u32_e32 v20, vcc_lo, 0, v20, vcc_lo
	v_cmp_eq_f32_e32 vcc_lo, 0x7f800000, v22
	s_delay_alu instid0(VALU_DEP_2) | instskip(SKIP_2) | instid1(VALU_DEP_2)
	v_sub_nc_u32_e32 v24, 0, v20
	v_cvt_f32_i32_e32 v20, v20
	s_or_b32 vcc_lo, s28, vcc_lo
	v_ldexp_f32 v23, v23, v24
	v_ldexp_f32 v21, v21, v24
	s_delay_alu instid0(VALU_DEP_2) | instskip(NEXT) | instid1(VALU_DEP_1)
	v_add_f32_e32 v26, 1.0, v23
	v_dual_add_f32 v24, -1.0, v23 :: v_dual_add_f32 v25, -1.0, v26
	s_delay_alu instid0(VALU_DEP_1) | instskip(NEXT) | instid1(VALU_DEP_2)
	v_add_f32_e32 v27, 1.0, v24
	v_sub_f32_e32 v25, v23, v25
	s_delay_alu instid0(VALU_DEP_2) | instskip(NEXT) | instid1(VALU_DEP_2)
	v_sub_f32_e32 v23, v23, v27
	v_add_f32_e32 v25, v21, v25
	s_delay_alu instid0(VALU_DEP_2) | instskip(NEXT) | instid1(VALU_DEP_1)
	v_add_f32_e32 v21, v21, v23
	v_add_f32_e32 v28, v24, v21
	s_delay_alu instid0(VALU_DEP_1) | instskip(NEXT) | instid1(VALU_DEP_1)
	v_dual_add_f32 v27, v26, v25 :: v_dual_sub_f32 v24, v24, v28
	v_rcp_f32_e32 v23, v27
	v_sub_f32_e32 v26, v26, v27
	s_delay_alu instid0(VALU_DEP_1) | instskip(SKIP_2) | instid1(VALU_DEP_1)
	v_add_f32_e32 v25, v25, v26
	s_waitcnt_depctr 0xfff
	v_mul_f32_e32 v29, v28, v23
	v_mul_f32_e32 v30, v27, v29
	s_delay_alu instid0(VALU_DEP_1) | instskip(NEXT) | instid1(VALU_DEP_1)
	v_fma_f32 v26, v29, v27, -v30
	v_fmac_f32_e32 v26, v29, v25
	s_delay_alu instid0(VALU_DEP_1) | instskip(NEXT) | instid1(VALU_DEP_1)
	v_add_f32_e32 v31, v30, v26
	v_sub_f32_e32 v33, v28, v31
	s_delay_alu instid0(VALU_DEP_1) | instskip(SKIP_1) | instid1(VALU_DEP_2)
	v_dual_sub_f32 v28, v28, v33 :: v_dual_add_f32 v21, v21, v24
	v_sub_f32_e32 v24, v31, v30
	v_sub_f32_e32 v28, v28, v31
	s_delay_alu instid0(VALU_DEP_1) | instskip(NEXT) | instid1(VALU_DEP_1)
	v_dual_sub_f32 v24, v24, v26 :: v_dual_add_f32 v21, v21, v28
	v_add_f32_e32 v21, v24, v21
	s_delay_alu instid0(VALU_DEP_1) | instskip(NEXT) | instid1(VALU_DEP_1)
	v_add_f32_e32 v24, v33, v21
	v_mul_f32_e32 v26, v23, v24
	s_delay_alu instid0(VALU_DEP_1) | instskip(NEXT) | instid1(VALU_DEP_1)
	v_dual_sub_f32 v31, v33, v24 :: v_dual_mul_f32 v28, v27, v26
	v_fma_f32 v27, v26, v27, -v28
	s_delay_alu instid0(VALU_DEP_1) | instskip(NEXT) | instid1(VALU_DEP_1)
	v_fmac_f32_e32 v27, v26, v25
	v_add_f32_e32 v25, v28, v27
	s_delay_alu instid0(VALU_DEP_1) | instskip(NEXT) | instid1(VALU_DEP_1)
	v_sub_f32_e32 v30, v24, v25
	v_dual_sub_f32 v24, v24, v30 :: v_dual_add_f32 v21, v21, v31
	s_delay_alu instid0(VALU_DEP_1) | instskip(NEXT) | instid1(VALU_DEP_1)
	v_sub_f32_e32 v24, v24, v25
	v_add_f32_e32 v21, v21, v24
	v_add_f32_e32 v24, v29, v26
	v_sub_f32_e32 v28, v25, v28
	s_delay_alu instid0(VALU_DEP_1) | instskip(NEXT) | instid1(VALU_DEP_1)
	v_sub_f32_e32 v25, v28, v27
	v_add_f32_e32 v21, v25, v21
	s_delay_alu instid0(VALU_DEP_4) | instskip(NEXT) | instid1(VALU_DEP_2)
	v_sub_f32_e32 v25, v24, v29
	v_add_f32_e32 v21, v30, v21
	s_delay_alu instid0(VALU_DEP_2) | instskip(NEXT) | instid1(VALU_DEP_2)
	v_sub_f32_e32 v25, v26, v25
	v_mul_f32_e32 v21, v23, v21
	s_delay_alu instid0(VALU_DEP_1) | instskip(NEXT) | instid1(VALU_DEP_1)
	v_add_f32_e32 v21, v25, v21
	v_add_f32_e32 v23, v24, v21
	s_delay_alu instid0(VALU_DEP_1) | instskip(NEXT) | instid1(VALU_DEP_1)
	v_mul_f32_e32 v25, v23, v23
	v_fmaak_f32 v26, s84, v25, 0x3ecc95a3
	v_mul_f32_e32 v27, v23, v25
	s_delay_alu instid0(VALU_DEP_2) | instskip(SKIP_1) | instid1(VALU_DEP_2)
	v_fmaak_f32 v25, v25, v26, 0x3f2aaada
	v_ldexp_f32 v26, v23, 1
	v_mul_f32_e32 v25, v27, v25
	v_sub_f32_e32 v23, v23, v24
	s_delay_alu instid0(VALU_DEP_2) | instskip(NEXT) | instid1(VALU_DEP_2)
	v_dual_mul_f32 v27, 0x3f317218, v20 :: v_dual_add_f32 v24, v26, v25
	v_sub_f32_e32 v21, v21, v23
	s_delay_alu instid0(VALU_DEP_2) | instskip(NEXT) | instid1(VALU_DEP_3)
	v_sub_f32_e32 v23, v24, v26
	v_fma_f32 v26, 0x3f317218, v20, -v27
	s_delay_alu instid0(VALU_DEP_3) | instskip(NEXT) | instid1(VALU_DEP_2)
	v_ldexp_f32 v21, v21, 1
	v_dual_sub_f32 v23, v25, v23 :: v_dual_fmac_f32 v26, 0xb102e308, v20
	s_delay_alu instid0(VALU_DEP_1) | instskip(NEXT) | instid1(VALU_DEP_1)
	v_dual_add_f32 v20, v21, v23 :: v_dual_add_f32 v21, v27, v26
	v_add_f32_e32 v23, v24, v20
	s_delay_alu instid0(VALU_DEP_1) | instskip(NEXT) | instid1(VALU_DEP_1)
	v_dual_add_f32 v25, v21, v23 :: v_dual_sub_f32 v24, v23, v24
	v_sub_f32_e32 v28, v25, v21
	s_delay_alu instid0(VALU_DEP_2) | instskip(NEXT) | instid1(VALU_DEP_1)
	v_dual_sub_f32 v27, v21, v27 :: v_dual_sub_f32 v20, v20, v24
	v_dual_sub_f32 v29, v25, v28 :: v_dual_sub_f32 v26, v26, v27
	v_sub_f32_e32 v23, v23, v28
	s_delay_alu instid0(VALU_DEP_2) | instskip(NEXT) | instid1(VALU_DEP_1)
	v_dual_sub_f32 v21, v21, v29 :: v_dual_add_f32 v24, v26, v20
	v_add_f32_e32 v21, v23, v21
	s_delay_alu instid0(VALU_DEP_2) | instskip(NEXT) | instid1(VALU_DEP_2)
	v_sub_f32_e32 v23, v24, v26
	v_add_f32_e32 v21, v24, v21
	s_delay_alu instid0(VALU_DEP_2) | instskip(NEXT) | instid1(VALU_DEP_2)
	v_sub_f32_e32 v24, v24, v23
	v_dual_sub_f32 v20, v20, v23 :: v_dual_add_f32 v27, v25, v21
	s_delay_alu instid0(VALU_DEP_1) | instskip(NEXT) | instid1(VALU_DEP_1)
	v_dual_sub_f32 v24, v26, v24 :: v_dual_sub_f32 v23, v27, v25
	v_dual_add_f32 v20, v20, v24 :: v_dual_sub_f32 v21, v21, v23
	s_delay_alu instid0(VALU_DEP_1) | instskip(NEXT) | instid1(VALU_DEP_1)
	v_add_f32_e32 v20, v20, v21
	v_add_f32_e32 v20, v27, v20
	s_delay_alu instid0(VALU_DEP_1)
	v_cndmask_b32_e32 v118, v20, v22, vcc_lo
.LBB146_98:                             ;   in Loop: Header=BB146_12 Depth=1
	s_or_b32 exec_lo, exec_lo, s29
	s_waitcnt lgkmcnt(1)
	v_add_f32_e32 v119, s67, v18
	s_delay_alu instid0(VALU_DEP_1) | instskip(SKIP_1) | instid1(SALU_CYCLE_1)
	v_cmp_ge_f32_e32 vcc_lo, 0x41a00000, v119
	s_and_b32 s28, s80, vcc_lo
	s_and_saveexec_b32 s29, s28
	s_cbranch_execz .LBB146_100
; %bb.99:                               ;   in Loop: Header=BB146_12 Depth=1
	v_mul_f32_e32 v18, 0x3fb8aa3b, v119
	v_cmp_ngt_f32_e32 vcc_lo, 0xc2ce8ed0, v119
	s_delay_alu instid0(VALU_DEP_2) | instskip(SKIP_1) | instid1(VALU_DEP_1)
	v_rndne_f32_e32 v20, v18
	v_fma_f32 v21, 0x3fb8aa3b, v119, -v18
	v_dual_sub_f32 v18, v18, v20 :: v_dual_fmac_f32 v21, 0x32a5705f, v119
	v_cvt_i32_f32_e32 v20, v20
	s_delay_alu instid0(VALU_DEP_2) | instskip(NEXT) | instid1(VALU_DEP_1)
	v_add_f32_e32 v18, v18, v21
	v_exp_f32_e32 v18, v18
	s_waitcnt_depctr 0xfff
	v_ldexp_f32 v18, v18, v20
	s_delay_alu instid0(VALU_DEP_1) | instskip(SKIP_1) | instid1(VALU_DEP_2)
	v_cndmask_b32_e32 v18, 0, v18, vcc_lo
	v_cmp_nlt_f32_e32 vcc_lo, 0x42b17218, v119
	v_cndmask_b32_e32 v18, 0x7f800000, v18, vcc_lo
	s_delay_alu instid0(VALU_DEP_1) | instskip(NEXT) | instid1(VALU_DEP_1)
	v_add_f32_e32 v22, 1.0, v18
	v_cvt_f64_f32_e32 v[20:21], v22
	s_delay_alu instid0(VALU_DEP_1) | instskip(SKIP_1) | instid1(VALU_DEP_1)
	v_frexp_exp_i32_f64_e32 v20, v[20:21]
	v_frexp_mant_f32_e32 v21, v22
	v_cmp_gt_f32_e32 vcc_lo, 0x3f2aaaab, v21
	v_add_f32_e32 v21, -1.0, v22
	s_delay_alu instid0(VALU_DEP_1) | instskip(SKIP_1) | instid1(VALU_DEP_1)
	v_dual_sub_f32 v24, v21, v22 :: v_dual_sub_f32 v21, v18, v21
	v_subrev_co_ci_u32_e32 v20, vcc_lo, 0, v20, vcc_lo
	v_sub_nc_u32_e32 v23, 0, v20
	v_cvt_f32_i32_e32 v20, v20
	s_delay_alu instid0(VALU_DEP_2) | instskip(NEXT) | instid1(VALU_DEP_1)
	v_ldexp_f32 v22, v22, v23
	v_dual_add_f32 v24, 1.0, v24 :: v_dual_add_f32 v25, 1.0, v22
	s_delay_alu instid0(VALU_DEP_1) | instskip(NEXT) | instid1(VALU_DEP_1)
	v_add_f32_e32 v21, v21, v24
	v_ldexp_f32 v21, v21, v23
	s_delay_alu instid0(VALU_DEP_3) | instskip(NEXT) | instid1(VALU_DEP_1)
	v_dual_add_f32 v23, -1.0, v22 :: v_dual_add_f32 v24, -1.0, v25
	v_add_f32_e32 v26, 1.0, v23
	s_delay_alu instid0(VALU_DEP_2) | instskip(NEXT) | instid1(VALU_DEP_2)
	v_sub_f32_e32 v24, v22, v24
	v_sub_f32_e32 v22, v22, v26
	s_delay_alu instid0(VALU_DEP_2) | instskip(NEXT) | instid1(VALU_DEP_2)
	v_add_f32_e32 v24, v21, v24
	v_add_f32_e32 v21, v21, v22
	s_delay_alu instid0(VALU_DEP_1) | instskip(SKIP_2) | instid1(VALU_DEP_3)
	v_dual_add_f32 v27, v23, v21 :: v_dual_add_f32 v26, v25, v24
	v_cmp_eq_f32_e32 vcc_lo, 0x7f800000, v18
	v_cmp_gt_f32_e64 s28, 0x33800000, v18
	v_sub_f32_e32 v23, v23, v27
	s_delay_alu instid0(VALU_DEP_4) | instskip(SKIP_1) | instid1(VALU_DEP_3)
	v_rcp_f32_e32 v22, v26
	v_sub_f32_e32 v25, v25, v26
	s_or_b32 vcc_lo, s28, vcc_lo
	s_delay_alu instid0(VALU_DEP_1) | instskip(SKIP_2) | instid1(VALU_DEP_1)
	v_dual_add_f32 v21, v21, v23 :: v_dual_add_f32 v24, v24, v25
	s_waitcnt_depctr 0xfff
	v_mul_f32_e32 v28, v27, v22
	v_mul_f32_e32 v29, v26, v28
	s_delay_alu instid0(VALU_DEP_1) | instskip(NEXT) | instid1(VALU_DEP_1)
	v_fma_f32 v25, v28, v26, -v29
	v_fmac_f32_e32 v25, v28, v24
	s_delay_alu instid0(VALU_DEP_1) | instskip(NEXT) | instid1(VALU_DEP_1)
	v_add_f32_e32 v30, v29, v25
	v_sub_f32_e32 v31, v27, v30
	s_delay_alu instid0(VALU_DEP_1) | instskip(NEXT) | instid1(VALU_DEP_1)
	v_sub_f32_e32 v27, v27, v31
	v_sub_f32_e32 v27, v27, v30
	;; [unrolled: 1-line block ×3, first 2 shown]
	s_delay_alu instid0(VALU_DEP_2) | instskip(NEXT) | instid1(VALU_DEP_2)
	v_add_f32_e32 v21, v21, v27
	v_sub_f32_e32 v23, v23, v25
	s_delay_alu instid0(VALU_DEP_1) | instskip(NEXT) | instid1(VALU_DEP_1)
	v_add_f32_e32 v21, v23, v21
	v_add_f32_e32 v23, v31, v21
	s_delay_alu instid0(VALU_DEP_1) | instskip(NEXT) | instid1(VALU_DEP_1)
	v_mul_f32_e32 v25, v22, v23
	v_dual_sub_f32 v30, v31, v23 :: v_dual_mul_f32 v27, v26, v25
	s_delay_alu instid0(VALU_DEP_1) | instskip(NEXT) | instid1(VALU_DEP_2)
	v_add_f32_e32 v21, v21, v30
	v_fma_f32 v26, v25, v26, -v27
	s_delay_alu instid0(VALU_DEP_1) | instskip(NEXT) | instid1(VALU_DEP_1)
	v_fmac_f32_e32 v26, v25, v24
	v_add_f32_e32 v24, v27, v26
	s_delay_alu instid0(VALU_DEP_1) | instskip(NEXT) | instid1(VALU_DEP_1)
	v_sub_f32_e32 v29, v23, v24
	v_sub_f32_e32 v23, v23, v29
	s_delay_alu instid0(VALU_DEP_1) | instskip(NEXT) | instid1(VALU_DEP_1)
	v_sub_f32_e32 v23, v23, v24
	v_add_f32_e32 v21, v21, v23
	v_add_f32_e32 v23, v28, v25
	v_sub_f32_e32 v27, v24, v27
	s_delay_alu instid0(VALU_DEP_1) | instskip(NEXT) | instid1(VALU_DEP_1)
	v_sub_f32_e32 v24, v27, v26
	v_dual_add_f32 v21, v24, v21 :: v_dual_sub_f32 v24, v23, v28
	s_delay_alu instid0(VALU_DEP_1) | instskip(NEXT) | instid1(VALU_DEP_1)
	v_add_f32_e32 v21, v29, v21
	v_dual_sub_f32 v24, v25, v24 :: v_dual_mul_f32 v21, v22, v21
	s_delay_alu instid0(VALU_DEP_1) | instskip(NEXT) | instid1(VALU_DEP_1)
	v_add_f32_e32 v21, v24, v21
	v_add_f32_e32 v22, v23, v21
	s_delay_alu instid0(VALU_DEP_1) | instskip(NEXT) | instid1(VALU_DEP_1)
	v_mul_f32_e32 v24, v22, v22
	v_fmaak_f32 v25, s84, v24, 0x3ecc95a3
	v_mul_f32_e32 v26, v22, v24
	s_delay_alu instid0(VALU_DEP_2) | instskip(SKIP_2) | instid1(VALU_DEP_3)
	v_fmaak_f32 v24, v24, v25, 0x3f2aaada
	v_ldexp_f32 v25, v22, 1
	v_sub_f32_e32 v22, v22, v23
	v_mul_f32_e32 v24, v26, v24
	v_mul_f32_e32 v26, 0x3f317218, v20
	s_delay_alu instid0(VALU_DEP_2) | instskip(NEXT) | instid1(VALU_DEP_1)
	v_add_f32_e32 v23, v25, v24
	v_dual_sub_f32 v21, v21, v22 :: v_dual_sub_f32 v22, v23, v25
	s_delay_alu instid0(VALU_DEP_3) | instskip(NEXT) | instid1(VALU_DEP_2)
	v_fma_f32 v25, 0x3f317218, v20, -v26
	v_ldexp_f32 v21, v21, 1
	s_delay_alu instid0(VALU_DEP_2) | instskip(NEXT) | instid1(VALU_DEP_1)
	v_dual_sub_f32 v22, v24, v22 :: v_dual_fmac_f32 v25, 0xb102e308, v20
	v_dual_add_f32 v20, v21, v22 :: v_dual_add_f32 v21, v26, v25
	s_delay_alu instid0(VALU_DEP_1) | instskip(NEXT) | instid1(VALU_DEP_1)
	v_add_f32_e32 v22, v23, v20
	v_add_f32_e32 v24, v21, v22
	s_delay_alu instid0(VALU_DEP_1) | instskip(NEXT) | instid1(VALU_DEP_1)
	v_sub_f32_e32 v27, v24, v21
	v_sub_f32_e32 v28, v24, v27
	;; [unrolled: 1-line block ×4, first 2 shown]
	s_delay_alu instid0(VALU_DEP_2) | instskip(SKIP_1) | instid1(VALU_DEP_1)
	v_sub_f32_e32 v20, v20, v23
	v_sub_f32_e32 v26, v21, v26
	;; [unrolled: 1-line block ×3, first 2 shown]
	s_delay_alu instid0(VALU_DEP_1) | instskip(SKIP_1) | instid1(VALU_DEP_1)
	v_add_f32_e32 v23, v25, v20
	v_sub_f32_e32 v21, v21, v28
	v_add_f32_e32 v21, v22, v21
	s_delay_alu instid0(VALU_DEP_3) | instskip(NEXT) | instid1(VALU_DEP_1)
	v_sub_f32_e32 v22, v23, v25
	v_dual_sub_f32 v20, v20, v22 :: v_dual_add_f32 v21, v23, v21
	s_delay_alu instid0(VALU_DEP_1) | instskip(NEXT) | instid1(VALU_DEP_1)
	v_dual_sub_f32 v23, v23, v22 :: v_dual_add_f32 v26, v24, v21
	v_dual_sub_f32 v23, v25, v23 :: v_dual_sub_f32 v22, v26, v24
	s_delay_alu instid0(VALU_DEP_1) | instskip(NEXT) | instid1(VALU_DEP_1)
	v_dual_add_f32 v20, v20, v23 :: v_dual_sub_f32 v21, v21, v22
	v_add_f32_e32 v20, v20, v21
	s_delay_alu instid0(VALU_DEP_1) | instskip(NEXT) | instid1(VALU_DEP_1)
	v_add_f32_e32 v20, v26, v20
	v_cndmask_b32_e32 v119, v20, v18, vcc_lo
.LBB146_100:                            ;   in Loop: Header=BB146_12 Depth=1
	s_or_b32 exec_lo, exec_lo, s29
	v_add_f32_e32 v120, s67, v19
	s_delay_alu instid0(VALU_DEP_1) | instskip(SKIP_1) | instid1(SALU_CYCLE_1)
	v_cmp_ge_f32_e32 vcc_lo, 0x41a00000, v120
	s_and_b32 s28, s80, vcc_lo
	s_and_saveexec_b32 s29, s28
	s_cbranch_execz .LBB146_102
; %bb.101:                              ;   in Loop: Header=BB146_12 Depth=1
	v_mul_f32_e32 v18, 0x3fb8aa3b, v120
	v_cmp_ngt_f32_e32 vcc_lo, 0xc2ce8ed0, v120
	s_delay_alu instid0(VALU_DEP_2) | instskip(SKIP_1) | instid1(VALU_DEP_2)
	v_rndne_f32_e32 v19, v18
	v_fma_f32 v20, 0x3fb8aa3b, v120, -v18
	v_sub_f32_e32 v18, v18, v19
	s_delay_alu instid0(VALU_DEP_2) | instskip(SKIP_1) | instid1(VALU_DEP_2)
	v_fmac_f32_e32 v20, 0x32a5705f, v120
	v_cvt_i32_f32_e32 v19, v19
	v_add_f32_e32 v18, v18, v20
	s_delay_alu instid0(VALU_DEP_1) | instskip(SKIP_2) | instid1(VALU_DEP_1)
	v_exp_f32_e32 v18, v18
	s_waitcnt_depctr 0xfff
	v_ldexp_f32 v18, v18, v19
	v_cndmask_b32_e32 v18, 0, v18, vcc_lo
	v_cmp_nlt_f32_e32 vcc_lo, 0x42b17218, v120
	s_delay_alu instid0(VALU_DEP_2) | instskip(NEXT) | instid1(VALU_DEP_1)
	v_cndmask_b32_e32 v20, 0x7f800000, v18, vcc_lo
	v_add_f32_e32 v21, 1.0, v20
	s_delay_alu instid0(VALU_DEP_1) | instskip(NEXT) | instid1(VALU_DEP_1)
	v_cvt_f64_f32_e32 v[18:19], v21
	v_frexp_exp_i32_f64_e32 v18, v[18:19]
	v_frexp_mant_f32_e32 v19, v21
	s_delay_alu instid0(VALU_DEP_1) | instskip(SKIP_1) | instid1(VALU_DEP_1)
	v_cmp_gt_f32_e32 vcc_lo, 0x3f2aaaab, v19
	v_add_f32_e32 v19, -1.0, v21
	v_sub_f32_e32 v23, v19, v21
	v_sub_f32_e32 v19, v20, v19
	s_delay_alu instid0(VALU_DEP_2) | instskip(NEXT) | instid1(VALU_DEP_1)
	v_add_f32_e32 v23, 1.0, v23
	v_add_f32_e32 v19, v19, v23
	v_cmp_gt_f32_e64 s28, 0x33800000, v20
	v_subrev_co_ci_u32_e32 v18, vcc_lo, 0, v18, vcc_lo
	v_cmp_eq_f32_e32 vcc_lo, 0x7f800000, v20
	s_delay_alu instid0(VALU_DEP_2) | instskip(SKIP_2) | instid1(VALU_DEP_2)
	v_sub_nc_u32_e32 v22, 0, v18
	v_cvt_f32_i32_e32 v18, v18
	s_or_b32 vcc_lo, s28, vcc_lo
	v_ldexp_f32 v21, v21, v22
	v_ldexp_f32 v19, v19, v22
	s_delay_alu instid0(VALU_DEP_2) | instskip(NEXT) | instid1(VALU_DEP_1)
	v_add_f32_e32 v24, 1.0, v21
	v_dual_add_f32 v22, -1.0, v21 :: v_dual_add_f32 v23, -1.0, v24
	s_delay_alu instid0(VALU_DEP_1) | instskip(NEXT) | instid1(VALU_DEP_2)
	v_add_f32_e32 v25, 1.0, v22
	v_sub_f32_e32 v23, v21, v23
	s_delay_alu instid0(VALU_DEP_2) | instskip(NEXT) | instid1(VALU_DEP_2)
	v_sub_f32_e32 v21, v21, v25
	v_add_f32_e32 v23, v19, v23
	s_delay_alu instid0(VALU_DEP_2) | instskip(NEXT) | instid1(VALU_DEP_1)
	v_add_f32_e32 v19, v19, v21
	v_add_f32_e32 v26, v22, v19
	s_delay_alu instid0(VALU_DEP_1) | instskip(NEXT) | instid1(VALU_DEP_1)
	v_dual_add_f32 v25, v24, v23 :: v_dual_sub_f32 v22, v22, v26
	v_rcp_f32_e32 v21, v25
	v_sub_f32_e32 v24, v24, v25
	s_delay_alu instid0(VALU_DEP_1) | instskip(SKIP_2) | instid1(VALU_DEP_1)
	v_add_f32_e32 v23, v23, v24
	s_waitcnt_depctr 0xfff
	v_mul_f32_e32 v27, v26, v21
	v_mul_f32_e32 v28, v25, v27
	s_delay_alu instid0(VALU_DEP_1) | instskip(NEXT) | instid1(VALU_DEP_1)
	v_fma_f32 v24, v27, v25, -v28
	v_fmac_f32_e32 v24, v27, v23
	s_delay_alu instid0(VALU_DEP_1) | instskip(NEXT) | instid1(VALU_DEP_1)
	v_add_f32_e32 v29, v28, v24
	v_sub_f32_e32 v30, v26, v29
	s_delay_alu instid0(VALU_DEP_1) | instskip(SKIP_1) | instid1(VALU_DEP_2)
	v_sub_f32_e32 v26, v26, v30
	v_dual_add_f32 v19, v19, v22 :: v_dual_sub_f32 v22, v29, v28
	v_sub_f32_e32 v26, v26, v29
	s_delay_alu instid0(VALU_DEP_1) | instskip(NEXT) | instid1(VALU_DEP_1)
	v_dual_sub_f32 v22, v22, v24 :: v_dual_add_f32 v19, v19, v26
	v_add_f32_e32 v19, v22, v19
	s_delay_alu instid0(VALU_DEP_1) | instskip(NEXT) | instid1(VALU_DEP_1)
	v_add_f32_e32 v22, v30, v19
	v_mul_f32_e32 v24, v21, v22
	s_delay_alu instid0(VALU_DEP_1) | instskip(NEXT) | instid1(VALU_DEP_1)
	v_dual_sub_f32 v29, v30, v22 :: v_dual_mul_f32 v26, v25, v24
	v_add_f32_e32 v19, v19, v29
	s_delay_alu instid0(VALU_DEP_2) | instskip(NEXT) | instid1(VALU_DEP_1)
	v_fma_f32 v25, v24, v25, -v26
	v_fmac_f32_e32 v25, v24, v23
	s_delay_alu instid0(VALU_DEP_1) | instskip(NEXT) | instid1(VALU_DEP_1)
	v_add_f32_e32 v23, v26, v25
	v_sub_f32_e32 v28, v22, v23
	s_delay_alu instid0(VALU_DEP_1) | instskip(NEXT) | instid1(VALU_DEP_1)
	v_sub_f32_e32 v22, v22, v28
	v_sub_f32_e32 v22, v22, v23
	s_delay_alu instid0(VALU_DEP_1) | instskip(SKIP_2) | instid1(VALU_DEP_1)
	v_add_f32_e32 v19, v19, v22
	v_add_f32_e32 v22, v27, v24
	v_sub_f32_e32 v26, v23, v26
	v_sub_f32_e32 v23, v26, v25
	s_delay_alu instid0(VALU_DEP_1) | instskip(NEXT) | instid1(VALU_DEP_4)
	v_add_f32_e32 v19, v23, v19
	v_sub_f32_e32 v23, v22, v27
	s_delay_alu instid0(VALU_DEP_2) | instskip(NEXT) | instid1(VALU_DEP_2)
	v_add_f32_e32 v19, v28, v19
	v_sub_f32_e32 v23, v24, v23
	s_delay_alu instid0(VALU_DEP_2) | instskip(NEXT) | instid1(VALU_DEP_1)
	v_mul_f32_e32 v19, v21, v19
	v_add_f32_e32 v19, v23, v19
	s_delay_alu instid0(VALU_DEP_1) | instskip(NEXT) | instid1(VALU_DEP_1)
	v_add_f32_e32 v21, v22, v19
	v_mul_f32_e32 v23, v21, v21
	s_delay_alu instid0(VALU_DEP_1) | instskip(SKIP_1) | instid1(VALU_DEP_2)
	v_fmaak_f32 v24, s84, v23, 0x3ecc95a3
	v_mul_f32_e32 v25, v21, v23
	v_fmaak_f32 v23, v23, v24, 0x3f2aaada
	v_ldexp_f32 v24, v21, 1
	s_delay_alu instid0(VALU_DEP_2) | instskip(SKIP_1) | instid1(VALU_DEP_2)
	v_mul_f32_e32 v23, v25, v23
	v_sub_f32_e32 v21, v21, v22
	v_dual_mul_f32 v25, 0x3f317218, v18 :: v_dual_add_f32 v22, v24, v23
	s_delay_alu instid0(VALU_DEP_2) | instskip(NEXT) | instid1(VALU_DEP_2)
	v_sub_f32_e32 v19, v19, v21
	v_sub_f32_e32 v21, v22, v24
	s_delay_alu instid0(VALU_DEP_3) | instskip(NEXT) | instid1(VALU_DEP_3)
	v_fma_f32 v24, 0x3f317218, v18, -v25
	v_ldexp_f32 v19, v19, 1
	s_delay_alu instid0(VALU_DEP_2) | instskip(NEXT) | instid1(VALU_DEP_1)
	v_dual_sub_f32 v21, v23, v21 :: v_dual_fmac_f32 v24, 0xb102e308, v18
	v_dual_add_f32 v18, v19, v21 :: v_dual_add_f32 v19, v25, v24
	s_delay_alu instid0(VALU_DEP_1) | instskip(NEXT) | instid1(VALU_DEP_1)
	v_add_f32_e32 v21, v22, v18
	v_dual_add_f32 v23, v19, v21 :: v_dual_sub_f32 v22, v21, v22
	s_delay_alu instid0(VALU_DEP_1) | instskip(NEXT) | instid1(VALU_DEP_2)
	v_sub_f32_e32 v26, v23, v19
	v_dual_sub_f32 v25, v19, v25 :: v_dual_sub_f32 v18, v18, v22
	s_delay_alu instid0(VALU_DEP_1) | instskip(SKIP_1) | instid1(VALU_DEP_2)
	v_dual_sub_f32 v27, v23, v26 :: v_dual_sub_f32 v24, v24, v25
	v_sub_f32_e32 v21, v21, v26
	v_dual_sub_f32 v19, v19, v27 :: v_dual_add_f32 v22, v24, v18
	s_delay_alu instid0(VALU_DEP_1) | instskip(NEXT) | instid1(VALU_DEP_2)
	v_add_f32_e32 v19, v21, v19
	v_sub_f32_e32 v21, v22, v24
	s_delay_alu instid0(VALU_DEP_2) | instskip(NEXT) | instid1(VALU_DEP_2)
	v_add_f32_e32 v19, v22, v19
	v_sub_f32_e32 v22, v22, v21
	s_delay_alu instid0(VALU_DEP_2) | instskip(NEXT) | instid1(VALU_DEP_1)
	v_dual_sub_f32 v18, v18, v21 :: v_dual_add_f32 v25, v23, v19
	v_dual_sub_f32 v22, v24, v22 :: v_dual_sub_f32 v21, v25, v23
	s_delay_alu instid0(VALU_DEP_1) | instskip(NEXT) | instid1(VALU_DEP_1)
	v_dual_add_f32 v18, v18, v22 :: v_dual_sub_f32 v19, v19, v21
	v_add_f32_e32 v18, v18, v19
	s_delay_alu instid0(VALU_DEP_1) | instskip(NEXT) | instid1(VALU_DEP_1)
	v_add_f32_e32 v18, v25, v18
	v_cndmask_b32_e32 v120, v18, v20, vcc_lo
.LBB146_102:                            ;   in Loop: Header=BB146_12 Depth=1
	s_or_b32 exec_lo, exec_lo, s29
	s_waitcnt lgkmcnt(0)
	v_add_f32_e32 v121, s67, v16
	s_delay_alu instid0(VALU_DEP_1) | instskip(SKIP_1) | instid1(SALU_CYCLE_1)
	v_cmp_ge_f32_e32 vcc_lo, 0x41a00000, v121
	s_and_b32 s28, s80, vcc_lo
	s_and_saveexec_b32 s29, s28
	s_cbranch_execz .LBB146_104
; %bb.103:                              ;   in Loop: Header=BB146_12 Depth=1
	v_mul_f32_e32 v16, 0x3fb8aa3b, v121
	v_cmp_ngt_f32_e32 vcc_lo, 0xc2ce8ed0, v121
	s_delay_alu instid0(VALU_DEP_2) | instskip(SKIP_1) | instid1(VALU_DEP_1)
	v_rndne_f32_e32 v18, v16
	v_fma_f32 v19, 0x3fb8aa3b, v121, -v16
	v_dual_sub_f32 v16, v16, v18 :: v_dual_fmac_f32 v19, 0x32a5705f, v121
	v_cvt_i32_f32_e32 v18, v18
	s_delay_alu instid0(VALU_DEP_2) | instskip(NEXT) | instid1(VALU_DEP_1)
	v_add_f32_e32 v16, v16, v19
	v_exp_f32_e32 v16, v16
	s_waitcnt_depctr 0xfff
	v_ldexp_f32 v16, v16, v18
	s_delay_alu instid0(VALU_DEP_1) | instskip(SKIP_1) | instid1(VALU_DEP_2)
	v_cndmask_b32_e32 v16, 0, v16, vcc_lo
	v_cmp_nlt_f32_e32 vcc_lo, 0x42b17218, v121
	v_cndmask_b32_e32 v16, 0x7f800000, v16, vcc_lo
	s_delay_alu instid0(VALU_DEP_1) | instskip(NEXT) | instid1(VALU_DEP_1)
	v_add_f32_e32 v20, 1.0, v16
	v_cvt_f64_f32_e32 v[18:19], v20
	s_delay_alu instid0(VALU_DEP_1) | instskip(SKIP_1) | instid1(VALU_DEP_1)
	v_frexp_exp_i32_f64_e32 v18, v[18:19]
	v_frexp_mant_f32_e32 v19, v20
	v_cmp_gt_f32_e32 vcc_lo, 0x3f2aaaab, v19
	v_add_f32_e32 v19, -1.0, v20
	s_delay_alu instid0(VALU_DEP_1) | instskip(SKIP_1) | instid1(VALU_DEP_1)
	v_dual_sub_f32 v22, v19, v20 :: v_dual_sub_f32 v19, v16, v19
	v_subrev_co_ci_u32_e32 v18, vcc_lo, 0, v18, vcc_lo
	v_sub_nc_u32_e32 v21, 0, v18
	v_cvt_f32_i32_e32 v18, v18
	s_delay_alu instid0(VALU_DEP_2) | instskip(NEXT) | instid1(VALU_DEP_1)
	v_ldexp_f32 v20, v20, v21
	v_dual_add_f32 v22, 1.0, v22 :: v_dual_add_f32 v23, 1.0, v20
	s_delay_alu instid0(VALU_DEP_1) | instskip(NEXT) | instid1(VALU_DEP_1)
	v_add_f32_e32 v19, v19, v22
	v_ldexp_f32 v19, v19, v21
	s_delay_alu instid0(VALU_DEP_3) | instskip(NEXT) | instid1(VALU_DEP_1)
	v_dual_add_f32 v21, -1.0, v20 :: v_dual_add_f32 v22, -1.0, v23
	v_add_f32_e32 v24, 1.0, v21
	s_delay_alu instid0(VALU_DEP_2) | instskip(NEXT) | instid1(VALU_DEP_2)
	v_sub_f32_e32 v22, v20, v22
	v_sub_f32_e32 v20, v20, v24
	s_delay_alu instid0(VALU_DEP_2) | instskip(NEXT) | instid1(VALU_DEP_2)
	v_add_f32_e32 v22, v19, v22
	v_add_f32_e32 v19, v19, v20
	s_delay_alu instid0(VALU_DEP_1) | instskip(SKIP_2) | instid1(VALU_DEP_3)
	v_dual_add_f32 v25, v21, v19 :: v_dual_add_f32 v24, v23, v22
	v_cmp_eq_f32_e32 vcc_lo, 0x7f800000, v16
	v_cmp_gt_f32_e64 s28, 0x33800000, v16
	v_sub_f32_e32 v21, v21, v25
	s_delay_alu instid0(VALU_DEP_4) | instskip(SKIP_1) | instid1(VALU_DEP_3)
	v_rcp_f32_e32 v20, v24
	v_sub_f32_e32 v23, v23, v24
	s_or_b32 vcc_lo, s28, vcc_lo
	s_delay_alu instid0(VALU_DEP_1) | instskip(SKIP_2) | instid1(VALU_DEP_1)
	v_dual_add_f32 v19, v19, v21 :: v_dual_add_f32 v22, v22, v23
	s_waitcnt_depctr 0xfff
	v_mul_f32_e32 v26, v25, v20
	v_mul_f32_e32 v27, v24, v26
	s_delay_alu instid0(VALU_DEP_1) | instskip(NEXT) | instid1(VALU_DEP_1)
	v_fma_f32 v23, v26, v24, -v27
	v_fmac_f32_e32 v23, v26, v22
	s_delay_alu instid0(VALU_DEP_1) | instskip(NEXT) | instid1(VALU_DEP_1)
	v_add_f32_e32 v28, v27, v23
	v_sub_f32_e32 v29, v25, v28
	s_delay_alu instid0(VALU_DEP_1) | instskip(NEXT) | instid1(VALU_DEP_1)
	v_sub_f32_e32 v25, v25, v29
	v_sub_f32_e32 v25, v25, v28
	;; [unrolled: 1-line block ×3, first 2 shown]
	s_delay_alu instid0(VALU_DEP_2) | instskip(NEXT) | instid1(VALU_DEP_2)
	v_add_f32_e32 v19, v19, v25
	v_sub_f32_e32 v21, v21, v23
	s_delay_alu instid0(VALU_DEP_1) | instskip(NEXT) | instid1(VALU_DEP_1)
	v_add_f32_e32 v19, v21, v19
	v_add_f32_e32 v21, v29, v19
	s_delay_alu instid0(VALU_DEP_1) | instskip(NEXT) | instid1(VALU_DEP_1)
	v_mul_f32_e32 v23, v20, v21
	v_dual_sub_f32 v28, v29, v21 :: v_dual_mul_f32 v25, v24, v23
	s_delay_alu instid0(VALU_DEP_1) | instskip(NEXT) | instid1(VALU_DEP_2)
	v_add_f32_e32 v19, v19, v28
	v_fma_f32 v24, v23, v24, -v25
	s_delay_alu instid0(VALU_DEP_1) | instskip(NEXT) | instid1(VALU_DEP_1)
	v_fmac_f32_e32 v24, v23, v22
	v_add_f32_e32 v22, v25, v24
	s_delay_alu instid0(VALU_DEP_1) | instskip(NEXT) | instid1(VALU_DEP_1)
	v_sub_f32_e32 v27, v21, v22
	v_sub_f32_e32 v21, v21, v27
	s_delay_alu instid0(VALU_DEP_1) | instskip(NEXT) | instid1(VALU_DEP_1)
	v_sub_f32_e32 v21, v21, v22
	v_add_f32_e32 v19, v19, v21
	v_add_f32_e32 v21, v26, v23
	v_sub_f32_e32 v25, v22, v25
	s_delay_alu instid0(VALU_DEP_1) | instskip(NEXT) | instid1(VALU_DEP_1)
	v_sub_f32_e32 v22, v25, v24
	v_dual_add_f32 v19, v22, v19 :: v_dual_sub_f32 v22, v21, v26
	s_delay_alu instid0(VALU_DEP_1) | instskip(NEXT) | instid1(VALU_DEP_1)
	v_add_f32_e32 v19, v27, v19
	v_dual_sub_f32 v22, v23, v22 :: v_dual_mul_f32 v19, v20, v19
	s_delay_alu instid0(VALU_DEP_1) | instskip(NEXT) | instid1(VALU_DEP_1)
	v_add_f32_e32 v19, v22, v19
	v_add_f32_e32 v20, v21, v19
	s_delay_alu instid0(VALU_DEP_1) | instskip(NEXT) | instid1(VALU_DEP_1)
	v_mul_f32_e32 v22, v20, v20
	v_fmaak_f32 v23, s84, v22, 0x3ecc95a3
	v_mul_f32_e32 v24, v20, v22
	s_delay_alu instid0(VALU_DEP_2) | instskip(SKIP_2) | instid1(VALU_DEP_3)
	v_fmaak_f32 v22, v22, v23, 0x3f2aaada
	v_ldexp_f32 v23, v20, 1
	v_sub_f32_e32 v20, v20, v21
	v_mul_f32_e32 v22, v24, v22
	v_mul_f32_e32 v24, 0x3f317218, v18
	s_delay_alu instid0(VALU_DEP_2) | instskip(NEXT) | instid1(VALU_DEP_1)
	v_add_f32_e32 v21, v23, v22
	v_dual_sub_f32 v19, v19, v20 :: v_dual_sub_f32 v20, v21, v23
	s_delay_alu instid0(VALU_DEP_3) | instskip(NEXT) | instid1(VALU_DEP_2)
	v_fma_f32 v23, 0x3f317218, v18, -v24
	v_ldexp_f32 v19, v19, 1
	s_delay_alu instid0(VALU_DEP_2) | instskip(NEXT) | instid1(VALU_DEP_1)
	v_dual_sub_f32 v20, v22, v20 :: v_dual_fmac_f32 v23, 0xb102e308, v18
	v_dual_add_f32 v18, v19, v20 :: v_dual_add_f32 v19, v24, v23
	s_delay_alu instid0(VALU_DEP_1) | instskip(NEXT) | instid1(VALU_DEP_1)
	v_add_f32_e32 v20, v21, v18
	v_add_f32_e32 v22, v19, v20
	s_delay_alu instid0(VALU_DEP_1) | instskip(NEXT) | instid1(VALU_DEP_1)
	v_sub_f32_e32 v25, v22, v19
	v_sub_f32_e32 v26, v22, v25
	;; [unrolled: 1-line block ×4, first 2 shown]
	s_delay_alu instid0(VALU_DEP_2) | instskip(SKIP_1) | instid1(VALU_DEP_1)
	v_sub_f32_e32 v18, v18, v21
	v_sub_f32_e32 v24, v19, v24
	;; [unrolled: 1-line block ×3, first 2 shown]
	s_delay_alu instid0(VALU_DEP_1) | instskip(SKIP_1) | instid1(VALU_DEP_1)
	v_add_f32_e32 v21, v23, v18
	v_sub_f32_e32 v19, v19, v26
	v_add_f32_e32 v19, v20, v19
	s_delay_alu instid0(VALU_DEP_3) | instskip(NEXT) | instid1(VALU_DEP_1)
	v_sub_f32_e32 v20, v21, v23
	v_dual_sub_f32 v18, v18, v20 :: v_dual_add_f32 v19, v21, v19
	s_delay_alu instid0(VALU_DEP_1) | instskip(NEXT) | instid1(VALU_DEP_1)
	v_dual_sub_f32 v21, v21, v20 :: v_dual_add_f32 v24, v22, v19
	v_dual_sub_f32 v21, v23, v21 :: v_dual_sub_f32 v20, v24, v22
	s_delay_alu instid0(VALU_DEP_1) | instskip(NEXT) | instid1(VALU_DEP_1)
	v_dual_add_f32 v18, v18, v21 :: v_dual_sub_f32 v19, v19, v20
	v_add_f32_e32 v18, v18, v19
	s_delay_alu instid0(VALU_DEP_1) | instskip(NEXT) | instid1(VALU_DEP_1)
	v_add_f32_e32 v18, v24, v18
	v_cndmask_b32_e32 v121, v18, v16, vcc_lo
.LBB146_104:                            ;   in Loop: Header=BB146_12 Depth=1
	s_or_b32 exec_lo, exec_lo, s29
	v_add_f32_e32 v138, s67, v17
	s_delay_alu instid0(VALU_DEP_1) | instskip(SKIP_1) | instid1(SALU_CYCLE_1)
	v_cmp_ge_f32_e32 vcc_lo, 0x41a00000, v138
	s_and_b32 s28, s80, vcc_lo
	s_and_saveexec_b32 s29, s28
	s_cbranch_execz .LBB146_106
; %bb.105:                              ;   in Loop: Header=BB146_12 Depth=1
	v_mul_f32_e32 v16, 0x3fb8aa3b, v138
	v_cmp_ngt_f32_e32 vcc_lo, 0xc2ce8ed0, v138
	s_delay_alu instid0(VALU_DEP_2) | instskip(SKIP_1) | instid1(VALU_DEP_2)
	v_rndne_f32_e32 v17, v16
	v_fma_f32 v18, 0x3fb8aa3b, v138, -v16
	v_sub_f32_e32 v16, v16, v17
	s_delay_alu instid0(VALU_DEP_2) | instskip(SKIP_1) | instid1(VALU_DEP_2)
	v_fmac_f32_e32 v18, 0x32a5705f, v138
	v_cvt_i32_f32_e32 v17, v17
	v_add_f32_e32 v16, v16, v18
	s_delay_alu instid0(VALU_DEP_1) | instskip(SKIP_2) | instid1(VALU_DEP_1)
	v_exp_f32_e32 v16, v16
	s_waitcnt_depctr 0xfff
	v_ldexp_f32 v16, v16, v17
	v_cndmask_b32_e32 v16, 0, v16, vcc_lo
	v_cmp_nlt_f32_e32 vcc_lo, 0x42b17218, v138
	s_delay_alu instid0(VALU_DEP_2) | instskip(NEXT) | instid1(VALU_DEP_1)
	v_cndmask_b32_e32 v18, 0x7f800000, v16, vcc_lo
	v_add_f32_e32 v19, 1.0, v18
	s_delay_alu instid0(VALU_DEP_1) | instskip(NEXT) | instid1(VALU_DEP_1)
	v_cvt_f64_f32_e32 v[16:17], v19
	v_frexp_exp_i32_f64_e32 v16, v[16:17]
	v_frexp_mant_f32_e32 v17, v19
	s_delay_alu instid0(VALU_DEP_1) | instskip(SKIP_1) | instid1(VALU_DEP_1)
	v_cmp_gt_f32_e32 vcc_lo, 0x3f2aaaab, v17
	v_add_f32_e32 v17, -1.0, v19
	v_sub_f32_e32 v21, v17, v19
	v_sub_f32_e32 v17, v18, v17
	s_delay_alu instid0(VALU_DEP_2) | instskip(NEXT) | instid1(VALU_DEP_1)
	v_add_f32_e32 v21, 1.0, v21
	v_add_f32_e32 v17, v17, v21
	v_cmp_gt_f32_e64 s28, 0x33800000, v18
	v_subrev_co_ci_u32_e32 v16, vcc_lo, 0, v16, vcc_lo
	v_cmp_eq_f32_e32 vcc_lo, 0x7f800000, v18
	s_delay_alu instid0(VALU_DEP_2) | instskip(SKIP_2) | instid1(VALU_DEP_2)
	v_sub_nc_u32_e32 v20, 0, v16
	v_cvt_f32_i32_e32 v16, v16
	s_or_b32 vcc_lo, s28, vcc_lo
	v_ldexp_f32 v19, v19, v20
	v_ldexp_f32 v17, v17, v20
	s_delay_alu instid0(VALU_DEP_2) | instskip(NEXT) | instid1(VALU_DEP_1)
	v_add_f32_e32 v22, 1.0, v19
	v_dual_add_f32 v20, -1.0, v19 :: v_dual_add_f32 v21, -1.0, v22
	s_delay_alu instid0(VALU_DEP_1) | instskip(NEXT) | instid1(VALU_DEP_2)
	v_add_f32_e32 v23, 1.0, v20
	v_sub_f32_e32 v21, v19, v21
	s_delay_alu instid0(VALU_DEP_2) | instskip(NEXT) | instid1(VALU_DEP_2)
	v_sub_f32_e32 v19, v19, v23
	v_add_f32_e32 v21, v17, v21
	s_delay_alu instid0(VALU_DEP_2) | instskip(NEXT) | instid1(VALU_DEP_1)
	v_add_f32_e32 v17, v17, v19
	v_add_f32_e32 v24, v20, v17
	s_delay_alu instid0(VALU_DEP_1) | instskip(NEXT) | instid1(VALU_DEP_1)
	v_dual_add_f32 v23, v22, v21 :: v_dual_sub_f32 v20, v20, v24
	v_rcp_f32_e32 v19, v23
	v_sub_f32_e32 v22, v22, v23
	s_delay_alu instid0(VALU_DEP_1) | instskip(SKIP_2) | instid1(VALU_DEP_1)
	v_add_f32_e32 v21, v21, v22
	s_waitcnt_depctr 0xfff
	v_mul_f32_e32 v25, v24, v19
	v_mul_f32_e32 v26, v23, v25
	s_delay_alu instid0(VALU_DEP_1) | instskip(NEXT) | instid1(VALU_DEP_1)
	v_fma_f32 v22, v25, v23, -v26
	v_fmac_f32_e32 v22, v25, v21
	s_delay_alu instid0(VALU_DEP_1) | instskip(NEXT) | instid1(VALU_DEP_1)
	v_add_f32_e32 v27, v26, v22
	v_sub_f32_e32 v28, v24, v27
	s_delay_alu instid0(VALU_DEP_1) | instskip(SKIP_1) | instid1(VALU_DEP_2)
	v_sub_f32_e32 v24, v24, v28
	v_dual_add_f32 v17, v17, v20 :: v_dual_sub_f32 v20, v27, v26
	v_sub_f32_e32 v24, v24, v27
	s_delay_alu instid0(VALU_DEP_1) | instskip(NEXT) | instid1(VALU_DEP_1)
	v_dual_sub_f32 v20, v20, v22 :: v_dual_add_f32 v17, v17, v24
	v_add_f32_e32 v17, v20, v17
	s_delay_alu instid0(VALU_DEP_1) | instskip(NEXT) | instid1(VALU_DEP_1)
	v_add_f32_e32 v20, v28, v17
	v_mul_f32_e32 v22, v19, v20
	s_delay_alu instid0(VALU_DEP_1) | instskip(NEXT) | instid1(VALU_DEP_1)
	v_dual_sub_f32 v27, v28, v20 :: v_dual_mul_f32 v24, v23, v22
	v_add_f32_e32 v17, v17, v27
	s_delay_alu instid0(VALU_DEP_2) | instskip(NEXT) | instid1(VALU_DEP_1)
	v_fma_f32 v23, v22, v23, -v24
	v_fmac_f32_e32 v23, v22, v21
	s_delay_alu instid0(VALU_DEP_1) | instskip(NEXT) | instid1(VALU_DEP_1)
	v_add_f32_e32 v21, v24, v23
	v_sub_f32_e32 v26, v20, v21
	s_delay_alu instid0(VALU_DEP_1) | instskip(NEXT) | instid1(VALU_DEP_1)
	v_sub_f32_e32 v20, v20, v26
	v_sub_f32_e32 v20, v20, v21
	s_delay_alu instid0(VALU_DEP_1) | instskip(SKIP_2) | instid1(VALU_DEP_1)
	v_add_f32_e32 v17, v17, v20
	v_add_f32_e32 v20, v25, v22
	v_sub_f32_e32 v24, v21, v24
	v_sub_f32_e32 v21, v24, v23
	s_delay_alu instid0(VALU_DEP_1) | instskip(NEXT) | instid1(VALU_DEP_4)
	v_add_f32_e32 v17, v21, v17
	v_sub_f32_e32 v21, v20, v25
	s_delay_alu instid0(VALU_DEP_2) | instskip(NEXT) | instid1(VALU_DEP_2)
	v_add_f32_e32 v17, v26, v17
	v_sub_f32_e32 v21, v22, v21
	s_delay_alu instid0(VALU_DEP_2) | instskip(NEXT) | instid1(VALU_DEP_1)
	v_mul_f32_e32 v17, v19, v17
	v_add_f32_e32 v17, v21, v17
	s_delay_alu instid0(VALU_DEP_1) | instskip(NEXT) | instid1(VALU_DEP_1)
	v_add_f32_e32 v19, v20, v17
	v_mul_f32_e32 v21, v19, v19
	s_delay_alu instid0(VALU_DEP_1) | instskip(SKIP_1) | instid1(VALU_DEP_2)
	v_fmaak_f32 v22, s84, v21, 0x3ecc95a3
	v_mul_f32_e32 v23, v19, v21
	v_fmaak_f32 v21, v21, v22, 0x3f2aaada
	v_ldexp_f32 v22, v19, 1
	s_delay_alu instid0(VALU_DEP_2) | instskip(SKIP_1) | instid1(VALU_DEP_2)
	v_mul_f32_e32 v21, v23, v21
	v_sub_f32_e32 v19, v19, v20
	v_dual_mul_f32 v23, 0x3f317218, v16 :: v_dual_add_f32 v20, v22, v21
	s_delay_alu instid0(VALU_DEP_2) | instskip(NEXT) | instid1(VALU_DEP_2)
	v_sub_f32_e32 v17, v17, v19
	v_sub_f32_e32 v19, v20, v22
	s_delay_alu instid0(VALU_DEP_3) | instskip(NEXT) | instid1(VALU_DEP_3)
	v_fma_f32 v22, 0x3f317218, v16, -v23
	v_ldexp_f32 v17, v17, 1
	s_delay_alu instid0(VALU_DEP_2) | instskip(NEXT) | instid1(VALU_DEP_1)
	v_dual_sub_f32 v19, v21, v19 :: v_dual_fmac_f32 v22, 0xb102e308, v16
	v_dual_add_f32 v16, v17, v19 :: v_dual_add_f32 v17, v23, v22
	s_delay_alu instid0(VALU_DEP_1) | instskip(NEXT) | instid1(VALU_DEP_1)
	v_add_f32_e32 v19, v20, v16
	v_dual_add_f32 v21, v17, v19 :: v_dual_sub_f32 v20, v19, v20
	s_delay_alu instid0(VALU_DEP_1) | instskip(NEXT) | instid1(VALU_DEP_2)
	v_sub_f32_e32 v24, v21, v17
	v_dual_sub_f32 v23, v17, v23 :: v_dual_sub_f32 v16, v16, v20
	s_delay_alu instid0(VALU_DEP_1) | instskip(SKIP_1) | instid1(VALU_DEP_2)
	v_dual_sub_f32 v25, v21, v24 :: v_dual_sub_f32 v22, v22, v23
	v_sub_f32_e32 v19, v19, v24
	v_dual_sub_f32 v17, v17, v25 :: v_dual_add_f32 v20, v22, v16
	s_delay_alu instid0(VALU_DEP_1) | instskip(NEXT) | instid1(VALU_DEP_2)
	v_add_f32_e32 v17, v19, v17
	v_sub_f32_e32 v19, v20, v22
	s_delay_alu instid0(VALU_DEP_2) | instskip(NEXT) | instid1(VALU_DEP_2)
	v_add_f32_e32 v17, v20, v17
	v_sub_f32_e32 v20, v20, v19
	s_delay_alu instid0(VALU_DEP_2) | instskip(NEXT) | instid1(VALU_DEP_1)
	v_dual_sub_f32 v16, v16, v19 :: v_dual_add_f32 v23, v21, v17
	v_dual_sub_f32 v20, v22, v20 :: v_dual_sub_f32 v19, v23, v21
	s_delay_alu instid0(VALU_DEP_1) | instskip(NEXT) | instid1(VALU_DEP_1)
	v_dual_add_f32 v16, v16, v20 :: v_dual_sub_f32 v17, v17, v19
	v_add_f32_e32 v16, v16, v17
	s_delay_alu instid0(VALU_DEP_1) | instskip(NEXT) | instid1(VALU_DEP_1)
	v_add_f32_e32 v16, v23, v16
	v_cndmask_b32_e32 v138, v16, v18, vcc_lo
.LBB146_106:                            ;   in Loop: Header=BB146_12 Depth=1
	s_or_b32 exec_lo, exec_lo, s29
	v_dual_mul_f32 v122, s68, v14 :: v_dual_mul_f32 v123, s68, v13
	v_dual_mul_f32 v124, s68, v12 :: v_dual_mul_f32 v125, s68, v11
	;; [unrolled: 1-line block ×8, first 2 shown]
	s_and_b32 vcc_lo, exec_lo, s81
	s_barrier
	buffer_gl0_inv
	s_cbranch_vccz .LBB146_202
; %bb.107:                              ;   in Loop: Header=BB146_12 Depth=1
	v_dual_mul_f32 v139, v15, v138 :: v_dual_mul_f32 v144, v14, v121
	v_add_co_u32 v15, s28, s53, v32
	s_delay_alu instid0(VALU_DEP_1) | instskip(SKIP_1) | instid1(VALU_DEP_1)
	v_add_co_ci_u32_e64 v16, null, s74, 0, s28
	v_add_co_u32 v17, s28, s57, v32
	v_add_co_ci_u32_e64 v18, null, s75, 0, s28
	s_delay_alu instid0(VALU_DEP_4) | instskip(NEXT) | instid1(VALU_DEP_4)
	v_add_co_u32 v140, vcc_lo, v15, v106
	v_add_co_ci_u32_e32 v141, vcc_lo, 0, v16, vcc_lo
	s_delay_alu instid0(VALU_DEP_4) | instskip(NEXT) | instid1(VALU_DEP_4)
	v_add_co_u32 v142, vcc_lo, v17, v106
	v_add_co_ci_u32_e32 v143, vcc_lo, 0, v18, vcc_lo
	v_cmp_gt_u32_e32 vcc_lo, s40, v34
	s_cmp_lg_u32 s86, 0
	v_cmp_gt_u32_e64 s30, s40, v92
	s_cselect_b32 s51, -1, 0
	s_cmp_eq_u32 s86, s83
	v_cmp_gt_u32_e64 s31, s40, v93
	s_cselect_b32 s87, -1, 0
	s_or_b32 s28, s82, vcc_lo
	v_cmp_gt_u32_e32 vcc_lo, s40, v91
	v_cmp_gt_u32_e64 s33, s40, v94
	v_cmp_gt_u32_e64 s34, s40, v95
	;; [unrolled: 1-line block ×4, first 2 shown]
	s_or_b32 s29, s82, vcc_lo
	v_cmp_gt_u32_e32 vcc_lo, s40, v96
	v_cmp_gt_u32_e64 s38, s40, v99
	v_cmp_gt_u32_e64 s39, s40, v100
	;; [unrolled: 1-line block ×4, first 2 shown]
	s_or_b32 s35, s82, vcc_lo
	v_cmp_gt_u32_e32 vcc_lo, s40, v101
	v_cmp_gt_u32_e64 s43, s40, v104
	v_cmp_gt_u32_e64 s44, s40, v105
	v_dual_mul_f32 v145, v13, v120 :: v_dual_mul_f32 v146, v12, v119
	v_dual_mul_f32 v147, v11, v118 :: v_dual_mul_f32 v148, v10, v117
	;; [unrolled: 1-line block ×7, first 2 shown]
	s_mov_b32 s64, 0
	s_or_b32 s30, s82, s30
	s_or_b32 s31, s82, s31
	;; [unrolled: 1-line block ×8, first 2 shown]
	s_or_b32 s40, s82, vcc_lo
	s_or_b32 s41, s82, s41
	s_or_b32 s42, s82, s42
	;; [unrolled: 1-line block ×4, first 2 shown]
	s_mov_b32 s54, s64
	s_mov_b32 s58, s64
	;; [unrolled: 1-line block ×5, first 2 shown]
	s_branch .LBB146_109
.LBB146_108:                            ;   in Loop: Header=BB146_109 Depth=2
	s_or_b32 exec_lo, exec_lo, s45
	v_cndmask_b32_e64 v16, v180, v21, s11
	v_cndmask_b32_e64 v17, v179, v20, s11
	s_add_i32 s88, s88, -1
	s_add_i32 s89, s89, 8
	s_add_i32 s60, s60, s62
	v_fma_f32 v16, v16, v160, v33
	v_mul_f32_e32 v17, v17, v160
	s_add_i32 s58, s58, s56
	s_add_i32 s54, s54, s52
	;; [unrolled: 1-line block ×3, first 2 shown]
	v_cndmask_b32_e64 v16, v16, v33, s10
	v_cndmask_b32_e64 v17, v17, v160, s10
	s_cmp_eq_u32 s88, 0
	s_waitcnt lgkmcnt(0)
	s_delay_alu instid0(VALU_DEP_1) | instskip(NEXT) | instid1(VALU_DEP_1)
	v_fmac_f32_e32 v16, v18, v17
	v_fmac_f32_e32 v30, v16, v159
	s_delay_alu instid0(VALU_DEP_1) | instskip(NEXT) | instid1(VALU_DEP_1)
	v_fmac_f32_e32 v32, v30, v161
	v_fmac_f32_e32 v31, v32, v162
	s_delay_alu instid0(VALU_DEP_1) | instskip(NEXT) | instid1(VALU_DEP_1)
	v_dual_fmac_f32 v137, v14, v16 :: v_dual_fmac_f32 v28, v31, v163
	v_dual_fmac_f32 v134, v13, v31 :: v_dual_fmac_f32 v29, v28, v164
	;; [unrolled: 1-line block ×3, first 2 shown]
	s_delay_alu instid0(VALU_DEP_2) | instskip(SKIP_1) | instid1(VALU_DEP_2)
	v_fmac_f32_e32 v26, v29, v165
	v_fmac_f32_e32 v131, v11, v29
	;; [unrolled: 1-line block ×4, first 2 shown]
	s_delay_alu instid0(VALU_DEP_2) | instskip(SKIP_1) | instid1(VALU_DEP_2)
	v_fmac_f32_e32 v24, v27, v167
	v_fmac_f32_e32 v129, v9, v27
	;; [unrolled: 1-line block ×3, first 2 shown]
	s_delay_alu instid0(VALU_DEP_1) | instskip(SKIP_1) | instid1(VALU_DEP_2)
	v_fmac_f32_e32 v22, v25, v169
	v_fmac_f32_e32 v127, v7, v25
	;; [unrolled: 1-line block ×4, first 2 shown]
	s_delay_alu instid0(VALU_DEP_2) | instskip(NEXT) | instid1(VALU_DEP_1)
	v_dual_fmac_f32 v170, v23, v172 :: v_dual_fmac_f32 v125, v5, v23
	v_fmac_f32_e32 v124, v0, v170
	v_fmac_f32_e32 v171, v170, v174
	s_delay_alu instid0(VALU_DEP_1) | instskip(SKIP_1) | instid1(VALU_DEP_2)
	v_dual_fmac_f32 v130, v8, v26 :: v_dual_fmac_f32 v173, v171, v176
	v_dual_fmac_f32 v126, v4, v22 :: v_dual_fmac_f32 v123, v1, v171
	v_fmac_f32_e32 v122, v2, v173
	v_fmac_f32_e32 v175, v173, v177
	s_delay_alu instid0(VALU_DEP_1)
	v_fmac_f32_e32 v133, v3, v175
	s_cbranch_scc1 .LBB146_202
.LBB146_109:                            ;   Parent Loop BB146_12 Depth=1
                                        ; =>  This Inner Loop Header: Depth=2
	s_lshl_b64 s[46:47], s[64:65], 2
	s_mov_b32 s55, s65
	s_add_u32 s46, s73, s46
	s_addc_u32 s47, s63, s47
	v_dual_mov_b32 v2, 0 :: v_dual_mov_b32 v3, 0
	global_load_b32 v159, v37, s[46:47]
	s_lshl_b64 s[46:47], s[54:55], 2
	s_delay_alu instid0(SALU_CYCLE_1)
	v_add_co_u32 v0, vcc_lo, v140, s46
	v_add_co_ci_u32_e32 v1, vcc_lo, s47, v141, vcc_lo
	s_and_saveexec_b32 s45, s12
	s_cbranch_execz .LBB146_111
; %bb.110:                              ;   in Loop: Header=BB146_109 Depth=2
	global_load_b32 v3, v[0:1], off
.LBB146_111:                            ;   in Loop: Header=BB146_109 Depth=2
	s_or_b32 exec_lo, exec_lo, s45
	s_and_saveexec_b32 s45, s13
	s_cbranch_execz .LBB146_113
; %bb.112:                              ;   in Loop: Header=BB146_109 Depth=2
	global_load_b32 v2, v[0:1], off offset:128
.LBB146_113:                            ;   in Loop: Header=BB146_109 Depth=2
	s_or_b32 exec_lo, exec_lo, s45
	v_dual_mov_b32 v4, 0 :: v_dual_mov_b32 v5, 0
	s_and_saveexec_b32 s45, s14
	s_cbranch_execz .LBB146_115
; %bb.114:                              ;   in Loop: Header=BB146_109 Depth=2
	global_load_b32 v5, v[0:1], off offset:256
.LBB146_115:                            ;   in Loop: Header=BB146_109 Depth=2
	s_or_b32 exec_lo, exec_lo, s45
	s_and_saveexec_b32 s45, s15
	s_cbranch_execz .LBB146_117
; %bb.116:                              ;   in Loop: Header=BB146_109 Depth=2
	global_load_b32 v4, v[0:1], off offset:384
.LBB146_117:                            ;   in Loop: Header=BB146_109 Depth=2
	s_or_b32 exec_lo, exec_lo, s45
	v_dual_mov_b32 v6, 0 :: v_dual_mov_b32 v7, 0
	s_and_saveexec_b32 s45, s16
	s_cbranch_execz .LBB146_119
; %bb.118:                              ;   in Loop: Header=BB146_109 Depth=2
	global_load_b32 v7, v[0:1], off offset:512
.LBB146_119:                            ;   in Loop: Header=BB146_109 Depth=2
	;; [unrolled: 13-line block ×7, first 2 shown]
	s_or_b32 exec_lo, exec_lo, s45
	s_and_saveexec_b32 s45, s27
	s_cbranch_execz .LBB146_141
; %bb.140:                              ;   in Loop: Header=BB146_109 Depth=2
	global_load_b32 v16, v[0:1], off offset:1920
.LBB146_141:                            ;   in Loop: Header=BB146_109 Depth=2
	s_or_b32 exec_lo, exec_lo, s45
	s_waitcnt vmcnt(0)
	ds_store_b32 v53, v3
	ds_store_b32 v54, v2 offset:128
	ds_store_b32 v55, v5 offset:256
	;; [unrolled: 1-line block ×15, first 2 shown]
	; wave barrier
	ds_load_2addr_b32 v[32:33], v69 offset1:1
	ds_load_2addr_b32 v[30:31], v69 offset0:2 offset1:3
	ds_load_2addr_b32 v[28:29], v69 offset0:4 offset1:5
	;; [unrolled: 1-line block ×7, first 2 shown]
	s_mov_b32 s59, s65
	v_dual_mov_b32 v2, 0 :: v_dual_mov_b32 v3, 0
	s_lshl_b64 s[46:47], s[58:59], 2
	s_delay_alu instid0(SALU_CYCLE_1)
	v_add_co_u32 v0, vcc_lo, v142, s46
	v_add_co_ci_u32_e32 v1, vcc_lo, s47, v143, vcc_lo
	s_and_saveexec_b32 s45, s12
	s_cbranch_execz .LBB146_143
; %bb.142:                              ;   in Loop: Header=BB146_109 Depth=2
	global_load_b32 v3, v[0:1], off
.LBB146_143:                            ;   in Loop: Header=BB146_109 Depth=2
	s_or_b32 exec_lo, exec_lo, s45
	s_and_saveexec_b32 s45, s13
	s_cbranch_execz .LBB146_145
; %bb.144:                              ;   in Loop: Header=BB146_109 Depth=2
	global_load_b32 v2, v[0:1], off offset:128
.LBB146_145:                            ;   in Loop: Header=BB146_109 Depth=2
	s_or_b32 exec_lo, exec_lo, s45
	v_dual_mov_b32 v4, 0 :: v_dual_mov_b32 v5, 0
	s_and_saveexec_b32 s45, s14
	s_cbranch_execz .LBB146_147
; %bb.146:                              ;   in Loop: Header=BB146_109 Depth=2
	global_load_b32 v5, v[0:1], off offset:256
.LBB146_147:                            ;   in Loop: Header=BB146_109 Depth=2
	s_or_b32 exec_lo, exec_lo, s45
	s_and_saveexec_b32 s45, s15
	s_cbranch_execz .LBB146_149
; %bb.148:                              ;   in Loop: Header=BB146_109 Depth=2
	global_load_b32 v4, v[0:1], off offset:384
.LBB146_149:                            ;   in Loop: Header=BB146_109 Depth=2
	s_or_b32 exec_lo, exec_lo, s45
	v_dual_mov_b32 v6, 0 :: v_dual_mov_b32 v7, 0
	s_and_saveexec_b32 s45, s16
	s_cbranch_execz .LBB146_151
; %bb.150:                              ;   in Loop: Header=BB146_109 Depth=2
	global_load_b32 v7, v[0:1], off offset:512
.LBB146_151:                            ;   in Loop: Header=BB146_109 Depth=2
	;; [unrolled: 13-line block ×7, first 2 shown]
	s_or_b32 exec_lo, exec_lo, s45
	s_and_saveexec_b32 s45, s27
	s_cbranch_execz .LBB146_173
; %bb.172:                              ;   in Loop: Header=BB146_109 Depth=2
	global_load_b32 v16, v[0:1], off offset:1920
.LBB146_173:                            ;   in Loop: Header=BB146_109 Depth=2
	s_or_b32 exec_lo, exec_lo, s45
	s_waitcnt vmcnt(0)
	ds_store_b32 v53, v3 offset:4224
	ds_store_b32 v70, v2 offset:128
	;; [unrolled: 1-line block ×16, first 2 shown]
	v_add_nc_u32_e32 v2, 0x1080, v69
	; wave barrier
	ds_load_2addr_b32 v[12:13], v85 offset0:2 offset1:3
	ds_load_2addr_b32 v[10:11], v85 offset0:4 offset1:5
	;; [unrolled: 1-line block ×6, first 2 shown]
	ds_load_2addr_b32 v[14:15], v2 offset1:1
	ds_load_2addr_b32 v[2:3], v85 offset0:14 offset1:15
	s_and_not1_b32 vcc_lo, exec_lo, s51
	s_cbranch_vccnz .LBB146_175
; %bb.174:                              ;   in Loop: Header=BB146_109 Depth=2
	v_mov_b32_e32 v16, s89
	ds_load_b64 v[16:17], v16
	s_cbranch_execz .LBB146_176
	s_branch .LBB146_179
.LBB146_175:                            ;   in Loop: Header=BB146_109 Depth=2
                                        ; implicit-def: $vgpr16
.LBB146_176:                            ;   in Loop: Header=BB146_109 Depth=2
	s_waitcnt lgkmcnt(0)
	v_mov_b32_e32 v17, 0
	s_and_not1_b32 vcc_lo, exec_lo, s66
	s_cbranch_vccnz .LBB146_178
; %bb.177:                              ;   in Loop: Header=BB146_109 Depth=2
	s_mov_b32 s61, s65
	s_delay_alu instid0(SALU_CYCLE_1) | instskip(NEXT) | instid1(SALU_CYCLE_1)
	s_lshl_b64 s[46:47], s[60:61], 2
	s_add_u32 s46, s76, s46
	s_addc_u32 s47, s77, s47
	global_load_b32 v17, v37, s[46:47]
.LBB146_178:                            ;   in Loop: Header=BB146_109 Depth=2
	v_mov_b32_e32 v16, 1.0
.LBB146_179:                            ;   in Loop: Header=BB146_109 Depth=2
	s_waitcnt lgkmcnt(31)
	v_dual_mul_f32 v173, 0x3fb8aa3b, v159 :: v_dual_mul_f32 v32, v32, v158
	s_waitcnt lgkmcnt(29)
	v_dual_mul_f32 v161, v33, v157 :: v_dual_mul_f32 v28, v28, v154
	s_delay_alu instid0(VALU_DEP_2) | instskip(NEXT) | instid1(VALU_DEP_3)
	v_dual_mul_f32 v162, v30, v156 :: v_dual_mul_f32 v159, v173, v107
	v_cndmask_b32_e64 v33, 0, v32, s28
	v_mul_f32_e32 v32, v173, v110
	s_waitcnt lgkmcnt(26)
	v_dual_mul_f32 v167, v173, v114 :: v_dual_mul_f32 v22, v22, v148
	v_cmp_gt_f32_e32 vcc_lo, 0xc2fc0000, v159
	v_mul_f32_e32 v174, v173, v119
	v_cmp_gt_f32_e64 s47, 0xc2fc0000, v32
	v_cndmask_b32_e64 v28, 0, v28, s33
	s_waitcnt lgkmcnt(24)
	v_dual_mul_f32 v177, v173, v138 :: v_dual_mul_f32 v18, v18, v144
	v_cndmask_b32_e64 v30, 0, 0x42800000, vcc_lo
	v_cndmask_b32_e64 v32, 0, 0x42800000, s47
	v_cndmask_b32_e64 v22, 0, v22, s39
	v_dual_mul_f32 v31, v31, v155 :: v_dual_mul_f32 v26, v26, v152
	s_delay_alu instid0(VALU_DEP_4) | instskip(SKIP_2) | instid1(VALU_DEP_4)
	v_fmac_f32_e32 v30, v173, v107
	v_mul_f32_e32 v27, v27, v151
	v_mul_f32_e32 v23, v23, v147
	v_cndmask_b32_e64 v31, 0, v31, s31
	v_cndmask_b32_e64 v26, 0, v26, s35
	v_exp_f32_e32 v163, v30
	v_cndmask_b32_e64 v30, 0, v161, s29
	v_cndmask_b32_e64 v161, 1.0, 0x1f800000, vcc_lo
	v_mul_f32_e32 v160, v173, v108
	v_cndmask_b32_e64 v27, 0, v27, s36
	v_cndmask_b32_e64 v23, 0, v23, s40
	v_mul_f32_e32 v24, v24, v150
	v_dual_mul_f32 v20, v20, v146 :: v_dual_mul_f32 v19, v19, v139
	v_mul_f32_e32 v21, v21, v145
	s_delay_alu instid0(TRANS32_DEP_1) | instskip(SKIP_2) | instid1(VALU_DEP_2)
	v_mul_f32_e32 v161, v163, v161
	v_cmp_gt_f32_e64 s45, 0xc2fc0000, v160
	v_cndmask_b32_e64 v24, 0, v24, s37
	v_cndmask_b32_e64 v159, 0, 0x42800000, s45
	v_cndmask_b32_e64 v164, 1.0, 0x1f800000, s45
	s_delay_alu instid0(VALU_DEP_2) | instskip(NEXT) | instid1(VALU_DEP_1)
	v_fmac_f32_e32 v159, v173, v108
	v_exp_f32_e32 v159, v159
	s_waitcnt_depctr 0xfff
	v_dual_mul_f32 v160, v173, v109 :: v_dual_mul_f32 v159, v159, v164
	s_delay_alu instid0(VALU_DEP_1) | instskip(NEXT) | instid1(VALU_DEP_2)
	v_cmp_gt_f32_e64 s46, 0xc2fc0000, v160
	v_cndmask_b32_e64 v159, 1.0, v159, s29
	s_delay_alu instid0(VALU_DEP_2) | instskip(SKIP_2) | instid1(VALU_DEP_3)
	v_cndmask_b32_e64 v160, 0, 0x42800000, s46
	v_cndmask_b32_e64 v166, 1.0, 0x1f800000, s46
	v_cmp_gt_f32_e64 s46, 0xc2fc0000, v167
	v_fmac_f32_e32 v160, v173, v109
	s_delay_alu instid0(VALU_DEP_1) | instskip(SKIP_1) | instid1(VALU_DEP_1)
	v_exp_f32_e32 v165, v160
	v_mul_f32_e32 v160, v173, v111
	v_cmp_gt_f32_e32 vcc_lo, 0xc2fc0000, v160
	v_cndmask_b32_e64 v160, 1.0, v161, s28
	s_waitcnt_depctr 0xfff
	v_mul_f32_e32 v161, v165, v166
	v_cndmask_b32_e64 v164, 0, 0x42800000, vcc_lo
	v_cndmask_b32_e64 v165, 1.0, 0x1f800000, s47
	v_mul_f32_e32 v166, v173, v113
	s_delay_alu instid0(VALU_DEP_4) | instskip(NEXT) | instid1(VALU_DEP_4)
	v_cndmask_b32_e64 v161, 1.0, v161, s30
	v_fmac_f32_e32 v164, v173, v111
	s_delay_alu instid0(VALU_DEP_1) | instskip(SKIP_1) | instid1(VALU_DEP_1)
	v_exp_f32_e32 v164, v164
	v_fmac_f32_e32 v32, v173, v110
	v_exp_f32_e32 v163, v32
	v_cndmask_b32_e64 v32, 0, v162, s30
	v_mul_f32_e32 v162, v173, v112
	s_delay_alu instid0(VALU_DEP_1) | instskip(SKIP_4) | instid1(VALU_DEP_3)
	v_cmp_gt_f32_e64 s45, 0xc2fc0000, v162
	s_waitcnt_depctr 0xfff
	v_mul_f32_e32 v163, v163, v165
	v_cndmask_b32_e64 v165, 0, 0x42800000, s45
	v_cndmask_b32_e64 v167, 1.0, 0x1f800000, s45
	v_cndmask_b32_e64 v162, 1.0, v163, s31
	v_cndmask_b32_e64 v163, 1.0, 0x1f800000, vcc_lo
	v_cmp_gt_f32_e32 vcc_lo, 0xc2fc0000, v166
	s_delay_alu instid0(VALU_DEP_2) | instskip(SKIP_1) | instid1(VALU_DEP_2)
	v_mul_f32_e32 v163, v164, v163
	v_cndmask_b32_e64 v166, 0, 0x42800000, vcc_lo
	v_cndmask_b32_e64 v163, 1.0, v163, s33
	s_delay_alu instid0(VALU_DEP_2) | instskip(NEXT) | instid1(VALU_DEP_1)
	v_fmac_f32_e32 v166, v173, v113
	v_exp_f32_e32 v166, v166
	v_fmac_f32_e32 v165, v173, v112
	s_delay_alu instid0(VALU_DEP_1) | instskip(SKIP_4) | instid1(VALU_DEP_2)
	v_exp_f32_e32 v164, v165
	v_cndmask_b32_e64 v165, 0, 0x42800000, s46
	s_waitcnt_depctr 0xfff
	v_dual_fmac_f32 v165, v173, v114 :: v_dual_mul_f32 v164, v164, v167
	v_cndmask_b32_e64 v167, 1.0, 0x1f800000, vcc_lo
	v_exp_f32_e32 v168, v165
	v_mul_f32_e32 v165, v173, v115
	s_delay_alu instid0(VALU_DEP_3) | instskip(NEXT) | instid1(VALU_DEP_3)
	v_cndmask_b32_e64 v164, 1.0, v164, s34
	v_mul_f32_e32 v166, v166, v167
	v_cndmask_b32_e64 v167, 1.0, 0x1f800000, s46
	s_delay_alu instid0(VALU_DEP_4) | instskip(SKIP_1) | instid1(VALU_DEP_4)
	v_cmp_gt_f32_e32 vcc_lo, 0xc2fc0000, v165
	v_mul_f32_e32 v29, v29, v153
	v_cndmask_b32_e64 v165, 1.0, v166, s35
	s_delay_alu instid0(TRANS32_DEP_1) | instid1(VALU_DEP_4)
	v_mul_f32_e32 v166, v168, v167
	v_cndmask_b32_e64 v169, 0, 0x42800000, vcc_lo
	v_mul_f32_e32 v167, v173, v116
	v_cndmask_b32_e64 v171, 1.0, 0x1f800000, vcc_lo
	v_cndmask_b32_e64 v29, 0, v29, s34
	v_cndmask_b32_e64 v166, 1.0, v166, s36
	v_fmac_f32_e32 v169, v173, v115
	v_cmp_gt_f32_e64 s45, 0xc2fc0000, v167
	v_mul_f32_e32 v168, v173, v117
	s_delay_alu instid0(VALU_DEP_3) | instskip(NEXT) | instid1(VALU_DEP_2)
	v_exp_f32_e32 v169, v169
	v_cndmask_b32_e64 v167, 0, 0x42800000, s45
	s_delay_alu instid0(VALU_DEP_2) | instskip(NEXT) | instid1(VALU_DEP_2)
	v_cmp_gt_f32_e64 s46, 0xc2fc0000, v168
	v_fmac_f32_e32 v167, v173, v116
	s_delay_alu instid0(VALU_DEP_2) | instskip(NEXT) | instid1(VALU_DEP_2)
	v_cndmask_b32_e64 v168, 0, 0x42800000, s46
	v_exp_f32_e32 v172, v167
	s_waitcnt_depctr 0xfff
	v_mul_f32_e32 v167, v169, v171
	v_fmac_f32_e32 v168, v173, v117
	v_cndmask_b32_e64 v169, 1.0, 0x1f800000, s45
	v_cndmask_b32_e64 v171, 1.0, 0x1f800000, s46
	s_delay_alu instid0(VALU_DEP_4) | instskip(SKIP_3) | instid1(VALU_DEP_2)
	v_cndmask_b32_e64 v167, 1.0, v167, s37
	v_mul_f32_e32 v170, v173, v118
	v_exp_f32_e32 v168, v168
	v_mul_f32_e32 v169, v172, v169
	v_cmp_gt_f32_e32 vcc_lo, 0xc2fc0000, v170
	v_cndmask_b32_e64 v170, 0, 0x42800000, vcc_lo
	v_cndmask_b32_e64 v172, 1.0, 0x1f800000, vcc_lo
	s_waitcnt_depctr 0xfff
	v_mul_f32_e32 v171, v168, v171
	v_cmp_gt_f32_e32 vcc_lo, 0xc2fc0000, v174
	v_cndmask_b32_e64 v168, 1.0, v169, s38
	v_fmac_f32_e32 v170, v173, v118
	v_fma_f32 v174, v159, v33, v30
	v_cndmask_b32_e64 v169, 1.0, v171, s39
	v_cndmask_b32_e64 v171, 0, 0x42800000, vcc_lo
	s_delay_alu instid0(VALU_DEP_4) | instskip(NEXT) | instid1(VALU_DEP_3)
	v_exp_f32_e32 v170, v170
	v_fma_f32 v174, v174, v161, v32
	s_delay_alu instid0(VALU_DEP_1) | instskip(SKIP_4) | instid1(VALU_DEP_3)
	v_fma_f32 v174, v174, v162, v31
	s_waitcnt_depctr 0xfff
	v_mul_f32_e32 v170, v170, v172
	v_mul_f32_e32 v172, v159, v160
	v_fma_f32 v174, v174, v163, v28
	v_cndmask_b32_e64 v178, 1.0, v170, s40
	s_delay_alu instid0(VALU_DEP_3) | instskip(SKIP_3) | instid1(VALU_DEP_4)
	v_mul_f32_e32 v172, v172, v161
	v_cndmask_b32_e64 v170, 1.0, 0x1f800000, vcc_lo
	v_mul_f32_e32 v175, v173, v120
	v_fma_f32 v174, v174, v164, v29
	v_dual_mul_f32 v172, v172, v162 :: v_dual_mul_f32 v25, v25, v149
	s_delay_alu instid0(VALU_DEP_3) | instskip(NEXT) | instid1(VALU_DEP_3)
	v_cmp_gt_f32_e64 s45, 0xc2fc0000, v175
	v_fma_f32 v174, v174, v165, v26
	s_delay_alu instid0(VALU_DEP_3) | instskip(SKIP_1) | instid1(VALU_DEP_4)
	v_mul_f32_e32 v172, v172, v163
	v_fmac_f32_e32 v171, v173, v119
	v_cndmask_b32_e64 v175, 0, 0x42800000, s45
	s_delay_alu instid0(VALU_DEP_4) | instskip(SKIP_3) | instid1(VALU_DEP_3)
	v_fma_f32 v174, v174, v166, v27
	v_cndmask_b32_e64 v25, 0, v25, s38
	v_mul_f32_e32 v176, v172, v164
	v_exp_f32_e32 v171, v171
	v_fma_f32 v174, v174, v167, v24
	s_waitcnt_depctr 0xfff
	v_mul_f32_e32 v171, v171, v170
	v_cndmask_b32_e64 v170, 0, v20, s41
	v_cndmask_b32_e64 v20, 1.0, 0x1f800000, s45
	v_cmp_gt_f32_e64 s45, 0xc2fc0000, v177
	v_fma_f32 v177, v174, v168, v25
	v_cndmask_b32_e64 v172, 1.0, v171, s41
	v_mul_f32_e32 v171, v176, v165
	v_mul_f32_e32 v176, v173, v121
	s_delay_alu instid0(VALU_DEP_1) | instskip(SKIP_1) | instid1(VALU_DEP_1)
	v_cmp_gt_f32_e32 vcc_lo, 0xc2fc0000, v176
	v_cndmask_b32_e64 v176, 0, 0x42800000, vcc_lo
	v_fmac_f32_e32 v176, v173, v121
	s_delay_alu instid0(VALU_DEP_1) | instskip(SKIP_1) | instid1(VALU_DEP_1)
	v_exp_f32_e32 v176, v176
	v_fmac_f32_e32 v175, v173, v120
	v_exp_f32_e32 v175, v175
	s_waitcnt_depctr 0xfff
	v_mul_f32_e32 v20, v175, v20
	v_mul_f32_e32 v175, v171, v166
	v_cndmask_b32_e64 v171, 0, v21, s42
	s_delay_alu instid0(VALU_DEP_3) | instskip(NEXT) | instid1(VALU_DEP_3)
	v_cndmask_b32_e64 v174, 1.0, v20, s42
	v_mul_f32_e32 v21, v175, v167
	v_cndmask_b32_e64 v175, 0, 0x42800000, s45
	s_delay_alu instid0(VALU_DEP_1) | instskip(SKIP_1) | instid1(VALU_DEP_2)
	v_fmac_f32_e32 v175, v173, v138
	v_cndmask_b32_e64 v173, 1.0, 0x1f800000, vcc_lo
	v_exp_f32_e32 v175, v175
	s_delay_alu instid0(VALU_DEP_1) | instskip(SKIP_3) | instid1(VALU_DEP_4)
	v_mul_f32_e32 v176, v176, v173
	v_cndmask_b32_e64 v173, 0, v18, s43
	v_cndmask_b32_e64 v18, 1.0, 0x1f800000, s45
	v_mul_f32_e32 v21, v21, v168
	v_cndmask_b32_e64 v176, 1.0, v176, s43
	s_waitcnt_depctr 0xfff
	v_mul_f32_e32 v18, v175, v18
	v_mul_f32_e32 v20, v21, v169
	v_fma_f32 v21, v177, v169, v22
	v_cndmask_b32_e64 v175, 0, v19, s44
	s_delay_alu instid0(VALU_DEP_4) | instskip(NEXT) | instid1(VALU_DEP_4)
	v_cndmask_b32_e64 v177, 1.0, v18, s44
	v_mul_f32_e32 v20, v20, v178
	s_delay_alu instid0(VALU_DEP_4) | instskip(NEXT) | instid1(VALU_DEP_2)
	v_fma_f32 v21, v21, v178, v23
	v_mul_f32_e32 v20, v20, v172
	s_delay_alu instid0(VALU_DEP_2) | instskip(NEXT) | instid1(VALU_DEP_2)
	v_fma_f32 v21, v21, v172, v170
	v_mul_f32_e32 v20, v20, v174
	s_delay_alu instid0(VALU_DEP_2) | instskip(NEXT) | instid1(VALU_DEP_2)
	;; [unrolled: 3-line block ×4, first 2 shown]
	v_fma_f32 v19, v19, v177, v175
	v_mov_b32_dpp v21, v18 row_shr:1 row_mask:0xf bank_mask:0xf
	s_delay_alu instid0(VALU_DEP_2)
	v_mov_b32_dpp v20, v19 row_shr:1 row_mask:0xf bank_mask:0xf
	s_and_saveexec_b32 s45, s0
; %bb.180:                              ;   in Loop: Header=BB146_109 Depth=2
	s_delay_alu instid0(VALU_DEP_2) | instskip(NEXT) | instid1(VALU_DEP_1)
	v_mul_f32_e32 v21, v18, v21
	v_dual_fmac_f32 v19, v18, v20 :: v_dual_mov_b32 v18, v21
; %bb.181:                              ;   in Loop: Header=BB146_109 Depth=2
	s_or_b32 exec_lo, exec_lo, s45
	s_delay_alu instid0(VALU_DEP_1) | instskip(NEXT) | instid1(VALU_DEP_2)
	v_mov_b32_dpp v20, v18 row_shr:2 row_mask:0xf bank_mask:0xf
	v_mov_b32_dpp v21, v19 row_shr:2 row_mask:0xf bank_mask:0xf
	s_and_saveexec_b32 s45, s1
; %bb.182:                              ;   in Loop: Header=BB146_109 Depth=2
	s_delay_alu instid0(VALU_DEP_1) | instskip(NEXT) | instid1(VALU_DEP_3)
	v_fmac_f32_e32 v19, v18, v21
	v_mul_f32_e32 v18, v18, v20
; %bb.183:                              ;   in Loop: Header=BB146_109 Depth=2
	s_or_b32 exec_lo, exec_lo, s45
	s_delay_alu instid0(VALU_DEP_1) | instskip(NEXT) | instid1(VALU_DEP_3)
	v_mov_b32_dpp v20, v18 row_shr:4 row_mask:0xf bank_mask:0xf
	v_mov_b32_dpp v21, v19 row_shr:4 row_mask:0xf bank_mask:0xf
	s_and_saveexec_b32 s45, s2
; %bb.184:                              ;   in Loop: Header=BB146_109 Depth=2
	s_delay_alu instid0(VALU_DEP_1) | instskip(NEXT) | instid1(VALU_DEP_3)
	v_fmac_f32_e32 v19, v18, v21
	v_mul_f32_e32 v18, v18, v20
; %bb.185:                              ;   in Loop: Header=BB146_109 Depth=2
	s_or_b32 exec_lo, exec_lo, s45
	s_delay_alu instid0(VALU_DEP_1) | instskip(NEXT) | instid1(VALU_DEP_3)
	v_mov_b32_dpp v20, v18 row_shr:8 row_mask:0xf bank_mask:0xf
	v_mov_b32_dpp v21, v19 row_shr:8 row_mask:0xf bank_mask:0xf
	s_and_saveexec_b32 s45, s3
; %bb.186:                              ;   in Loop: Header=BB146_109 Depth=2
	s_delay_alu instid0(VALU_DEP_1) | instskip(NEXT) | instid1(VALU_DEP_3)
	v_fmac_f32_e32 v19, v18, v21
	v_mul_f32_e32 v18, v18, v20
; %bb.187:                              ;   in Loop: Header=BB146_109 Depth=2
	s_or_b32 exec_lo, exec_lo, s45
	ds_swizzle_b32 v21, v18 offset:swizzle(BROADCAST,32,15)
	ds_swizzle_b32 v20, v19 offset:swizzle(BROADCAST,32,15)
	s_and_saveexec_b32 s45, s4
	s_cbranch_execz .LBB146_189
; %bb.188:                              ;   in Loop: Header=BB146_109 Depth=2
	s_waitcnt lgkmcnt(1)
	v_mul_f32_e32 v21, v18, v21
	s_waitcnt lgkmcnt(0)
	s_delay_alu instid0(VALU_DEP_1)
	v_dual_fmac_f32 v19, v18, v20 :: v_dual_mov_b32 v18, v21
.LBB146_189:                            ;   in Loop: Header=BB146_109 Depth=2
	s_or_b32 exec_lo, exec_lo, s45
	s_and_saveexec_b32 s45, s5
	s_cbranch_execz .LBB146_191
; %bb.190:                              ;   in Loop: Header=BB146_109 Depth=2
	ds_store_b64 v86, v[18:19] offset:8448
.LBB146_191:                            ;   in Loop: Header=BB146_109 Depth=2
	s_or_b32 exec_lo, exec_lo, s45
	s_waitcnt vmcnt(0) lgkmcnt(0)
	s_waitcnt_vscnt null, 0x0
	s_barrier
	buffer_gl0_inv
	s_and_saveexec_b32 s45, s6
	s_cbranch_execz .LBB146_193
; %bb.192:                              ;   in Loop: Header=BB146_109 Depth=2
	ds_load_b64 v[20:21], v87 offset:8448
	s_waitcnt lgkmcnt(0)
	v_mov_b32_dpp v179, v20 row_shr:1 row_mask:0xf bank_mask:0xf
	v_mov_b32_dpp v180, v21 row_shr:1 row_mask:0xf bank_mask:0xf
	s_delay_alu instid0(VALU_DEP_2) | instskip(NEXT) | instid1(VALU_DEP_2)
	v_mul_f32_e32 v179, v20, v179
	v_fma_f32 v180, v20, v180, v21
	s_delay_alu instid0(VALU_DEP_2) | instskip(NEXT) | instid1(VALU_DEP_2)
	v_cndmask_b32_e64 v20, v179, v20, s7
	v_cndmask_b32_e64 v21, v180, v21, s7
	ds_store_b64 v87, v[20:21] offset:8448
.LBB146_193:                            ;   in Loop: Header=BB146_109 Depth=2
	s_or_b32 exec_lo, exec_lo, s45
	s_waitcnt lgkmcnt(0)
	s_barrier
	buffer_gl0_inv
                                        ; implicit-def: $vgpr21
	s_and_saveexec_b32 s45, s9
	s_cbranch_execz .LBB146_195
; %bb.194:                              ;   in Loop: Header=BB146_109 Depth=2
	ds_load_b64 v[20:21], v86 offset:8440
	s_waitcnt lgkmcnt(0)
	v_mul_f32_e32 v179, v18, v20
	s_delay_alu instid0(VALU_DEP_1)
	v_dual_fmac_f32 v19, v18, v21 :: v_dual_mov_b32 v18, v179
.LBB146_195:                            ;   in Loop: Header=BB146_109 Depth=2
	s_or_b32 exec_lo, exec_lo, s45
	ds_bpermute_b32 v179, v88, v18
	ds_bpermute_b32 v180, v88, v19
	s_and_saveexec_b32 s45, s8
	s_cbranch_execz .LBB146_199
; %bb.196:                              ;   in Loop: Header=BB146_109 Depth=2
	ds_load_b64 v[18:19], v37 offset:8456
	s_and_saveexec_b32 s46, s10
	s_cbranch_execz .LBB146_198
; %bb.197:                              ;   in Loop: Header=BB146_109 Depth=2
	ds_store_b64 v37, v[16:17] offset:8456
.LBB146_198:                            ;   in Loop: Header=BB146_109 Depth=2
	s_or_b32 exec_lo, exec_lo, s46
	s_waitcnt lgkmcnt(0)
	v_fmac_f32_e32 v19, v17, v18
	s_delay_alu instid0(VALU_DEP_1)
	v_dual_mul_f32 v16, v16, v18 :: v_dual_mov_b32 v17, v19
.LBB146_199:                            ;   in Loop: Header=BB146_109 Depth=2
	s_or_b32 exec_lo, exec_lo, s45
	s_waitcnt lgkmcnt(0)
	s_barrier
	buffer_gl0_inv
	ds_load_b32 v18, v37 offset:8460
	s_and_saveexec_b32 s45, s10
	s_cbranch_execz .LBB146_108
; %bb.200:                              ;   in Loop: Header=BB146_109 Depth=2
	v_mov_b32_e32 v19, s89
	s_and_not1_b32 vcc_lo, exec_lo, s87
	ds_store_b64 v19, v[16:17]
	s_cbranch_vccnz .LBB146_108
; %bb.201:                              ;   in Loop: Header=BB146_109 Depth=2
	s_mov_b32 s61, s65
	s_delay_alu instid0(SALU_CYCLE_1) | instskip(NEXT) | instid1(SALU_CYCLE_1)
	s_lshl_b64 s[46:47], s[60:61], 2
	s_add_u32 s46, s76, s46
	s_addc_u32 s47, s77, s47
	global_store_b32 v37, v17, s[46:47]
	s_branch .LBB146_108
.LBB146_202:                            ;   in Loop: Header=BB146_12 Depth=1
	s_waitcnt_vscnt null, 0x0
	s_barrier
	buffer_gl0_inv
	ds_store_2addr_b32 v69, v137, v136 offset1:1
	ds_store_2addr_b32 v69, v135, v134 offset0:2 offset1:3
	ds_store_2addr_b32 v69, v132, v131 offset0:4 offset1:5
	;; [unrolled: 1-line block ×7, first 2 shown]
	; wave barrier
	ds_load_b32 v16, v54 offset:128
	ds_load_b32 v15, v55 offset:256
	;; [unrolled: 1-line block ×15, first 2 shown]
	s_mov_b32 s51, s65
	s_delay_alu instid0(SALU_CYCLE_1) | instskip(NEXT) | instid1(SALU_CYCLE_1)
	s_lshl_b64 s[28:29], s[50:51], 2
	v_add_co_u32 v0, vcc_lo, v89, s28
	v_add_co_ci_u32_e32 v1, vcc_lo, s29, v90, vcc_lo
	s_and_saveexec_b32 s28, s12
	s_cbranch_execnz .LBB146_220
; %bb.203:                              ;   in Loop: Header=BB146_12 Depth=1
	s_or_b32 exec_lo, exec_lo, s28
	s_and_saveexec_b32 s12, s13
	s_cbranch_execnz .LBB146_221
.LBB146_204:                            ;   in Loop: Header=BB146_12 Depth=1
	s_or_b32 exec_lo, exec_lo, s12
	s_and_saveexec_b32 s12, s14
	s_cbranch_execnz .LBB146_222
.LBB146_205:                            ;   in Loop: Header=BB146_12 Depth=1
	s_or_b32 exec_lo, exec_lo, s12
	s_and_saveexec_b32 s12, s15
	s_cbranch_execnz .LBB146_223
.LBB146_206:                            ;   in Loop: Header=BB146_12 Depth=1
	s_or_b32 exec_lo, exec_lo, s12
	s_and_saveexec_b32 s12, s16
	s_cbranch_execnz .LBB146_224
.LBB146_207:                            ;   in Loop: Header=BB146_12 Depth=1
	s_or_b32 exec_lo, exec_lo, s12
	s_and_saveexec_b32 s12, s17
	s_cbranch_execnz .LBB146_225
.LBB146_208:                            ;   in Loop: Header=BB146_12 Depth=1
	s_or_b32 exec_lo, exec_lo, s12
	s_and_saveexec_b32 s12, s18
	s_cbranch_execnz .LBB146_226
.LBB146_209:                            ;   in Loop: Header=BB146_12 Depth=1
	s_or_b32 exec_lo, exec_lo, s12
	s_and_saveexec_b32 s12, s19
	s_cbranch_execnz .LBB146_227
.LBB146_210:                            ;   in Loop: Header=BB146_12 Depth=1
	s_or_b32 exec_lo, exec_lo, s12
	s_and_saveexec_b32 s12, s20
	s_cbranch_execnz .LBB146_228
.LBB146_211:                            ;   in Loop: Header=BB146_12 Depth=1
	s_or_b32 exec_lo, exec_lo, s12
	s_and_saveexec_b32 s12, s21
	s_cbranch_execnz .LBB146_229
.LBB146_212:                            ;   in Loop: Header=BB146_12 Depth=1
	s_or_b32 exec_lo, exec_lo, s12
	s_and_saveexec_b32 s12, s22
	s_cbranch_execnz .LBB146_230
.LBB146_213:                            ;   in Loop: Header=BB146_12 Depth=1
	s_or_b32 exec_lo, exec_lo, s12
	s_and_saveexec_b32 s12, s23
	s_cbranch_execnz .LBB146_231
.LBB146_214:                            ;   in Loop: Header=BB146_12 Depth=1
	s_or_b32 exec_lo, exec_lo, s12
	s_and_saveexec_b32 s12, s24
	s_cbranch_execnz .LBB146_232
.LBB146_215:                            ;   in Loop: Header=BB146_12 Depth=1
	s_or_b32 exec_lo, exec_lo, s12
	s_and_saveexec_b32 s12, s25
	s_cbranch_execnz .LBB146_233
.LBB146_216:                            ;   in Loop: Header=BB146_12 Depth=1
	s_or_b32 exec_lo, exec_lo, s12
	s_and_saveexec_b32 s12, s26
	s_cbranch_execnz .LBB146_234
.LBB146_217:                            ;   in Loop: Header=BB146_12 Depth=1
	s_or_b32 exec_lo, exec_lo, s12
	s_and_saveexec_b32 s12, s27
	s_cbranch_execz .LBB146_11
	s_branch .LBB146_235
.LBB146_218:                            ;   in Loop: Header=BB146_12 Depth=1
	global_load_b32 v33, v[16:17], off offset:1664
	s_or_b32 exec_lo, exec_lo, s28
	s_and_saveexec_b32 s28, s26
	s_cbranch_execz .LBB146_72
.LBB146_219:                            ;   in Loop: Header=BB146_12 Depth=1
	global_load_b32 v31, v[16:17], off offset:1792
	s_or_b32 exec_lo, exec_lo, s28
	v_mov_b32_e32 v107, 0
	s_and_saveexec_b32 s28, s27
	s_cbranch_execnz .LBB146_73
	s_branch .LBB146_74
.LBB146_220:                            ;   in Loop: Header=BB146_12 Depth=1
	ds_load_b32 v17, v53
	s_waitcnt lgkmcnt(0)
	global_store_b32 v[0:1], v17, off
	s_or_b32 exec_lo, exec_lo, s28
	s_and_saveexec_b32 s12, s13
	s_cbranch_execz .LBB146_204
.LBB146_221:                            ;   in Loop: Header=BB146_12 Depth=1
	s_waitcnt lgkmcnt(14)
	global_store_b32 v[0:1], v16, off offset:128
	s_or_b32 exec_lo, exec_lo, s12
	s_and_saveexec_b32 s12, s14
	s_cbranch_execz .LBB146_205
.LBB146_222:                            ;   in Loop: Header=BB146_12 Depth=1
	s_waitcnt lgkmcnt(13)
	global_store_b32 v[0:1], v15, off offset:256
	s_or_b32 exec_lo, exec_lo, s12
	s_and_saveexec_b32 s12, s15
	s_cbranch_execz .LBB146_206
.LBB146_223:                            ;   in Loop: Header=BB146_12 Depth=1
	s_waitcnt lgkmcnt(12)
	global_store_b32 v[0:1], v14, off offset:384
	s_or_b32 exec_lo, exec_lo, s12
	s_and_saveexec_b32 s12, s16
	s_cbranch_execz .LBB146_207
.LBB146_224:                            ;   in Loop: Header=BB146_12 Depth=1
	s_waitcnt lgkmcnt(11)
	global_store_b32 v[0:1], v13, off offset:512
	s_or_b32 exec_lo, exec_lo, s12
	s_and_saveexec_b32 s12, s17
	s_cbranch_execz .LBB146_208
.LBB146_225:                            ;   in Loop: Header=BB146_12 Depth=1
	s_waitcnt lgkmcnt(10)
	global_store_b32 v[0:1], v12, off offset:640
	s_or_b32 exec_lo, exec_lo, s12
	s_and_saveexec_b32 s12, s18
	s_cbranch_execz .LBB146_209
.LBB146_226:                            ;   in Loop: Header=BB146_12 Depth=1
	s_waitcnt lgkmcnt(9)
	global_store_b32 v[0:1], v11, off offset:768
	s_or_b32 exec_lo, exec_lo, s12
	s_and_saveexec_b32 s12, s19
	s_cbranch_execz .LBB146_210
.LBB146_227:                            ;   in Loop: Header=BB146_12 Depth=1
	s_waitcnt lgkmcnt(8)
	global_store_b32 v[0:1], v10, off offset:896
	s_or_b32 exec_lo, exec_lo, s12
	s_and_saveexec_b32 s12, s20
	s_cbranch_execz .LBB146_211
.LBB146_228:                            ;   in Loop: Header=BB146_12 Depth=1
	s_waitcnt lgkmcnt(7)
	global_store_b32 v[0:1], v9, off offset:1024
	s_or_b32 exec_lo, exec_lo, s12
	s_and_saveexec_b32 s12, s21
	s_cbranch_execz .LBB146_212
.LBB146_229:                            ;   in Loop: Header=BB146_12 Depth=1
	s_waitcnt lgkmcnt(6)
	global_store_b32 v[0:1], v8, off offset:1152
	s_or_b32 exec_lo, exec_lo, s12
	s_and_saveexec_b32 s12, s22
	s_cbranch_execz .LBB146_213
.LBB146_230:                            ;   in Loop: Header=BB146_12 Depth=1
	s_waitcnt lgkmcnt(5)
	global_store_b32 v[0:1], v7, off offset:1280
	s_or_b32 exec_lo, exec_lo, s12
	s_and_saveexec_b32 s12, s23
	s_cbranch_execz .LBB146_214
.LBB146_231:                            ;   in Loop: Header=BB146_12 Depth=1
	s_waitcnt lgkmcnt(4)
	global_store_b32 v[0:1], v6, off offset:1408
	s_or_b32 exec_lo, exec_lo, s12
	s_and_saveexec_b32 s12, s24
	s_cbranch_execz .LBB146_215
.LBB146_232:                            ;   in Loop: Header=BB146_12 Depth=1
	s_waitcnt lgkmcnt(3)
	global_store_b32 v[0:1], v5, off offset:1536
	s_or_b32 exec_lo, exec_lo, s12
	s_and_saveexec_b32 s12, s25
	s_cbranch_execz .LBB146_216
.LBB146_233:                            ;   in Loop: Header=BB146_12 Depth=1
	s_waitcnt lgkmcnt(2)
	global_store_b32 v[0:1], v4, off offset:1664
	s_or_b32 exec_lo, exec_lo, s12
	s_and_saveexec_b32 s12, s26
	s_cbranch_execz .LBB146_217
.LBB146_234:                            ;   in Loop: Header=BB146_12 Depth=1
	s_waitcnt lgkmcnt(1)
	global_store_b32 v[0:1], v3, off offset:1792
	s_or_b32 exec_lo, exec_lo, s12
	s_and_saveexec_b32 s12, s27
	s_cbranch_execz .LBB146_11
.LBB146_235:                            ;   in Loop: Header=BB146_12 Depth=1
	s_waitcnt lgkmcnt(0)
	global_store_b32 v[0:1], v2, off offset:1920
	s_branch .LBB146_11
.LBB146_236:
	s_nop 0
	s_sendmsg sendmsg(MSG_DEALLOC_VGPRS)
	s_endpgm
	.section	.rodata,"a",@progbits
	.p2align	6, 0x0
	.amdhsa_kernel _Z25selective_scan_fwd_kernelI32Selective_Scan_fwd_kernel_traitsILi64ELi16ELi1ELb1ELb1ELb1ELb0ELb1EfffEEv13SSMParamsBase
		.amdhsa_group_segment_fixed_size 0
		.amdhsa_private_segment_fixed_size 0
		.amdhsa_kernarg_size 248
		.amdhsa_user_sgpr_count 14
		.amdhsa_user_sgpr_dispatch_ptr 0
		.amdhsa_user_sgpr_queue_ptr 0
		.amdhsa_user_sgpr_kernarg_segment_ptr 1
		.amdhsa_user_sgpr_dispatch_id 0
		.amdhsa_user_sgpr_private_segment_size 0
		.amdhsa_wavefront_size32 1
		.amdhsa_uses_dynamic_stack 0
		.amdhsa_enable_private_segment 0
		.amdhsa_system_sgpr_workgroup_id_x 1
		.amdhsa_system_sgpr_workgroup_id_y 1
		.amdhsa_system_sgpr_workgroup_id_z 0
		.amdhsa_system_sgpr_workgroup_info 0
		.amdhsa_system_vgpr_workitem_id 0
		.amdhsa_next_free_vgpr 181
		.amdhsa_next_free_sgpr 90
		.amdhsa_reserve_vcc 1
		.amdhsa_float_round_mode_32 0
		.amdhsa_float_round_mode_16_64 0
		.amdhsa_float_denorm_mode_32 3
		.amdhsa_float_denorm_mode_16_64 3
		.amdhsa_dx10_clamp 1
		.amdhsa_ieee_mode 1
		.amdhsa_fp16_overflow 0
		.amdhsa_workgroup_processor_mode 1
		.amdhsa_memory_ordered 1
		.amdhsa_forward_progress 0
		.amdhsa_shared_vgpr_count 0
		.amdhsa_exception_fp_ieee_invalid_op 0
		.amdhsa_exception_fp_denorm_src 0
		.amdhsa_exception_fp_ieee_div_zero 0
		.amdhsa_exception_fp_ieee_overflow 0
		.amdhsa_exception_fp_ieee_underflow 0
		.amdhsa_exception_fp_ieee_inexact 0
		.amdhsa_exception_int_div_zero 0
	.end_amdhsa_kernel
	.section	.text._Z25selective_scan_fwd_kernelI32Selective_Scan_fwd_kernel_traitsILi64ELi16ELi1ELb1ELb1ELb1ELb0ELb1EfffEEv13SSMParamsBase,"axG",@progbits,_Z25selective_scan_fwd_kernelI32Selective_Scan_fwd_kernel_traitsILi64ELi16ELi1ELb1ELb1ELb1ELb0ELb1EfffEEv13SSMParamsBase,comdat
.Lfunc_end146:
	.size	_Z25selective_scan_fwd_kernelI32Selective_Scan_fwd_kernel_traitsILi64ELi16ELi1ELb1ELb1ELb1ELb0ELb1EfffEEv13SSMParamsBase, .Lfunc_end146-_Z25selective_scan_fwd_kernelI32Selective_Scan_fwd_kernel_traitsILi64ELi16ELi1ELb1ELb1ELb1ELb0ELb1EfffEEv13SSMParamsBase
                                        ; -- End function
	.section	.AMDGPU.csdata,"",@progbits
; Kernel info:
; codeLenInByte = 20556
; NumSgprs: 92
; NumVgprs: 181
; ScratchSize: 0
; MemoryBound: 0
; FloatMode: 240
; IeeeMode: 1
; LDSByteSize: 0 bytes/workgroup (compile time only)
; SGPRBlocks: 11
; VGPRBlocks: 22
; NumSGPRsForWavesPerEU: 92
; NumVGPRsForWavesPerEU: 181
; Occupancy: 8
; WaveLimiterHint : 1
; COMPUTE_PGM_RSRC2:SCRATCH_EN: 0
; COMPUTE_PGM_RSRC2:USER_SGPR: 14
; COMPUTE_PGM_RSRC2:TRAP_HANDLER: 0
; COMPUTE_PGM_RSRC2:TGID_X_EN: 1
; COMPUTE_PGM_RSRC2:TGID_Y_EN: 1
; COMPUTE_PGM_RSRC2:TGID_Z_EN: 0
; COMPUTE_PGM_RSRC2:TIDIG_COMP_CNT: 0
	.section	.text._Z25selective_scan_fwd_kernelI32Selective_Scan_fwd_kernel_traitsILi64ELi16ELi1ELb1ELb1ELb1ELb0ELb0EfffEEv13SSMParamsBase,"axG",@progbits,_Z25selective_scan_fwd_kernelI32Selective_Scan_fwd_kernel_traitsILi64ELi16ELi1ELb1ELb1ELb1ELb0ELb0EfffEEv13SSMParamsBase,comdat
	.protected	_Z25selective_scan_fwd_kernelI32Selective_Scan_fwd_kernel_traitsILi64ELi16ELi1ELb1ELb1ELb1ELb0ELb0EfffEEv13SSMParamsBase ; -- Begin function _Z25selective_scan_fwd_kernelI32Selective_Scan_fwd_kernel_traitsILi64ELi16ELi1ELb1ELb1ELb1ELb0ELb0EfffEEv13SSMParamsBase
	.globl	_Z25selective_scan_fwd_kernelI32Selective_Scan_fwd_kernel_traitsILi64ELi16ELi1ELb1ELb1ELb1ELb0ELb0EfffEEv13SSMParamsBase
	.p2align	8
	.type	_Z25selective_scan_fwd_kernelI32Selective_Scan_fwd_kernel_traitsILi64ELi16ELi1ELb1ELb1ELb1ELb0ELb0EfffEEv13SSMParamsBase,@function
_Z25selective_scan_fwd_kernelI32Selective_Scan_fwd_kernel_traitsILi64ELi16ELi1ELb1ELb1ELb1ELb0ELb0EfffEEv13SSMParamsBase: ; @_Z25selective_scan_fwd_kernelI32Selective_Scan_fwd_kernel_traitsILi64ELi16ELi1ELb1ELb1ELb1ELb0ELb0EfffEEv13SSMParamsBase
; %bb.0:
	s_clause 0x1
	s_load_b32 s9, s[0:1], 0x18
	s_load_b128 s[4:7], s[0:1], 0xe8
	s_mov_b32 s34, s15
	s_mov_b32 s56, 0
	s_waitcnt lgkmcnt(0)
	s_abs_i32 s8, s9
	s_cmp_eq_u64 s[6:7], 0
	v_cvt_f32_u32_e32 v1, s8
	s_delay_alu instid0(VALU_DEP_1) | instskip(SKIP_2) | instid1(VALU_DEP_1)
	v_rcp_iflag_f32_e32 v1, v1
	s_waitcnt_depctr 0xfff
	v_mul_f32_e32 v1, 0x4f7ffffe, v1
	v_cvt_u32_f32_e32 v1, v1
	s_delay_alu instid0(VALU_DEP_1)
	v_readfirstlane_b32 s10, v1
	s_cbranch_scc1 .LBB147_2
; %bb.1:
	v_mov_b32_e32 v1, 0
	s_ashr_i32 s3, s14, 31
	s_add_u32 s2, s6, s14
	s_addc_u32 s3, s7, s3
	global_load_u8 v1, v1, s[2:3]
	s_waitcnt vmcnt(0)
	v_and_b32_e32 v1, 1, v1
	s_delay_alu instid0(VALU_DEP_1)
	v_cmp_eq_u32_e64 s56, 1, v1
.LBB147_2:
	s_load_b64 s[6:7], s[0:1], 0x20
	s_cmp_eq_u64 s[4:5], 0
	s_cbranch_scc1 .LBB147_4
; %bb.3:
	s_ashr_i32 s15, s14, 31
	s_delay_alu instid0(SALU_CYCLE_1) | instskip(NEXT) | instid1(SALU_CYCLE_1)
	s_lshl_b64 s[2:3], s[14:15], 2
	s_add_u32 s2, s4, s2
	s_addc_u32 s3, s5, s3
	s_load_b32 s2, s[2:3], 0x0
	s_waitcnt lgkmcnt(0)
	s_ashr_i32 s3, s2, 31
	s_delay_alu instid0(SALU_CYCLE_1)
	s_cmp_eq_u64 s[6:7], s[2:3]
	s_cbranch_scc0 .LBB147_5
	s_branch .LBB147_92
.LBB147_4:
	s_mov_b32 s2, s14
	s_delay_alu instid0(SALU_CYCLE_1)
	s_ashr_i32 s3, s2, 31
	s_waitcnt lgkmcnt(0)
	s_cmp_eq_u64 s[6:7], s[2:3]
	s_cbranch_scc1 .LBB147_92
.LBB147_5:
	s_clause 0x1
	s_load_b512 s[16:31], s[0:1], 0x88
	s_load_b64 s[52:53], s[0:1], 0x8
	s_mov_b32 s57, 0
	s_mov_b32 s58, 0
	s_waitcnt lgkmcnt(0)
	s_cmp_eq_u64 s[22:23], 0
	s_cbranch_scc1 .LBB147_7
; %bb.6:
	s_ashr_i32 s35, s34, 31
	s_delay_alu instid0(SALU_CYCLE_1) | instskip(NEXT) | instid1(SALU_CYCLE_1)
	s_lshl_b64 s[4:5], s[34:35], 2
	s_add_u32 s4, s22, s4
	s_addc_u32 s5, s23, s5
	s_load_b32 s58, s[4:5], 0x0
.LBB147_7:
	s_cmp_eq_u64 s[28:29], 0
	s_cbranch_scc1 .LBB147_9
; %bb.8:
	s_ashr_i32 s35, s34, 31
	s_delay_alu instid0(SALU_CYCLE_1) | instskip(NEXT) | instid1(SALU_CYCLE_1)
	s_lshl_b64 s[4:5], s[34:35], 2
	s_add_u32 s4, s28, s4
	s_addc_u32 s5, s29, s5
	s_load_b32 s57, s[4:5], 0x0
.LBB147_9:
	s_cmp_lt_i32 s52, 1
	s_cbranch_scc1 .LBB147_92
; %bb.10:
	s_sub_i32 s3, 0, s8
	s_clause 0x1
	s_load_b64 s[4:5], s[0:1], 0x5c
	s_load_b128 s[44:47], s[0:1], 0x4c
	s_mul_i32 s3, s3, s10
	s_abs_i32 s6, s34
	s_mul_hi_u32 s3, s10, s3
	s_ashr_i32 s9, s9, 31
	s_add_i32 s10, s10, s3
	s_ashr_i32 s3, s34, 31
	s_mul_hi_u32 s7, s6, s10
	s_xor_b32 s3, s3, s9
	s_mul_i32 s10, s7, s8
	s_add_i32 s9, s7, 1
	s_sub_i32 s6, s6, s10
	s_load_b256 s[36:43], s[0:1], 0x2c
	s_sub_i32 s10, s6, s8
	s_cmp_ge_u32 s6, s8
	s_mov_b32 s55, 0
	s_cselect_b32 s7, s9, s7
	s_cselect_b32 s6, s10, s6
	s_add_i32 s9, s7, 1
	s_cmp_ge_u32 s6, s8
	s_waitcnt lgkmcnt(0)
	s_mul_i32 s54, s46, s14
	s_cselect_b32 s6, s9, s7
	s_load_b128 s[48:51], s[0:1], 0x7c
	s_xor_b32 s8, s6, s3
	s_lshl_b64 s[6:7], s[54:55], 2
	s_sub_i32 s3, s8, s3
	s_mul_i32 s54, s47, s34
	s_add_u32 s8, s24, s6
	s_addc_u32 s9, s25, s7
	s_lshl_b64 s[6:7], s[54:55], 2
	s_mul_i32 s54, s4, s14
	s_add_u32 s59, s8, s6
	s_addc_u32 s60, s9, s7
	s_lshl_b64 s[6:7], s[54:55], 2
	;; [unrolled: 4-line block ×3, first 2 shown]
	s_mul_i32 s54, s36, s34
	s_add_u32 s61, s6, s4
	s_addc_u32 s36, s7, s5
	s_load_b64 s[6:7], s[0:1], 0xc8
	s_lshl_b64 s[4:5], s[54:55], 2
	s_mul_i32 s54, s38, s14
	s_add_u32 s62, s16, s4
	s_waitcnt lgkmcnt(0)
	s_addc_u32 s51, s17, s5
	s_load_b64 s[16:17], s[0:1], 0x6c
	s_lshl_b64 s[4:5], s[54:55], 2
	s_mul_i32 s54, s3, s41
	s_add_u32 s8, s18, s4
	s_addc_u32 s9, s19, s5
	s_lshl_b64 s[4:5], s[54:55], 2
	s_mul_i32 s54, s42, s14
	s_add_u32 s41, s8, s4
	s_addc_u32 s63, s9, s5
	;; [unrolled: 4-line block ×4, first 2 shown]
	s_lshl_b64 s[2:3], s[54:55], 2
	v_dual_mov_b32 v82, 0 :: v_dual_lshlrev_b32 v1, 2, v0
	s_mul_i32 s54, s49, s34
	s_add_u32 s4, s6, s2
	s_addc_u32 s5, s7, s3
	s_lshl_b64 s[2:3], s[54:55], 2
	v_mbcnt_lo_u32_b32 v2, -1, 0
	s_add_u32 s65, s4, s2
	s_load_b32 s4, s[0:1], 0x28
	v_and_b32_e32 v1, 0x80, v1
	v_and_b32_e32 v8, 32, v0
	s_addc_u32 s66, s5, s3
	s_add_i32 s2, s52, 0x7ff
	s_waitcnt lgkmcnt(0)
	s_mul_i32 s54, s16, s14
	v_or_b32_e32 v3, v2, v1
	v_lshrrev_b32_e32 v6, 5, v1
	s_lshr_b32 s67, s2, 11
	v_or_b32_e32 v9, v2, v8
	v_lshlrev_b32_e32 v92, 4, v0
	v_or_b32_e32 v4, 32, v3
	v_or_b32_e32 v5, 64, v3
	;; [unrolled: 1-line block ×3, first 2 shown]
	v_add_nc_u32_e32 v6, v6, v3
	v_cmp_gt_u32_e64 s0, 0x100, v3
	v_cmp_gt_u32_e64 s1, 0x100, v4
	;; [unrolled: 1-line block ×3, first 2 shown]
	v_lshrrev_b32_e32 v4, 5, v4
	v_lshrrev_b32_e32 v5, 5, v5
	v_lshl_add_u32 v83, v6, 4, 0
	v_lshrrev_b32_e32 v6, 5, v7
	s_bitcmp1_b32 s4, 0
	v_cmp_gt_u32_e64 s3, 0x100, v7
	v_add_lshl_u32 v4, v4, v3, 4
	v_add_lshl_u32 v5, v5, v3, 4
	v_lshlrev_b32_e32 v7, 2, v9
	v_bfe_u32 v9, v9, 3, 27
	v_add_lshl_u32 v3, v6, v3, 4
	s_cselect_b32 s68, -1, 0
	s_cmp_gt_i32 s53, 0
	v_add_nc_u32_e32 v84, 0, v4
	s_cselect_b32 s69, -1, 0
	s_add_i32 s4, 0, 0x1080
	v_add_lshl_u32 v6, v9, v7, 4
	v_add_nc_u32_e32 v86, 0, v3
	v_add_nc_u32_e32 v90, s4, v3
	v_and_b32_e32 v3, 15, v2
	s_and_b32 s5, s52, 0x3ff
	v_add_nc_u32_e32 v88, s4, v4
	v_add_nc_u32_e32 v89, s4, v5
	s_cmp_eq_u32 s5, 0
	v_add_nc_u32_e32 v91, s4, v6
	v_cmp_ne_u32_e64 s4, 0, v3
	v_cmp_lt_u32_e64 s5, 1, v3
	v_cmp_lt_u32_e64 s6, 3, v3
	v_cmp_lt_u32_e64 s7, 7, v3
	v_add_nc_u32_e32 v3, -1, v2
	v_lshrrev_b32_e32 v4, 2, v0
	v_add_nc_u32_e32 v87, 0, v6
	s_cselect_b32 s70, -1, 0
	s_lshl_b64 s[18:19], s[54:55], 2
	v_cmp_gt_i32_e32 vcc_lo, 0, v3
	v_and_b32_e32 v4, 8, v4
	s_add_i32 s71, s67, -1
	s_mul_i32 s54, s17, s34
	v_cmp_gt_u32_e64 s10, 2, v0
	v_cndmask_b32_e32 v3, v3, v2, vcc_lo
	v_or_b32_e32 v6, 31, v8
	v_lshl_add_u32 v94, v0, 3, 0
	v_cmp_gt_u32_e64 s12, 32, v0
	v_cmp_lt_u32_e64 s13, 31, v0
	v_cmp_eq_u32_e64 s14, 0, v0
	v_cmp_eq_u32_e64 s9, v6, v0
	s_add_u32 s15, s30, s18
	v_lshlrev_b32_e32 v0, 4, v2
	s_addc_u32 s18, s31, s19
	s_lshl_b64 s[16:17], s[54:55], 2
	v_add_nc_u32_e32 v93, 0, v4
	v_and_b32_e32 v4, 1, v2
	s_add_u32 s15, s15, s16
	v_lshlrev_b32_e32 v95, 2, v3
	s_addc_u32 s16, s18, s17
	v_lshlrev_b32_e32 v3, 4, v1
	v_add_co_u32 v0, s15, s15, v0
	v_add_nc_u32_e32 v85, 0, v5
	v_and_b32_e32 v5, 16, v2
	v_cmp_eq_u32_e64 s11, 0, v4
	v_add_co_ci_u32_e64 v4, null, s16, 0, s15
	v_add_co_u32 v96, vcc_lo, v0, v3
	s_delay_alu instid0(VALU_DEP_4) | instskip(SKIP_1) | instid1(VALU_DEP_4)
	v_cmp_ne_u32_e64 s8, 0, v5
	v_cmp_eq_u32_e64 s15, 0, v2
	v_add_co_ci_u32_e32 v97, vcc_lo, 0, v4, vcc_lo
	v_or_b32_e32 v98, 1, v92
	v_or_b32_e32 v99, 2, v92
	;; [unrolled: 1-line block ×15, first 2 shown]
	v_lshlrev_b32_e32 v113, 4, v2
	v_lshlrev_b32_e32 v114, 4, v1
	s_mov_b32 s72, 0x3e9b6dac
	s_add_i32 s73, 0, 0x2110
	s_mov_b32 s74, 0
                                        ; implicit-def: $vgpr3
                                        ; implicit-def: $vgpr7
                                        ; implicit-def: $vgpr15
                                        ; implicit-def: $vgpr27
                                        ; implicit-def: $vgpr28
                                        ; implicit-def: $vgpr20
                                        ; implicit-def: $vgpr16
                                        ; implicit-def: $vgpr8
	s_branch .LBB147_12
.LBB147_11:                             ;   in Loop: Header=BB147_12 Depth=1
	s_waitcnt_vscnt null, 0x0
	s_barrier
	buffer_gl0_inv
	ds_store_b128 v87, v[44:47]
	ds_store_b128 v87, v[40:43] offset:16
	ds_store_b128 v87, v[36:39] offset:32
	;; [unrolled: 1-line block ×3, first 2 shown]
	; wave barrier
	ds_load_b128 v[32:35], v83
	ds_load_b128 v[36:39], v84 offset:512
	ds_load_b128 v[40:43], v85 offset:1024
	;; [unrolled: 1-line block ×3, first 2 shown]
	s_add_u32 s61, s61, 0x1000
	s_addc_u32 s36, s36, 0
	s_mov_b32 s39, s55
	s_add_u32 s59, s59, 0x1000
	s_addc_u32 s60, s60, 0
	s_lshl_b64 s[16:17], s[38:39], 2
	s_add_u32 s41, s41, 0x1000
	v_add_co_u32 v48, vcc_lo, v96, s16
	s_addc_u32 s63, s63, 0
	v_add_co_ci_u32_e32 v49, vcc_lo, s17, v97, vcc_lo
	s_add_u32 s45, s45, 0x1000
	s_addc_u32 s64, s64, 0
	s_add_i32 s74, s74, 1
	s_waitcnt lgkmcnt(3)
	global_store_b128 v[48:49], v[32:35], off
	s_waitcnt lgkmcnt(2)
	global_store_b128 v[48:49], v[36:39], off offset:512
	s_cmp_eq_u32 s74, s67
	s_waitcnt lgkmcnt(1)
	global_store_b128 v[48:49], v[40:43], off offset:1024
	s_waitcnt lgkmcnt(0)
	global_store_b128 v[48:49], v[44:47], off offset:1536
	s_cbranch_scc1 .LBB147_92
.LBB147_12:                             ; =>This Loop Header: Depth=1
                                        ;     Child Loop BB147_57 Depth 2
	v_add_co_u32 v32, s16, s59, v113
	s_delay_alu instid0(VALU_DEP_1) | instskip(NEXT) | instid1(VALU_DEP_2)
	v_add_co_ci_u32_e64 v33, null, s60, 0, s16
	v_add_co_u32 v32, vcc_lo, v32, v114
	s_delay_alu instid0(VALU_DEP_2)
	v_add_co_ci_u32_e32 v33, vcc_lo, 0, v33, vcc_lo
	s_waitcnt_vscnt null, 0x0
	s_barrier
	buffer_gl0_inv
	s_and_saveexec_b32 s16, s0
	s_cbranch_execnz .LBB147_86
; %bb.13:                               ;   in Loop: Header=BB147_12 Depth=1
	s_or_b32 exec_lo, exec_lo, s16
	s_and_saveexec_b32 s16, s1
	s_cbranch_execnz .LBB147_87
.LBB147_14:                             ;   in Loop: Header=BB147_12 Depth=1
	s_or_b32 exec_lo, exec_lo, s16
	s_and_saveexec_b32 s16, s2
	s_cbranch_execnz .LBB147_88
.LBB147_15:                             ;   in Loop: Header=BB147_12 Depth=1
	s_or_b32 exec_lo, exec_lo, s16
	s_and_saveexec_b32 s16, s3
	s_cbranch_execz .LBB147_17
.LBB147_16:                             ;   in Loop: Header=BB147_12 Depth=1
	global_load_b128 v[8:11], v[32:33], off offset:1536
.LBB147_17:                             ;   in Loop: Header=BB147_12 Depth=1
	s_or_b32 exec_lo, exec_lo, s16
	s_waitcnt vmcnt(0)
	ds_store_b128 v83, v[28:31]
	ds_store_b128 v84, v[20:23] offset:512
	ds_store_b128 v85, v[16:19] offset:1024
	;; [unrolled: 1-line block ×3, first 2 shown]
	; wave barrier
	ds_load_b128 v[28:31], v87
	ds_load_b128 v[20:23], v87 offset:16
	ds_load_b128 v[16:19], v87 offset:32
	;; [unrolled: 1-line block ×3, first 2 shown]
	v_add_co_u32 v32, s16, s61, v113
	s_delay_alu instid0(VALU_DEP_1) | instskip(SKIP_1) | instid1(VALU_DEP_2)
	v_add_co_ci_u32_e64 v33, null, s36, 0, s16
	s_waitcnt lgkmcnt(0)
	v_add_co_u32 v32, vcc_lo, v32, v114
	s_delay_alu instid0(VALU_DEP_2)
	v_add_co_ci_u32_e32 v33, vcc_lo, 0, v33, vcc_lo
	s_barrier
	buffer_gl0_inv
	s_and_saveexec_b32 s16, s0
	s_cbranch_execnz .LBB147_89
; %bb.18:                               ;   in Loop: Header=BB147_12 Depth=1
	s_or_b32 exec_lo, exec_lo, s16
	s_and_saveexec_b32 s16, s1
	s_cbranch_execnz .LBB147_90
.LBB147_19:                             ;   in Loop: Header=BB147_12 Depth=1
	s_or_b32 exec_lo, exec_lo, s16
	s_and_saveexec_b32 s16, s2
	s_cbranch_execnz .LBB147_91
.LBB147_20:                             ;   in Loop: Header=BB147_12 Depth=1
	s_or_b32 exec_lo, exec_lo, s16
	s_and_saveexec_b32 s16, s3
	s_cbranch_execz .LBB147_22
.LBB147_21:                             ;   in Loop: Header=BB147_12 Depth=1
	global_load_b128 v[0:3], v[32:33], off offset:1536
.LBB147_22:                             ;   in Loop: Header=BB147_12 Depth=1
	s_or_b32 exec_lo, exec_lo, s16
	s_waitcnt vmcnt(0)
	ds_store_b128 v83, v[24:27]
	ds_store_b128 v84, v[12:15] offset:512
	ds_store_b128 v85, v[4:7] offset:1024
	;; [unrolled: 1-line block ×3, first 2 shown]
	; wave barrier
	ds_load_b128 v[24:27], v87
	ds_load_b128 v[12:15], v87 offset:16
	ds_load_b128 v[4:7], v87 offset:32
	;; [unrolled: 1-line block ×3, first 2 shown]
	s_waitcnt lgkmcnt(3)
	v_add_f32_e32 v115, s57, v24
	s_delay_alu instid0(VALU_DEP_1) | instskip(SKIP_1) | instid1(SALU_CYCLE_1)
	v_cmp_ge_f32_e32 vcc_lo, 0x41a00000, v115
	s_and_b32 s16, s68, vcc_lo
	s_and_saveexec_b32 s17, s16
	s_cbranch_execz .LBB147_24
; %bb.23:                               ;   in Loop: Header=BB147_12 Depth=1
	v_mul_f32_e32 v32, 0x3fb8aa3b, v115
	v_cmp_ngt_f32_e32 vcc_lo, 0xc2ce8ed0, v115
	s_delay_alu instid0(VALU_DEP_2) | instskip(SKIP_1) | instid1(VALU_DEP_2)
	v_rndne_f32_e32 v33, v32
	v_fma_f32 v34, 0x3fb8aa3b, v115, -v32
	v_sub_f32_e32 v32, v32, v33
	s_delay_alu instid0(VALU_DEP_2) | instskip(SKIP_1) | instid1(VALU_DEP_2)
	v_fmac_f32_e32 v34, 0x32a5705f, v115
	v_cvt_i32_f32_e32 v33, v33
	v_add_f32_e32 v32, v32, v34
	s_delay_alu instid0(VALU_DEP_1) | instskip(SKIP_2) | instid1(VALU_DEP_1)
	v_exp_f32_e32 v32, v32
	s_waitcnt_depctr 0xfff
	v_ldexp_f32 v32, v32, v33
	v_cndmask_b32_e32 v32, 0, v32, vcc_lo
	v_cmp_nlt_f32_e32 vcc_lo, 0x42b17218, v115
	s_delay_alu instid0(VALU_DEP_2) | instskip(NEXT) | instid1(VALU_DEP_1)
	v_cndmask_b32_e32 v34, 0x7f800000, v32, vcc_lo
	v_add_f32_e32 v35, 1.0, v34
	s_delay_alu instid0(VALU_DEP_1) | instskip(NEXT) | instid1(VALU_DEP_1)
	v_cvt_f64_f32_e32 v[32:33], v35
	v_frexp_exp_i32_f64_e32 v32, v[32:33]
	v_frexp_mant_f32_e32 v33, v35
	s_delay_alu instid0(VALU_DEP_1) | instskip(SKIP_1) | instid1(VALU_DEP_1)
	v_cmp_gt_f32_e32 vcc_lo, 0x3f2aaaab, v33
	v_add_f32_e32 v33, -1.0, v35
	v_sub_f32_e32 v37, v33, v35
	v_sub_f32_e32 v33, v34, v33
	s_delay_alu instid0(VALU_DEP_2) | instskip(NEXT) | instid1(VALU_DEP_1)
	v_add_f32_e32 v37, 1.0, v37
	v_add_f32_e32 v33, v33, v37
	v_cmp_gt_f32_e64 s16, 0x33800000, v34
	v_subrev_co_ci_u32_e32 v32, vcc_lo, 0, v32, vcc_lo
	v_cmp_eq_f32_e32 vcc_lo, 0x7f800000, v34
	s_delay_alu instid0(VALU_DEP_2) | instskip(SKIP_2) | instid1(VALU_DEP_2)
	v_sub_nc_u32_e32 v36, 0, v32
	v_cvt_f32_i32_e32 v32, v32
	s_or_b32 vcc_lo, s16, vcc_lo
	v_ldexp_f32 v35, v35, v36
	v_ldexp_f32 v33, v33, v36
	s_delay_alu instid0(VALU_DEP_2) | instskip(NEXT) | instid1(VALU_DEP_1)
	v_add_f32_e32 v38, 1.0, v35
	v_dual_add_f32 v36, -1.0, v35 :: v_dual_add_f32 v37, -1.0, v38
	s_delay_alu instid0(VALU_DEP_1) | instskip(NEXT) | instid1(VALU_DEP_2)
	v_add_f32_e32 v39, 1.0, v36
	v_sub_f32_e32 v37, v35, v37
	s_delay_alu instid0(VALU_DEP_2) | instskip(NEXT) | instid1(VALU_DEP_2)
	v_sub_f32_e32 v35, v35, v39
	v_add_f32_e32 v37, v33, v37
	s_delay_alu instid0(VALU_DEP_2) | instskip(NEXT) | instid1(VALU_DEP_1)
	v_add_f32_e32 v33, v33, v35
	v_add_f32_e32 v40, v36, v33
	s_delay_alu instid0(VALU_DEP_1) | instskip(NEXT) | instid1(VALU_DEP_1)
	v_dual_add_f32 v39, v38, v37 :: v_dual_sub_f32 v36, v36, v40
	v_rcp_f32_e32 v35, v39
	v_sub_f32_e32 v38, v38, v39
	s_delay_alu instid0(VALU_DEP_1) | instskip(SKIP_2) | instid1(VALU_DEP_1)
	v_add_f32_e32 v37, v37, v38
	s_waitcnt_depctr 0xfff
	v_mul_f32_e32 v41, v40, v35
	v_mul_f32_e32 v42, v39, v41
	s_delay_alu instid0(VALU_DEP_1) | instskip(NEXT) | instid1(VALU_DEP_1)
	v_fma_f32 v38, v41, v39, -v42
	v_fmac_f32_e32 v38, v41, v37
	s_delay_alu instid0(VALU_DEP_1) | instskip(NEXT) | instid1(VALU_DEP_1)
	v_add_f32_e32 v43, v42, v38
	v_sub_f32_e32 v44, v40, v43
	s_delay_alu instid0(VALU_DEP_1) | instskip(SKIP_1) | instid1(VALU_DEP_2)
	v_sub_f32_e32 v40, v40, v44
	v_dual_add_f32 v33, v33, v36 :: v_dual_sub_f32 v36, v43, v42
	v_sub_f32_e32 v40, v40, v43
	s_delay_alu instid0(VALU_DEP_1) | instskip(NEXT) | instid1(VALU_DEP_1)
	v_dual_sub_f32 v36, v36, v38 :: v_dual_add_f32 v33, v33, v40
	v_add_f32_e32 v33, v36, v33
	s_delay_alu instid0(VALU_DEP_1) | instskip(NEXT) | instid1(VALU_DEP_1)
	v_add_f32_e32 v36, v44, v33
	v_mul_f32_e32 v38, v35, v36
	s_delay_alu instid0(VALU_DEP_1) | instskip(NEXT) | instid1(VALU_DEP_1)
	v_dual_sub_f32 v43, v44, v36 :: v_dual_mul_f32 v40, v39, v38
	v_add_f32_e32 v33, v33, v43
	s_delay_alu instid0(VALU_DEP_2) | instskip(NEXT) | instid1(VALU_DEP_1)
	v_fma_f32 v39, v38, v39, -v40
	v_fmac_f32_e32 v39, v38, v37
	s_delay_alu instid0(VALU_DEP_1) | instskip(NEXT) | instid1(VALU_DEP_1)
	v_add_f32_e32 v37, v40, v39
	v_sub_f32_e32 v42, v36, v37
	s_delay_alu instid0(VALU_DEP_1) | instskip(NEXT) | instid1(VALU_DEP_1)
	v_sub_f32_e32 v36, v36, v42
	v_sub_f32_e32 v36, v36, v37
	s_delay_alu instid0(VALU_DEP_1) | instskip(SKIP_2) | instid1(VALU_DEP_1)
	v_add_f32_e32 v33, v33, v36
	v_add_f32_e32 v36, v41, v38
	v_sub_f32_e32 v40, v37, v40
	v_sub_f32_e32 v37, v40, v39
	s_delay_alu instid0(VALU_DEP_1) | instskip(NEXT) | instid1(VALU_DEP_4)
	v_add_f32_e32 v33, v37, v33
	v_sub_f32_e32 v37, v36, v41
	s_delay_alu instid0(VALU_DEP_2) | instskip(NEXT) | instid1(VALU_DEP_2)
	v_add_f32_e32 v33, v42, v33
	v_sub_f32_e32 v37, v38, v37
	s_delay_alu instid0(VALU_DEP_2) | instskip(NEXT) | instid1(VALU_DEP_1)
	v_mul_f32_e32 v33, v35, v33
	v_add_f32_e32 v33, v37, v33
	s_delay_alu instid0(VALU_DEP_1) | instskip(NEXT) | instid1(VALU_DEP_1)
	v_add_f32_e32 v35, v36, v33
	v_mul_f32_e32 v37, v35, v35
	s_delay_alu instid0(VALU_DEP_1) | instskip(SKIP_1) | instid1(VALU_DEP_2)
	v_fmaak_f32 v38, s72, v37, 0x3ecc95a3
	v_mul_f32_e32 v39, v35, v37
	v_fmaak_f32 v37, v37, v38, 0x3f2aaada
	v_ldexp_f32 v38, v35, 1
	s_delay_alu instid0(VALU_DEP_2) | instskip(SKIP_1) | instid1(VALU_DEP_2)
	v_mul_f32_e32 v37, v39, v37
	v_sub_f32_e32 v35, v35, v36
	v_dual_mul_f32 v39, 0x3f317218, v32 :: v_dual_add_f32 v36, v38, v37
	s_delay_alu instid0(VALU_DEP_2) | instskip(NEXT) | instid1(VALU_DEP_2)
	v_sub_f32_e32 v33, v33, v35
	v_sub_f32_e32 v35, v36, v38
	s_delay_alu instid0(VALU_DEP_3) | instskip(NEXT) | instid1(VALU_DEP_3)
	v_fma_f32 v38, 0x3f317218, v32, -v39
	v_ldexp_f32 v33, v33, 1
	s_delay_alu instid0(VALU_DEP_2) | instskip(NEXT) | instid1(VALU_DEP_1)
	v_dual_sub_f32 v35, v37, v35 :: v_dual_fmac_f32 v38, 0xb102e308, v32
	v_dual_add_f32 v32, v33, v35 :: v_dual_add_f32 v33, v39, v38
	s_delay_alu instid0(VALU_DEP_1) | instskip(NEXT) | instid1(VALU_DEP_1)
	v_add_f32_e32 v35, v36, v32
	v_dual_add_f32 v37, v33, v35 :: v_dual_sub_f32 v36, v35, v36
	s_delay_alu instid0(VALU_DEP_1) | instskip(NEXT) | instid1(VALU_DEP_2)
	v_sub_f32_e32 v40, v37, v33
	v_dual_sub_f32 v39, v33, v39 :: v_dual_sub_f32 v32, v32, v36
	s_delay_alu instid0(VALU_DEP_1) | instskip(SKIP_1) | instid1(VALU_DEP_2)
	v_dual_sub_f32 v41, v37, v40 :: v_dual_sub_f32 v38, v38, v39
	v_sub_f32_e32 v35, v35, v40
	v_dual_sub_f32 v33, v33, v41 :: v_dual_add_f32 v36, v38, v32
	s_delay_alu instid0(VALU_DEP_1) | instskip(NEXT) | instid1(VALU_DEP_2)
	v_add_f32_e32 v33, v35, v33
	v_sub_f32_e32 v35, v36, v38
	s_delay_alu instid0(VALU_DEP_2) | instskip(NEXT) | instid1(VALU_DEP_2)
	v_add_f32_e32 v33, v36, v33
	v_sub_f32_e32 v36, v36, v35
	s_delay_alu instid0(VALU_DEP_2) | instskip(NEXT) | instid1(VALU_DEP_1)
	v_dual_sub_f32 v32, v32, v35 :: v_dual_add_f32 v39, v37, v33
	v_dual_sub_f32 v36, v38, v36 :: v_dual_sub_f32 v35, v39, v37
	s_delay_alu instid0(VALU_DEP_1) | instskip(NEXT) | instid1(VALU_DEP_1)
	v_dual_add_f32 v32, v32, v36 :: v_dual_sub_f32 v33, v33, v35
	v_add_f32_e32 v32, v32, v33
	s_delay_alu instid0(VALU_DEP_1) | instskip(NEXT) | instid1(VALU_DEP_1)
	v_add_f32_e32 v32, v39, v32
	v_cndmask_b32_e32 v115, v32, v34, vcc_lo
.LBB147_24:                             ;   in Loop: Header=BB147_12 Depth=1
	s_or_b32 exec_lo, exec_lo, s17
	v_add_f32_e32 v116, s57, v25
	s_delay_alu instid0(VALU_DEP_1) | instskip(SKIP_1) | instid1(SALU_CYCLE_1)
	v_cmp_ge_f32_e32 vcc_lo, 0x41a00000, v116
	s_and_b32 s16, s68, vcc_lo
	s_and_saveexec_b32 s17, s16
	s_cbranch_execz .LBB147_26
; %bb.25:                               ;   in Loop: Header=BB147_12 Depth=1
	v_mul_f32_e32 v32, 0x3fb8aa3b, v116
	v_cmp_ngt_f32_e32 vcc_lo, 0xc2ce8ed0, v116
	s_delay_alu instid0(VALU_DEP_2) | instskip(SKIP_1) | instid1(VALU_DEP_2)
	v_rndne_f32_e32 v33, v32
	v_fma_f32 v34, 0x3fb8aa3b, v116, -v32
	v_sub_f32_e32 v32, v32, v33
	s_delay_alu instid0(VALU_DEP_2) | instskip(SKIP_1) | instid1(VALU_DEP_2)
	v_fmac_f32_e32 v34, 0x32a5705f, v116
	v_cvt_i32_f32_e32 v33, v33
	v_add_f32_e32 v32, v32, v34
	s_delay_alu instid0(VALU_DEP_1) | instskip(SKIP_2) | instid1(VALU_DEP_1)
	v_exp_f32_e32 v32, v32
	s_waitcnt_depctr 0xfff
	v_ldexp_f32 v32, v32, v33
	v_cndmask_b32_e32 v32, 0, v32, vcc_lo
	v_cmp_nlt_f32_e32 vcc_lo, 0x42b17218, v116
	s_delay_alu instid0(VALU_DEP_2) | instskip(NEXT) | instid1(VALU_DEP_1)
	v_cndmask_b32_e32 v34, 0x7f800000, v32, vcc_lo
	v_add_f32_e32 v35, 1.0, v34
	s_delay_alu instid0(VALU_DEP_1) | instskip(NEXT) | instid1(VALU_DEP_1)
	v_cvt_f64_f32_e32 v[32:33], v35
	v_frexp_exp_i32_f64_e32 v32, v[32:33]
	v_frexp_mant_f32_e32 v33, v35
	s_delay_alu instid0(VALU_DEP_1) | instskip(SKIP_1) | instid1(VALU_DEP_1)
	v_cmp_gt_f32_e32 vcc_lo, 0x3f2aaaab, v33
	v_add_f32_e32 v33, -1.0, v35
	v_sub_f32_e32 v37, v33, v35
	v_sub_f32_e32 v33, v34, v33
	s_delay_alu instid0(VALU_DEP_2) | instskip(NEXT) | instid1(VALU_DEP_1)
	v_add_f32_e32 v37, 1.0, v37
	v_add_f32_e32 v33, v33, v37
	v_cmp_gt_f32_e64 s16, 0x33800000, v34
	v_subrev_co_ci_u32_e32 v32, vcc_lo, 0, v32, vcc_lo
	v_cmp_eq_f32_e32 vcc_lo, 0x7f800000, v34
	s_delay_alu instid0(VALU_DEP_2) | instskip(SKIP_2) | instid1(VALU_DEP_2)
	v_sub_nc_u32_e32 v36, 0, v32
	v_cvt_f32_i32_e32 v32, v32
	s_or_b32 vcc_lo, s16, vcc_lo
	v_ldexp_f32 v35, v35, v36
	v_ldexp_f32 v33, v33, v36
	s_delay_alu instid0(VALU_DEP_2) | instskip(NEXT) | instid1(VALU_DEP_1)
	v_add_f32_e32 v38, 1.0, v35
	v_dual_add_f32 v36, -1.0, v35 :: v_dual_add_f32 v37, -1.0, v38
	s_delay_alu instid0(VALU_DEP_1) | instskip(NEXT) | instid1(VALU_DEP_2)
	v_add_f32_e32 v39, 1.0, v36
	v_sub_f32_e32 v37, v35, v37
	s_delay_alu instid0(VALU_DEP_2) | instskip(NEXT) | instid1(VALU_DEP_2)
	v_sub_f32_e32 v35, v35, v39
	v_add_f32_e32 v37, v33, v37
	s_delay_alu instid0(VALU_DEP_2) | instskip(NEXT) | instid1(VALU_DEP_1)
	v_add_f32_e32 v33, v33, v35
	v_add_f32_e32 v40, v36, v33
	s_delay_alu instid0(VALU_DEP_1) | instskip(NEXT) | instid1(VALU_DEP_1)
	v_dual_add_f32 v39, v38, v37 :: v_dual_sub_f32 v36, v36, v40
	v_rcp_f32_e32 v35, v39
	v_sub_f32_e32 v38, v38, v39
	s_delay_alu instid0(VALU_DEP_1) | instskip(SKIP_2) | instid1(VALU_DEP_1)
	v_add_f32_e32 v37, v37, v38
	s_waitcnt_depctr 0xfff
	v_mul_f32_e32 v41, v40, v35
	v_mul_f32_e32 v42, v39, v41
	s_delay_alu instid0(VALU_DEP_1) | instskip(NEXT) | instid1(VALU_DEP_1)
	v_fma_f32 v38, v41, v39, -v42
	v_fmac_f32_e32 v38, v41, v37
	s_delay_alu instid0(VALU_DEP_1) | instskip(NEXT) | instid1(VALU_DEP_1)
	v_add_f32_e32 v43, v42, v38
	v_sub_f32_e32 v44, v40, v43
	s_delay_alu instid0(VALU_DEP_1) | instskip(SKIP_1) | instid1(VALU_DEP_2)
	v_sub_f32_e32 v40, v40, v44
	v_dual_add_f32 v33, v33, v36 :: v_dual_sub_f32 v36, v43, v42
	v_sub_f32_e32 v40, v40, v43
	s_delay_alu instid0(VALU_DEP_1) | instskip(NEXT) | instid1(VALU_DEP_1)
	v_dual_sub_f32 v36, v36, v38 :: v_dual_add_f32 v33, v33, v40
	v_add_f32_e32 v33, v36, v33
	s_delay_alu instid0(VALU_DEP_1) | instskip(NEXT) | instid1(VALU_DEP_1)
	v_add_f32_e32 v36, v44, v33
	v_mul_f32_e32 v38, v35, v36
	s_delay_alu instid0(VALU_DEP_1) | instskip(NEXT) | instid1(VALU_DEP_1)
	v_dual_sub_f32 v43, v44, v36 :: v_dual_mul_f32 v40, v39, v38
	v_add_f32_e32 v33, v33, v43
	s_delay_alu instid0(VALU_DEP_2) | instskip(NEXT) | instid1(VALU_DEP_1)
	v_fma_f32 v39, v38, v39, -v40
	v_fmac_f32_e32 v39, v38, v37
	s_delay_alu instid0(VALU_DEP_1) | instskip(NEXT) | instid1(VALU_DEP_1)
	v_add_f32_e32 v37, v40, v39
	v_sub_f32_e32 v42, v36, v37
	s_delay_alu instid0(VALU_DEP_1) | instskip(NEXT) | instid1(VALU_DEP_1)
	v_sub_f32_e32 v36, v36, v42
	v_sub_f32_e32 v36, v36, v37
	s_delay_alu instid0(VALU_DEP_1) | instskip(SKIP_2) | instid1(VALU_DEP_1)
	v_add_f32_e32 v33, v33, v36
	v_add_f32_e32 v36, v41, v38
	v_sub_f32_e32 v40, v37, v40
	v_sub_f32_e32 v37, v40, v39
	s_delay_alu instid0(VALU_DEP_1) | instskip(NEXT) | instid1(VALU_DEP_4)
	v_add_f32_e32 v33, v37, v33
	v_sub_f32_e32 v37, v36, v41
	s_delay_alu instid0(VALU_DEP_2) | instskip(NEXT) | instid1(VALU_DEP_2)
	v_add_f32_e32 v33, v42, v33
	v_sub_f32_e32 v37, v38, v37
	s_delay_alu instid0(VALU_DEP_2) | instskip(NEXT) | instid1(VALU_DEP_1)
	v_mul_f32_e32 v33, v35, v33
	v_add_f32_e32 v33, v37, v33
	s_delay_alu instid0(VALU_DEP_1) | instskip(NEXT) | instid1(VALU_DEP_1)
	v_add_f32_e32 v35, v36, v33
	v_mul_f32_e32 v37, v35, v35
	s_delay_alu instid0(VALU_DEP_1) | instskip(SKIP_1) | instid1(VALU_DEP_2)
	v_fmaak_f32 v38, s72, v37, 0x3ecc95a3
	v_mul_f32_e32 v39, v35, v37
	v_fmaak_f32 v37, v37, v38, 0x3f2aaada
	v_ldexp_f32 v38, v35, 1
	s_delay_alu instid0(VALU_DEP_2) | instskip(SKIP_1) | instid1(VALU_DEP_2)
	v_mul_f32_e32 v37, v39, v37
	v_sub_f32_e32 v35, v35, v36
	v_dual_mul_f32 v39, 0x3f317218, v32 :: v_dual_add_f32 v36, v38, v37
	s_delay_alu instid0(VALU_DEP_2) | instskip(NEXT) | instid1(VALU_DEP_2)
	v_sub_f32_e32 v33, v33, v35
	v_sub_f32_e32 v35, v36, v38
	s_delay_alu instid0(VALU_DEP_3) | instskip(NEXT) | instid1(VALU_DEP_3)
	v_fma_f32 v38, 0x3f317218, v32, -v39
	v_ldexp_f32 v33, v33, 1
	s_delay_alu instid0(VALU_DEP_2) | instskip(NEXT) | instid1(VALU_DEP_1)
	v_dual_sub_f32 v35, v37, v35 :: v_dual_fmac_f32 v38, 0xb102e308, v32
	v_dual_add_f32 v32, v33, v35 :: v_dual_add_f32 v33, v39, v38
	s_delay_alu instid0(VALU_DEP_1) | instskip(NEXT) | instid1(VALU_DEP_1)
	v_add_f32_e32 v35, v36, v32
	v_dual_add_f32 v37, v33, v35 :: v_dual_sub_f32 v36, v35, v36
	s_delay_alu instid0(VALU_DEP_1) | instskip(NEXT) | instid1(VALU_DEP_2)
	v_sub_f32_e32 v40, v37, v33
	v_dual_sub_f32 v39, v33, v39 :: v_dual_sub_f32 v32, v32, v36
	s_delay_alu instid0(VALU_DEP_1) | instskip(SKIP_1) | instid1(VALU_DEP_2)
	v_dual_sub_f32 v41, v37, v40 :: v_dual_sub_f32 v38, v38, v39
	v_sub_f32_e32 v35, v35, v40
	v_dual_sub_f32 v33, v33, v41 :: v_dual_add_f32 v36, v38, v32
	s_delay_alu instid0(VALU_DEP_1) | instskip(NEXT) | instid1(VALU_DEP_2)
	v_add_f32_e32 v33, v35, v33
	v_sub_f32_e32 v35, v36, v38
	s_delay_alu instid0(VALU_DEP_2) | instskip(NEXT) | instid1(VALU_DEP_2)
	v_add_f32_e32 v33, v36, v33
	v_sub_f32_e32 v36, v36, v35
	s_delay_alu instid0(VALU_DEP_2) | instskip(NEXT) | instid1(VALU_DEP_1)
	v_dual_sub_f32 v32, v32, v35 :: v_dual_add_f32 v39, v37, v33
	v_dual_sub_f32 v36, v38, v36 :: v_dual_sub_f32 v35, v39, v37
	s_delay_alu instid0(VALU_DEP_1) | instskip(NEXT) | instid1(VALU_DEP_1)
	v_dual_add_f32 v32, v32, v36 :: v_dual_sub_f32 v33, v33, v35
	v_add_f32_e32 v32, v32, v33
	s_delay_alu instid0(VALU_DEP_1) | instskip(NEXT) | instid1(VALU_DEP_1)
	v_add_f32_e32 v32, v39, v32
	v_cndmask_b32_e32 v116, v32, v34, vcc_lo
.LBB147_26:                             ;   in Loop: Header=BB147_12 Depth=1
	s_or_b32 exec_lo, exec_lo, s17
	v_add_f32_e32 v117, s57, v26
	s_delay_alu instid0(VALU_DEP_1) | instskip(SKIP_1) | instid1(SALU_CYCLE_1)
	v_cmp_ge_f32_e32 vcc_lo, 0x41a00000, v117
	s_and_b32 s16, s68, vcc_lo
	s_and_saveexec_b32 s17, s16
	s_cbranch_execz .LBB147_28
; %bb.27:                               ;   in Loop: Header=BB147_12 Depth=1
	v_mul_f32_e32 v32, 0x3fb8aa3b, v117
	v_cmp_ngt_f32_e32 vcc_lo, 0xc2ce8ed0, v117
	s_delay_alu instid0(VALU_DEP_2) | instskip(SKIP_1) | instid1(VALU_DEP_2)
	v_rndne_f32_e32 v33, v32
	v_fma_f32 v34, 0x3fb8aa3b, v117, -v32
	v_sub_f32_e32 v32, v32, v33
	s_delay_alu instid0(VALU_DEP_2) | instskip(SKIP_1) | instid1(VALU_DEP_2)
	v_fmac_f32_e32 v34, 0x32a5705f, v117
	v_cvt_i32_f32_e32 v33, v33
	v_add_f32_e32 v32, v32, v34
	s_delay_alu instid0(VALU_DEP_1) | instskip(SKIP_2) | instid1(VALU_DEP_1)
	v_exp_f32_e32 v32, v32
	s_waitcnt_depctr 0xfff
	v_ldexp_f32 v32, v32, v33
	v_cndmask_b32_e32 v32, 0, v32, vcc_lo
	v_cmp_nlt_f32_e32 vcc_lo, 0x42b17218, v117
	s_delay_alu instid0(VALU_DEP_2) | instskip(NEXT) | instid1(VALU_DEP_1)
	v_cndmask_b32_e32 v34, 0x7f800000, v32, vcc_lo
	v_add_f32_e32 v35, 1.0, v34
	s_delay_alu instid0(VALU_DEP_1) | instskip(NEXT) | instid1(VALU_DEP_1)
	v_cvt_f64_f32_e32 v[32:33], v35
	v_frexp_exp_i32_f64_e32 v32, v[32:33]
	v_frexp_mant_f32_e32 v33, v35
	s_delay_alu instid0(VALU_DEP_1) | instskip(SKIP_1) | instid1(VALU_DEP_1)
	v_cmp_gt_f32_e32 vcc_lo, 0x3f2aaaab, v33
	v_add_f32_e32 v33, -1.0, v35
	v_sub_f32_e32 v37, v33, v35
	v_sub_f32_e32 v33, v34, v33
	s_delay_alu instid0(VALU_DEP_2) | instskip(NEXT) | instid1(VALU_DEP_1)
	v_add_f32_e32 v37, 1.0, v37
	v_add_f32_e32 v33, v33, v37
	v_cmp_gt_f32_e64 s16, 0x33800000, v34
	v_subrev_co_ci_u32_e32 v32, vcc_lo, 0, v32, vcc_lo
	v_cmp_eq_f32_e32 vcc_lo, 0x7f800000, v34
	s_delay_alu instid0(VALU_DEP_2) | instskip(SKIP_2) | instid1(VALU_DEP_2)
	v_sub_nc_u32_e32 v36, 0, v32
	v_cvt_f32_i32_e32 v32, v32
	s_or_b32 vcc_lo, s16, vcc_lo
	v_ldexp_f32 v35, v35, v36
	v_ldexp_f32 v33, v33, v36
	s_delay_alu instid0(VALU_DEP_2) | instskip(NEXT) | instid1(VALU_DEP_1)
	v_add_f32_e32 v38, 1.0, v35
	v_dual_add_f32 v36, -1.0, v35 :: v_dual_add_f32 v37, -1.0, v38
	s_delay_alu instid0(VALU_DEP_1) | instskip(NEXT) | instid1(VALU_DEP_2)
	v_add_f32_e32 v39, 1.0, v36
	v_sub_f32_e32 v37, v35, v37
	s_delay_alu instid0(VALU_DEP_2) | instskip(NEXT) | instid1(VALU_DEP_2)
	v_sub_f32_e32 v35, v35, v39
	v_add_f32_e32 v37, v33, v37
	s_delay_alu instid0(VALU_DEP_2) | instskip(NEXT) | instid1(VALU_DEP_1)
	v_add_f32_e32 v33, v33, v35
	v_add_f32_e32 v40, v36, v33
	s_delay_alu instid0(VALU_DEP_1) | instskip(NEXT) | instid1(VALU_DEP_1)
	v_dual_add_f32 v39, v38, v37 :: v_dual_sub_f32 v36, v36, v40
	v_rcp_f32_e32 v35, v39
	v_sub_f32_e32 v38, v38, v39
	s_delay_alu instid0(VALU_DEP_1) | instskip(SKIP_2) | instid1(VALU_DEP_1)
	v_add_f32_e32 v37, v37, v38
	s_waitcnt_depctr 0xfff
	v_mul_f32_e32 v41, v40, v35
	v_mul_f32_e32 v42, v39, v41
	s_delay_alu instid0(VALU_DEP_1) | instskip(NEXT) | instid1(VALU_DEP_1)
	v_fma_f32 v38, v41, v39, -v42
	v_fmac_f32_e32 v38, v41, v37
	s_delay_alu instid0(VALU_DEP_1) | instskip(NEXT) | instid1(VALU_DEP_1)
	v_add_f32_e32 v43, v42, v38
	v_sub_f32_e32 v44, v40, v43
	s_delay_alu instid0(VALU_DEP_1) | instskip(SKIP_1) | instid1(VALU_DEP_2)
	v_sub_f32_e32 v40, v40, v44
	v_dual_add_f32 v33, v33, v36 :: v_dual_sub_f32 v36, v43, v42
	v_sub_f32_e32 v40, v40, v43
	s_delay_alu instid0(VALU_DEP_1) | instskip(NEXT) | instid1(VALU_DEP_1)
	v_dual_sub_f32 v36, v36, v38 :: v_dual_add_f32 v33, v33, v40
	v_add_f32_e32 v33, v36, v33
	s_delay_alu instid0(VALU_DEP_1) | instskip(NEXT) | instid1(VALU_DEP_1)
	v_add_f32_e32 v36, v44, v33
	v_mul_f32_e32 v38, v35, v36
	s_delay_alu instid0(VALU_DEP_1) | instskip(NEXT) | instid1(VALU_DEP_1)
	v_dual_sub_f32 v43, v44, v36 :: v_dual_mul_f32 v40, v39, v38
	v_add_f32_e32 v33, v33, v43
	s_delay_alu instid0(VALU_DEP_2) | instskip(NEXT) | instid1(VALU_DEP_1)
	v_fma_f32 v39, v38, v39, -v40
	v_fmac_f32_e32 v39, v38, v37
	s_delay_alu instid0(VALU_DEP_1) | instskip(NEXT) | instid1(VALU_DEP_1)
	v_add_f32_e32 v37, v40, v39
	v_sub_f32_e32 v42, v36, v37
	s_delay_alu instid0(VALU_DEP_1) | instskip(NEXT) | instid1(VALU_DEP_1)
	v_sub_f32_e32 v36, v36, v42
	v_sub_f32_e32 v36, v36, v37
	s_delay_alu instid0(VALU_DEP_1) | instskip(SKIP_2) | instid1(VALU_DEP_1)
	v_add_f32_e32 v33, v33, v36
	v_add_f32_e32 v36, v41, v38
	v_sub_f32_e32 v40, v37, v40
	v_sub_f32_e32 v37, v40, v39
	s_delay_alu instid0(VALU_DEP_1) | instskip(NEXT) | instid1(VALU_DEP_4)
	v_add_f32_e32 v33, v37, v33
	v_sub_f32_e32 v37, v36, v41
	s_delay_alu instid0(VALU_DEP_2) | instskip(NEXT) | instid1(VALU_DEP_2)
	v_add_f32_e32 v33, v42, v33
	v_sub_f32_e32 v37, v38, v37
	s_delay_alu instid0(VALU_DEP_2) | instskip(NEXT) | instid1(VALU_DEP_1)
	v_mul_f32_e32 v33, v35, v33
	v_add_f32_e32 v33, v37, v33
	s_delay_alu instid0(VALU_DEP_1) | instskip(NEXT) | instid1(VALU_DEP_1)
	v_add_f32_e32 v35, v36, v33
	v_mul_f32_e32 v37, v35, v35
	s_delay_alu instid0(VALU_DEP_1) | instskip(SKIP_1) | instid1(VALU_DEP_2)
	v_fmaak_f32 v38, s72, v37, 0x3ecc95a3
	v_mul_f32_e32 v39, v35, v37
	v_fmaak_f32 v37, v37, v38, 0x3f2aaada
	v_ldexp_f32 v38, v35, 1
	s_delay_alu instid0(VALU_DEP_2) | instskip(SKIP_1) | instid1(VALU_DEP_2)
	v_mul_f32_e32 v37, v39, v37
	v_sub_f32_e32 v35, v35, v36
	v_dual_mul_f32 v39, 0x3f317218, v32 :: v_dual_add_f32 v36, v38, v37
	s_delay_alu instid0(VALU_DEP_2) | instskip(NEXT) | instid1(VALU_DEP_2)
	v_sub_f32_e32 v33, v33, v35
	v_sub_f32_e32 v35, v36, v38
	s_delay_alu instid0(VALU_DEP_3) | instskip(NEXT) | instid1(VALU_DEP_3)
	v_fma_f32 v38, 0x3f317218, v32, -v39
	v_ldexp_f32 v33, v33, 1
	s_delay_alu instid0(VALU_DEP_2) | instskip(NEXT) | instid1(VALU_DEP_1)
	v_dual_sub_f32 v35, v37, v35 :: v_dual_fmac_f32 v38, 0xb102e308, v32
	v_dual_add_f32 v32, v33, v35 :: v_dual_add_f32 v33, v39, v38
	s_delay_alu instid0(VALU_DEP_1) | instskip(NEXT) | instid1(VALU_DEP_1)
	v_add_f32_e32 v35, v36, v32
	v_dual_add_f32 v37, v33, v35 :: v_dual_sub_f32 v36, v35, v36
	s_delay_alu instid0(VALU_DEP_1) | instskip(NEXT) | instid1(VALU_DEP_2)
	v_sub_f32_e32 v40, v37, v33
	v_dual_sub_f32 v39, v33, v39 :: v_dual_sub_f32 v32, v32, v36
	s_delay_alu instid0(VALU_DEP_1) | instskip(SKIP_1) | instid1(VALU_DEP_2)
	v_dual_sub_f32 v41, v37, v40 :: v_dual_sub_f32 v38, v38, v39
	v_sub_f32_e32 v35, v35, v40
	v_dual_sub_f32 v33, v33, v41 :: v_dual_add_f32 v36, v38, v32
	s_delay_alu instid0(VALU_DEP_1) | instskip(NEXT) | instid1(VALU_DEP_2)
	v_add_f32_e32 v33, v35, v33
	v_sub_f32_e32 v35, v36, v38
	s_delay_alu instid0(VALU_DEP_2) | instskip(NEXT) | instid1(VALU_DEP_2)
	v_add_f32_e32 v33, v36, v33
	v_sub_f32_e32 v36, v36, v35
	s_delay_alu instid0(VALU_DEP_2) | instskip(NEXT) | instid1(VALU_DEP_1)
	v_dual_sub_f32 v32, v32, v35 :: v_dual_add_f32 v39, v37, v33
	v_dual_sub_f32 v36, v38, v36 :: v_dual_sub_f32 v35, v39, v37
	s_delay_alu instid0(VALU_DEP_1) | instskip(NEXT) | instid1(VALU_DEP_1)
	v_dual_add_f32 v32, v32, v36 :: v_dual_sub_f32 v33, v33, v35
	v_add_f32_e32 v32, v32, v33
	s_delay_alu instid0(VALU_DEP_1) | instskip(NEXT) | instid1(VALU_DEP_1)
	v_add_f32_e32 v32, v39, v32
	v_cndmask_b32_e32 v117, v32, v34, vcc_lo
.LBB147_28:                             ;   in Loop: Header=BB147_12 Depth=1
	s_or_b32 exec_lo, exec_lo, s17
	v_add_f32_e32 v118, s57, v27
	s_delay_alu instid0(VALU_DEP_1) | instskip(SKIP_1) | instid1(SALU_CYCLE_1)
	v_cmp_ge_f32_e32 vcc_lo, 0x41a00000, v118
	s_and_b32 s16, s68, vcc_lo
	s_and_saveexec_b32 s17, s16
	s_cbranch_execz .LBB147_30
; %bb.29:                               ;   in Loop: Header=BB147_12 Depth=1
	v_mul_f32_e32 v32, 0x3fb8aa3b, v118
	v_cmp_ngt_f32_e32 vcc_lo, 0xc2ce8ed0, v118
	s_delay_alu instid0(VALU_DEP_2) | instskip(SKIP_1) | instid1(VALU_DEP_2)
	v_rndne_f32_e32 v33, v32
	v_fma_f32 v34, 0x3fb8aa3b, v118, -v32
	v_sub_f32_e32 v32, v32, v33
	s_delay_alu instid0(VALU_DEP_2) | instskip(SKIP_1) | instid1(VALU_DEP_2)
	v_fmac_f32_e32 v34, 0x32a5705f, v118
	v_cvt_i32_f32_e32 v33, v33
	v_add_f32_e32 v32, v32, v34
	s_delay_alu instid0(VALU_DEP_1) | instskip(SKIP_2) | instid1(VALU_DEP_1)
	v_exp_f32_e32 v32, v32
	s_waitcnt_depctr 0xfff
	v_ldexp_f32 v32, v32, v33
	v_cndmask_b32_e32 v32, 0, v32, vcc_lo
	v_cmp_nlt_f32_e32 vcc_lo, 0x42b17218, v118
	s_delay_alu instid0(VALU_DEP_2) | instskip(NEXT) | instid1(VALU_DEP_1)
	v_cndmask_b32_e32 v34, 0x7f800000, v32, vcc_lo
	v_add_f32_e32 v35, 1.0, v34
	s_delay_alu instid0(VALU_DEP_1) | instskip(NEXT) | instid1(VALU_DEP_1)
	v_cvt_f64_f32_e32 v[32:33], v35
	v_frexp_exp_i32_f64_e32 v32, v[32:33]
	v_frexp_mant_f32_e32 v33, v35
	s_delay_alu instid0(VALU_DEP_1) | instskip(SKIP_1) | instid1(VALU_DEP_1)
	v_cmp_gt_f32_e32 vcc_lo, 0x3f2aaaab, v33
	v_add_f32_e32 v33, -1.0, v35
	v_sub_f32_e32 v37, v33, v35
	v_sub_f32_e32 v33, v34, v33
	s_delay_alu instid0(VALU_DEP_2) | instskip(NEXT) | instid1(VALU_DEP_1)
	v_add_f32_e32 v37, 1.0, v37
	v_add_f32_e32 v33, v33, v37
	v_cmp_gt_f32_e64 s16, 0x33800000, v34
	v_subrev_co_ci_u32_e32 v32, vcc_lo, 0, v32, vcc_lo
	v_cmp_eq_f32_e32 vcc_lo, 0x7f800000, v34
	s_delay_alu instid0(VALU_DEP_2) | instskip(SKIP_2) | instid1(VALU_DEP_2)
	v_sub_nc_u32_e32 v36, 0, v32
	v_cvt_f32_i32_e32 v32, v32
	s_or_b32 vcc_lo, s16, vcc_lo
	v_ldexp_f32 v35, v35, v36
	v_ldexp_f32 v33, v33, v36
	s_delay_alu instid0(VALU_DEP_2) | instskip(NEXT) | instid1(VALU_DEP_1)
	v_add_f32_e32 v38, 1.0, v35
	v_dual_add_f32 v36, -1.0, v35 :: v_dual_add_f32 v37, -1.0, v38
	s_delay_alu instid0(VALU_DEP_1) | instskip(NEXT) | instid1(VALU_DEP_2)
	v_add_f32_e32 v39, 1.0, v36
	v_sub_f32_e32 v37, v35, v37
	s_delay_alu instid0(VALU_DEP_2) | instskip(NEXT) | instid1(VALU_DEP_2)
	v_sub_f32_e32 v35, v35, v39
	v_add_f32_e32 v37, v33, v37
	s_delay_alu instid0(VALU_DEP_2) | instskip(NEXT) | instid1(VALU_DEP_1)
	v_add_f32_e32 v33, v33, v35
	v_add_f32_e32 v40, v36, v33
	s_delay_alu instid0(VALU_DEP_1) | instskip(NEXT) | instid1(VALU_DEP_1)
	v_dual_add_f32 v39, v38, v37 :: v_dual_sub_f32 v36, v36, v40
	v_rcp_f32_e32 v35, v39
	v_sub_f32_e32 v38, v38, v39
	s_delay_alu instid0(VALU_DEP_1) | instskip(SKIP_2) | instid1(VALU_DEP_1)
	v_add_f32_e32 v37, v37, v38
	s_waitcnt_depctr 0xfff
	v_mul_f32_e32 v41, v40, v35
	v_mul_f32_e32 v42, v39, v41
	s_delay_alu instid0(VALU_DEP_1) | instskip(NEXT) | instid1(VALU_DEP_1)
	v_fma_f32 v38, v41, v39, -v42
	v_fmac_f32_e32 v38, v41, v37
	s_delay_alu instid0(VALU_DEP_1) | instskip(NEXT) | instid1(VALU_DEP_1)
	v_add_f32_e32 v43, v42, v38
	v_sub_f32_e32 v44, v40, v43
	s_delay_alu instid0(VALU_DEP_1) | instskip(SKIP_1) | instid1(VALU_DEP_2)
	v_sub_f32_e32 v40, v40, v44
	v_dual_add_f32 v33, v33, v36 :: v_dual_sub_f32 v36, v43, v42
	v_sub_f32_e32 v40, v40, v43
	s_delay_alu instid0(VALU_DEP_1) | instskip(NEXT) | instid1(VALU_DEP_1)
	v_dual_sub_f32 v36, v36, v38 :: v_dual_add_f32 v33, v33, v40
	v_add_f32_e32 v33, v36, v33
	s_delay_alu instid0(VALU_DEP_1) | instskip(NEXT) | instid1(VALU_DEP_1)
	v_add_f32_e32 v36, v44, v33
	v_mul_f32_e32 v38, v35, v36
	s_delay_alu instid0(VALU_DEP_1) | instskip(NEXT) | instid1(VALU_DEP_1)
	v_dual_sub_f32 v43, v44, v36 :: v_dual_mul_f32 v40, v39, v38
	v_add_f32_e32 v33, v33, v43
	s_delay_alu instid0(VALU_DEP_2) | instskip(NEXT) | instid1(VALU_DEP_1)
	v_fma_f32 v39, v38, v39, -v40
	v_fmac_f32_e32 v39, v38, v37
	s_delay_alu instid0(VALU_DEP_1) | instskip(NEXT) | instid1(VALU_DEP_1)
	v_add_f32_e32 v37, v40, v39
	v_sub_f32_e32 v42, v36, v37
	s_delay_alu instid0(VALU_DEP_1) | instskip(NEXT) | instid1(VALU_DEP_1)
	v_sub_f32_e32 v36, v36, v42
	v_sub_f32_e32 v36, v36, v37
	s_delay_alu instid0(VALU_DEP_1) | instskip(SKIP_2) | instid1(VALU_DEP_1)
	v_add_f32_e32 v33, v33, v36
	v_add_f32_e32 v36, v41, v38
	v_sub_f32_e32 v40, v37, v40
	v_sub_f32_e32 v37, v40, v39
	s_delay_alu instid0(VALU_DEP_1) | instskip(NEXT) | instid1(VALU_DEP_4)
	v_add_f32_e32 v33, v37, v33
	v_sub_f32_e32 v37, v36, v41
	s_delay_alu instid0(VALU_DEP_2) | instskip(NEXT) | instid1(VALU_DEP_2)
	v_add_f32_e32 v33, v42, v33
	v_sub_f32_e32 v37, v38, v37
	s_delay_alu instid0(VALU_DEP_2) | instskip(NEXT) | instid1(VALU_DEP_1)
	v_mul_f32_e32 v33, v35, v33
	v_add_f32_e32 v33, v37, v33
	s_delay_alu instid0(VALU_DEP_1) | instskip(NEXT) | instid1(VALU_DEP_1)
	v_add_f32_e32 v35, v36, v33
	v_mul_f32_e32 v37, v35, v35
	s_delay_alu instid0(VALU_DEP_1) | instskip(SKIP_1) | instid1(VALU_DEP_2)
	v_fmaak_f32 v38, s72, v37, 0x3ecc95a3
	v_mul_f32_e32 v39, v35, v37
	v_fmaak_f32 v37, v37, v38, 0x3f2aaada
	v_ldexp_f32 v38, v35, 1
	s_delay_alu instid0(VALU_DEP_2) | instskip(SKIP_1) | instid1(VALU_DEP_2)
	v_mul_f32_e32 v37, v39, v37
	v_sub_f32_e32 v35, v35, v36
	v_dual_mul_f32 v39, 0x3f317218, v32 :: v_dual_add_f32 v36, v38, v37
	s_delay_alu instid0(VALU_DEP_2) | instskip(NEXT) | instid1(VALU_DEP_2)
	v_sub_f32_e32 v33, v33, v35
	v_sub_f32_e32 v35, v36, v38
	s_delay_alu instid0(VALU_DEP_3) | instskip(NEXT) | instid1(VALU_DEP_3)
	v_fma_f32 v38, 0x3f317218, v32, -v39
	v_ldexp_f32 v33, v33, 1
	s_delay_alu instid0(VALU_DEP_2) | instskip(NEXT) | instid1(VALU_DEP_1)
	v_dual_sub_f32 v35, v37, v35 :: v_dual_fmac_f32 v38, 0xb102e308, v32
	v_dual_add_f32 v32, v33, v35 :: v_dual_add_f32 v33, v39, v38
	s_delay_alu instid0(VALU_DEP_1) | instskip(NEXT) | instid1(VALU_DEP_1)
	v_add_f32_e32 v35, v36, v32
	v_dual_add_f32 v37, v33, v35 :: v_dual_sub_f32 v36, v35, v36
	s_delay_alu instid0(VALU_DEP_1) | instskip(NEXT) | instid1(VALU_DEP_2)
	v_sub_f32_e32 v40, v37, v33
	v_dual_sub_f32 v39, v33, v39 :: v_dual_sub_f32 v32, v32, v36
	s_delay_alu instid0(VALU_DEP_1) | instskip(SKIP_1) | instid1(VALU_DEP_2)
	v_dual_sub_f32 v41, v37, v40 :: v_dual_sub_f32 v38, v38, v39
	v_sub_f32_e32 v35, v35, v40
	v_dual_sub_f32 v33, v33, v41 :: v_dual_add_f32 v36, v38, v32
	s_delay_alu instid0(VALU_DEP_1) | instskip(NEXT) | instid1(VALU_DEP_2)
	v_add_f32_e32 v33, v35, v33
	v_sub_f32_e32 v35, v36, v38
	s_delay_alu instid0(VALU_DEP_2) | instskip(NEXT) | instid1(VALU_DEP_2)
	v_add_f32_e32 v33, v36, v33
	v_sub_f32_e32 v36, v36, v35
	s_delay_alu instid0(VALU_DEP_2) | instskip(NEXT) | instid1(VALU_DEP_1)
	v_dual_sub_f32 v32, v32, v35 :: v_dual_add_f32 v39, v37, v33
	v_dual_sub_f32 v36, v38, v36 :: v_dual_sub_f32 v35, v39, v37
	s_delay_alu instid0(VALU_DEP_1) | instskip(NEXT) | instid1(VALU_DEP_1)
	v_dual_add_f32 v32, v32, v36 :: v_dual_sub_f32 v33, v33, v35
	v_add_f32_e32 v32, v32, v33
	s_delay_alu instid0(VALU_DEP_1) | instskip(NEXT) | instid1(VALU_DEP_1)
	v_add_f32_e32 v32, v39, v32
	v_cndmask_b32_e32 v118, v32, v34, vcc_lo
.LBB147_30:                             ;   in Loop: Header=BB147_12 Depth=1
	s_or_b32 exec_lo, exec_lo, s17
	s_waitcnt lgkmcnt(2)
	v_add_f32_e32 v119, s57, v12
	s_delay_alu instid0(VALU_DEP_1) | instskip(SKIP_1) | instid1(SALU_CYCLE_1)
	v_cmp_ge_f32_e32 vcc_lo, 0x41a00000, v119
	s_and_b32 s16, s68, vcc_lo
	s_and_saveexec_b32 s17, s16
	s_cbranch_execz .LBB147_32
; %bb.31:                               ;   in Loop: Header=BB147_12 Depth=1
	v_mul_f32_e32 v32, 0x3fb8aa3b, v119
	v_cmp_ngt_f32_e32 vcc_lo, 0xc2ce8ed0, v119
	s_delay_alu instid0(VALU_DEP_2) | instskip(SKIP_1) | instid1(VALU_DEP_2)
	v_rndne_f32_e32 v33, v32
	v_fma_f32 v34, 0x3fb8aa3b, v119, -v32
	v_sub_f32_e32 v32, v32, v33
	s_delay_alu instid0(VALU_DEP_2) | instskip(SKIP_1) | instid1(VALU_DEP_2)
	v_fmac_f32_e32 v34, 0x32a5705f, v119
	v_cvt_i32_f32_e32 v33, v33
	v_add_f32_e32 v32, v32, v34
	s_delay_alu instid0(VALU_DEP_1) | instskip(SKIP_2) | instid1(VALU_DEP_1)
	v_exp_f32_e32 v32, v32
	s_waitcnt_depctr 0xfff
	v_ldexp_f32 v32, v32, v33
	v_cndmask_b32_e32 v32, 0, v32, vcc_lo
	v_cmp_nlt_f32_e32 vcc_lo, 0x42b17218, v119
	s_delay_alu instid0(VALU_DEP_2) | instskip(NEXT) | instid1(VALU_DEP_1)
	v_cndmask_b32_e32 v34, 0x7f800000, v32, vcc_lo
	v_add_f32_e32 v35, 1.0, v34
	s_delay_alu instid0(VALU_DEP_1) | instskip(NEXT) | instid1(VALU_DEP_1)
	v_cvt_f64_f32_e32 v[32:33], v35
	v_frexp_exp_i32_f64_e32 v32, v[32:33]
	v_frexp_mant_f32_e32 v33, v35
	s_delay_alu instid0(VALU_DEP_1) | instskip(SKIP_1) | instid1(VALU_DEP_1)
	v_cmp_gt_f32_e32 vcc_lo, 0x3f2aaaab, v33
	v_add_f32_e32 v33, -1.0, v35
	v_sub_f32_e32 v37, v33, v35
	v_sub_f32_e32 v33, v34, v33
	s_delay_alu instid0(VALU_DEP_2) | instskip(NEXT) | instid1(VALU_DEP_1)
	v_add_f32_e32 v37, 1.0, v37
	v_add_f32_e32 v33, v33, v37
	v_cmp_gt_f32_e64 s16, 0x33800000, v34
	v_subrev_co_ci_u32_e32 v32, vcc_lo, 0, v32, vcc_lo
	v_cmp_eq_f32_e32 vcc_lo, 0x7f800000, v34
	s_delay_alu instid0(VALU_DEP_2) | instskip(SKIP_2) | instid1(VALU_DEP_2)
	v_sub_nc_u32_e32 v36, 0, v32
	v_cvt_f32_i32_e32 v32, v32
	s_or_b32 vcc_lo, s16, vcc_lo
	v_ldexp_f32 v35, v35, v36
	v_ldexp_f32 v33, v33, v36
	s_delay_alu instid0(VALU_DEP_2) | instskip(NEXT) | instid1(VALU_DEP_1)
	v_add_f32_e32 v38, 1.0, v35
	v_dual_add_f32 v36, -1.0, v35 :: v_dual_add_f32 v37, -1.0, v38
	s_delay_alu instid0(VALU_DEP_1) | instskip(NEXT) | instid1(VALU_DEP_2)
	v_add_f32_e32 v39, 1.0, v36
	v_sub_f32_e32 v37, v35, v37
	s_delay_alu instid0(VALU_DEP_2) | instskip(NEXT) | instid1(VALU_DEP_2)
	v_sub_f32_e32 v35, v35, v39
	v_add_f32_e32 v37, v33, v37
	s_delay_alu instid0(VALU_DEP_2) | instskip(NEXT) | instid1(VALU_DEP_1)
	v_add_f32_e32 v33, v33, v35
	v_add_f32_e32 v40, v36, v33
	s_delay_alu instid0(VALU_DEP_1) | instskip(NEXT) | instid1(VALU_DEP_1)
	v_dual_add_f32 v39, v38, v37 :: v_dual_sub_f32 v36, v36, v40
	v_rcp_f32_e32 v35, v39
	v_sub_f32_e32 v38, v38, v39
	s_delay_alu instid0(VALU_DEP_1) | instskip(SKIP_2) | instid1(VALU_DEP_1)
	v_add_f32_e32 v37, v37, v38
	s_waitcnt_depctr 0xfff
	v_mul_f32_e32 v41, v40, v35
	v_mul_f32_e32 v42, v39, v41
	s_delay_alu instid0(VALU_DEP_1) | instskip(NEXT) | instid1(VALU_DEP_1)
	v_fma_f32 v38, v41, v39, -v42
	v_fmac_f32_e32 v38, v41, v37
	s_delay_alu instid0(VALU_DEP_1) | instskip(NEXT) | instid1(VALU_DEP_1)
	v_add_f32_e32 v43, v42, v38
	v_sub_f32_e32 v44, v40, v43
	s_delay_alu instid0(VALU_DEP_1) | instskip(SKIP_1) | instid1(VALU_DEP_2)
	v_sub_f32_e32 v40, v40, v44
	v_dual_add_f32 v33, v33, v36 :: v_dual_sub_f32 v36, v43, v42
	v_sub_f32_e32 v40, v40, v43
	s_delay_alu instid0(VALU_DEP_1) | instskip(NEXT) | instid1(VALU_DEP_1)
	v_dual_sub_f32 v36, v36, v38 :: v_dual_add_f32 v33, v33, v40
	v_add_f32_e32 v33, v36, v33
	s_delay_alu instid0(VALU_DEP_1) | instskip(NEXT) | instid1(VALU_DEP_1)
	v_add_f32_e32 v36, v44, v33
	v_mul_f32_e32 v38, v35, v36
	s_delay_alu instid0(VALU_DEP_1) | instskip(NEXT) | instid1(VALU_DEP_1)
	v_dual_sub_f32 v43, v44, v36 :: v_dual_mul_f32 v40, v39, v38
	v_add_f32_e32 v33, v33, v43
	s_delay_alu instid0(VALU_DEP_2) | instskip(NEXT) | instid1(VALU_DEP_1)
	v_fma_f32 v39, v38, v39, -v40
	v_fmac_f32_e32 v39, v38, v37
	s_delay_alu instid0(VALU_DEP_1) | instskip(NEXT) | instid1(VALU_DEP_1)
	v_add_f32_e32 v37, v40, v39
	v_sub_f32_e32 v42, v36, v37
	s_delay_alu instid0(VALU_DEP_1) | instskip(NEXT) | instid1(VALU_DEP_1)
	v_sub_f32_e32 v36, v36, v42
	v_sub_f32_e32 v36, v36, v37
	s_delay_alu instid0(VALU_DEP_1) | instskip(SKIP_2) | instid1(VALU_DEP_1)
	v_add_f32_e32 v33, v33, v36
	v_add_f32_e32 v36, v41, v38
	v_sub_f32_e32 v40, v37, v40
	v_sub_f32_e32 v37, v40, v39
	s_delay_alu instid0(VALU_DEP_1) | instskip(NEXT) | instid1(VALU_DEP_4)
	v_add_f32_e32 v33, v37, v33
	v_sub_f32_e32 v37, v36, v41
	s_delay_alu instid0(VALU_DEP_2) | instskip(NEXT) | instid1(VALU_DEP_2)
	v_add_f32_e32 v33, v42, v33
	v_sub_f32_e32 v37, v38, v37
	s_delay_alu instid0(VALU_DEP_2) | instskip(NEXT) | instid1(VALU_DEP_1)
	v_mul_f32_e32 v33, v35, v33
	v_add_f32_e32 v33, v37, v33
	s_delay_alu instid0(VALU_DEP_1) | instskip(NEXT) | instid1(VALU_DEP_1)
	v_add_f32_e32 v35, v36, v33
	v_mul_f32_e32 v37, v35, v35
	s_delay_alu instid0(VALU_DEP_1) | instskip(SKIP_1) | instid1(VALU_DEP_2)
	v_fmaak_f32 v38, s72, v37, 0x3ecc95a3
	v_mul_f32_e32 v39, v35, v37
	v_fmaak_f32 v37, v37, v38, 0x3f2aaada
	v_ldexp_f32 v38, v35, 1
	s_delay_alu instid0(VALU_DEP_2) | instskip(SKIP_1) | instid1(VALU_DEP_2)
	v_mul_f32_e32 v37, v39, v37
	v_sub_f32_e32 v35, v35, v36
	v_dual_mul_f32 v39, 0x3f317218, v32 :: v_dual_add_f32 v36, v38, v37
	s_delay_alu instid0(VALU_DEP_2) | instskip(NEXT) | instid1(VALU_DEP_2)
	v_sub_f32_e32 v33, v33, v35
	v_sub_f32_e32 v35, v36, v38
	s_delay_alu instid0(VALU_DEP_3) | instskip(NEXT) | instid1(VALU_DEP_3)
	v_fma_f32 v38, 0x3f317218, v32, -v39
	v_ldexp_f32 v33, v33, 1
	s_delay_alu instid0(VALU_DEP_2) | instskip(NEXT) | instid1(VALU_DEP_1)
	v_dual_sub_f32 v35, v37, v35 :: v_dual_fmac_f32 v38, 0xb102e308, v32
	v_dual_add_f32 v32, v33, v35 :: v_dual_add_f32 v33, v39, v38
	s_delay_alu instid0(VALU_DEP_1) | instskip(NEXT) | instid1(VALU_DEP_1)
	v_add_f32_e32 v35, v36, v32
	v_dual_add_f32 v37, v33, v35 :: v_dual_sub_f32 v36, v35, v36
	s_delay_alu instid0(VALU_DEP_1) | instskip(NEXT) | instid1(VALU_DEP_2)
	v_sub_f32_e32 v40, v37, v33
	v_dual_sub_f32 v39, v33, v39 :: v_dual_sub_f32 v32, v32, v36
	s_delay_alu instid0(VALU_DEP_1) | instskip(SKIP_1) | instid1(VALU_DEP_2)
	v_dual_sub_f32 v41, v37, v40 :: v_dual_sub_f32 v38, v38, v39
	v_sub_f32_e32 v35, v35, v40
	v_dual_sub_f32 v33, v33, v41 :: v_dual_add_f32 v36, v38, v32
	s_delay_alu instid0(VALU_DEP_1) | instskip(NEXT) | instid1(VALU_DEP_2)
	v_add_f32_e32 v33, v35, v33
	v_sub_f32_e32 v35, v36, v38
	s_delay_alu instid0(VALU_DEP_2) | instskip(NEXT) | instid1(VALU_DEP_2)
	v_add_f32_e32 v33, v36, v33
	v_sub_f32_e32 v36, v36, v35
	s_delay_alu instid0(VALU_DEP_2) | instskip(NEXT) | instid1(VALU_DEP_1)
	v_dual_sub_f32 v32, v32, v35 :: v_dual_add_f32 v39, v37, v33
	v_dual_sub_f32 v36, v38, v36 :: v_dual_sub_f32 v35, v39, v37
	s_delay_alu instid0(VALU_DEP_1) | instskip(NEXT) | instid1(VALU_DEP_1)
	v_dual_add_f32 v32, v32, v36 :: v_dual_sub_f32 v33, v33, v35
	v_add_f32_e32 v32, v32, v33
	s_delay_alu instid0(VALU_DEP_1) | instskip(NEXT) | instid1(VALU_DEP_1)
	v_add_f32_e32 v32, v39, v32
	v_cndmask_b32_e32 v119, v32, v34, vcc_lo
.LBB147_32:                             ;   in Loop: Header=BB147_12 Depth=1
	s_or_b32 exec_lo, exec_lo, s17
	v_add_f32_e32 v120, s57, v13
	s_delay_alu instid0(VALU_DEP_1) | instskip(SKIP_1) | instid1(SALU_CYCLE_1)
	v_cmp_ge_f32_e32 vcc_lo, 0x41a00000, v120
	s_and_b32 s16, s68, vcc_lo
	s_and_saveexec_b32 s17, s16
	s_cbranch_execz .LBB147_34
; %bb.33:                               ;   in Loop: Header=BB147_12 Depth=1
	v_mul_f32_e32 v32, 0x3fb8aa3b, v120
	v_cmp_ngt_f32_e32 vcc_lo, 0xc2ce8ed0, v120
	s_delay_alu instid0(VALU_DEP_2) | instskip(SKIP_1) | instid1(VALU_DEP_2)
	v_rndne_f32_e32 v33, v32
	v_fma_f32 v34, 0x3fb8aa3b, v120, -v32
	v_sub_f32_e32 v32, v32, v33
	s_delay_alu instid0(VALU_DEP_2) | instskip(SKIP_1) | instid1(VALU_DEP_2)
	v_fmac_f32_e32 v34, 0x32a5705f, v120
	v_cvt_i32_f32_e32 v33, v33
	v_add_f32_e32 v32, v32, v34
	s_delay_alu instid0(VALU_DEP_1) | instskip(SKIP_2) | instid1(VALU_DEP_1)
	v_exp_f32_e32 v32, v32
	s_waitcnt_depctr 0xfff
	v_ldexp_f32 v32, v32, v33
	v_cndmask_b32_e32 v32, 0, v32, vcc_lo
	v_cmp_nlt_f32_e32 vcc_lo, 0x42b17218, v120
	s_delay_alu instid0(VALU_DEP_2) | instskip(NEXT) | instid1(VALU_DEP_1)
	v_cndmask_b32_e32 v34, 0x7f800000, v32, vcc_lo
	v_add_f32_e32 v35, 1.0, v34
	s_delay_alu instid0(VALU_DEP_1) | instskip(NEXT) | instid1(VALU_DEP_1)
	v_cvt_f64_f32_e32 v[32:33], v35
	v_frexp_exp_i32_f64_e32 v32, v[32:33]
	v_frexp_mant_f32_e32 v33, v35
	s_delay_alu instid0(VALU_DEP_1) | instskip(SKIP_1) | instid1(VALU_DEP_1)
	v_cmp_gt_f32_e32 vcc_lo, 0x3f2aaaab, v33
	v_add_f32_e32 v33, -1.0, v35
	v_sub_f32_e32 v37, v33, v35
	v_sub_f32_e32 v33, v34, v33
	s_delay_alu instid0(VALU_DEP_2) | instskip(NEXT) | instid1(VALU_DEP_1)
	v_add_f32_e32 v37, 1.0, v37
	v_add_f32_e32 v33, v33, v37
	v_cmp_gt_f32_e64 s16, 0x33800000, v34
	v_subrev_co_ci_u32_e32 v32, vcc_lo, 0, v32, vcc_lo
	v_cmp_eq_f32_e32 vcc_lo, 0x7f800000, v34
	s_delay_alu instid0(VALU_DEP_2) | instskip(SKIP_2) | instid1(VALU_DEP_2)
	v_sub_nc_u32_e32 v36, 0, v32
	v_cvt_f32_i32_e32 v32, v32
	s_or_b32 vcc_lo, s16, vcc_lo
	v_ldexp_f32 v35, v35, v36
	v_ldexp_f32 v33, v33, v36
	s_delay_alu instid0(VALU_DEP_2) | instskip(NEXT) | instid1(VALU_DEP_1)
	v_add_f32_e32 v38, 1.0, v35
	v_dual_add_f32 v36, -1.0, v35 :: v_dual_add_f32 v37, -1.0, v38
	s_delay_alu instid0(VALU_DEP_1) | instskip(NEXT) | instid1(VALU_DEP_2)
	v_add_f32_e32 v39, 1.0, v36
	v_sub_f32_e32 v37, v35, v37
	s_delay_alu instid0(VALU_DEP_2) | instskip(NEXT) | instid1(VALU_DEP_2)
	v_sub_f32_e32 v35, v35, v39
	v_add_f32_e32 v37, v33, v37
	s_delay_alu instid0(VALU_DEP_2) | instskip(NEXT) | instid1(VALU_DEP_1)
	v_add_f32_e32 v33, v33, v35
	v_add_f32_e32 v40, v36, v33
	s_delay_alu instid0(VALU_DEP_1) | instskip(NEXT) | instid1(VALU_DEP_1)
	v_dual_add_f32 v39, v38, v37 :: v_dual_sub_f32 v36, v36, v40
	v_rcp_f32_e32 v35, v39
	v_sub_f32_e32 v38, v38, v39
	s_delay_alu instid0(VALU_DEP_1) | instskip(SKIP_2) | instid1(VALU_DEP_1)
	v_add_f32_e32 v37, v37, v38
	s_waitcnt_depctr 0xfff
	v_mul_f32_e32 v41, v40, v35
	v_mul_f32_e32 v42, v39, v41
	s_delay_alu instid0(VALU_DEP_1) | instskip(NEXT) | instid1(VALU_DEP_1)
	v_fma_f32 v38, v41, v39, -v42
	v_fmac_f32_e32 v38, v41, v37
	s_delay_alu instid0(VALU_DEP_1) | instskip(NEXT) | instid1(VALU_DEP_1)
	v_add_f32_e32 v43, v42, v38
	v_sub_f32_e32 v44, v40, v43
	s_delay_alu instid0(VALU_DEP_1) | instskip(SKIP_1) | instid1(VALU_DEP_2)
	v_sub_f32_e32 v40, v40, v44
	v_dual_add_f32 v33, v33, v36 :: v_dual_sub_f32 v36, v43, v42
	v_sub_f32_e32 v40, v40, v43
	s_delay_alu instid0(VALU_DEP_1) | instskip(NEXT) | instid1(VALU_DEP_1)
	v_dual_sub_f32 v36, v36, v38 :: v_dual_add_f32 v33, v33, v40
	v_add_f32_e32 v33, v36, v33
	s_delay_alu instid0(VALU_DEP_1) | instskip(NEXT) | instid1(VALU_DEP_1)
	v_add_f32_e32 v36, v44, v33
	v_mul_f32_e32 v38, v35, v36
	s_delay_alu instid0(VALU_DEP_1) | instskip(NEXT) | instid1(VALU_DEP_1)
	v_dual_sub_f32 v43, v44, v36 :: v_dual_mul_f32 v40, v39, v38
	v_add_f32_e32 v33, v33, v43
	s_delay_alu instid0(VALU_DEP_2) | instskip(NEXT) | instid1(VALU_DEP_1)
	v_fma_f32 v39, v38, v39, -v40
	v_fmac_f32_e32 v39, v38, v37
	s_delay_alu instid0(VALU_DEP_1) | instskip(NEXT) | instid1(VALU_DEP_1)
	v_add_f32_e32 v37, v40, v39
	v_sub_f32_e32 v42, v36, v37
	s_delay_alu instid0(VALU_DEP_1) | instskip(NEXT) | instid1(VALU_DEP_1)
	v_sub_f32_e32 v36, v36, v42
	v_sub_f32_e32 v36, v36, v37
	s_delay_alu instid0(VALU_DEP_1) | instskip(SKIP_2) | instid1(VALU_DEP_1)
	v_add_f32_e32 v33, v33, v36
	v_add_f32_e32 v36, v41, v38
	v_sub_f32_e32 v40, v37, v40
	v_sub_f32_e32 v37, v40, v39
	s_delay_alu instid0(VALU_DEP_1) | instskip(NEXT) | instid1(VALU_DEP_4)
	v_add_f32_e32 v33, v37, v33
	v_sub_f32_e32 v37, v36, v41
	s_delay_alu instid0(VALU_DEP_2) | instskip(NEXT) | instid1(VALU_DEP_2)
	v_add_f32_e32 v33, v42, v33
	v_sub_f32_e32 v37, v38, v37
	s_delay_alu instid0(VALU_DEP_2) | instskip(NEXT) | instid1(VALU_DEP_1)
	v_mul_f32_e32 v33, v35, v33
	v_add_f32_e32 v33, v37, v33
	s_delay_alu instid0(VALU_DEP_1) | instskip(NEXT) | instid1(VALU_DEP_1)
	v_add_f32_e32 v35, v36, v33
	v_mul_f32_e32 v37, v35, v35
	s_delay_alu instid0(VALU_DEP_1) | instskip(SKIP_1) | instid1(VALU_DEP_2)
	v_fmaak_f32 v38, s72, v37, 0x3ecc95a3
	v_mul_f32_e32 v39, v35, v37
	v_fmaak_f32 v37, v37, v38, 0x3f2aaada
	v_ldexp_f32 v38, v35, 1
	s_delay_alu instid0(VALU_DEP_2) | instskip(SKIP_1) | instid1(VALU_DEP_2)
	v_mul_f32_e32 v37, v39, v37
	v_sub_f32_e32 v35, v35, v36
	v_dual_mul_f32 v39, 0x3f317218, v32 :: v_dual_add_f32 v36, v38, v37
	s_delay_alu instid0(VALU_DEP_2) | instskip(NEXT) | instid1(VALU_DEP_2)
	v_sub_f32_e32 v33, v33, v35
	v_sub_f32_e32 v35, v36, v38
	s_delay_alu instid0(VALU_DEP_3) | instskip(NEXT) | instid1(VALU_DEP_3)
	v_fma_f32 v38, 0x3f317218, v32, -v39
	v_ldexp_f32 v33, v33, 1
	s_delay_alu instid0(VALU_DEP_2) | instskip(NEXT) | instid1(VALU_DEP_1)
	v_dual_sub_f32 v35, v37, v35 :: v_dual_fmac_f32 v38, 0xb102e308, v32
	v_dual_add_f32 v32, v33, v35 :: v_dual_add_f32 v33, v39, v38
	s_delay_alu instid0(VALU_DEP_1) | instskip(NEXT) | instid1(VALU_DEP_1)
	v_add_f32_e32 v35, v36, v32
	v_dual_add_f32 v37, v33, v35 :: v_dual_sub_f32 v36, v35, v36
	s_delay_alu instid0(VALU_DEP_1) | instskip(NEXT) | instid1(VALU_DEP_2)
	v_sub_f32_e32 v40, v37, v33
	v_dual_sub_f32 v39, v33, v39 :: v_dual_sub_f32 v32, v32, v36
	s_delay_alu instid0(VALU_DEP_1) | instskip(SKIP_1) | instid1(VALU_DEP_2)
	v_dual_sub_f32 v41, v37, v40 :: v_dual_sub_f32 v38, v38, v39
	v_sub_f32_e32 v35, v35, v40
	v_dual_sub_f32 v33, v33, v41 :: v_dual_add_f32 v36, v38, v32
	s_delay_alu instid0(VALU_DEP_1) | instskip(NEXT) | instid1(VALU_DEP_2)
	v_add_f32_e32 v33, v35, v33
	v_sub_f32_e32 v35, v36, v38
	s_delay_alu instid0(VALU_DEP_2) | instskip(NEXT) | instid1(VALU_DEP_2)
	v_add_f32_e32 v33, v36, v33
	v_sub_f32_e32 v36, v36, v35
	s_delay_alu instid0(VALU_DEP_2) | instskip(NEXT) | instid1(VALU_DEP_1)
	v_dual_sub_f32 v32, v32, v35 :: v_dual_add_f32 v39, v37, v33
	v_dual_sub_f32 v36, v38, v36 :: v_dual_sub_f32 v35, v39, v37
	s_delay_alu instid0(VALU_DEP_1) | instskip(NEXT) | instid1(VALU_DEP_1)
	v_dual_add_f32 v32, v32, v36 :: v_dual_sub_f32 v33, v33, v35
	v_add_f32_e32 v32, v32, v33
	s_delay_alu instid0(VALU_DEP_1) | instskip(NEXT) | instid1(VALU_DEP_1)
	v_add_f32_e32 v32, v39, v32
	v_cndmask_b32_e32 v120, v32, v34, vcc_lo
.LBB147_34:                             ;   in Loop: Header=BB147_12 Depth=1
	s_or_b32 exec_lo, exec_lo, s17
	v_add_f32_e32 v121, s57, v14
	s_delay_alu instid0(VALU_DEP_1) | instskip(SKIP_1) | instid1(SALU_CYCLE_1)
	v_cmp_ge_f32_e32 vcc_lo, 0x41a00000, v121
	s_and_b32 s16, s68, vcc_lo
	s_and_saveexec_b32 s17, s16
	s_cbranch_execz .LBB147_36
; %bb.35:                               ;   in Loop: Header=BB147_12 Depth=1
	v_mul_f32_e32 v32, 0x3fb8aa3b, v121
	v_cmp_ngt_f32_e32 vcc_lo, 0xc2ce8ed0, v121
	s_delay_alu instid0(VALU_DEP_2) | instskip(SKIP_1) | instid1(VALU_DEP_2)
	v_rndne_f32_e32 v33, v32
	v_fma_f32 v34, 0x3fb8aa3b, v121, -v32
	v_sub_f32_e32 v32, v32, v33
	s_delay_alu instid0(VALU_DEP_2) | instskip(SKIP_1) | instid1(VALU_DEP_2)
	v_fmac_f32_e32 v34, 0x32a5705f, v121
	v_cvt_i32_f32_e32 v33, v33
	v_add_f32_e32 v32, v32, v34
	s_delay_alu instid0(VALU_DEP_1) | instskip(SKIP_2) | instid1(VALU_DEP_1)
	v_exp_f32_e32 v32, v32
	s_waitcnt_depctr 0xfff
	v_ldexp_f32 v32, v32, v33
	v_cndmask_b32_e32 v32, 0, v32, vcc_lo
	v_cmp_nlt_f32_e32 vcc_lo, 0x42b17218, v121
	s_delay_alu instid0(VALU_DEP_2) | instskip(NEXT) | instid1(VALU_DEP_1)
	v_cndmask_b32_e32 v34, 0x7f800000, v32, vcc_lo
	v_add_f32_e32 v35, 1.0, v34
	s_delay_alu instid0(VALU_DEP_1) | instskip(NEXT) | instid1(VALU_DEP_1)
	v_cvt_f64_f32_e32 v[32:33], v35
	v_frexp_exp_i32_f64_e32 v32, v[32:33]
	v_frexp_mant_f32_e32 v33, v35
	s_delay_alu instid0(VALU_DEP_1) | instskip(SKIP_1) | instid1(VALU_DEP_1)
	v_cmp_gt_f32_e32 vcc_lo, 0x3f2aaaab, v33
	v_add_f32_e32 v33, -1.0, v35
	v_sub_f32_e32 v37, v33, v35
	v_sub_f32_e32 v33, v34, v33
	s_delay_alu instid0(VALU_DEP_2) | instskip(NEXT) | instid1(VALU_DEP_1)
	v_add_f32_e32 v37, 1.0, v37
	v_add_f32_e32 v33, v33, v37
	v_cmp_gt_f32_e64 s16, 0x33800000, v34
	v_subrev_co_ci_u32_e32 v32, vcc_lo, 0, v32, vcc_lo
	v_cmp_eq_f32_e32 vcc_lo, 0x7f800000, v34
	s_delay_alu instid0(VALU_DEP_2) | instskip(SKIP_2) | instid1(VALU_DEP_2)
	v_sub_nc_u32_e32 v36, 0, v32
	v_cvt_f32_i32_e32 v32, v32
	s_or_b32 vcc_lo, s16, vcc_lo
	v_ldexp_f32 v35, v35, v36
	v_ldexp_f32 v33, v33, v36
	s_delay_alu instid0(VALU_DEP_2) | instskip(NEXT) | instid1(VALU_DEP_1)
	v_add_f32_e32 v38, 1.0, v35
	v_dual_add_f32 v36, -1.0, v35 :: v_dual_add_f32 v37, -1.0, v38
	s_delay_alu instid0(VALU_DEP_1) | instskip(NEXT) | instid1(VALU_DEP_2)
	v_add_f32_e32 v39, 1.0, v36
	v_sub_f32_e32 v37, v35, v37
	s_delay_alu instid0(VALU_DEP_2) | instskip(NEXT) | instid1(VALU_DEP_2)
	v_sub_f32_e32 v35, v35, v39
	v_add_f32_e32 v37, v33, v37
	s_delay_alu instid0(VALU_DEP_2) | instskip(NEXT) | instid1(VALU_DEP_1)
	v_add_f32_e32 v33, v33, v35
	v_add_f32_e32 v40, v36, v33
	s_delay_alu instid0(VALU_DEP_1) | instskip(NEXT) | instid1(VALU_DEP_1)
	v_dual_add_f32 v39, v38, v37 :: v_dual_sub_f32 v36, v36, v40
	v_rcp_f32_e32 v35, v39
	v_sub_f32_e32 v38, v38, v39
	s_delay_alu instid0(VALU_DEP_1) | instskip(SKIP_2) | instid1(VALU_DEP_1)
	v_add_f32_e32 v37, v37, v38
	s_waitcnt_depctr 0xfff
	v_mul_f32_e32 v41, v40, v35
	v_mul_f32_e32 v42, v39, v41
	s_delay_alu instid0(VALU_DEP_1) | instskip(NEXT) | instid1(VALU_DEP_1)
	v_fma_f32 v38, v41, v39, -v42
	v_fmac_f32_e32 v38, v41, v37
	s_delay_alu instid0(VALU_DEP_1) | instskip(NEXT) | instid1(VALU_DEP_1)
	v_add_f32_e32 v43, v42, v38
	v_sub_f32_e32 v44, v40, v43
	s_delay_alu instid0(VALU_DEP_1) | instskip(SKIP_1) | instid1(VALU_DEP_2)
	v_sub_f32_e32 v40, v40, v44
	v_dual_add_f32 v33, v33, v36 :: v_dual_sub_f32 v36, v43, v42
	v_sub_f32_e32 v40, v40, v43
	s_delay_alu instid0(VALU_DEP_1) | instskip(NEXT) | instid1(VALU_DEP_1)
	v_dual_sub_f32 v36, v36, v38 :: v_dual_add_f32 v33, v33, v40
	v_add_f32_e32 v33, v36, v33
	s_delay_alu instid0(VALU_DEP_1) | instskip(NEXT) | instid1(VALU_DEP_1)
	v_add_f32_e32 v36, v44, v33
	v_mul_f32_e32 v38, v35, v36
	s_delay_alu instid0(VALU_DEP_1) | instskip(NEXT) | instid1(VALU_DEP_1)
	v_dual_sub_f32 v43, v44, v36 :: v_dual_mul_f32 v40, v39, v38
	v_add_f32_e32 v33, v33, v43
	s_delay_alu instid0(VALU_DEP_2) | instskip(NEXT) | instid1(VALU_DEP_1)
	v_fma_f32 v39, v38, v39, -v40
	v_fmac_f32_e32 v39, v38, v37
	s_delay_alu instid0(VALU_DEP_1) | instskip(NEXT) | instid1(VALU_DEP_1)
	v_add_f32_e32 v37, v40, v39
	v_sub_f32_e32 v42, v36, v37
	s_delay_alu instid0(VALU_DEP_1) | instskip(NEXT) | instid1(VALU_DEP_1)
	v_sub_f32_e32 v36, v36, v42
	v_sub_f32_e32 v36, v36, v37
	s_delay_alu instid0(VALU_DEP_1) | instskip(SKIP_2) | instid1(VALU_DEP_1)
	v_add_f32_e32 v33, v33, v36
	v_add_f32_e32 v36, v41, v38
	v_sub_f32_e32 v40, v37, v40
	v_sub_f32_e32 v37, v40, v39
	s_delay_alu instid0(VALU_DEP_1) | instskip(NEXT) | instid1(VALU_DEP_4)
	v_add_f32_e32 v33, v37, v33
	v_sub_f32_e32 v37, v36, v41
	s_delay_alu instid0(VALU_DEP_2) | instskip(NEXT) | instid1(VALU_DEP_2)
	v_add_f32_e32 v33, v42, v33
	v_sub_f32_e32 v37, v38, v37
	s_delay_alu instid0(VALU_DEP_2) | instskip(NEXT) | instid1(VALU_DEP_1)
	v_mul_f32_e32 v33, v35, v33
	v_add_f32_e32 v33, v37, v33
	s_delay_alu instid0(VALU_DEP_1) | instskip(NEXT) | instid1(VALU_DEP_1)
	v_add_f32_e32 v35, v36, v33
	v_mul_f32_e32 v37, v35, v35
	s_delay_alu instid0(VALU_DEP_1) | instskip(SKIP_1) | instid1(VALU_DEP_2)
	v_fmaak_f32 v38, s72, v37, 0x3ecc95a3
	v_mul_f32_e32 v39, v35, v37
	v_fmaak_f32 v37, v37, v38, 0x3f2aaada
	v_ldexp_f32 v38, v35, 1
	s_delay_alu instid0(VALU_DEP_2) | instskip(SKIP_1) | instid1(VALU_DEP_2)
	v_mul_f32_e32 v37, v39, v37
	v_sub_f32_e32 v35, v35, v36
	v_dual_mul_f32 v39, 0x3f317218, v32 :: v_dual_add_f32 v36, v38, v37
	s_delay_alu instid0(VALU_DEP_2) | instskip(NEXT) | instid1(VALU_DEP_2)
	v_sub_f32_e32 v33, v33, v35
	v_sub_f32_e32 v35, v36, v38
	s_delay_alu instid0(VALU_DEP_3) | instskip(NEXT) | instid1(VALU_DEP_3)
	v_fma_f32 v38, 0x3f317218, v32, -v39
	v_ldexp_f32 v33, v33, 1
	s_delay_alu instid0(VALU_DEP_2) | instskip(NEXT) | instid1(VALU_DEP_1)
	v_dual_sub_f32 v35, v37, v35 :: v_dual_fmac_f32 v38, 0xb102e308, v32
	v_dual_add_f32 v32, v33, v35 :: v_dual_add_f32 v33, v39, v38
	s_delay_alu instid0(VALU_DEP_1) | instskip(NEXT) | instid1(VALU_DEP_1)
	v_add_f32_e32 v35, v36, v32
	v_dual_add_f32 v37, v33, v35 :: v_dual_sub_f32 v36, v35, v36
	s_delay_alu instid0(VALU_DEP_1) | instskip(NEXT) | instid1(VALU_DEP_2)
	v_sub_f32_e32 v40, v37, v33
	v_dual_sub_f32 v39, v33, v39 :: v_dual_sub_f32 v32, v32, v36
	s_delay_alu instid0(VALU_DEP_1) | instskip(SKIP_1) | instid1(VALU_DEP_2)
	v_dual_sub_f32 v41, v37, v40 :: v_dual_sub_f32 v38, v38, v39
	v_sub_f32_e32 v35, v35, v40
	v_dual_sub_f32 v33, v33, v41 :: v_dual_add_f32 v36, v38, v32
	s_delay_alu instid0(VALU_DEP_1) | instskip(NEXT) | instid1(VALU_DEP_2)
	v_add_f32_e32 v33, v35, v33
	v_sub_f32_e32 v35, v36, v38
	s_delay_alu instid0(VALU_DEP_2) | instskip(NEXT) | instid1(VALU_DEP_2)
	v_add_f32_e32 v33, v36, v33
	v_sub_f32_e32 v36, v36, v35
	s_delay_alu instid0(VALU_DEP_2) | instskip(NEXT) | instid1(VALU_DEP_1)
	v_dual_sub_f32 v32, v32, v35 :: v_dual_add_f32 v39, v37, v33
	v_dual_sub_f32 v36, v38, v36 :: v_dual_sub_f32 v35, v39, v37
	s_delay_alu instid0(VALU_DEP_1) | instskip(NEXT) | instid1(VALU_DEP_1)
	v_dual_add_f32 v32, v32, v36 :: v_dual_sub_f32 v33, v33, v35
	v_add_f32_e32 v32, v32, v33
	s_delay_alu instid0(VALU_DEP_1) | instskip(NEXT) | instid1(VALU_DEP_1)
	v_add_f32_e32 v32, v39, v32
	v_cndmask_b32_e32 v121, v32, v34, vcc_lo
.LBB147_36:                             ;   in Loop: Header=BB147_12 Depth=1
	s_or_b32 exec_lo, exec_lo, s17
	v_add_f32_e32 v122, s57, v15
	s_delay_alu instid0(VALU_DEP_1) | instskip(SKIP_1) | instid1(SALU_CYCLE_1)
	v_cmp_ge_f32_e32 vcc_lo, 0x41a00000, v122
	s_and_b32 s16, s68, vcc_lo
	s_and_saveexec_b32 s17, s16
	s_cbranch_execz .LBB147_38
; %bb.37:                               ;   in Loop: Header=BB147_12 Depth=1
	v_mul_f32_e32 v32, 0x3fb8aa3b, v122
	v_cmp_ngt_f32_e32 vcc_lo, 0xc2ce8ed0, v122
	s_delay_alu instid0(VALU_DEP_2) | instskip(SKIP_1) | instid1(VALU_DEP_2)
	v_rndne_f32_e32 v33, v32
	v_fma_f32 v34, 0x3fb8aa3b, v122, -v32
	v_sub_f32_e32 v32, v32, v33
	s_delay_alu instid0(VALU_DEP_2) | instskip(SKIP_1) | instid1(VALU_DEP_2)
	v_fmac_f32_e32 v34, 0x32a5705f, v122
	v_cvt_i32_f32_e32 v33, v33
	v_add_f32_e32 v32, v32, v34
	s_delay_alu instid0(VALU_DEP_1) | instskip(SKIP_2) | instid1(VALU_DEP_1)
	v_exp_f32_e32 v32, v32
	s_waitcnt_depctr 0xfff
	v_ldexp_f32 v32, v32, v33
	v_cndmask_b32_e32 v32, 0, v32, vcc_lo
	v_cmp_nlt_f32_e32 vcc_lo, 0x42b17218, v122
	s_delay_alu instid0(VALU_DEP_2) | instskip(NEXT) | instid1(VALU_DEP_1)
	v_cndmask_b32_e32 v34, 0x7f800000, v32, vcc_lo
	v_add_f32_e32 v35, 1.0, v34
	s_delay_alu instid0(VALU_DEP_1) | instskip(NEXT) | instid1(VALU_DEP_1)
	v_cvt_f64_f32_e32 v[32:33], v35
	v_frexp_exp_i32_f64_e32 v32, v[32:33]
	v_frexp_mant_f32_e32 v33, v35
	s_delay_alu instid0(VALU_DEP_1) | instskip(SKIP_1) | instid1(VALU_DEP_1)
	v_cmp_gt_f32_e32 vcc_lo, 0x3f2aaaab, v33
	v_add_f32_e32 v33, -1.0, v35
	v_sub_f32_e32 v37, v33, v35
	v_sub_f32_e32 v33, v34, v33
	s_delay_alu instid0(VALU_DEP_2) | instskip(NEXT) | instid1(VALU_DEP_1)
	v_add_f32_e32 v37, 1.0, v37
	v_add_f32_e32 v33, v33, v37
	v_cmp_gt_f32_e64 s16, 0x33800000, v34
	v_subrev_co_ci_u32_e32 v32, vcc_lo, 0, v32, vcc_lo
	v_cmp_eq_f32_e32 vcc_lo, 0x7f800000, v34
	s_delay_alu instid0(VALU_DEP_2) | instskip(SKIP_2) | instid1(VALU_DEP_2)
	v_sub_nc_u32_e32 v36, 0, v32
	v_cvt_f32_i32_e32 v32, v32
	s_or_b32 vcc_lo, s16, vcc_lo
	v_ldexp_f32 v35, v35, v36
	v_ldexp_f32 v33, v33, v36
	s_delay_alu instid0(VALU_DEP_2) | instskip(NEXT) | instid1(VALU_DEP_1)
	v_add_f32_e32 v38, 1.0, v35
	v_dual_add_f32 v36, -1.0, v35 :: v_dual_add_f32 v37, -1.0, v38
	s_delay_alu instid0(VALU_DEP_1) | instskip(NEXT) | instid1(VALU_DEP_2)
	v_add_f32_e32 v39, 1.0, v36
	v_sub_f32_e32 v37, v35, v37
	s_delay_alu instid0(VALU_DEP_2) | instskip(NEXT) | instid1(VALU_DEP_2)
	v_sub_f32_e32 v35, v35, v39
	v_add_f32_e32 v37, v33, v37
	s_delay_alu instid0(VALU_DEP_2) | instskip(NEXT) | instid1(VALU_DEP_1)
	v_add_f32_e32 v33, v33, v35
	v_add_f32_e32 v40, v36, v33
	s_delay_alu instid0(VALU_DEP_1) | instskip(NEXT) | instid1(VALU_DEP_1)
	v_dual_add_f32 v39, v38, v37 :: v_dual_sub_f32 v36, v36, v40
	v_rcp_f32_e32 v35, v39
	v_sub_f32_e32 v38, v38, v39
	s_delay_alu instid0(VALU_DEP_1) | instskip(SKIP_2) | instid1(VALU_DEP_1)
	v_add_f32_e32 v37, v37, v38
	s_waitcnt_depctr 0xfff
	v_mul_f32_e32 v41, v40, v35
	v_mul_f32_e32 v42, v39, v41
	s_delay_alu instid0(VALU_DEP_1) | instskip(NEXT) | instid1(VALU_DEP_1)
	v_fma_f32 v38, v41, v39, -v42
	v_fmac_f32_e32 v38, v41, v37
	s_delay_alu instid0(VALU_DEP_1) | instskip(NEXT) | instid1(VALU_DEP_1)
	v_add_f32_e32 v43, v42, v38
	v_sub_f32_e32 v44, v40, v43
	s_delay_alu instid0(VALU_DEP_1) | instskip(SKIP_1) | instid1(VALU_DEP_2)
	v_sub_f32_e32 v40, v40, v44
	v_dual_add_f32 v33, v33, v36 :: v_dual_sub_f32 v36, v43, v42
	v_sub_f32_e32 v40, v40, v43
	s_delay_alu instid0(VALU_DEP_1) | instskip(NEXT) | instid1(VALU_DEP_1)
	v_dual_sub_f32 v36, v36, v38 :: v_dual_add_f32 v33, v33, v40
	v_add_f32_e32 v33, v36, v33
	s_delay_alu instid0(VALU_DEP_1) | instskip(NEXT) | instid1(VALU_DEP_1)
	v_add_f32_e32 v36, v44, v33
	v_mul_f32_e32 v38, v35, v36
	s_delay_alu instid0(VALU_DEP_1) | instskip(NEXT) | instid1(VALU_DEP_1)
	v_dual_sub_f32 v43, v44, v36 :: v_dual_mul_f32 v40, v39, v38
	v_add_f32_e32 v33, v33, v43
	s_delay_alu instid0(VALU_DEP_2) | instskip(NEXT) | instid1(VALU_DEP_1)
	v_fma_f32 v39, v38, v39, -v40
	v_fmac_f32_e32 v39, v38, v37
	s_delay_alu instid0(VALU_DEP_1) | instskip(NEXT) | instid1(VALU_DEP_1)
	v_add_f32_e32 v37, v40, v39
	v_sub_f32_e32 v42, v36, v37
	s_delay_alu instid0(VALU_DEP_1) | instskip(NEXT) | instid1(VALU_DEP_1)
	v_sub_f32_e32 v36, v36, v42
	v_sub_f32_e32 v36, v36, v37
	s_delay_alu instid0(VALU_DEP_1) | instskip(SKIP_2) | instid1(VALU_DEP_1)
	v_add_f32_e32 v33, v33, v36
	v_add_f32_e32 v36, v41, v38
	v_sub_f32_e32 v40, v37, v40
	v_sub_f32_e32 v37, v40, v39
	s_delay_alu instid0(VALU_DEP_1) | instskip(NEXT) | instid1(VALU_DEP_4)
	v_add_f32_e32 v33, v37, v33
	v_sub_f32_e32 v37, v36, v41
	s_delay_alu instid0(VALU_DEP_2) | instskip(NEXT) | instid1(VALU_DEP_2)
	v_add_f32_e32 v33, v42, v33
	v_sub_f32_e32 v37, v38, v37
	s_delay_alu instid0(VALU_DEP_2) | instskip(NEXT) | instid1(VALU_DEP_1)
	v_mul_f32_e32 v33, v35, v33
	v_add_f32_e32 v33, v37, v33
	s_delay_alu instid0(VALU_DEP_1) | instskip(NEXT) | instid1(VALU_DEP_1)
	v_add_f32_e32 v35, v36, v33
	v_mul_f32_e32 v37, v35, v35
	s_delay_alu instid0(VALU_DEP_1) | instskip(SKIP_1) | instid1(VALU_DEP_2)
	v_fmaak_f32 v38, s72, v37, 0x3ecc95a3
	v_mul_f32_e32 v39, v35, v37
	v_fmaak_f32 v37, v37, v38, 0x3f2aaada
	v_ldexp_f32 v38, v35, 1
	s_delay_alu instid0(VALU_DEP_2) | instskip(SKIP_1) | instid1(VALU_DEP_2)
	v_mul_f32_e32 v37, v39, v37
	v_sub_f32_e32 v35, v35, v36
	v_dual_mul_f32 v39, 0x3f317218, v32 :: v_dual_add_f32 v36, v38, v37
	s_delay_alu instid0(VALU_DEP_2) | instskip(NEXT) | instid1(VALU_DEP_2)
	v_sub_f32_e32 v33, v33, v35
	v_sub_f32_e32 v35, v36, v38
	s_delay_alu instid0(VALU_DEP_3) | instskip(NEXT) | instid1(VALU_DEP_3)
	v_fma_f32 v38, 0x3f317218, v32, -v39
	v_ldexp_f32 v33, v33, 1
	s_delay_alu instid0(VALU_DEP_2) | instskip(NEXT) | instid1(VALU_DEP_1)
	v_dual_sub_f32 v35, v37, v35 :: v_dual_fmac_f32 v38, 0xb102e308, v32
	v_dual_add_f32 v32, v33, v35 :: v_dual_add_f32 v33, v39, v38
	s_delay_alu instid0(VALU_DEP_1) | instskip(NEXT) | instid1(VALU_DEP_1)
	v_add_f32_e32 v35, v36, v32
	v_dual_add_f32 v37, v33, v35 :: v_dual_sub_f32 v36, v35, v36
	s_delay_alu instid0(VALU_DEP_1) | instskip(NEXT) | instid1(VALU_DEP_2)
	v_sub_f32_e32 v40, v37, v33
	v_dual_sub_f32 v39, v33, v39 :: v_dual_sub_f32 v32, v32, v36
	s_delay_alu instid0(VALU_DEP_1) | instskip(SKIP_1) | instid1(VALU_DEP_2)
	v_dual_sub_f32 v41, v37, v40 :: v_dual_sub_f32 v38, v38, v39
	v_sub_f32_e32 v35, v35, v40
	v_dual_sub_f32 v33, v33, v41 :: v_dual_add_f32 v36, v38, v32
	s_delay_alu instid0(VALU_DEP_1) | instskip(NEXT) | instid1(VALU_DEP_2)
	v_add_f32_e32 v33, v35, v33
	v_sub_f32_e32 v35, v36, v38
	s_delay_alu instid0(VALU_DEP_2) | instskip(NEXT) | instid1(VALU_DEP_2)
	v_add_f32_e32 v33, v36, v33
	v_sub_f32_e32 v36, v36, v35
	s_delay_alu instid0(VALU_DEP_2) | instskip(NEXT) | instid1(VALU_DEP_1)
	v_dual_sub_f32 v32, v32, v35 :: v_dual_add_f32 v39, v37, v33
	v_dual_sub_f32 v36, v38, v36 :: v_dual_sub_f32 v35, v39, v37
	s_delay_alu instid0(VALU_DEP_1) | instskip(NEXT) | instid1(VALU_DEP_1)
	v_dual_add_f32 v32, v32, v36 :: v_dual_sub_f32 v33, v33, v35
	v_add_f32_e32 v32, v32, v33
	s_delay_alu instid0(VALU_DEP_1) | instskip(NEXT) | instid1(VALU_DEP_1)
	v_add_f32_e32 v32, v39, v32
	v_cndmask_b32_e32 v122, v32, v34, vcc_lo
.LBB147_38:                             ;   in Loop: Header=BB147_12 Depth=1
	s_or_b32 exec_lo, exec_lo, s17
	s_waitcnt lgkmcnt(1)
	v_add_f32_e32 v123, s57, v4
	s_delay_alu instid0(VALU_DEP_1) | instskip(SKIP_1) | instid1(SALU_CYCLE_1)
	v_cmp_ge_f32_e32 vcc_lo, 0x41a00000, v123
	s_and_b32 s16, s68, vcc_lo
	s_and_saveexec_b32 s17, s16
	s_cbranch_execz .LBB147_40
; %bb.39:                               ;   in Loop: Header=BB147_12 Depth=1
	v_mul_f32_e32 v32, 0x3fb8aa3b, v123
	v_cmp_ngt_f32_e32 vcc_lo, 0xc2ce8ed0, v123
	s_delay_alu instid0(VALU_DEP_2) | instskip(SKIP_1) | instid1(VALU_DEP_2)
	v_rndne_f32_e32 v33, v32
	v_fma_f32 v34, 0x3fb8aa3b, v123, -v32
	v_sub_f32_e32 v32, v32, v33
	s_delay_alu instid0(VALU_DEP_2) | instskip(SKIP_1) | instid1(VALU_DEP_2)
	v_fmac_f32_e32 v34, 0x32a5705f, v123
	v_cvt_i32_f32_e32 v33, v33
	v_add_f32_e32 v32, v32, v34
	s_delay_alu instid0(VALU_DEP_1) | instskip(SKIP_2) | instid1(VALU_DEP_1)
	v_exp_f32_e32 v32, v32
	s_waitcnt_depctr 0xfff
	v_ldexp_f32 v32, v32, v33
	v_cndmask_b32_e32 v32, 0, v32, vcc_lo
	v_cmp_nlt_f32_e32 vcc_lo, 0x42b17218, v123
	s_delay_alu instid0(VALU_DEP_2) | instskip(NEXT) | instid1(VALU_DEP_1)
	v_cndmask_b32_e32 v34, 0x7f800000, v32, vcc_lo
	v_add_f32_e32 v35, 1.0, v34
	s_delay_alu instid0(VALU_DEP_1) | instskip(NEXT) | instid1(VALU_DEP_1)
	v_cvt_f64_f32_e32 v[32:33], v35
	v_frexp_exp_i32_f64_e32 v32, v[32:33]
	v_frexp_mant_f32_e32 v33, v35
	s_delay_alu instid0(VALU_DEP_1) | instskip(SKIP_1) | instid1(VALU_DEP_1)
	v_cmp_gt_f32_e32 vcc_lo, 0x3f2aaaab, v33
	v_add_f32_e32 v33, -1.0, v35
	v_sub_f32_e32 v37, v33, v35
	v_sub_f32_e32 v33, v34, v33
	s_delay_alu instid0(VALU_DEP_2) | instskip(NEXT) | instid1(VALU_DEP_1)
	v_add_f32_e32 v37, 1.0, v37
	v_add_f32_e32 v33, v33, v37
	v_cmp_gt_f32_e64 s16, 0x33800000, v34
	v_subrev_co_ci_u32_e32 v32, vcc_lo, 0, v32, vcc_lo
	v_cmp_eq_f32_e32 vcc_lo, 0x7f800000, v34
	s_delay_alu instid0(VALU_DEP_2) | instskip(SKIP_2) | instid1(VALU_DEP_2)
	v_sub_nc_u32_e32 v36, 0, v32
	v_cvt_f32_i32_e32 v32, v32
	s_or_b32 vcc_lo, s16, vcc_lo
	v_ldexp_f32 v35, v35, v36
	v_ldexp_f32 v33, v33, v36
	s_delay_alu instid0(VALU_DEP_2) | instskip(NEXT) | instid1(VALU_DEP_1)
	v_add_f32_e32 v38, 1.0, v35
	v_dual_add_f32 v36, -1.0, v35 :: v_dual_add_f32 v37, -1.0, v38
	s_delay_alu instid0(VALU_DEP_1) | instskip(NEXT) | instid1(VALU_DEP_2)
	v_add_f32_e32 v39, 1.0, v36
	v_sub_f32_e32 v37, v35, v37
	s_delay_alu instid0(VALU_DEP_2) | instskip(NEXT) | instid1(VALU_DEP_2)
	v_sub_f32_e32 v35, v35, v39
	v_add_f32_e32 v37, v33, v37
	s_delay_alu instid0(VALU_DEP_2) | instskip(NEXT) | instid1(VALU_DEP_1)
	v_add_f32_e32 v33, v33, v35
	v_add_f32_e32 v40, v36, v33
	s_delay_alu instid0(VALU_DEP_1) | instskip(NEXT) | instid1(VALU_DEP_1)
	v_dual_add_f32 v39, v38, v37 :: v_dual_sub_f32 v36, v36, v40
	v_rcp_f32_e32 v35, v39
	v_sub_f32_e32 v38, v38, v39
	s_delay_alu instid0(VALU_DEP_1) | instskip(SKIP_2) | instid1(VALU_DEP_1)
	v_add_f32_e32 v37, v37, v38
	s_waitcnt_depctr 0xfff
	v_mul_f32_e32 v41, v40, v35
	v_mul_f32_e32 v42, v39, v41
	s_delay_alu instid0(VALU_DEP_1) | instskip(NEXT) | instid1(VALU_DEP_1)
	v_fma_f32 v38, v41, v39, -v42
	v_fmac_f32_e32 v38, v41, v37
	s_delay_alu instid0(VALU_DEP_1) | instskip(NEXT) | instid1(VALU_DEP_1)
	v_add_f32_e32 v43, v42, v38
	v_sub_f32_e32 v44, v40, v43
	s_delay_alu instid0(VALU_DEP_1) | instskip(SKIP_1) | instid1(VALU_DEP_2)
	v_sub_f32_e32 v40, v40, v44
	v_dual_add_f32 v33, v33, v36 :: v_dual_sub_f32 v36, v43, v42
	v_sub_f32_e32 v40, v40, v43
	s_delay_alu instid0(VALU_DEP_1) | instskip(NEXT) | instid1(VALU_DEP_1)
	v_dual_sub_f32 v36, v36, v38 :: v_dual_add_f32 v33, v33, v40
	v_add_f32_e32 v33, v36, v33
	s_delay_alu instid0(VALU_DEP_1) | instskip(NEXT) | instid1(VALU_DEP_1)
	v_add_f32_e32 v36, v44, v33
	v_mul_f32_e32 v38, v35, v36
	s_delay_alu instid0(VALU_DEP_1) | instskip(NEXT) | instid1(VALU_DEP_1)
	v_dual_sub_f32 v43, v44, v36 :: v_dual_mul_f32 v40, v39, v38
	v_add_f32_e32 v33, v33, v43
	s_delay_alu instid0(VALU_DEP_2) | instskip(NEXT) | instid1(VALU_DEP_1)
	v_fma_f32 v39, v38, v39, -v40
	v_fmac_f32_e32 v39, v38, v37
	s_delay_alu instid0(VALU_DEP_1) | instskip(NEXT) | instid1(VALU_DEP_1)
	v_add_f32_e32 v37, v40, v39
	v_sub_f32_e32 v42, v36, v37
	s_delay_alu instid0(VALU_DEP_1) | instskip(NEXT) | instid1(VALU_DEP_1)
	v_sub_f32_e32 v36, v36, v42
	v_sub_f32_e32 v36, v36, v37
	s_delay_alu instid0(VALU_DEP_1) | instskip(SKIP_2) | instid1(VALU_DEP_1)
	v_add_f32_e32 v33, v33, v36
	v_add_f32_e32 v36, v41, v38
	v_sub_f32_e32 v40, v37, v40
	v_sub_f32_e32 v37, v40, v39
	s_delay_alu instid0(VALU_DEP_1) | instskip(NEXT) | instid1(VALU_DEP_4)
	v_add_f32_e32 v33, v37, v33
	v_sub_f32_e32 v37, v36, v41
	s_delay_alu instid0(VALU_DEP_2) | instskip(NEXT) | instid1(VALU_DEP_2)
	v_add_f32_e32 v33, v42, v33
	v_sub_f32_e32 v37, v38, v37
	s_delay_alu instid0(VALU_DEP_2) | instskip(NEXT) | instid1(VALU_DEP_1)
	v_mul_f32_e32 v33, v35, v33
	v_add_f32_e32 v33, v37, v33
	s_delay_alu instid0(VALU_DEP_1) | instskip(NEXT) | instid1(VALU_DEP_1)
	v_add_f32_e32 v35, v36, v33
	v_mul_f32_e32 v37, v35, v35
	s_delay_alu instid0(VALU_DEP_1) | instskip(SKIP_1) | instid1(VALU_DEP_2)
	v_fmaak_f32 v38, s72, v37, 0x3ecc95a3
	v_mul_f32_e32 v39, v35, v37
	v_fmaak_f32 v37, v37, v38, 0x3f2aaada
	v_ldexp_f32 v38, v35, 1
	s_delay_alu instid0(VALU_DEP_2) | instskip(SKIP_1) | instid1(VALU_DEP_2)
	v_mul_f32_e32 v37, v39, v37
	v_sub_f32_e32 v35, v35, v36
	v_dual_mul_f32 v39, 0x3f317218, v32 :: v_dual_add_f32 v36, v38, v37
	s_delay_alu instid0(VALU_DEP_2) | instskip(NEXT) | instid1(VALU_DEP_2)
	v_sub_f32_e32 v33, v33, v35
	v_sub_f32_e32 v35, v36, v38
	s_delay_alu instid0(VALU_DEP_3) | instskip(NEXT) | instid1(VALU_DEP_3)
	v_fma_f32 v38, 0x3f317218, v32, -v39
	v_ldexp_f32 v33, v33, 1
	s_delay_alu instid0(VALU_DEP_2) | instskip(NEXT) | instid1(VALU_DEP_1)
	v_dual_sub_f32 v35, v37, v35 :: v_dual_fmac_f32 v38, 0xb102e308, v32
	v_dual_add_f32 v32, v33, v35 :: v_dual_add_f32 v33, v39, v38
	s_delay_alu instid0(VALU_DEP_1) | instskip(NEXT) | instid1(VALU_DEP_1)
	v_add_f32_e32 v35, v36, v32
	v_dual_add_f32 v37, v33, v35 :: v_dual_sub_f32 v36, v35, v36
	s_delay_alu instid0(VALU_DEP_1) | instskip(NEXT) | instid1(VALU_DEP_2)
	v_sub_f32_e32 v40, v37, v33
	v_dual_sub_f32 v39, v33, v39 :: v_dual_sub_f32 v32, v32, v36
	s_delay_alu instid0(VALU_DEP_1) | instskip(SKIP_1) | instid1(VALU_DEP_2)
	v_dual_sub_f32 v41, v37, v40 :: v_dual_sub_f32 v38, v38, v39
	v_sub_f32_e32 v35, v35, v40
	v_dual_sub_f32 v33, v33, v41 :: v_dual_add_f32 v36, v38, v32
	s_delay_alu instid0(VALU_DEP_1) | instskip(NEXT) | instid1(VALU_DEP_2)
	v_add_f32_e32 v33, v35, v33
	v_sub_f32_e32 v35, v36, v38
	s_delay_alu instid0(VALU_DEP_2) | instskip(NEXT) | instid1(VALU_DEP_2)
	v_add_f32_e32 v33, v36, v33
	v_sub_f32_e32 v36, v36, v35
	s_delay_alu instid0(VALU_DEP_2) | instskip(NEXT) | instid1(VALU_DEP_1)
	v_dual_sub_f32 v32, v32, v35 :: v_dual_add_f32 v39, v37, v33
	v_dual_sub_f32 v36, v38, v36 :: v_dual_sub_f32 v35, v39, v37
	s_delay_alu instid0(VALU_DEP_1) | instskip(NEXT) | instid1(VALU_DEP_1)
	v_dual_add_f32 v32, v32, v36 :: v_dual_sub_f32 v33, v33, v35
	v_add_f32_e32 v32, v32, v33
	s_delay_alu instid0(VALU_DEP_1) | instskip(NEXT) | instid1(VALU_DEP_1)
	v_add_f32_e32 v32, v39, v32
	v_cndmask_b32_e32 v123, v32, v34, vcc_lo
.LBB147_40:                             ;   in Loop: Header=BB147_12 Depth=1
	s_or_b32 exec_lo, exec_lo, s17
	v_add_f32_e32 v124, s57, v5
	s_delay_alu instid0(VALU_DEP_1) | instskip(SKIP_1) | instid1(SALU_CYCLE_1)
	v_cmp_ge_f32_e32 vcc_lo, 0x41a00000, v124
	s_and_b32 s16, s68, vcc_lo
	s_and_saveexec_b32 s17, s16
	s_cbranch_execz .LBB147_42
; %bb.41:                               ;   in Loop: Header=BB147_12 Depth=1
	v_mul_f32_e32 v32, 0x3fb8aa3b, v124
	v_cmp_ngt_f32_e32 vcc_lo, 0xc2ce8ed0, v124
	s_delay_alu instid0(VALU_DEP_2) | instskip(SKIP_1) | instid1(VALU_DEP_2)
	v_rndne_f32_e32 v33, v32
	v_fma_f32 v34, 0x3fb8aa3b, v124, -v32
	v_sub_f32_e32 v32, v32, v33
	s_delay_alu instid0(VALU_DEP_2) | instskip(SKIP_1) | instid1(VALU_DEP_2)
	v_fmac_f32_e32 v34, 0x32a5705f, v124
	v_cvt_i32_f32_e32 v33, v33
	v_add_f32_e32 v32, v32, v34
	s_delay_alu instid0(VALU_DEP_1) | instskip(SKIP_2) | instid1(VALU_DEP_1)
	v_exp_f32_e32 v32, v32
	s_waitcnt_depctr 0xfff
	v_ldexp_f32 v32, v32, v33
	v_cndmask_b32_e32 v32, 0, v32, vcc_lo
	v_cmp_nlt_f32_e32 vcc_lo, 0x42b17218, v124
	s_delay_alu instid0(VALU_DEP_2) | instskip(NEXT) | instid1(VALU_DEP_1)
	v_cndmask_b32_e32 v34, 0x7f800000, v32, vcc_lo
	v_add_f32_e32 v35, 1.0, v34
	s_delay_alu instid0(VALU_DEP_1) | instskip(NEXT) | instid1(VALU_DEP_1)
	v_cvt_f64_f32_e32 v[32:33], v35
	v_frexp_exp_i32_f64_e32 v32, v[32:33]
	v_frexp_mant_f32_e32 v33, v35
	s_delay_alu instid0(VALU_DEP_1) | instskip(SKIP_1) | instid1(VALU_DEP_1)
	v_cmp_gt_f32_e32 vcc_lo, 0x3f2aaaab, v33
	v_add_f32_e32 v33, -1.0, v35
	v_sub_f32_e32 v37, v33, v35
	v_sub_f32_e32 v33, v34, v33
	s_delay_alu instid0(VALU_DEP_2) | instskip(NEXT) | instid1(VALU_DEP_1)
	v_add_f32_e32 v37, 1.0, v37
	v_add_f32_e32 v33, v33, v37
	v_cmp_gt_f32_e64 s16, 0x33800000, v34
	v_subrev_co_ci_u32_e32 v32, vcc_lo, 0, v32, vcc_lo
	v_cmp_eq_f32_e32 vcc_lo, 0x7f800000, v34
	s_delay_alu instid0(VALU_DEP_2) | instskip(SKIP_2) | instid1(VALU_DEP_2)
	v_sub_nc_u32_e32 v36, 0, v32
	v_cvt_f32_i32_e32 v32, v32
	s_or_b32 vcc_lo, s16, vcc_lo
	v_ldexp_f32 v35, v35, v36
	v_ldexp_f32 v33, v33, v36
	s_delay_alu instid0(VALU_DEP_2) | instskip(NEXT) | instid1(VALU_DEP_1)
	v_add_f32_e32 v38, 1.0, v35
	v_dual_add_f32 v36, -1.0, v35 :: v_dual_add_f32 v37, -1.0, v38
	s_delay_alu instid0(VALU_DEP_1) | instskip(NEXT) | instid1(VALU_DEP_2)
	v_add_f32_e32 v39, 1.0, v36
	v_sub_f32_e32 v37, v35, v37
	s_delay_alu instid0(VALU_DEP_2) | instskip(NEXT) | instid1(VALU_DEP_2)
	v_sub_f32_e32 v35, v35, v39
	v_add_f32_e32 v37, v33, v37
	s_delay_alu instid0(VALU_DEP_2) | instskip(NEXT) | instid1(VALU_DEP_1)
	v_add_f32_e32 v33, v33, v35
	v_add_f32_e32 v40, v36, v33
	s_delay_alu instid0(VALU_DEP_1) | instskip(NEXT) | instid1(VALU_DEP_1)
	v_dual_add_f32 v39, v38, v37 :: v_dual_sub_f32 v36, v36, v40
	v_rcp_f32_e32 v35, v39
	v_sub_f32_e32 v38, v38, v39
	s_delay_alu instid0(VALU_DEP_1) | instskip(SKIP_2) | instid1(VALU_DEP_1)
	v_add_f32_e32 v37, v37, v38
	s_waitcnt_depctr 0xfff
	v_mul_f32_e32 v41, v40, v35
	v_mul_f32_e32 v42, v39, v41
	s_delay_alu instid0(VALU_DEP_1) | instskip(NEXT) | instid1(VALU_DEP_1)
	v_fma_f32 v38, v41, v39, -v42
	v_fmac_f32_e32 v38, v41, v37
	s_delay_alu instid0(VALU_DEP_1) | instskip(NEXT) | instid1(VALU_DEP_1)
	v_add_f32_e32 v43, v42, v38
	v_sub_f32_e32 v44, v40, v43
	s_delay_alu instid0(VALU_DEP_1) | instskip(SKIP_1) | instid1(VALU_DEP_2)
	v_sub_f32_e32 v40, v40, v44
	v_dual_add_f32 v33, v33, v36 :: v_dual_sub_f32 v36, v43, v42
	v_sub_f32_e32 v40, v40, v43
	s_delay_alu instid0(VALU_DEP_1) | instskip(NEXT) | instid1(VALU_DEP_1)
	v_dual_sub_f32 v36, v36, v38 :: v_dual_add_f32 v33, v33, v40
	v_add_f32_e32 v33, v36, v33
	s_delay_alu instid0(VALU_DEP_1) | instskip(NEXT) | instid1(VALU_DEP_1)
	v_add_f32_e32 v36, v44, v33
	v_mul_f32_e32 v38, v35, v36
	s_delay_alu instid0(VALU_DEP_1) | instskip(NEXT) | instid1(VALU_DEP_1)
	v_dual_sub_f32 v43, v44, v36 :: v_dual_mul_f32 v40, v39, v38
	v_add_f32_e32 v33, v33, v43
	s_delay_alu instid0(VALU_DEP_2) | instskip(NEXT) | instid1(VALU_DEP_1)
	v_fma_f32 v39, v38, v39, -v40
	v_fmac_f32_e32 v39, v38, v37
	s_delay_alu instid0(VALU_DEP_1) | instskip(NEXT) | instid1(VALU_DEP_1)
	v_add_f32_e32 v37, v40, v39
	v_sub_f32_e32 v42, v36, v37
	s_delay_alu instid0(VALU_DEP_1) | instskip(NEXT) | instid1(VALU_DEP_1)
	v_sub_f32_e32 v36, v36, v42
	v_sub_f32_e32 v36, v36, v37
	s_delay_alu instid0(VALU_DEP_1) | instskip(SKIP_2) | instid1(VALU_DEP_1)
	v_add_f32_e32 v33, v33, v36
	v_add_f32_e32 v36, v41, v38
	v_sub_f32_e32 v40, v37, v40
	v_sub_f32_e32 v37, v40, v39
	s_delay_alu instid0(VALU_DEP_1) | instskip(NEXT) | instid1(VALU_DEP_4)
	v_add_f32_e32 v33, v37, v33
	v_sub_f32_e32 v37, v36, v41
	s_delay_alu instid0(VALU_DEP_2) | instskip(NEXT) | instid1(VALU_DEP_2)
	v_add_f32_e32 v33, v42, v33
	v_sub_f32_e32 v37, v38, v37
	s_delay_alu instid0(VALU_DEP_2) | instskip(NEXT) | instid1(VALU_DEP_1)
	v_mul_f32_e32 v33, v35, v33
	v_add_f32_e32 v33, v37, v33
	s_delay_alu instid0(VALU_DEP_1) | instskip(NEXT) | instid1(VALU_DEP_1)
	v_add_f32_e32 v35, v36, v33
	v_mul_f32_e32 v37, v35, v35
	s_delay_alu instid0(VALU_DEP_1) | instskip(SKIP_1) | instid1(VALU_DEP_2)
	v_fmaak_f32 v38, s72, v37, 0x3ecc95a3
	v_mul_f32_e32 v39, v35, v37
	v_fmaak_f32 v37, v37, v38, 0x3f2aaada
	v_ldexp_f32 v38, v35, 1
	s_delay_alu instid0(VALU_DEP_2) | instskip(SKIP_1) | instid1(VALU_DEP_2)
	v_mul_f32_e32 v37, v39, v37
	v_sub_f32_e32 v35, v35, v36
	v_dual_mul_f32 v39, 0x3f317218, v32 :: v_dual_add_f32 v36, v38, v37
	s_delay_alu instid0(VALU_DEP_2) | instskip(NEXT) | instid1(VALU_DEP_2)
	v_sub_f32_e32 v33, v33, v35
	v_sub_f32_e32 v35, v36, v38
	s_delay_alu instid0(VALU_DEP_3) | instskip(NEXT) | instid1(VALU_DEP_3)
	v_fma_f32 v38, 0x3f317218, v32, -v39
	v_ldexp_f32 v33, v33, 1
	s_delay_alu instid0(VALU_DEP_2) | instskip(NEXT) | instid1(VALU_DEP_1)
	v_dual_sub_f32 v35, v37, v35 :: v_dual_fmac_f32 v38, 0xb102e308, v32
	v_dual_add_f32 v32, v33, v35 :: v_dual_add_f32 v33, v39, v38
	s_delay_alu instid0(VALU_DEP_1) | instskip(NEXT) | instid1(VALU_DEP_1)
	v_add_f32_e32 v35, v36, v32
	v_dual_add_f32 v37, v33, v35 :: v_dual_sub_f32 v36, v35, v36
	s_delay_alu instid0(VALU_DEP_1) | instskip(NEXT) | instid1(VALU_DEP_2)
	v_sub_f32_e32 v40, v37, v33
	v_dual_sub_f32 v39, v33, v39 :: v_dual_sub_f32 v32, v32, v36
	s_delay_alu instid0(VALU_DEP_1) | instskip(SKIP_1) | instid1(VALU_DEP_2)
	v_dual_sub_f32 v41, v37, v40 :: v_dual_sub_f32 v38, v38, v39
	v_sub_f32_e32 v35, v35, v40
	v_dual_sub_f32 v33, v33, v41 :: v_dual_add_f32 v36, v38, v32
	s_delay_alu instid0(VALU_DEP_1) | instskip(NEXT) | instid1(VALU_DEP_2)
	v_add_f32_e32 v33, v35, v33
	v_sub_f32_e32 v35, v36, v38
	s_delay_alu instid0(VALU_DEP_2) | instskip(NEXT) | instid1(VALU_DEP_2)
	v_add_f32_e32 v33, v36, v33
	v_sub_f32_e32 v36, v36, v35
	s_delay_alu instid0(VALU_DEP_2) | instskip(NEXT) | instid1(VALU_DEP_1)
	v_dual_sub_f32 v32, v32, v35 :: v_dual_add_f32 v39, v37, v33
	v_dual_sub_f32 v36, v38, v36 :: v_dual_sub_f32 v35, v39, v37
	s_delay_alu instid0(VALU_DEP_1) | instskip(NEXT) | instid1(VALU_DEP_1)
	v_dual_add_f32 v32, v32, v36 :: v_dual_sub_f32 v33, v33, v35
	v_add_f32_e32 v32, v32, v33
	s_delay_alu instid0(VALU_DEP_1) | instskip(NEXT) | instid1(VALU_DEP_1)
	v_add_f32_e32 v32, v39, v32
	v_cndmask_b32_e32 v124, v32, v34, vcc_lo
.LBB147_42:                             ;   in Loop: Header=BB147_12 Depth=1
	s_or_b32 exec_lo, exec_lo, s17
	v_add_f32_e32 v125, s57, v6
	s_delay_alu instid0(VALU_DEP_1) | instskip(SKIP_1) | instid1(SALU_CYCLE_1)
	v_cmp_ge_f32_e32 vcc_lo, 0x41a00000, v125
	s_and_b32 s16, s68, vcc_lo
	s_and_saveexec_b32 s17, s16
	s_cbranch_execz .LBB147_44
; %bb.43:                               ;   in Loop: Header=BB147_12 Depth=1
	v_mul_f32_e32 v32, 0x3fb8aa3b, v125
	v_cmp_ngt_f32_e32 vcc_lo, 0xc2ce8ed0, v125
	s_delay_alu instid0(VALU_DEP_2) | instskip(SKIP_1) | instid1(VALU_DEP_2)
	v_rndne_f32_e32 v33, v32
	v_fma_f32 v34, 0x3fb8aa3b, v125, -v32
	v_sub_f32_e32 v32, v32, v33
	s_delay_alu instid0(VALU_DEP_2) | instskip(SKIP_1) | instid1(VALU_DEP_2)
	v_fmac_f32_e32 v34, 0x32a5705f, v125
	v_cvt_i32_f32_e32 v33, v33
	v_add_f32_e32 v32, v32, v34
	s_delay_alu instid0(VALU_DEP_1) | instskip(SKIP_2) | instid1(VALU_DEP_1)
	v_exp_f32_e32 v32, v32
	s_waitcnt_depctr 0xfff
	v_ldexp_f32 v32, v32, v33
	v_cndmask_b32_e32 v32, 0, v32, vcc_lo
	v_cmp_nlt_f32_e32 vcc_lo, 0x42b17218, v125
	s_delay_alu instid0(VALU_DEP_2) | instskip(NEXT) | instid1(VALU_DEP_1)
	v_cndmask_b32_e32 v34, 0x7f800000, v32, vcc_lo
	v_add_f32_e32 v35, 1.0, v34
	s_delay_alu instid0(VALU_DEP_1) | instskip(NEXT) | instid1(VALU_DEP_1)
	v_cvt_f64_f32_e32 v[32:33], v35
	v_frexp_exp_i32_f64_e32 v32, v[32:33]
	v_frexp_mant_f32_e32 v33, v35
	s_delay_alu instid0(VALU_DEP_1) | instskip(SKIP_1) | instid1(VALU_DEP_1)
	v_cmp_gt_f32_e32 vcc_lo, 0x3f2aaaab, v33
	v_add_f32_e32 v33, -1.0, v35
	v_sub_f32_e32 v37, v33, v35
	v_sub_f32_e32 v33, v34, v33
	s_delay_alu instid0(VALU_DEP_2) | instskip(NEXT) | instid1(VALU_DEP_1)
	v_add_f32_e32 v37, 1.0, v37
	v_add_f32_e32 v33, v33, v37
	v_cmp_gt_f32_e64 s16, 0x33800000, v34
	v_subrev_co_ci_u32_e32 v32, vcc_lo, 0, v32, vcc_lo
	v_cmp_eq_f32_e32 vcc_lo, 0x7f800000, v34
	s_delay_alu instid0(VALU_DEP_2) | instskip(SKIP_2) | instid1(VALU_DEP_2)
	v_sub_nc_u32_e32 v36, 0, v32
	v_cvt_f32_i32_e32 v32, v32
	s_or_b32 vcc_lo, s16, vcc_lo
	v_ldexp_f32 v35, v35, v36
	v_ldexp_f32 v33, v33, v36
	s_delay_alu instid0(VALU_DEP_2) | instskip(NEXT) | instid1(VALU_DEP_1)
	v_add_f32_e32 v38, 1.0, v35
	v_dual_add_f32 v36, -1.0, v35 :: v_dual_add_f32 v37, -1.0, v38
	s_delay_alu instid0(VALU_DEP_1) | instskip(NEXT) | instid1(VALU_DEP_2)
	v_add_f32_e32 v39, 1.0, v36
	v_sub_f32_e32 v37, v35, v37
	s_delay_alu instid0(VALU_DEP_2) | instskip(NEXT) | instid1(VALU_DEP_2)
	v_sub_f32_e32 v35, v35, v39
	v_add_f32_e32 v37, v33, v37
	s_delay_alu instid0(VALU_DEP_2) | instskip(NEXT) | instid1(VALU_DEP_1)
	v_add_f32_e32 v33, v33, v35
	v_add_f32_e32 v40, v36, v33
	s_delay_alu instid0(VALU_DEP_1) | instskip(NEXT) | instid1(VALU_DEP_1)
	v_dual_add_f32 v39, v38, v37 :: v_dual_sub_f32 v36, v36, v40
	v_rcp_f32_e32 v35, v39
	v_sub_f32_e32 v38, v38, v39
	s_delay_alu instid0(VALU_DEP_1) | instskip(SKIP_2) | instid1(VALU_DEP_1)
	v_add_f32_e32 v37, v37, v38
	s_waitcnt_depctr 0xfff
	v_mul_f32_e32 v41, v40, v35
	v_mul_f32_e32 v42, v39, v41
	s_delay_alu instid0(VALU_DEP_1) | instskip(NEXT) | instid1(VALU_DEP_1)
	v_fma_f32 v38, v41, v39, -v42
	v_fmac_f32_e32 v38, v41, v37
	s_delay_alu instid0(VALU_DEP_1) | instskip(NEXT) | instid1(VALU_DEP_1)
	v_add_f32_e32 v43, v42, v38
	v_sub_f32_e32 v44, v40, v43
	s_delay_alu instid0(VALU_DEP_1) | instskip(SKIP_1) | instid1(VALU_DEP_2)
	v_sub_f32_e32 v40, v40, v44
	v_dual_add_f32 v33, v33, v36 :: v_dual_sub_f32 v36, v43, v42
	v_sub_f32_e32 v40, v40, v43
	s_delay_alu instid0(VALU_DEP_1) | instskip(NEXT) | instid1(VALU_DEP_1)
	v_dual_sub_f32 v36, v36, v38 :: v_dual_add_f32 v33, v33, v40
	v_add_f32_e32 v33, v36, v33
	s_delay_alu instid0(VALU_DEP_1) | instskip(NEXT) | instid1(VALU_DEP_1)
	v_add_f32_e32 v36, v44, v33
	v_mul_f32_e32 v38, v35, v36
	s_delay_alu instid0(VALU_DEP_1) | instskip(NEXT) | instid1(VALU_DEP_1)
	v_dual_sub_f32 v43, v44, v36 :: v_dual_mul_f32 v40, v39, v38
	v_add_f32_e32 v33, v33, v43
	s_delay_alu instid0(VALU_DEP_2) | instskip(NEXT) | instid1(VALU_DEP_1)
	v_fma_f32 v39, v38, v39, -v40
	v_fmac_f32_e32 v39, v38, v37
	s_delay_alu instid0(VALU_DEP_1) | instskip(NEXT) | instid1(VALU_DEP_1)
	v_add_f32_e32 v37, v40, v39
	v_sub_f32_e32 v42, v36, v37
	s_delay_alu instid0(VALU_DEP_1) | instskip(NEXT) | instid1(VALU_DEP_1)
	v_sub_f32_e32 v36, v36, v42
	v_sub_f32_e32 v36, v36, v37
	s_delay_alu instid0(VALU_DEP_1) | instskip(SKIP_2) | instid1(VALU_DEP_1)
	v_add_f32_e32 v33, v33, v36
	v_add_f32_e32 v36, v41, v38
	v_sub_f32_e32 v40, v37, v40
	v_sub_f32_e32 v37, v40, v39
	s_delay_alu instid0(VALU_DEP_1) | instskip(NEXT) | instid1(VALU_DEP_4)
	v_add_f32_e32 v33, v37, v33
	v_sub_f32_e32 v37, v36, v41
	s_delay_alu instid0(VALU_DEP_2) | instskip(NEXT) | instid1(VALU_DEP_2)
	v_add_f32_e32 v33, v42, v33
	v_sub_f32_e32 v37, v38, v37
	s_delay_alu instid0(VALU_DEP_2) | instskip(NEXT) | instid1(VALU_DEP_1)
	v_mul_f32_e32 v33, v35, v33
	v_add_f32_e32 v33, v37, v33
	s_delay_alu instid0(VALU_DEP_1) | instskip(NEXT) | instid1(VALU_DEP_1)
	v_add_f32_e32 v35, v36, v33
	v_mul_f32_e32 v37, v35, v35
	s_delay_alu instid0(VALU_DEP_1) | instskip(SKIP_1) | instid1(VALU_DEP_2)
	v_fmaak_f32 v38, s72, v37, 0x3ecc95a3
	v_mul_f32_e32 v39, v35, v37
	v_fmaak_f32 v37, v37, v38, 0x3f2aaada
	v_ldexp_f32 v38, v35, 1
	s_delay_alu instid0(VALU_DEP_2) | instskip(SKIP_1) | instid1(VALU_DEP_2)
	v_mul_f32_e32 v37, v39, v37
	v_sub_f32_e32 v35, v35, v36
	v_dual_mul_f32 v39, 0x3f317218, v32 :: v_dual_add_f32 v36, v38, v37
	s_delay_alu instid0(VALU_DEP_2) | instskip(NEXT) | instid1(VALU_DEP_2)
	v_sub_f32_e32 v33, v33, v35
	v_sub_f32_e32 v35, v36, v38
	s_delay_alu instid0(VALU_DEP_3) | instskip(NEXT) | instid1(VALU_DEP_3)
	v_fma_f32 v38, 0x3f317218, v32, -v39
	v_ldexp_f32 v33, v33, 1
	s_delay_alu instid0(VALU_DEP_2) | instskip(NEXT) | instid1(VALU_DEP_1)
	v_dual_sub_f32 v35, v37, v35 :: v_dual_fmac_f32 v38, 0xb102e308, v32
	v_dual_add_f32 v32, v33, v35 :: v_dual_add_f32 v33, v39, v38
	s_delay_alu instid0(VALU_DEP_1) | instskip(NEXT) | instid1(VALU_DEP_1)
	v_add_f32_e32 v35, v36, v32
	v_dual_add_f32 v37, v33, v35 :: v_dual_sub_f32 v36, v35, v36
	s_delay_alu instid0(VALU_DEP_1) | instskip(NEXT) | instid1(VALU_DEP_2)
	v_sub_f32_e32 v40, v37, v33
	v_dual_sub_f32 v39, v33, v39 :: v_dual_sub_f32 v32, v32, v36
	s_delay_alu instid0(VALU_DEP_1) | instskip(SKIP_1) | instid1(VALU_DEP_2)
	v_dual_sub_f32 v41, v37, v40 :: v_dual_sub_f32 v38, v38, v39
	v_sub_f32_e32 v35, v35, v40
	v_dual_sub_f32 v33, v33, v41 :: v_dual_add_f32 v36, v38, v32
	s_delay_alu instid0(VALU_DEP_1) | instskip(NEXT) | instid1(VALU_DEP_2)
	v_add_f32_e32 v33, v35, v33
	v_sub_f32_e32 v35, v36, v38
	s_delay_alu instid0(VALU_DEP_2) | instskip(NEXT) | instid1(VALU_DEP_2)
	v_add_f32_e32 v33, v36, v33
	v_sub_f32_e32 v36, v36, v35
	s_delay_alu instid0(VALU_DEP_2) | instskip(NEXT) | instid1(VALU_DEP_1)
	v_dual_sub_f32 v32, v32, v35 :: v_dual_add_f32 v39, v37, v33
	v_dual_sub_f32 v36, v38, v36 :: v_dual_sub_f32 v35, v39, v37
	s_delay_alu instid0(VALU_DEP_1) | instskip(NEXT) | instid1(VALU_DEP_1)
	v_dual_add_f32 v32, v32, v36 :: v_dual_sub_f32 v33, v33, v35
	v_add_f32_e32 v32, v32, v33
	s_delay_alu instid0(VALU_DEP_1) | instskip(NEXT) | instid1(VALU_DEP_1)
	v_add_f32_e32 v32, v39, v32
	v_cndmask_b32_e32 v125, v32, v34, vcc_lo
.LBB147_44:                             ;   in Loop: Header=BB147_12 Depth=1
	s_or_b32 exec_lo, exec_lo, s17
	v_add_f32_e32 v126, s57, v7
	s_delay_alu instid0(VALU_DEP_1) | instskip(SKIP_1) | instid1(SALU_CYCLE_1)
	v_cmp_ge_f32_e32 vcc_lo, 0x41a00000, v126
	s_and_b32 s16, s68, vcc_lo
	s_and_saveexec_b32 s17, s16
	s_cbranch_execz .LBB147_46
; %bb.45:                               ;   in Loop: Header=BB147_12 Depth=1
	v_mul_f32_e32 v32, 0x3fb8aa3b, v126
	v_cmp_ngt_f32_e32 vcc_lo, 0xc2ce8ed0, v126
	s_delay_alu instid0(VALU_DEP_2) | instskip(SKIP_1) | instid1(VALU_DEP_2)
	v_rndne_f32_e32 v33, v32
	v_fma_f32 v34, 0x3fb8aa3b, v126, -v32
	v_sub_f32_e32 v32, v32, v33
	s_delay_alu instid0(VALU_DEP_2) | instskip(SKIP_1) | instid1(VALU_DEP_2)
	v_fmac_f32_e32 v34, 0x32a5705f, v126
	v_cvt_i32_f32_e32 v33, v33
	v_add_f32_e32 v32, v32, v34
	s_delay_alu instid0(VALU_DEP_1) | instskip(SKIP_2) | instid1(VALU_DEP_1)
	v_exp_f32_e32 v32, v32
	s_waitcnt_depctr 0xfff
	v_ldexp_f32 v32, v32, v33
	v_cndmask_b32_e32 v32, 0, v32, vcc_lo
	v_cmp_nlt_f32_e32 vcc_lo, 0x42b17218, v126
	s_delay_alu instid0(VALU_DEP_2) | instskip(NEXT) | instid1(VALU_DEP_1)
	v_cndmask_b32_e32 v34, 0x7f800000, v32, vcc_lo
	v_add_f32_e32 v35, 1.0, v34
	s_delay_alu instid0(VALU_DEP_1) | instskip(NEXT) | instid1(VALU_DEP_1)
	v_cvt_f64_f32_e32 v[32:33], v35
	v_frexp_exp_i32_f64_e32 v32, v[32:33]
	v_frexp_mant_f32_e32 v33, v35
	s_delay_alu instid0(VALU_DEP_1) | instskip(SKIP_1) | instid1(VALU_DEP_1)
	v_cmp_gt_f32_e32 vcc_lo, 0x3f2aaaab, v33
	v_add_f32_e32 v33, -1.0, v35
	v_sub_f32_e32 v37, v33, v35
	v_sub_f32_e32 v33, v34, v33
	s_delay_alu instid0(VALU_DEP_2) | instskip(NEXT) | instid1(VALU_DEP_1)
	v_add_f32_e32 v37, 1.0, v37
	v_add_f32_e32 v33, v33, v37
	v_cmp_gt_f32_e64 s16, 0x33800000, v34
	v_subrev_co_ci_u32_e32 v32, vcc_lo, 0, v32, vcc_lo
	v_cmp_eq_f32_e32 vcc_lo, 0x7f800000, v34
	s_delay_alu instid0(VALU_DEP_2) | instskip(SKIP_2) | instid1(VALU_DEP_2)
	v_sub_nc_u32_e32 v36, 0, v32
	v_cvt_f32_i32_e32 v32, v32
	s_or_b32 vcc_lo, s16, vcc_lo
	v_ldexp_f32 v35, v35, v36
	v_ldexp_f32 v33, v33, v36
	s_delay_alu instid0(VALU_DEP_2) | instskip(NEXT) | instid1(VALU_DEP_1)
	v_add_f32_e32 v38, 1.0, v35
	v_dual_add_f32 v36, -1.0, v35 :: v_dual_add_f32 v37, -1.0, v38
	s_delay_alu instid0(VALU_DEP_1) | instskip(NEXT) | instid1(VALU_DEP_2)
	v_add_f32_e32 v39, 1.0, v36
	v_sub_f32_e32 v37, v35, v37
	s_delay_alu instid0(VALU_DEP_2) | instskip(NEXT) | instid1(VALU_DEP_2)
	v_sub_f32_e32 v35, v35, v39
	v_add_f32_e32 v37, v33, v37
	s_delay_alu instid0(VALU_DEP_2) | instskip(NEXT) | instid1(VALU_DEP_1)
	v_add_f32_e32 v33, v33, v35
	v_add_f32_e32 v40, v36, v33
	s_delay_alu instid0(VALU_DEP_1) | instskip(NEXT) | instid1(VALU_DEP_1)
	v_dual_add_f32 v39, v38, v37 :: v_dual_sub_f32 v36, v36, v40
	v_rcp_f32_e32 v35, v39
	v_sub_f32_e32 v38, v38, v39
	s_delay_alu instid0(VALU_DEP_1) | instskip(SKIP_2) | instid1(VALU_DEP_1)
	v_add_f32_e32 v37, v37, v38
	s_waitcnt_depctr 0xfff
	v_mul_f32_e32 v41, v40, v35
	v_mul_f32_e32 v42, v39, v41
	s_delay_alu instid0(VALU_DEP_1) | instskip(NEXT) | instid1(VALU_DEP_1)
	v_fma_f32 v38, v41, v39, -v42
	v_fmac_f32_e32 v38, v41, v37
	s_delay_alu instid0(VALU_DEP_1) | instskip(NEXT) | instid1(VALU_DEP_1)
	v_add_f32_e32 v43, v42, v38
	v_sub_f32_e32 v44, v40, v43
	s_delay_alu instid0(VALU_DEP_1) | instskip(SKIP_1) | instid1(VALU_DEP_2)
	v_sub_f32_e32 v40, v40, v44
	v_dual_add_f32 v33, v33, v36 :: v_dual_sub_f32 v36, v43, v42
	v_sub_f32_e32 v40, v40, v43
	s_delay_alu instid0(VALU_DEP_1) | instskip(NEXT) | instid1(VALU_DEP_1)
	v_dual_sub_f32 v36, v36, v38 :: v_dual_add_f32 v33, v33, v40
	v_add_f32_e32 v33, v36, v33
	s_delay_alu instid0(VALU_DEP_1) | instskip(NEXT) | instid1(VALU_DEP_1)
	v_add_f32_e32 v36, v44, v33
	v_mul_f32_e32 v38, v35, v36
	s_delay_alu instid0(VALU_DEP_1) | instskip(NEXT) | instid1(VALU_DEP_1)
	v_dual_sub_f32 v43, v44, v36 :: v_dual_mul_f32 v40, v39, v38
	v_add_f32_e32 v33, v33, v43
	s_delay_alu instid0(VALU_DEP_2) | instskip(NEXT) | instid1(VALU_DEP_1)
	v_fma_f32 v39, v38, v39, -v40
	v_fmac_f32_e32 v39, v38, v37
	s_delay_alu instid0(VALU_DEP_1) | instskip(NEXT) | instid1(VALU_DEP_1)
	v_add_f32_e32 v37, v40, v39
	v_sub_f32_e32 v42, v36, v37
	s_delay_alu instid0(VALU_DEP_1) | instskip(NEXT) | instid1(VALU_DEP_1)
	v_sub_f32_e32 v36, v36, v42
	v_sub_f32_e32 v36, v36, v37
	s_delay_alu instid0(VALU_DEP_1) | instskip(SKIP_2) | instid1(VALU_DEP_1)
	v_add_f32_e32 v33, v33, v36
	v_add_f32_e32 v36, v41, v38
	v_sub_f32_e32 v40, v37, v40
	v_sub_f32_e32 v37, v40, v39
	s_delay_alu instid0(VALU_DEP_1) | instskip(NEXT) | instid1(VALU_DEP_4)
	v_add_f32_e32 v33, v37, v33
	v_sub_f32_e32 v37, v36, v41
	s_delay_alu instid0(VALU_DEP_2) | instskip(NEXT) | instid1(VALU_DEP_2)
	v_add_f32_e32 v33, v42, v33
	v_sub_f32_e32 v37, v38, v37
	s_delay_alu instid0(VALU_DEP_2) | instskip(NEXT) | instid1(VALU_DEP_1)
	v_mul_f32_e32 v33, v35, v33
	v_add_f32_e32 v33, v37, v33
	s_delay_alu instid0(VALU_DEP_1) | instskip(NEXT) | instid1(VALU_DEP_1)
	v_add_f32_e32 v35, v36, v33
	v_mul_f32_e32 v37, v35, v35
	s_delay_alu instid0(VALU_DEP_1) | instskip(SKIP_1) | instid1(VALU_DEP_2)
	v_fmaak_f32 v38, s72, v37, 0x3ecc95a3
	v_mul_f32_e32 v39, v35, v37
	v_fmaak_f32 v37, v37, v38, 0x3f2aaada
	v_ldexp_f32 v38, v35, 1
	s_delay_alu instid0(VALU_DEP_2) | instskip(SKIP_1) | instid1(VALU_DEP_2)
	v_mul_f32_e32 v37, v39, v37
	v_sub_f32_e32 v35, v35, v36
	v_dual_mul_f32 v39, 0x3f317218, v32 :: v_dual_add_f32 v36, v38, v37
	s_delay_alu instid0(VALU_DEP_2) | instskip(NEXT) | instid1(VALU_DEP_2)
	v_sub_f32_e32 v33, v33, v35
	v_sub_f32_e32 v35, v36, v38
	s_delay_alu instid0(VALU_DEP_3) | instskip(NEXT) | instid1(VALU_DEP_3)
	v_fma_f32 v38, 0x3f317218, v32, -v39
	v_ldexp_f32 v33, v33, 1
	s_delay_alu instid0(VALU_DEP_2) | instskip(NEXT) | instid1(VALU_DEP_1)
	v_dual_sub_f32 v35, v37, v35 :: v_dual_fmac_f32 v38, 0xb102e308, v32
	v_dual_add_f32 v32, v33, v35 :: v_dual_add_f32 v33, v39, v38
	s_delay_alu instid0(VALU_DEP_1) | instskip(NEXT) | instid1(VALU_DEP_1)
	v_add_f32_e32 v35, v36, v32
	v_dual_add_f32 v37, v33, v35 :: v_dual_sub_f32 v36, v35, v36
	s_delay_alu instid0(VALU_DEP_1) | instskip(NEXT) | instid1(VALU_DEP_2)
	v_sub_f32_e32 v40, v37, v33
	v_dual_sub_f32 v39, v33, v39 :: v_dual_sub_f32 v32, v32, v36
	s_delay_alu instid0(VALU_DEP_1) | instskip(SKIP_1) | instid1(VALU_DEP_2)
	v_dual_sub_f32 v41, v37, v40 :: v_dual_sub_f32 v38, v38, v39
	v_sub_f32_e32 v35, v35, v40
	v_dual_sub_f32 v33, v33, v41 :: v_dual_add_f32 v36, v38, v32
	s_delay_alu instid0(VALU_DEP_1) | instskip(NEXT) | instid1(VALU_DEP_2)
	v_add_f32_e32 v33, v35, v33
	v_sub_f32_e32 v35, v36, v38
	s_delay_alu instid0(VALU_DEP_2) | instskip(NEXT) | instid1(VALU_DEP_2)
	v_add_f32_e32 v33, v36, v33
	v_sub_f32_e32 v36, v36, v35
	s_delay_alu instid0(VALU_DEP_2) | instskip(NEXT) | instid1(VALU_DEP_1)
	v_dual_sub_f32 v32, v32, v35 :: v_dual_add_f32 v39, v37, v33
	v_dual_sub_f32 v36, v38, v36 :: v_dual_sub_f32 v35, v39, v37
	s_delay_alu instid0(VALU_DEP_1) | instskip(NEXT) | instid1(VALU_DEP_1)
	v_dual_add_f32 v32, v32, v36 :: v_dual_sub_f32 v33, v33, v35
	v_add_f32_e32 v32, v32, v33
	s_delay_alu instid0(VALU_DEP_1) | instskip(NEXT) | instid1(VALU_DEP_1)
	v_add_f32_e32 v32, v39, v32
	v_cndmask_b32_e32 v126, v32, v34, vcc_lo
.LBB147_46:                             ;   in Loop: Header=BB147_12 Depth=1
	s_or_b32 exec_lo, exec_lo, s17
	s_waitcnt lgkmcnt(0)
	v_add_f32_e32 v127, s57, v0
	s_delay_alu instid0(VALU_DEP_1) | instskip(SKIP_1) | instid1(SALU_CYCLE_1)
	v_cmp_ge_f32_e32 vcc_lo, 0x41a00000, v127
	s_and_b32 s16, s68, vcc_lo
	s_and_saveexec_b32 s17, s16
	s_cbranch_execz .LBB147_48
; %bb.47:                               ;   in Loop: Header=BB147_12 Depth=1
	v_mul_f32_e32 v32, 0x3fb8aa3b, v127
	v_cmp_ngt_f32_e32 vcc_lo, 0xc2ce8ed0, v127
	s_delay_alu instid0(VALU_DEP_2) | instskip(SKIP_1) | instid1(VALU_DEP_2)
	v_rndne_f32_e32 v33, v32
	v_fma_f32 v34, 0x3fb8aa3b, v127, -v32
	v_sub_f32_e32 v32, v32, v33
	s_delay_alu instid0(VALU_DEP_2) | instskip(SKIP_1) | instid1(VALU_DEP_2)
	v_fmac_f32_e32 v34, 0x32a5705f, v127
	v_cvt_i32_f32_e32 v33, v33
	v_add_f32_e32 v32, v32, v34
	s_delay_alu instid0(VALU_DEP_1) | instskip(SKIP_2) | instid1(VALU_DEP_1)
	v_exp_f32_e32 v32, v32
	s_waitcnt_depctr 0xfff
	v_ldexp_f32 v32, v32, v33
	v_cndmask_b32_e32 v32, 0, v32, vcc_lo
	v_cmp_nlt_f32_e32 vcc_lo, 0x42b17218, v127
	s_delay_alu instid0(VALU_DEP_2) | instskip(NEXT) | instid1(VALU_DEP_1)
	v_cndmask_b32_e32 v34, 0x7f800000, v32, vcc_lo
	v_add_f32_e32 v35, 1.0, v34
	s_delay_alu instid0(VALU_DEP_1) | instskip(NEXT) | instid1(VALU_DEP_1)
	v_cvt_f64_f32_e32 v[32:33], v35
	v_frexp_exp_i32_f64_e32 v32, v[32:33]
	v_frexp_mant_f32_e32 v33, v35
	s_delay_alu instid0(VALU_DEP_1) | instskip(SKIP_1) | instid1(VALU_DEP_1)
	v_cmp_gt_f32_e32 vcc_lo, 0x3f2aaaab, v33
	v_add_f32_e32 v33, -1.0, v35
	v_sub_f32_e32 v37, v33, v35
	v_sub_f32_e32 v33, v34, v33
	s_delay_alu instid0(VALU_DEP_2) | instskip(NEXT) | instid1(VALU_DEP_1)
	v_add_f32_e32 v37, 1.0, v37
	v_add_f32_e32 v33, v33, v37
	v_cmp_gt_f32_e64 s16, 0x33800000, v34
	v_subrev_co_ci_u32_e32 v32, vcc_lo, 0, v32, vcc_lo
	v_cmp_eq_f32_e32 vcc_lo, 0x7f800000, v34
	s_delay_alu instid0(VALU_DEP_2) | instskip(SKIP_2) | instid1(VALU_DEP_2)
	v_sub_nc_u32_e32 v36, 0, v32
	v_cvt_f32_i32_e32 v32, v32
	s_or_b32 vcc_lo, s16, vcc_lo
	v_ldexp_f32 v35, v35, v36
	v_ldexp_f32 v33, v33, v36
	s_delay_alu instid0(VALU_DEP_2) | instskip(NEXT) | instid1(VALU_DEP_1)
	v_add_f32_e32 v38, 1.0, v35
	v_dual_add_f32 v36, -1.0, v35 :: v_dual_add_f32 v37, -1.0, v38
	s_delay_alu instid0(VALU_DEP_1) | instskip(NEXT) | instid1(VALU_DEP_2)
	v_add_f32_e32 v39, 1.0, v36
	v_sub_f32_e32 v37, v35, v37
	s_delay_alu instid0(VALU_DEP_2) | instskip(NEXT) | instid1(VALU_DEP_2)
	v_sub_f32_e32 v35, v35, v39
	v_add_f32_e32 v37, v33, v37
	s_delay_alu instid0(VALU_DEP_2) | instskip(NEXT) | instid1(VALU_DEP_1)
	v_add_f32_e32 v33, v33, v35
	v_add_f32_e32 v40, v36, v33
	s_delay_alu instid0(VALU_DEP_1) | instskip(NEXT) | instid1(VALU_DEP_1)
	v_dual_add_f32 v39, v38, v37 :: v_dual_sub_f32 v36, v36, v40
	v_rcp_f32_e32 v35, v39
	v_sub_f32_e32 v38, v38, v39
	s_delay_alu instid0(VALU_DEP_1) | instskip(SKIP_2) | instid1(VALU_DEP_1)
	v_add_f32_e32 v37, v37, v38
	s_waitcnt_depctr 0xfff
	v_mul_f32_e32 v41, v40, v35
	v_mul_f32_e32 v42, v39, v41
	s_delay_alu instid0(VALU_DEP_1) | instskip(NEXT) | instid1(VALU_DEP_1)
	v_fma_f32 v38, v41, v39, -v42
	v_fmac_f32_e32 v38, v41, v37
	s_delay_alu instid0(VALU_DEP_1) | instskip(NEXT) | instid1(VALU_DEP_1)
	v_add_f32_e32 v43, v42, v38
	v_sub_f32_e32 v44, v40, v43
	s_delay_alu instid0(VALU_DEP_1) | instskip(SKIP_1) | instid1(VALU_DEP_2)
	v_sub_f32_e32 v40, v40, v44
	v_dual_add_f32 v33, v33, v36 :: v_dual_sub_f32 v36, v43, v42
	v_sub_f32_e32 v40, v40, v43
	s_delay_alu instid0(VALU_DEP_1) | instskip(NEXT) | instid1(VALU_DEP_1)
	v_dual_sub_f32 v36, v36, v38 :: v_dual_add_f32 v33, v33, v40
	v_add_f32_e32 v33, v36, v33
	s_delay_alu instid0(VALU_DEP_1) | instskip(NEXT) | instid1(VALU_DEP_1)
	v_add_f32_e32 v36, v44, v33
	v_mul_f32_e32 v38, v35, v36
	s_delay_alu instid0(VALU_DEP_1) | instskip(NEXT) | instid1(VALU_DEP_1)
	v_dual_sub_f32 v43, v44, v36 :: v_dual_mul_f32 v40, v39, v38
	v_add_f32_e32 v33, v33, v43
	s_delay_alu instid0(VALU_DEP_2) | instskip(NEXT) | instid1(VALU_DEP_1)
	v_fma_f32 v39, v38, v39, -v40
	v_fmac_f32_e32 v39, v38, v37
	s_delay_alu instid0(VALU_DEP_1) | instskip(NEXT) | instid1(VALU_DEP_1)
	v_add_f32_e32 v37, v40, v39
	v_sub_f32_e32 v42, v36, v37
	s_delay_alu instid0(VALU_DEP_1) | instskip(NEXT) | instid1(VALU_DEP_1)
	v_sub_f32_e32 v36, v36, v42
	v_sub_f32_e32 v36, v36, v37
	s_delay_alu instid0(VALU_DEP_1) | instskip(SKIP_2) | instid1(VALU_DEP_1)
	v_add_f32_e32 v33, v33, v36
	v_add_f32_e32 v36, v41, v38
	v_sub_f32_e32 v40, v37, v40
	v_sub_f32_e32 v37, v40, v39
	s_delay_alu instid0(VALU_DEP_1) | instskip(NEXT) | instid1(VALU_DEP_4)
	v_add_f32_e32 v33, v37, v33
	v_sub_f32_e32 v37, v36, v41
	s_delay_alu instid0(VALU_DEP_2) | instskip(NEXT) | instid1(VALU_DEP_2)
	v_add_f32_e32 v33, v42, v33
	v_sub_f32_e32 v37, v38, v37
	s_delay_alu instid0(VALU_DEP_2) | instskip(NEXT) | instid1(VALU_DEP_1)
	v_mul_f32_e32 v33, v35, v33
	v_add_f32_e32 v33, v37, v33
	s_delay_alu instid0(VALU_DEP_1) | instskip(NEXT) | instid1(VALU_DEP_1)
	v_add_f32_e32 v35, v36, v33
	v_mul_f32_e32 v37, v35, v35
	s_delay_alu instid0(VALU_DEP_1) | instskip(SKIP_1) | instid1(VALU_DEP_2)
	v_fmaak_f32 v38, s72, v37, 0x3ecc95a3
	v_mul_f32_e32 v39, v35, v37
	v_fmaak_f32 v37, v37, v38, 0x3f2aaada
	v_ldexp_f32 v38, v35, 1
	s_delay_alu instid0(VALU_DEP_2) | instskip(SKIP_1) | instid1(VALU_DEP_2)
	v_mul_f32_e32 v37, v39, v37
	v_sub_f32_e32 v35, v35, v36
	v_dual_mul_f32 v39, 0x3f317218, v32 :: v_dual_add_f32 v36, v38, v37
	s_delay_alu instid0(VALU_DEP_2) | instskip(NEXT) | instid1(VALU_DEP_2)
	v_sub_f32_e32 v33, v33, v35
	v_sub_f32_e32 v35, v36, v38
	s_delay_alu instid0(VALU_DEP_3) | instskip(NEXT) | instid1(VALU_DEP_3)
	v_fma_f32 v38, 0x3f317218, v32, -v39
	v_ldexp_f32 v33, v33, 1
	s_delay_alu instid0(VALU_DEP_2) | instskip(NEXT) | instid1(VALU_DEP_1)
	v_dual_sub_f32 v35, v37, v35 :: v_dual_fmac_f32 v38, 0xb102e308, v32
	v_dual_add_f32 v32, v33, v35 :: v_dual_add_f32 v33, v39, v38
	s_delay_alu instid0(VALU_DEP_1) | instskip(NEXT) | instid1(VALU_DEP_1)
	v_add_f32_e32 v35, v36, v32
	v_dual_add_f32 v37, v33, v35 :: v_dual_sub_f32 v36, v35, v36
	s_delay_alu instid0(VALU_DEP_1) | instskip(NEXT) | instid1(VALU_DEP_2)
	v_sub_f32_e32 v40, v37, v33
	v_dual_sub_f32 v39, v33, v39 :: v_dual_sub_f32 v32, v32, v36
	s_delay_alu instid0(VALU_DEP_1) | instskip(SKIP_1) | instid1(VALU_DEP_2)
	v_dual_sub_f32 v41, v37, v40 :: v_dual_sub_f32 v38, v38, v39
	v_sub_f32_e32 v35, v35, v40
	v_dual_sub_f32 v33, v33, v41 :: v_dual_add_f32 v36, v38, v32
	s_delay_alu instid0(VALU_DEP_1) | instskip(NEXT) | instid1(VALU_DEP_2)
	v_add_f32_e32 v33, v35, v33
	v_sub_f32_e32 v35, v36, v38
	s_delay_alu instid0(VALU_DEP_2) | instskip(NEXT) | instid1(VALU_DEP_2)
	v_add_f32_e32 v33, v36, v33
	v_sub_f32_e32 v36, v36, v35
	s_delay_alu instid0(VALU_DEP_2) | instskip(NEXT) | instid1(VALU_DEP_1)
	v_dual_sub_f32 v32, v32, v35 :: v_dual_add_f32 v39, v37, v33
	v_dual_sub_f32 v36, v38, v36 :: v_dual_sub_f32 v35, v39, v37
	s_delay_alu instid0(VALU_DEP_1) | instskip(NEXT) | instid1(VALU_DEP_1)
	v_dual_add_f32 v32, v32, v36 :: v_dual_sub_f32 v33, v33, v35
	v_add_f32_e32 v32, v32, v33
	s_delay_alu instid0(VALU_DEP_1) | instskip(NEXT) | instid1(VALU_DEP_1)
	v_add_f32_e32 v32, v39, v32
	v_cndmask_b32_e32 v127, v32, v34, vcc_lo
.LBB147_48:                             ;   in Loop: Header=BB147_12 Depth=1
	s_or_b32 exec_lo, exec_lo, s17
	v_add_f32_e32 v128, s57, v1
	s_delay_alu instid0(VALU_DEP_1) | instskip(SKIP_1) | instid1(SALU_CYCLE_1)
	v_cmp_ge_f32_e32 vcc_lo, 0x41a00000, v128
	s_and_b32 s16, s68, vcc_lo
	s_and_saveexec_b32 s17, s16
	s_cbranch_execz .LBB147_50
; %bb.49:                               ;   in Loop: Header=BB147_12 Depth=1
	v_mul_f32_e32 v32, 0x3fb8aa3b, v128
	v_cmp_ngt_f32_e32 vcc_lo, 0xc2ce8ed0, v128
	s_delay_alu instid0(VALU_DEP_2) | instskip(SKIP_1) | instid1(VALU_DEP_2)
	v_rndne_f32_e32 v33, v32
	v_fma_f32 v34, 0x3fb8aa3b, v128, -v32
	v_sub_f32_e32 v32, v32, v33
	s_delay_alu instid0(VALU_DEP_2) | instskip(SKIP_1) | instid1(VALU_DEP_2)
	v_fmac_f32_e32 v34, 0x32a5705f, v128
	v_cvt_i32_f32_e32 v33, v33
	v_add_f32_e32 v32, v32, v34
	s_delay_alu instid0(VALU_DEP_1) | instskip(SKIP_2) | instid1(VALU_DEP_1)
	v_exp_f32_e32 v32, v32
	s_waitcnt_depctr 0xfff
	v_ldexp_f32 v32, v32, v33
	v_cndmask_b32_e32 v32, 0, v32, vcc_lo
	v_cmp_nlt_f32_e32 vcc_lo, 0x42b17218, v128
	s_delay_alu instid0(VALU_DEP_2) | instskip(NEXT) | instid1(VALU_DEP_1)
	v_cndmask_b32_e32 v34, 0x7f800000, v32, vcc_lo
	v_add_f32_e32 v35, 1.0, v34
	s_delay_alu instid0(VALU_DEP_1) | instskip(NEXT) | instid1(VALU_DEP_1)
	v_cvt_f64_f32_e32 v[32:33], v35
	v_frexp_exp_i32_f64_e32 v32, v[32:33]
	v_frexp_mant_f32_e32 v33, v35
	s_delay_alu instid0(VALU_DEP_1) | instskip(SKIP_1) | instid1(VALU_DEP_1)
	v_cmp_gt_f32_e32 vcc_lo, 0x3f2aaaab, v33
	v_add_f32_e32 v33, -1.0, v35
	v_sub_f32_e32 v37, v33, v35
	v_sub_f32_e32 v33, v34, v33
	s_delay_alu instid0(VALU_DEP_2) | instskip(NEXT) | instid1(VALU_DEP_1)
	v_add_f32_e32 v37, 1.0, v37
	v_add_f32_e32 v33, v33, v37
	v_cmp_gt_f32_e64 s16, 0x33800000, v34
	v_subrev_co_ci_u32_e32 v32, vcc_lo, 0, v32, vcc_lo
	v_cmp_eq_f32_e32 vcc_lo, 0x7f800000, v34
	s_delay_alu instid0(VALU_DEP_2) | instskip(SKIP_2) | instid1(VALU_DEP_2)
	v_sub_nc_u32_e32 v36, 0, v32
	v_cvt_f32_i32_e32 v32, v32
	s_or_b32 vcc_lo, s16, vcc_lo
	v_ldexp_f32 v35, v35, v36
	v_ldexp_f32 v33, v33, v36
	s_delay_alu instid0(VALU_DEP_2) | instskip(NEXT) | instid1(VALU_DEP_1)
	v_add_f32_e32 v38, 1.0, v35
	v_dual_add_f32 v36, -1.0, v35 :: v_dual_add_f32 v37, -1.0, v38
	s_delay_alu instid0(VALU_DEP_1) | instskip(NEXT) | instid1(VALU_DEP_2)
	v_add_f32_e32 v39, 1.0, v36
	v_sub_f32_e32 v37, v35, v37
	s_delay_alu instid0(VALU_DEP_2) | instskip(NEXT) | instid1(VALU_DEP_2)
	v_sub_f32_e32 v35, v35, v39
	v_add_f32_e32 v37, v33, v37
	s_delay_alu instid0(VALU_DEP_2) | instskip(NEXT) | instid1(VALU_DEP_1)
	v_add_f32_e32 v33, v33, v35
	v_add_f32_e32 v40, v36, v33
	s_delay_alu instid0(VALU_DEP_1) | instskip(NEXT) | instid1(VALU_DEP_1)
	v_dual_add_f32 v39, v38, v37 :: v_dual_sub_f32 v36, v36, v40
	v_rcp_f32_e32 v35, v39
	v_sub_f32_e32 v38, v38, v39
	s_delay_alu instid0(VALU_DEP_1) | instskip(SKIP_2) | instid1(VALU_DEP_1)
	v_add_f32_e32 v37, v37, v38
	s_waitcnt_depctr 0xfff
	v_mul_f32_e32 v41, v40, v35
	v_mul_f32_e32 v42, v39, v41
	s_delay_alu instid0(VALU_DEP_1) | instskip(NEXT) | instid1(VALU_DEP_1)
	v_fma_f32 v38, v41, v39, -v42
	v_fmac_f32_e32 v38, v41, v37
	s_delay_alu instid0(VALU_DEP_1) | instskip(NEXT) | instid1(VALU_DEP_1)
	v_add_f32_e32 v43, v42, v38
	v_sub_f32_e32 v44, v40, v43
	s_delay_alu instid0(VALU_DEP_1) | instskip(SKIP_1) | instid1(VALU_DEP_2)
	v_sub_f32_e32 v40, v40, v44
	v_dual_add_f32 v33, v33, v36 :: v_dual_sub_f32 v36, v43, v42
	v_sub_f32_e32 v40, v40, v43
	s_delay_alu instid0(VALU_DEP_1) | instskip(NEXT) | instid1(VALU_DEP_1)
	v_dual_sub_f32 v36, v36, v38 :: v_dual_add_f32 v33, v33, v40
	v_add_f32_e32 v33, v36, v33
	s_delay_alu instid0(VALU_DEP_1) | instskip(NEXT) | instid1(VALU_DEP_1)
	v_add_f32_e32 v36, v44, v33
	v_mul_f32_e32 v38, v35, v36
	s_delay_alu instid0(VALU_DEP_1) | instskip(NEXT) | instid1(VALU_DEP_1)
	v_dual_sub_f32 v43, v44, v36 :: v_dual_mul_f32 v40, v39, v38
	v_add_f32_e32 v33, v33, v43
	s_delay_alu instid0(VALU_DEP_2) | instskip(NEXT) | instid1(VALU_DEP_1)
	v_fma_f32 v39, v38, v39, -v40
	v_fmac_f32_e32 v39, v38, v37
	s_delay_alu instid0(VALU_DEP_1) | instskip(NEXT) | instid1(VALU_DEP_1)
	v_add_f32_e32 v37, v40, v39
	v_sub_f32_e32 v42, v36, v37
	s_delay_alu instid0(VALU_DEP_1) | instskip(NEXT) | instid1(VALU_DEP_1)
	v_sub_f32_e32 v36, v36, v42
	v_sub_f32_e32 v36, v36, v37
	s_delay_alu instid0(VALU_DEP_1) | instskip(SKIP_2) | instid1(VALU_DEP_1)
	v_add_f32_e32 v33, v33, v36
	v_add_f32_e32 v36, v41, v38
	v_sub_f32_e32 v40, v37, v40
	v_sub_f32_e32 v37, v40, v39
	s_delay_alu instid0(VALU_DEP_1) | instskip(NEXT) | instid1(VALU_DEP_4)
	v_add_f32_e32 v33, v37, v33
	v_sub_f32_e32 v37, v36, v41
	s_delay_alu instid0(VALU_DEP_2) | instskip(NEXT) | instid1(VALU_DEP_2)
	v_add_f32_e32 v33, v42, v33
	v_sub_f32_e32 v37, v38, v37
	s_delay_alu instid0(VALU_DEP_2) | instskip(NEXT) | instid1(VALU_DEP_1)
	v_mul_f32_e32 v33, v35, v33
	v_add_f32_e32 v33, v37, v33
	s_delay_alu instid0(VALU_DEP_1) | instskip(NEXT) | instid1(VALU_DEP_1)
	v_add_f32_e32 v35, v36, v33
	v_mul_f32_e32 v37, v35, v35
	s_delay_alu instid0(VALU_DEP_1) | instskip(SKIP_1) | instid1(VALU_DEP_2)
	v_fmaak_f32 v38, s72, v37, 0x3ecc95a3
	v_mul_f32_e32 v39, v35, v37
	v_fmaak_f32 v37, v37, v38, 0x3f2aaada
	v_ldexp_f32 v38, v35, 1
	s_delay_alu instid0(VALU_DEP_2) | instskip(SKIP_1) | instid1(VALU_DEP_2)
	v_mul_f32_e32 v37, v39, v37
	v_sub_f32_e32 v35, v35, v36
	v_dual_mul_f32 v39, 0x3f317218, v32 :: v_dual_add_f32 v36, v38, v37
	s_delay_alu instid0(VALU_DEP_2) | instskip(NEXT) | instid1(VALU_DEP_2)
	v_sub_f32_e32 v33, v33, v35
	v_sub_f32_e32 v35, v36, v38
	s_delay_alu instid0(VALU_DEP_3) | instskip(NEXT) | instid1(VALU_DEP_3)
	v_fma_f32 v38, 0x3f317218, v32, -v39
	v_ldexp_f32 v33, v33, 1
	s_delay_alu instid0(VALU_DEP_2) | instskip(NEXT) | instid1(VALU_DEP_1)
	v_dual_sub_f32 v35, v37, v35 :: v_dual_fmac_f32 v38, 0xb102e308, v32
	v_dual_add_f32 v32, v33, v35 :: v_dual_add_f32 v33, v39, v38
	s_delay_alu instid0(VALU_DEP_1) | instskip(NEXT) | instid1(VALU_DEP_1)
	v_add_f32_e32 v35, v36, v32
	v_dual_add_f32 v37, v33, v35 :: v_dual_sub_f32 v36, v35, v36
	s_delay_alu instid0(VALU_DEP_1) | instskip(NEXT) | instid1(VALU_DEP_2)
	v_sub_f32_e32 v40, v37, v33
	v_dual_sub_f32 v39, v33, v39 :: v_dual_sub_f32 v32, v32, v36
	s_delay_alu instid0(VALU_DEP_1) | instskip(SKIP_1) | instid1(VALU_DEP_2)
	v_dual_sub_f32 v41, v37, v40 :: v_dual_sub_f32 v38, v38, v39
	v_sub_f32_e32 v35, v35, v40
	v_dual_sub_f32 v33, v33, v41 :: v_dual_add_f32 v36, v38, v32
	s_delay_alu instid0(VALU_DEP_1) | instskip(NEXT) | instid1(VALU_DEP_2)
	v_add_f32_e32 v33, v35, v33
	v_sub_f32_e32 v35, v36, v38
	s_delay_alu instid0(VALU_DEP_2) | instskip(NEXT) | instid1(VALU_DEP_2)
	v_add_f32_e32 v33, v36, v33
	v_sub_f32_e32 v36, v36, v35
	s_delay_alu instid0(VALU_DEP_2) | instskip(NEXT) | instid1(VALU_DEP_1)
	v_dual_sub_f32 v32, v32, v35 :: v_dual_add_f32 v39, v37, v33
	v_dual_sub_f32 v36, v38, v36 :: v_dual_sub_f32 v35, v39, v37
	s_delay_alu instid0(VALU_DEP_1) | instskip(NEXT) | instid1(VALU_DEP_1)
	v_dual_add_f32 v32, v32, v36 :: v_dual_sub_f32 v33, v33, v35
	v_add_f32_e32 v32, v32, v33
	s_delay_alu instid0(VALU_DEP_1) | instskip(NEXT) | instid1(VALU_DEP_1)
	v_add_f32_e32 v32, v39, v32
	v_cndmask_b32_e32 v128, v32, v34, vcc_lo
.LBB147_50:                             ;   in Loop: Header=BB147_12 Depth=1
	s_or_b32 exec_lo, exec_lo, s17
	v_add_f32_e32 v129, s57, v2
	s_delay_alu instid0(VALU_DEP_1) | instskip(SKIP_1) | instid1(SALU_CYCLE_1)
	v_cmp_ge_f32_e32 vcc_lo, 0x41a00000, v129
	s_and_b32 s16, s68, vcc_lo
	s_and_saveexec_b32 s17, s16
	s_cbranch_execz .LBB147_52
; %bb.51:                               ;   in Loop: Header=BB147_12 Depth=1
	v_mul_f32_e32 v32, 0x3fb8aa3b, v129
	v_cmp_ngt_f32_e32 vcc_lo, 0xc2ce8ed0, v129
	s_delay_alu instid0(VALU_DEP_2) | instskip(SKIP_1) | instid1(VALU_DEP_2)
	v_rndne_f32_e32 v33, v32
	v_fma_f32 v34, 0x3fb8aa3b, v129, -v32
	v_sub_f32_e32 v32, v32, v33
	s_delay_alu instid0(VALU_DEP_2) | instskip(SKIP_1) | instid1(VALU_DEP_2)
	v_fmac_f32_e32 v34, 0x32a5705f, v129
	v_cvt_i32_f32_e32 v33, v33
	v_add_f32_e32 v32, v32, v34
	s_delay_alu instid0(VALU_DEP_1) | instskip(SKIP_2) | instid1(VALU_DEP_1)
	v_exp_f32_e32 v32, v32
	s_waitcnt_depctr 0xfff
	v_ldexp_f32 v32, v32, v33
	v_cndmask_b32_e32 v32, 0, v32, vcc_lo
	v_cmp_nlt_f32_e32 vcc_lo, 0x42b17218, v129
	s_delay_alu instid0(VALU_DEP_2) | instskip(NEXT) | instid1(VALU_DEP_1)
	v_cndmask_b32_e32 v34, 0x7f800000, v32, vcc_lo
	v_add_f32_e32 v35, 1.0, v34
	s_delay_alu instid0(VALU_DEP_1) | instskip(NEXT) | instid1(VALU_DEP_1)
	v_cvt_f64_f32_e32 v[32:33], v35
	v_frexp_exp_i32_f64_e32 v32, v[32:33]
	v_frexp_mant_f32_e32 v33, v35
	s_delay_alu instid0(VALU_DEP_1) | instskip(SKIP_1) | instid1(VALU_DEP_1)
	v_cmp_gt_f32_e32 vcc_lo, 0x3f2aaaab, v33
	v_add_f32_e32 v33, -1.0, v35
	v_sub_f32_e32 v37, v33, v35
	v_sub_f32_e32 v33, v34, v33
	s_delay_alu instid0(VALU_DEP_2) | instskip(NEXT) | instid1(VALU_DEP_1)
	v_add_f32_e32 v37, 1.0, v37
	v_add_f32_e32 v33, v33, v37
	v_cmp_gt_f32_e64 s16, 0x33800000, v34
	v_subrev_co_ci_u32_e32 v32, vcc_lo, 0, v32, vcc_lo
	v_cmp_eq_f32_e32 vcc_lo, 0x7f800000, v34
	s_delay_alu instid0(VALU_DEP_2) | instskip(SKIP_2) | instid1(VALU_DEP_2)
	v_sub_nc_u32_e32 v36, 0, v32
	v_cvt_f32_i32_e32 v32, v32
	s_or_b32 vcc_lo, s16, vcc_lo
	v_ldexp_f32 v35, v35, v36
	v_ldexp_f32 v33, v33, v36
	s_delay_alu instid0(VALU_DEP_2) | instskip(NEXT) | instid1(VALU_DEP_1)
	v_add_f32_e32 v38, 1.0, v35
	v_dual_add_f32 v36, -1.0, v35 :: v_dual_add_f32 v37, -1.0, v38
	s_delay_alu instid0(VALU_DEP_1) | instskip(NEXT) | instid1(VALU_DEP_2)
	v_add_f32_e32 v39, 1.0, v36
	v_sub_f32_e32 v37, v35, v37
	s_delay_alu instid0(VALU_DEP_2) | instskip(NEXT) | instid1(VALU_DEP_2)
	v_sub_f32_e32 v35, v35, v39
	v_add_f32_e32 v37, v33, v37
	s_delay_alu instid0(VALU_DEP_2) | instskip(NEXT) | instid1(VALU_DEP_1)
	v_add_f32_e32 v33, v33, v35
	v_add_f32_e32 v40, v36, v33
	s_delay_alu instid0(VALU_DEP_1) | instskip(NEXT) | instid1(VALU_DEP_1)
	v_dual_add_f32 v39, v38, v37 :: v_dual_sub_f32 v36, v36, v40
	v_rcp_f32_e32 v35, v39
	v_sub_f32_e32 v38, v38, v39
	s_delay_alu instid0(VALU_DEP_1) | instskip(SKIP_2) | instid1(VALU_DEP_1)
	v_add_f32_e32 v37, v37, v38
	s_waitcnt_depctr 0xfff
	v_mul_f32_e32 v41, v40, v35
	v_mul_f32_e32 v42, v39, v41
	s_delay_alu instid0(VALU_DEP_1) | instskip(NEXT) | instid1(VALU_DEP_1)
	v_fma_f32 v38, v41, v39, -v42
	v_fmac_f32_e32 v38, v41, v37
	s_delay_alu instid0(VALU_DEP_1) | instskip(NEXT) | instid1(VALU_DEP_1)
	v_add_f32_e32 v43, v42, v38
	v_sub_f32_e32 v44, v40, v43
	s_delay_alu instid0(VALU_DEP_1) | instskip(SKIP_1) | instid1(VALU_DEP_2)
	v_sub_f32_e32 v40, v40, v44
	v_dual_add_f32 v33, v33, v36 :: v_dual_sub_f32 v36, v43, v42
	v_sub_f32_e32 v40, v40, v43
	s_delay_alu instid0(VALU_DEP_1) | instskip(NEXT) | instid1(VALU_DEP_1)
	v_dual_sub_f32 v36, v36, v38 :: v_dual_add_f32 v33, v33, v40
	v_add_f32_e32 v33, v36, v33
	s_delay_alu instid0(VALU_DEP_1) | instskip(NEXT) | instid1(VALU_DEP_1)
	v_add_f32_e32 v36, v44, v33
	v_mul_f32_e32 v38, v35, v36
	s_delay_alu instid0(VALU_DEP_1) | instskip(NEXT) | instid1(VALU_DEP_1)
	v_dual_sub_f32 v43, v44, v36 :: v_dual_mul_f32 v40, v39, v38
	v_add_f32_e32 v33, v33, v43
	s_delay_alu instid0(VALU_DEP_2) | instskip(NEXT) | instid1(VALU_DEP_1)
	v_fma_f32 v39, v38, v39, -v40
	v_fmac_f32_e32 v39, v38, v37
	s_delay_alu instid0(VALU_DEP_1) | instskip(NEXT) | instid1(VALU_DEP_1)
	v_add_f32_e32 v37, v40, v39
	v_sub_f32_e32 v42, v36, v37
	s_delay_alu instid0(VALU_DEP_1) | instskip(NEXT) | instid1(VALU_DEP_1)
	v_sub_f32_e32 v36, v36, v42
	v_sub_f32_e32 v36, v36, v37
	s_delay_alu instid0(VALU_DEP_1) | instskip(SKIP_2) | instid1(VALU_DEP_1)
	v_add_f32_e32 v33, v33, v36
	v_add_f32_e32 v36, v41, v38
	v_sub_f32_e32 v40, v37, v40
	v_sub_f32_e32 v37, v40, v39
	s_delay_alu instid0(VALU_DEP_1) | instskip(NEXT) | instid1(VALU_DEP_4)
	v_add_f32_e32 v33, v37, v33
	v_sub_f32_e32 v37, v36, v41
	s_delay_alu instid0(VALU_DEP_2) | instskip(NEXT) | instid1(VALU_DEP_2)
	v_add_f32_e32 v33, v42, v33
	v_sub_f32_e32 v37, v38, v37
	s_delay_alu instid0(VALU_DEP_2) | instskip(NEXT) | instid1(VALU_DEP_1)
	v_mul_f32_e32 v33, v35, v33
	v_add_f32_e32 v33, v37, v33
	s_delay_alu instid0(VALU_DEP_1) | instskip(NEXT) | instid1(VALU_DEP_1)
	v_add_f32_e32 v35, v36, v33
	v_mul_f32_e32 v37, v35, v35
	s_delay_alu instid0(VALU_DEP_1) | instskip(SKIP_1) | instid1(VALU_DEP_2)
	v_fmaak_f32 v38, s72, v37, 0x3ecc95a3
	v_mul_f32_e32 v39, v35, v37
	v_fmaak_f32 v37, v37, v38, 0x3f2aaada
	v_ldexp_f32 v38, v35, 1
	s_delay_alu instid0(VALU_DEP_2) | instskip(SKIP_1) | instid1(VALU_DEP_2)
	v_mul_f32_e32 v37, v39, v37
	v_sub_f32_e32 v35, v35, v36
	v_dual_mul_f32 v39, 0x3f317218, v32 :: v_dual_add_f32 v36, v38, v37
	s_delay_alu instid0(VALU_DEP_2) | instskip(NEXT) | instid1(VALU_DEP_2)
	v_sub_f32_e32 v33, v33, v35
	v_sub_f32_e32 v35, v36, v38
	s_delay_alu instid0(VALU_DEP_3) | instskip(NEXT) | instid1(VALU_DEP_3)
	v_fma_f32 v38, 0x3f317218, v32, -v39
	v_ldexp_f32 v33, v33, 1
	s_delay_alu instid0(VALU_DEP_2) | instskip(NEXT) | instid1(VALU_DEP_1)
	v_dual_sub_f32 v35, v37, v35 :: v_dual_fmac_f32 v38, 0xb102e308, v32
	v_dual_add_f32 v32, v33, v35 :: v_dual_add_f32 v33, v39, v38
	s_delay_alu instid0(VALU_DEP_1) | instskip(NEXT) | instid1(VALU_DEP_1)
	v_add_f32_e32 v35, v36, v32
	v_dual_add_f32 v37, v33, v35 :: v_dual_sub_f32 v36, v35, v36
	s_delay_alu instid0(VALU_DEP_1) | instskip(NEXT) | instid1(VALU_DEP_2)
	v_sub_f32_e32 v40, v37, v33
	v_dual_sub_f32 v39, v33, v39 :: v_dual_sub_f32 v32, v32, v36
	s_delay_alu instid0(VALU_DEP_1) | instskip(SKIP_1) | instid1(VALU_DEP_2)
	v_dual_sub_f32 v41, v37, v40 :: v_dual_sub_f32 v38, v38, v39
	v_sub_f32_e32 v35, v35, v40
	v_dual_sub_f32 v33, v33, v41 :: v_dual_add_f32 v36, v38, v32
	s_delay_alu instid0(VALU_DEP_1) | instskip(NEXT) | instid1(VALU_DEP_2)
	v_add_f32_e32 v33, v35, v33
	v_sub_f32_e32 v35, v36, v38
	s_delay_alu instid0(VALU_DEP_2) | instskip(NEXT) | instid1(VALU_DEP_2)
	v_add_f32_e32 v33, v36, v33
	v_sub_f32_e32 v36, v36, v35
	s_delay_alu instid0(VALU_DEP_2) | instskip(NEXT) | instid1(VALU_DEP_1)
	v_dual_sub_f32 v32, v32, v35 :: v_dual_add_f32 v39, v37, v33
	v_dual_sub_f32 v36, v38, v36 :: v_dual_sub_f32 v35, v39, v37
	s_delay_alu instid0(VALU_DEP_1) | instskip(NEXT) | instid1(VALU_DEP_1)
	v_dual_add_f32 v32, v32, v36 :: v_dual_sub_f32 v33, v33, v35
	v_add_f32_e32 v32, v32, v33
	s_delay_alu instid0(VALU_DEP_1) | instskip(NEXT) | instid1(VALU_DEP_1)
	v_add_f32_e32 v32, v39, v32
	v_cndmask_b32_e32 v129, v32, v34, vcc_lo
.LBB147_52:                             ;   in Loop: Header=BB147_12 Depth=1
	s_or_b32 exec_lo, exec_lo, s17
	v_add_f32_e32 v130, s57, v3
	s_delay_alu instid0(VALU_DEP_1) | instskip(SKIP_1) | instid1(SALU_CYCLE_1)
	v_cmp_ge_f32_e32 vcc_lo, 0x41a00000, v130
	s_and_b32 s16, s68, vcc_lo
	s_and_saveexec_b32 s17, s16
	s_cbranch_execz .LBB147_54
; %bb.53:                               ;   in Loop: Header=BB147_12 Depth=1
	v_mul_f32_e32 v32, 0x3fb8aa3b, v130
	v_cmp_ngt_f32_e32 vcc_lo, 0xc2ce8ed0, v130
	s_delay_alu instid0(VALU_DEP_2) | instskip(SKIP_1) | instid1(VALU_DEP_2)
	v_rndne_f32_e32 v33, v32
	v_fma_f32 v34, 0x3fb8aa3b, v130, -v32
	v_sub_f32_e32 v32, v32, v33
	s_delay_alu instid0(VALU_DEP_2) | instskip(SKIP_1) | instid1(VALU_DEP_2)
	v_fmac_f32_e32 v34, 0x32a5705f, v130
	v_cvt_i32_f32_e32 v33, v33
	v_add_f32_e32 v32, v32, v34
	s_delay_alu instid0(VALU_DEP_1) | instskip(SKIP_2) | instid1(VALU_DEP_1)
	v_exp_f32_e32 v32, v32
	s_waitcnt_depctr 0xfff
	v_ldexp_f32 v32, v32, v33
	v_cndmask_b32_e32 v32, 0, v32, vcc_lo
	v_cmp_nlt_f32_e32 vcc_lo, 0x42b17218, v130
	s_delay_alu instid0(VALU_DEP_2) | instskip(NEXT) | instid1(VALU_DEP_1)
	v_cndmask_b32_e32 v34, 0x7f800000, v32, vcc_lo
	v_add_f32_e32 v35, 1.0, v34
	s_delay_alu instid0(VALU_DEP_1) | instskip(NEXT) | instid1(VALU_DEP_1)
	v_cvt_f64_f32_e32 v[32:33], v35
	v_frexp_exp_i32_f64_e32 v32, v[32:33]
	v_frexp_mant_f32_e32 v33, v35
	s_delay_alu instid0(VALU_DEP_1) | instskip(SKIP_1) | instid1(VALU_DEP_1)
	v_cmp_gt_f32_e32 vcc_lo, 0x3f2aaaab, v33
	v_add_f32_e32 v33, -1.0, v35
	v_sub_f32_e32 v37, v33, v35
	v_sub_f32_e32 v33, v34, v33
	s_delay_alu instid0(VALU_DEP_2) | instskip(NEXT) | instid1(VALU_DEP_1)
	v_add_f32_e32 v37, 1.0, v37
	v_add_f32_e32 v33, v33, v37
	v_cmp_gt_f32_e64 s16, 0x33800000, v34
	v_subrev_co_ci_u32_e32 v32, vcc_lo, 0, v32, vcc_lo
	v_cmp_eq_f32_e32 vcc_lo, 0x7f800000, v34
	s_delay_alu instid0(VALU_DEP_2) | instskip(SKIP_2) | instid1(VALU_DEP_2)
	v_sub_nc_u32_e32 v36, 0, v32
	v_cvt_f32_i32_e32 v32, v32
	s_or_b32 vcc_lo, s16, vcc_lo
	v_ldexp_f32 v35, v35, v36
	v_ldexp_f32 v33, v33, v36
	s_delay_alu instid0(VALU_DEP_2) | instskip(NEXT) | instid1(VALU_DEP_1)
	v_add_f32_e32 v38, 1.0, v35
	v_dual_add_f32 v36, -1.0, v35 :: v_dual_add_f32 v37, -1.0, v38
	s_delay_alu instid0(VALU_DEP_1) | instskip(NEXT) | instid1(VALU_DEP_2)
	v_add_f32_e32 v39, 1.0, v36
	v_sub_f32_e32 v37, v35, v37
	s_delay_alu instid0(VALU_DEP_2) | instskip(NEXT) | instid1(VALU_DEP_2)
	v_sub_f32_e32 v35, v35, v39
	v_add_f32_e32 v37, v33, v37
	s_delay_alu instid0(VALU_DEP_2) | instskip(NEXT) | instid1(VALU_DEP_1)
	v_add_f32_e32 v33, v33, v35
	v_add_f32_e32 v40, v36, v33
	s_delay_alu instid0(VALU_DEP_1) | instskip(NEXT) | instid1(VALU_DEP_1)
	v_dual_add_f32 v39, v38, v37 :: v_dual_sub_f32 v36, v36, v40
	v_rcp_f32_e32 v35, v39
	v_sub_f32_e32 v38, v38, v39
	s_delay_alu instid0(VALU_DEP_1) | instskip(SKIP_2) | instid1(VALU_DEP_1)
	v_add_f32_e32 v37, v37, v38
	s_waitcnt_depctr 0xfff
	v_mul_f32_e32 v41, v40, v35
	v_mul_f32_e32 v42, v39, v41
	s_delay_alu instid0(VALU_DEP_1) | instskip(NEXT) | instid1(VALU_DEP_1)
	v_fma_f32 v38, v41, v39, -v42
	v_fmac_f32_e32 v38, v41, v37
	s_delay_alu instid0(VALU_DEP_1) | instskip(NEXT) | instid1(VALU_DEP_1)
	v_add_f32_e32 v43, v42, v38
	v_sub_f32_e32 v44, v40, v43
	s_delay_alu instid0(VALU_DEP_1) | instskip(SKIP_1) | instid1(VALU_DEP_2)
	v_sub_f32_e32 v40, v40, v44
	v_dual_add_f32 v33, v33, v36 :: v_dual_sub_f32 v36, v43, v42
	v_sub_f32_e32 v40, v40, v43
	s_delay_alu instid0(VALU_DEP_1) | instskip(NEXT) | instid1(VALU_DEP_1)
	v_dual_sub_f32 v36, v36, v38 :: v_dual_add_f32 v33, v33, v40
	v_add_f32_e32 v33, v36, v33
	s_delay_alu instid0(VALU_DEP_1) | instskip(NEXT) | instid1(VALU_DEP_1)
	v_add_f32_e32 v36, v44, v33
	v_mul_f32_e32 v38, v35, v36
	s_delay_alu instid0(VALU_DEP_1) | instskip(NEXT) | instid1(VALU_DEP_1)
	v_dual_sub_f32 v43, v44, v36 :: v_dual_mul_f32 v40, v39, v38
	v_add_f32_e32 v33, v33, v43
	s_delay_alu instid0(VALU_DEP_2) | instskip(NEXT) | instid1(VALU_DEP_1)
	v_fma_f32 v39, v38, v39, -v40
	v_fmac_f32_e32 v39, v38, v37
	s_delay_alu instid0(VALU_DEP_1) | instskip(NEXT) | instid1(VALU_DEP_1)
	v_add_f32_e32 v37, v40, v39
	v_sub_f32_e32 v42, v36, v37
	s_delay_alu instid0(VALU_DEP_1) | instskip(NEXT) | instid1(VALU_DEP_1)
	v_sub_f32_e32 v36, v36, v42
	v_sub_f32_e32 v36, v36, v37
	s_delay_alu instid0(VALU_DEP_1) | instskip(SKIP_2) | instid1(VALU_DEP_1)
	v_add_f32_e32 v33, v33, v36
	v_add_f32_e32 v36, v41, v38
	v_sub_f32_e32 v40, v37, v40
	v_sub_f32_e32 v37, v40, v39
	s_delay_alu instid0(VALU_DEP_1) | instskip(NEXT) | instid1(VALU_DEP_4)
	v_add_f32_e32 v33, v37, v33
	v_sub_f32_e32 v37, v36, v41
	s_delay_alu instid0(VALU_DEP_2) | instskip(NEXT) | instid1(VALU_DEP_2)
	v_add_f32_e32 v33, v42, v33
	v_sub_f32_e32 v37, v38, v37
	s_delay_alu instid0(VALU_DEP_2) | instskip(NEXT) | instid1(VALU_DEP_1)
	v_mul_f32_e32 v33, v35, v33
	v_add_f32_e32 v33, v37, v33
	s_delay_alu instid0(VALU_DEP_1) | instskip(NEXT) | instid1(VALU_DEP_1)
	v_add_f32_e32 v35, v36, v33
	v_mul_f32_e32 v37, v35, v35
	s_delay_alu instid0(VALU_DEP_1) | instskip(SKIP_1) | instid1(VALU_DEP_2)
	v_fmaak_f32 v38, s72, v37, 0x3ecc95a3
	v_mul_f32_e32 v39, v35, v37
	v_fmaak_f32 v37, v37, v38, 0x3f2aaada
	v_ldexp_f32 v38, v35, 1
	s_delay_alu instid0(VALU_DEP_2) | instskip(SKIP_1) | instid1(VALU_DEP_2)
	v_mul_f32_e32 v37, v39, v37
	v_sub_f32_e32 v35, v35, v36
	v_dual_mul_f32 v39, 0x3f317218, v32 :: v_dual_add_f32 v36, v38, v37
	s_delay_alu instid0(VALU_DEP_2) | instskip(NEXT) | instid1(VALU_DEP_2)
	v_sub_f32_e32 v33, v33, v35
	v_sub_f32_e32 v35, v36, v38
	s_delay_alu instid0(VALU_DEP_3) | instskip(NEXT) | instid1(VALU_DEP_3)
	v_fma_f32 v38, 0x3f317218, v32, -v39
	v_ldexp_f32 v33, v33, 1
	s_delay_alu instid0(VALU_DEP_2) | instskip(NEXT) | instid1(VALU_DEP_1)
	v_dual_sub_f32 v35, v37, v35 :: v_dual_fmac_f32 v38, 0xb102e308, v32
	v_dual_add_f32 v32, v33, v35 :: v_dual_add_f32 v33, v39, v38
	s_delay_alu instid0(VALU_DEP_1) | instskip(NEXT) | instid1(VALU_DEP_1)
	v_add_f32_e32 v35, v36, v32
	v_dual_add_f32 v37, v33, v35 :: v_dual_sub_f32 v36, v35, v36
	s_delay_alu instid0(VALU_DEP_1) | instskip(NEXT) | instid1(VALU_DEP_2)
	v_sub_f32_e32 v40, v37, v33
	v_dual_sub_f32 v39, v33, v39 :: v_dual_sub_f32 v32, v32, v36
	s_delay_alu instid0(VALU_DEP_1) | instskip(SKIP_1) | instid1(VALU_DEP_2)
	v_dual_sub_f32 v41, v37, v40 :: v_dual_sub_f32 v38, v38, v39
	v_sub_f32_e32 v35, v35, v40
	v_dual_sub_f32 v33, v33, v41 :: v_dual_add_f32 v36, v38, v32
	s_delay_alu instid0(VALU_DEP_1) | instskip(NEXT) | instid1(VALU_DEP_2)
	v_add_f32_e32 v33, v35, v33
	v_sub_f32_e32 v35, v36, v38
	s_delay_alu instid0(VALU_DEP_2) | instskip(NEXT) | instid1(VALU_DEP_2)
	v_add_f32_e32 v33, v36, v33
	v_sub_f32_e32 v36, v36, v35
	s_delay_alu instid0(VALU_DEP_2) | instskip(NEXT) | instid1(VALU_DEP_1)
	v_dual_sub_f32 v32, v32, v35 :: v_dual_add_f32 v39, v37, v33
	v_dual_sub_f32 v36, v38, v36 :: v_dual_sub_f32 v35, v39, v37
	s_delay_alu instid0(VALU_DEP_1) | instskip(NEXT) | instid1(VALU_DEP_1)
	v_dual_add_f32 v32, v32, v36 :: v_dual_sub_f32 v33, v33, v35
	v_add_f32_e32 v32, v32, v33
	s_delay_alu instid0(VALU_DEP_1) | instskip(NEXT) | instid1(VALU_DEP_1)
	v_add_f32_e32 v32, v39, v32
	v_cndmask_b32_e32 v130, v32, v34, vcc_lo
.LBB147_54:                             ;   in Loop: Header=BB147_12 Depth=1
	s_or_b32 exec_lo, exec_lo, s17
	v_dual_mul_f32 v34, s58, v10 :: v_dual_mul_f32 v33, s58, v9
	v_dual_mul_f32 v32, s58, v8 :: v_dual_mul_f32 v39, s58, v19
	;; [unrolled: 1-line block ×8, first 2 shown]
	s_lshl_b32 s38, s74, 10
	s_and_b32 vcc_lo, exec_lo, s69
	s_barrier
	buffer_gl0_inv
	s_cbranch_vccz .LBB147_11
; %bb.55:                               ;   in Loop: Header=BB147_12 Depth=1
	v_add_co_u32 v48, s16, s41, v113
	s_delay_alu instid0(VALU_DEP_1) | instskip(SKIP_1) | instid1(VALU_DEP_1)
	v_add_co_ci_u32_e64 v49, null, s63, 0, s16
	v_add_co_u32 v50, s16, s45, v113
	v_add_co_ci_u32_e64 v51, null, s64, 0, s16
	s_delay_alu instid0(VALU_DEP_4) | instskip(NEXT) | instid1(VALU_DEP_4)
	v_add_co_u32 v132, vcc_lo, v48, v114
	v_add_co_ci_u32_e32 v133, vcc_lo, 0, v49, vcc_lo
	s_delay_alu instid0(VALU_DEP_4)
	v_add_co_u32 v134, vcc_lo, v50, v114
	s_sub_i32 s27, s52, s38
	v_add_co_ci_u32_e32 v135, vcc_lo, 0, v51, vcc_lo
	v_cmp_gt_u32_e32 vcc_lo, s27, v92
	s_cmp_lg_u32 s74, 0
	v_cmp_gt_u32_e64 s18, s27, v99
	s_cselect_b32 s39, -1, 0
	s_cmp_eq_u32 s74, s71
	v_cmp_gt_u32_e64 s19, s27, v100
	s_cselect_b32 s75, -1, 0
	s_or_b32 s16, s70, vcc_lo
	v_cmp_gt_u32_e32 vcc_lo, s27, v98
	v_cmp_gt_u32_e64 s20, s27, v101
	v_cmp_gt_u32_e64 s21, s27, v102
	;; [unrolled: 1-line block ×4, first 2 shown]
	s_or_b32 s17, s70, vcc_lo
	v_cmp_gt_u32_e32 vcc_lo, s27, v103
	v_cmp_gt_u32_e64 s25, s27, v106
	v_cmp_gt_u32_e64 s26, s27, v107
	;; [unrolled: 1-line block ×4, first 2 shown]
	s_or_b32 s22, s70, vcc_lo
	v_cmp_gt_u32_e32 vcc_lo, s27, v108
	v_cmp_gt_u32_e64 s30, s27, v111
	v_cmp_gt_u32_e64 s31, s27, v112
	v_dual_mul_f32 v131, v11, v130 :: v_dual_mul_f32 v136, v10, v129
	v_dual_mul_f32 v137, v9, v128 :: v_dual_mul_f32 v138, v8, v127
	;; [unrolled: 1-line block ×8, first 2 shown]
	s_mov_b32 s54, 0
	s_or_b32 s18, s70, s18
	s_or_b32 s19, s70, s19
	;; [unrolled: 1-line block ×8, first 2 shown]
	s_or_b32 s27, s70, vcc_lo
	s_or_b32 s28, s70, s28
	s_or_b32 s29, s70, s29
	;; [unrolled: 1-line block ×4, first 2 shown]
	s_mov_b32 s42, s54
	s_mov_b32 s46, s54
	;; [unrolled: 1-line block ×5, first 2 shown]
	s_branch .LBB147_57
.LBB147_56:                             ;   in Loop: Header=BB147_57 Depth=2
	s_or_b32 exec_lo, exec_lo, s33
	v_cndmask_b32_e64 v65, v172, v67, s15
	v_cndmask_b32_e64 v66, v171, v66, s15
	s_add_i32 s76, s76, -1
	s_add_i32 s77, s77, 8
	s_add_i32 s48, s48, s50
	v_fma_f32 v65, v65, v153, v151
	v_mul_f32_e32 v66, v66, v153
	s_add_i32 s46, s46, s44
	s_add_i32 s42, s42, s40
	;; [unrolled: 1-line block ×3, first 2 shown]
	v_cndmask_b32_e64 v65, v65, v151, s14
	v_cndmask_b32_e64 v66, v66, v153, s14
	s_cmp_eq_u32 s76, 0
	s_waitcnt lgkmcnt(0)
	s_delay_alu instid0(VALU_DEP_1) | instskip(NEXT) | instid1(VALU_DEP_1)
	v_fmac_f32_e32 v65, v64, v66
	v_fmac_f32_e32 v76, v65, v152
	s_delay_alu instid0(VALU_DEP_1) | instskip(NEXT) | instid1(VALU_DEP_1)
	v_fmac_f32_e32 v77, v76, v154
	v_fmac_f32_e32 v78, v77, v79
	s_delay_alu instid0(VALU_DEP_1) | instskip(SKIP_1) | instid1(VALU_DEP_1)
	v_dual_fmac_f32 v46, v62, v77 :: v_dual_fmac_f32 v47, v63, v78
	v_fmac_f32_e32 v72, v78, v155
	v_fmac_f32_e32 v73, v72, v156
	s_delay_alu instid0(VALU_DEP_1) | instskip(NEXT) | instid1(VALU_DEP_1)
	v_fmac_f32_e32 v74, v73, v157
	v_dual_fmac_f32 v75, v74, v158 :: v_dual_fmac_f32 v44, v60, v65
	s_delay_alu instid0(VALU_DEP_1) | instskip(SKIP_2) | instid1(VALU_DEP_3)
	v_dual_fmac_f32 v45, v61, v76 :: v_dual_fmac_f32 v68, v75, v159
	v_fmac_f32_e32 v43, v59, v75
	v_fmac_f32_e32 v41, v57, v73
	;; [unrolled: 1-line block ×4, first 2 shown]
	s_delay_alu instid0(VALU_DEP_2) | instskip(SKIP_1) | instid1(VALU_DEP_1)
	v_dual_fmac_f32 v36, v52, v68 :: v_dual_fmac_f32 v37, v53, v69
	v_fmac_f32_e32 v70, v69, v161
	v_fmac_f32_e32 v71, v70, v170
	s_delay_alu instid0(VALU_DEP_1) | instskip(NEXT) | instid1(VALU_DEP_1)
	v_fmac_f32_e32 v162, v71, v164
	v_dual_fmac_f32 v39, v55, v71 :: v_dual_fmac_f32 v32, v48, v162
	v_fmac_f32_e32 v163, v162, v166
	s_delay_alu instid0(VALU_DEP_1) | instskip(SKIP_1) | instid1(VALU_DEP_2)
	v_dual_fmac_f32 v42, v58, v74 :: v_dual_fmac_f32 v165, v163, v168
	v_dual_fmac_f32 v38, v54, v70 :: v_dual_fmac_f32 v33, v49, v163
	v_fmac_f32_e32 v34, v50, v165
	v_fmac_f32_e32 v167, v165, v169
	s_delay_alu instid0(VALU_DEP_1)
	v_fmac_f32_e32 v35, v51, v167
	s_cbranch_scc1 .LBB147_11
.LBB147_57:                             ;   Parent Loop BB147_12 Depth=1
                                        ; =>  This Inner Loop Header: Depth=2
	s_lshl_b64 s[34:35], s[54:55], 2
	s_mov_b32 s43, s55
	s_add_u32 s34, s62, s34
	s_addc_u32 s35, s51, s35
	s_lshl_b64 s[78:79], s[42:43], 2
	s_mov_b32 s47, s55
	v_add_co_u32 v60, vcc_lo, v132, s78
	v_add_co_ci_u32_e32 v61, vcc_lo, s79, v133, vcc_lo
	s_lshl_b64 s[78:79], s[46:47], 2
	s_clause 0x3
	global_load_b128 v[48:51], v[60:61], off
	global_load_b128 v[52:55], v[60:61], off offset:512
	global_load_b128 v[56:59], v[60:61], off offset:1024
	;; [unrolled: 1-line block ×3, first 2 shown]
	v_add_co_u32 v64, vcc_lo, v134, s78
	v_add_co_ci_u32_e32 v65, vcc_lo, s79, v135, vcc_lo
	global_load_b32 v151, v82, s[34:35]
	s_and_not1_b32 vcc_lo, exec_lo, s39
	s_waitcnt vmcnt(4)
	ds_store_b128 v83, v[48:51]
	s_waitcnt vmcnt(3)
	ds_store_b128 v84, v[52:55] offset:512
	s_waitcnt vmcnt(2)
	ds_store_b128 v85, v[56:59] offset:1024
	;; [unrolled: 2-line block ×3, first 2 shown]
	; wave barrier
	s_clause 0x3
	global_load_b128 v[48:51], v[64:65], off
	global_load_b128 v[52:55], v[64:65], off offset:512
	global_load_b128 v[56:59], v[64:65], off offset:1024
	;; [unrolled: 1-line block ×3, first 2 shown]
	ds_load_b128 v[76:79], v87
	ds_load_b128 v[72:75], v87 offset:16
	ds_load_b128 v[68:71], v87 offset:32
	ds_load_b128 v[64:67], v87 offset:48
	s_waitcnt vmcnt(3)
	ds_store_b128 v83, v[48:51] offset:4224
	s_waitcnt vmcnt(2)
	ds_store_b128 v88, v[52:55] offset:512
	;; [unrolled: 2-line block ×4, first 2 shown]
	; wave barrier
	ds_load_b128 v[60:63], v87 offset:4224
	ds_load_b128 v[56:59], v91 offset:16
	;; [unrolled: 1-line block ×4, first 2 shown]
	s_cbranch_vccnz .LBB147_59
; %bb.58:                               ;   in Loop: Header=BB147_57 Depth=2
	v_mov_b32_e32 v80, s77
	ds_load_b64 v[80:81], v80
	s_cbranch_execz .LBB147_60
	s_branch .LBB147_63
.LBB147_59:                             ;   in Loop: Header=BB147_57 Depth=2
                                        ; implicit-def: $vgpr80
.LBB147_60:                             ;   in Loop: Header=BB147_57 Depth=2
	s_waitcnt lgkmcnt(0)
	v_mov_b32_e32 v81, 0
	s_and_not1_b32 vcc_lo, exec_lo, s56
	s_cbranch_vccnz .LBB147_62
; %bb.61:                               ;   in Loop: Header=BB147_57 Depth=2
	s_mov_b32 s49, s55
	s_delay_alu instid0(SALU_CYCLE_1) | instskip(NEXT) | instid1(SALU_CYCLE_1)
	s_lshl_b64 s[34:35], s[48:49], 2
	s_add_u32 s34, s65, s34
	s_addc_u32 s35, s66, s35
	global_load_b32 v81, v82, s[34:35]
.LBB147_62:                             ;   in Loop: Header=BB147_57 Depth=2
	v_mov_b32_e32 v80, 1.0
.LBB147_63:                             ;   in Loop: Header=BB147_57 Depth=2
	s_waitcnt lgkmcnt(11)
	v_dual_mul_f32 v165, 0x3fb8aa3b, v151 :: v_dual_mul_f32 v76, v76, v150
	v_dual_mul_f32 v77, v77, v149 :: v_dual_mul_f32 v78, v78, v148
	v_mul_f32_e32 v79, v79, v147
	s_delay_alu instid0(VALU_DEP_3)
	v_mul_f32_e32 v151, v165, v115
	v_mul_f32_e32 v154, v165, v117
	s_waitcnt lgkmcnt(10)
	v_dual_mul_f32 v157, v165, v119 :: v_dual_mul_f32 v72, v72, v146
	s_waitcnt lgkmcnt(9)
	v_dual_mul_f32 v159, v165, v122 :: v_dual_mul_f32 v70, v70, v140
	v_cmp_gt_f32_e32 vcc_lo, 0xc2fc0000, v151
	v_cndmask_b32_e64 v151, 0, v76, s16
	v_mul_f32_e32 v76, v165, v118
	v_cmp_gt_f32_e64 s34, 0xc2fc0000, v154
	v_mul_f32_e32 v166, v165, v127
	v_cndmask_b32_e64 v153, 0, 0x42800000, vcc_lo
	v_cndmask_b32_e64 v72, 0, v72, s20
	v_cmp_gt_f32_e64 s35, 0xc2fc0000, v76
	v_cndmask_b32_e64 v154, 0, 0x42800000, s34
	v_cndmask_b32_e64 v76, 0, v77, s17
	v_cndmask_b32_e64 v77, 1.0, 0x1f800000, vcc_lo
	v_cmp_gt_f32_e32 vcc_lo, 0xc2fc0000, v157
	v_cndmask_b32_e64 v155, 0, 0x42800000, s35
	v_fmac_f32_e32 v154, v165, v117
	v_cndmask_b32_e64 v157, 1.0, 0x1f800000, s35
	v_cndmask_b32_e64 v158, 1.0, 0x1f800000, s34
	v_cmp_gt_f32_e64 s34, 0xc2fc0000, v159
	v_fmac_f32_e32 v155, v165, v118
	v_exp_f32_e32 v154, v154
	v_fmac_f32_e32 v153, v165, v115
	s_waitcnt lgkmcnt(8)
	v_dual_mul_f32 v169, v165, v130 :: v_dual_mul_f32 v66, v66, v136
	v_exp_f32_e32 v155, v155
	v_mul_f32_e32 v152, v165, v116
	v_cndmask_b32_e64 v70, 0, v70, s26
	v_dual_mul_f32 v74, v74, v144 :: v_dual_mul_f32 v75, v75, v143
	s_delay_alu instid0(TRANS32_DEP_2) | instskip(SKIP_2) | instid1(VALU_DEP_3)
	v_dual_mul_f32 v71, v71, v139 :: v_dual_mul_f32 v154, v154, v158
	v_exp_f32_e32 v153, v153
	v_mul_f32_e32 v158, v165, v121
	v_cndmask_b32_e64 v74, 0, v74, s22
	s_delay_alu instid0(TRANS32_DEP_2)
	v_mul_f32_e32 v155, v155, v157
	v_cmp_gt_f32_e64 s33, 0xc2fc0000, v152
	v_cndmask_b32_e64 v154, 1.0, v154, s18
	v_cndmask_b32_e64 v75, 0, v75, s23
	v_cndmask_b32_e64 v71, 0, v71, s27
	v_mul_f32_e32 v68, v68, v142
	v_cndmask_b32_e64 v152, 0, 0x42800000, s33
	v_mul_f32_e32 v77, v153, v77
	v_cndmask_b32_e64 v156, 1.0, 0x1f800000, s33
	v_dual_mul_f32 v67, v67, v131 :: v_dual_mul_f32 v64, v64, v138
	s_delay_alu instid0(VALU_DEP_4) | instskip(NEXT) | instid1(VALU_DEP_4)
	v_fmac_f32_e32 v152, v165, v116
	v_cndmask_b32_e64 v153, 1.0, v77, s16
	v_cndmask_b32_e64 v77, 0, v78, s18
	v_mul_f32_e32 v78, v165, v120
	v_cndmask_b32_e64 v68, 0, v68, s24
	v_exp_f32_e32 v152, v152
	v_mul_f32_e32 v65, v65, v137
	s_delay_alu instid0(VALU_DEP_3) | instskip(SKIP_3) | instid1(VALU_DEP_4)
	v_cmp_gt_f32_e64 s33, 0xc2fc0000, v78
	v_cndmask_b32_e64 v78, 0, v79, s19
	v_cndmask_b32_e64 v79, 1.0, v155, s19
	v_cndmask_b32_e64 v155, 1.0, 0x1f800000, vcc_lo
	v_cndmask_b32_e64 v157, 0, 0x42800000, s33
	v_cndmask_b32_e64 v159, 1.0, 0x1f800000, s33
	s_delay_alu instid0(TRANS32_DEP_1) | instskip(SKIP_2) | instid1(VALU_DEP_3)
	v_mul_f32_e32 v152, v152, v156
	v_cndmask_b32_e64 v156, 0, 0x42800000, vcc_lo
	v_cmp_gt_f32_e32 vcc_lo, 0xc2fc0000, v158
	v_cndmask_b32_e64 v152, 1.0, v152, s17
	s_delay_alu instid0(VALU_DEP_3) | instskip(SKIP_1) | instid1(VALU_DEP_2)
	v_fmac_f32_e32 v156, v165, v119
	v_cndmask_b32_e64 v158, 0, 0x42800000, vcc_lo
	v_exp_f32_e32 v156, v156
	s_delay_alu instid0(VALU_DEP_1) | instskip(NEXT) | instid1(VALU_DEP_1)
	v_fmac_f32_e32 v158, v165, v121
	v_exp_f32_e32 v158, v158
	v_fmac_f32_e32 v157, v165, v120
	s_waitcnt_depctr 0xfff
	v_mul_f32_e32 v155, v156, v155
	v_exp_f32_e32 v156, v157
	v_cndmask_b32_e64 v157, 0, 0x42800000, s34
	s_delay_alu instid0(VALU_DEP_2) | instskip(SKIP_3) | instid1(VALU_DEP_2)
	v_cndmask_b32_e64 v155, 1.0, v155, s20
	s_waitcnt_depctr 0xfff
	v_dual_fmac_f32 v157, v165, v122 :: v_dual_mul_f32 v156, v156, v159
	v_cndmask_b32_e64 v159, 1.0, 0x1f800000, vcc_lo
	v_exp_f32_e32 v160, v157
	v_mul_f32_e32 v157, v165, v123
	s_delay_alu instid0(VALU_DEP_3) | instskip(NEXT) | instid1(VALU_DEP_3)
	v_cndmask_b32_e64 v156, 1.0, v156, s21
	v_mul_f32_e32 v158, v158, v159
	v_cndmask_b32_e64 v159, 1.0, 0x1f800000, s34
	v_mul_f32_e32 v73, v73, v145
	v_cmp_gt_f32_e32 vcc_lo, 0xc2fc0000, v157
	s_delay_alu instid0(VALU_DEP_4)
	v_cndmask_b32_e64 v157, 1.0, v158, s22
	s_delay_alu instid0(TRANS32_DEP_1) | instid1(VALU_DEP_4)
	v_dual_mul_f32 v158, v160, v159 :: v_dual_mul_f32 v159, v165, v124
	v_cndmask_b32_e64 v161, 0, 0x42800000, vcc_lo
	v_mul_f32_e32 v162, v165, v126
	v_cndmask_b32_e64 v163, 1.0, 0x1f800000, vcc_lo
	s_delay_alu instid0(VALU_DEP_4)
	v_cndmask_b32_e64 v158, 1.0, v158, s23
	v_cmp_gt_f32_e64 s33, 0xc2fc0000, v159
	v_fmac_f32_e32 v161, v165, v123
	v_mul_f32_e32 v160, v165, v125
	v_cmp_gt_f32_e32 vcc_lo, 0xc2fc0000, v162
	v_cndmask_b32_e64 v73, 0, v73, s21
	v_cndmask_b32_e64 v159, 0, 0x42800000, s33
	v_exp_f32_e32 v161, v161
	v_cmp_gt_f32_e64 s34, 0xc2fc0000, v160
	v_cndmask_b32_e64 v162, 0, 0x42800000, vcc_lo
	s_delay_alu instid0(VALU_DEP_3) | instskip(NEXT) | instid1(VALU_DEP_3)
	v_fmac_f32_e32 v159, v165, v124
	v_cndmask_b32_e64 v160, 0, 0x42800000, s34
	s_delay_alu instid0(VALU_DEP_3) | instskip(NEXT) | instid1(VALU_DEP_3)
	v_fmac_f32_e32 v162, v165, v126
	v_exp_f32_e32 v164, v159
	s_delay_alu instid0(TRANS32_DEP_2) | instskip(NEXT) | instid1(VALU_DEP_3)
	v_mul_f32_e32 v159, v161, v163
	v_fmac_f32_e32 v160, v165, v125
	v_cndmask_b32_e64 v161, 1.0, 0x1f800000, s33
	v_exp_f32_e32 v162, v162
	v_cndmask_b32_e64 v163, 1.0, 0x1f800000, s34
	v_cndmask_b32_e64 v159, 1.0, v159, s24
	v_exp_f32_e32 v160, v160
	s_delay_alu instid0(TRANS32_DEP_3)
	v_mul_f32_e32 v161, v164, v161
	v_cndmask_b32_e64 v164, 1.0, 0x1f800000, vcc_lo
	v_cmp_gt_f32_e32 vcc_lo, 0xc2fc0000, v166
	v_fma_f32 v166, v152, v151, v76
	s_delay_alu instid0(TRANS32_DEP_2) | instid1(VALU_DEP_3)
	v_mul_f32_e32 v162, v162, v164
	v_mul_f32_e32 v164, v152, v153
	s_delay_alu instid0(TRANS32_DEP_1)
	v_mul_f32_e32 v163, v160, v163
	v_cndmask_b32_e64 v160, 1.0, v161, s25
	v_fma_f32 v166, v166, v154, v77
	v_cndmask_b32_e64 v170, 1.0, v162, s27
	v_mul_f32_e32 v164, v164, v154
	v_cndmask_b32_e64 v161, 1.0, v163, s26
	v_cndmask_b32_e64 v163, 0, 0x42800000, vcc_lo
	v_cndmask_b32_e64 v162, 1.0, 0x1f800000, vcc_lo
	s_delay_alu instid0(VALU_DEP_4) | instskip(SKIP_2) | instid1(VALU_DEP_3)
	v_dual_mul_f32 v167, v165, v128 :: v_dual_mul_f32 v164, v164, v79
	v_mul_f32_e32 v69, v69, v141
	v_fma_f32 v166, v166, v79, v78
	v_cmp_gt_f32_e64 s33, 0xc2fc0000, v167
	s_delay_alu instid0(VALU_DEP_4) | instskip(SKIP_1) | instid1(VALU_DEP_4)
	v_mul_f32_e32 v164, v164, v155
	v_fmac_f32_e32 v163, v165, v127
	v_fma_f32 v166, v166, v155, v72
	v_cndmask_b32_e64 v69, 0, v69, s25
	v_cndmask_b32_e64 v167, 0, 0x42800000, s33
	v_mul_f32_e32 v168, v164, v156
	v_exp_f32_e32 v163, v163
	v_fma_f32 v166, v166, v156, v73
	s_delay_alu instid0(VALU_DEP_1)
	v_fma_f32 v166, v166, v157, v74
	s_waitcnt_depctr 0xfff
	v_mul_f32_e32 v163, v163, v162
	v_cndmask_b32_e64 v162, 0, v64, s28
	v_cndmask_b32_e64 v64, 1.0, 0x1f800000, s33
	v_cmp_gt_f32_e64 s33, 0xc2fc0000, v169
	v_fma_f32 v166, v166, v158, v75
	v_cndmask_b32_e64 v164, 1.0, v163, s28
	v_mul_f32_e32 v163, v168, v157
	v_mul_f32_e32 v168, v165, v129
	s_delay_alu instid0(VALU_DEP_4) | instskip(NEXT) | instid1(VALU_DEP_2)
	v_fma_f32 v166, v166, v159, v68
	v_cmp_gt_f32_e32 vcc_lo, 0xc2fc0000, v168
	s_delay_alu instid0(VALU_DEP_2) | instskip(SKIP_1) | instid1(VALU_DEP_1)
	v_fma_f32 v169, v166, v160, v69
	v_cndmask_b32_e64 v168, 0, 0x42800000, vcc_lo
	v_fmac_f32_e32 v168, v165, v129
	s_delay_alu instid0(VALU_DEP_1) | instskip(SKIP_1) | instid1(VALU_DEP_1)
	v_exp_f32_e32 v168, v168
	v_fmac_f32_e32 v167, v165, v128
	v_exp_f32_e32 v167, v167
	s_waitcnt_depctr 0xfff
	v_mul_f32_e32 v64, v167, v64
	v_mul_f32_e32 v167, v163, v158
	v_cndmask_b32_e64 v163, 0, v65, s29
	s_delay_alu instid0(VALU_DEP_3) | instskip(NEXT) | instid1(VALU_DEP_3)
	v_cndmask_b32_e64 v166, 1.0, v64, s29
	v_mul_f32_e32 v65, v167, v159
	v_cndmask_b32_e64 v167, 0, 0x42800000, s33
	s_delay_alu instid0(VALU_DEP_1) | instskip(SKIP_1) | instid1(VALU_DEP_2)
	v_fmac_f32_e32 v167, v165, v130
	v_cndmask_b32_e64 v165, 1.0, 0x1f800000, vcc_lo
	v_exp_f32_e32 v167, v167
	s_delay_alu instid0(VALU_DEP_1) | instskip(SKIP_3) | instid1(VALU_DEP_4)
	v_mul_f32_e32 v168, v168, v165
	v_cndmask_b32_e64 v165, 0, v66, s30
	v_cndmask_b32_e64 v66, 1.0, 0x1f800000, s33
	v_mul_f32_e32 v65, v65, v160
	v_cndmask_b32_e64 v168, 1.0, v168, s30
	s_waitcnt_depctr 0xfff
	v_mul_f32_e32 v66, v167, v66
	v_mul_f32_e32 v64, v65, v161
	v_fma_f32 v65, v169, v161, v70
	v_cndmask_b32_e64 v167, 0, v67, s31
	s_delay_alu instid0(VALU_DEP_4) | instskip(NEXT) | instid1(VALU_DEP_4)
	v_cndmask_b32_e64 v169, 1.0, v66, s31
	v_mul_f32_e32 v64, v64, v170
	s_delay_alu instid0(VALU_DEP_4) | instskip(NEXT) | instid1(VALU_DEP_2)
	v_fma_f32 v65, v65, v170, v71
	v_mul_f32_e32 v64, v64, v164
	s_delay_alu instid0(VALU_DEP_2) | instskip(NEXT) | instid1(VALU_DEP_2)
	v_fma_f32 v65, v65, v164, v162
	v_mul_f32_e32 v64, v64, v166
	s_delay_alu instid0(VALU_DEP_2) | instskip(NEXT) | instid1(VALU_DEP_2)
	;; [unrolled: 3-line block ×4, first 2 shown]
	v_fma_f32 v65, v65, v169, v167
	v_mov_b32_dpp v67, v64 row_shr:1 row_mask:0xf bank_mask:0xf
	s_delay_alu instid0(VALU_DEP_2)
	v_mov_b32_dpp v66, v65 row_shr:1 row_mask:0xf bank_mask:0xf
	s_and_saveexec_b32 s33, s4
; %bb.64:                               ;   in Loop: Header=BB147_57 Depth=2
	s_delay_alu instid0(VALU_DEP_2) | instskip(NEXT) | instid1(VALU_DEP_1)
	v_mul_f32_e32 v67, v64, v67
	v_dual_fmac_f32 v65, v64, v66 :: v_dual_mov_b32 v64, v67
; %bb.65:                               ;   in Loop: Header=BB147_57 Depth=2
	s_or_b32 exec_lo, exec_lo, s33
	s_delay_alu instid0(VALU_DEP_1) | instskip(NEXT) | instid1(VALU_DEP_2)
	v_mov_b32_dpp v66, v64 row_shr:2 row_mask:0xf bank_mask:0xf
	v_mov_b32_dpp v67, v65 row_shr:2 row_mask:0xf bank_mask:0xf
	s_and_saveexec_b32 s33, s5
; %bb.66:                               ;   in Loop: Header=BB147_57 Depth=2
	s_delay_alu instid0(VALU_DEP_1) | instskip(NEXT) | instid1(VALU_DEP_3)
	v_fmac_f32_e32 v65, v64, v67
	v_mul_f32_e32 v64, v64, v66
; %bb.67:                               ;   in Loop: Header=BB147_57 Depth=2
	s_or_b32 exec_lo, exec_lo, s33
	s_delay_alu instid0(VALU_DEP_1) | instskip(NEXT) | instid1(VALU_DEP_3)
	v_mov_b32_dpp v66, v64 row_shr:4 row_mask:0xf bank_mask:0xf
	v_mov_b32_dpp v67, v65 row_shr:4 row_mask:0xf bank_mask:0xf
	s_and_saveexec_b32 s33, s6
; %bb.68:                               ;   in Loop: Header=BB147_57 Depth=2
	s_delay_alu instid0(VALU_DEP_1) | instskip(NEXT) | instid1(VALU_DEP_3)
	v_fmac_f32_e32 v65, v64, v67
	v_mul_f32_e32 v64, v64, v66
; %bb.69:                               ;   in Loop: Header=BB147_57 Depth=2
	s_or_b32 exec_lo, exec_lo, s33
	s_delay_alu instid0(VALU_DEP_1) | instskip(NEXT) | instid1(VALU_DEP_3)
	v_mov_b32_dpp v66, v64 row_shr:8 row_mask:0xf bank_mask:0xf
	v_mov_b32_dpp v67, v65 row_shr:8 row_mask:0xf bank_mask:0xf
	s_and_saveexec_b32 s33, s7
; %bb.70:                               ;   in Loop: Header=BB147_57 Depth=2
	s_delay_alu instid0(VALU_DEP_1) | instskip(NEXT) | instid1(VALU_DEP_3)
	v_fmac_f32_e32 v65, v64, v67
	v_mul_f32_e32 v64, v64, v66
; %bb.71:                               ;   in Loop: Header=BB147_57 Depth=2
	s_or_b32 exec_lo, exec_lo, s33
	ds_swizzle_b32 v67, v64 offset:swizzle(BROADCAST,32,15)
	ds_swizzle_b32 v66, v65 offset:swizzle(BROADCAST,32,15)
	s_and_saveexec_b32 s33, s8
	s_cbranch_execz .LBB147_73
; %bb.72:                               ;   in Loop: Header=BB147_57 Depth=2
	s_waitcnt lgkmcnt(1)
	v_mul_f32_e32 v67, v64, v67
	s_waitcnt lgkmcnt(0)
	s_delay_alu instid0(VALU_DEP_1)
	v_dual_fmac_f32 v65, v64, v66 :: v_dual_mov_b32 v64, v67
.LBB147_73:                             ;   in Loop: Header=BB147_57 Depth=2
	s_or_b32 exec_lo, exec_lo, s33
	s_and_saveexec_b32 s33, s9
	s_cbranch_execz .LBB147_75
; %bb.74:                               ;   in Loop: Header=BB147_57 Depth=2
	ds_store_b64 v93, v[64:65] offset:8448
.LBB147_75:                             ;   in Loop: Header=BB147_57 Depth=2
	s_or_b32 exec_lo, exec_lo, s33
	s_waitcnt vmcnt(0) lgkmcnt(0)
	s_waitcnt_vscnt null, 0x0
	s_barrier
	buffer_gl0_inv
	s_and_saveexec_b32 s33, s10
	s_cbranch_execz .LBB147_77
; %bb.76:                               ;   in Loop: Header=BB147_57 Depth=2
	ds_load_b64 v[66:67], v94 offset:8448
	s_waitcnt lgkmcnt(0)
	v_mov_b32_dpp v171, v66 row_shr:1 row_mask:0xf bank_mask:0xf
	v_mov_b32_dpp v172, v67 row_shr:1 row_mask:0xf bank_mask:0xf
	s_delay_alu instid0(VALU_DEP_2) | instskip(NEXT) | instid1(VALU_DEP_2)
	v_mul_f32_e32 v171, v66, v171
	v_fma_f32 v172, v66, v172, v67
	s_delay_alu instid0(VALU_DEP_2) | instskip(NEXT) | instid1(VALU_DEP_2)
	v_cndmask_b32_e64 v66, v171, v66, s11
	v_cndmask_b32_e64 v67, v172, v67, s11
	ds_store_b64 v94, v[66:67] offset:8448
.LBB147_77:                             ;   in Loop: Header=BB147_57 Depth=2
	s_or_b32 exec_lo, exec_lo, s33
	s_waitcnt lgkmcnt(0)
	s_barrier
	buffer_gl0_inv
                                        ; implicit-def: $vgpr67
	s_and_saveexec_b32 s33, s13
	s_cbranch_execz .LBB147_79
; %bb.78:                               ;   in Loop: Header=BB147_57 Depth=2
	ds_load_b64 v[66:67], v93 offset:8440
	s_waitcnt lgkmcnt(0)
	v_mul_f32_e32 v171, v64, v66
	s_delay_alu instid0(VALU_DEP_1)
	v_dual_fmac_f32 v65, v64, v67 :: v_dual_mov_b32 v64, v171
.LBB147_79:                             ;   in Loop: Header=BB147_57 Depth=2
	s_or_b32 exec_lo, exec_lo, s33
	ds_bpermute_b32 v171, v95, v64
	ds_bpermute_b32 v172, v95, v65
	s_and_saveexec_b32 s33, s12
	s_cbranch_execz .LBB147_83
; %bb.80:                               ;   in Loop: Header=BB147_57 Depth=2
	ds_load_b64 v[64:65], v82 offset:8456
	s_and_saveexec_b32 s34, s14
	s_cbranch_execz .LBB147_82
; %bb.81:                               ;   in Loop: Header=BB147_57 Depth=2
	ds_store_b64 v82, v[80:81] offset:8456
.LBB147_82:                             ;   in Loop: Header=BB147_57 Depth=2
	s_or_b32 exec_lo, exec_lo, s34
	s_waitcnt lgkmcnt(0)
	v_fmac_f32_e32 v65, v81, v64
	s_delay_alu instid0(VALU_DEP_1)
	v_dual_mul_f32 v80, v80, v64 :: v_dual_mov_b32 v81, v65
.LBB147_83:                             ;   in Loop: Header=BB147_57 Depth=2
	s_or_b32 exec_lo, exec_lo, s33
	s_waitcnt lgkmcnt(0)
	s_barrier
	buffer_gl0_inv
	ds_load_b32 v64, v82 offset:8460
	s_and_saveexec_b32 s33, s14
	s_cbranch_execz .LBB147_56
; %bb.84:                               ;   in Loop: Header=BB147_57 Depth=2
	v_mov_b32_e32 v65, s77
	s_and_not1_b32 vcc_lo, exec_lo, s75
	ds_store_b64 v65, v[80:81]
	s_cbranch_vccnz .LBB147_56
; %bb.85:                               ;   in Loop: Header=BB147_57 Depth=2
	s_mov_b32 s49, s55
	s_delay_alu instid0(SALU_CYCLE_1) | instskip(NEXT) | instid1(SALU_CYCLE_1)
	s_lshl_b64 s[34:35], s[48:49], 2
	s_add_u32 s34, s65, s34
	s_addc_u32 s35, s66, s35
	global_store_b32 v82, v81, s[34:35]
	s_branch .LBB147_56
.LBB147_86:                             ;   in Loop: Header=BB147_12 Depth=1
	global_load_b128 v[28:31], v[32:33], off
	s_or_b32 exec_lo, exec_lo, s16
	s_and_saveexec_b32 s16, s1
	s_cbranch_execz .LBB147_14
.LBB147_87:                             ;   in Loop: Header=BB147_12 Depth=1
	global_load_b128 v[20:23], v[32:33], off offset:512
	s_or_b32 exec_lo, exec_lo, s16
	s_and_saveexec_b32 s16, s2
	s_cbranch_execz .LBB147_15
.LBB147_88:                             ;   in Loop: Header=BB147_12 Depth=1
	global_load_b128 v[16:19], v[32:33], off offset:1024
	s_or_b32 exec_lo, exec_lo, s16
	s_and_saveexec_b32 s16, s3
	s_cbranch_execnz .LBB147_16
	s_branch .LBB147_17
.LBB147_89:                             ;   in Loop: Header=BB147_12 Depth=1
	global_load_b128 v[24:27], v[32:33], off
	s_or_b32 exec_lo, exec_lo, s16
	s_and_saveexec_b32 s16, s1
	s_cbranch_execz .LBB147_19
.LBB147_90:                             ;   in Loop: Header=BB147_12 Depth=1
	global_load_b128 v[12:15], v[32:33], off offset:512
	s_or_b32 exec_lo, exec_lo, s16
	s_and_saveexec_b32 s16, s2
	s_cbranch_execz .LBB147_20
.LBB147_91:                             ;   in Loop: Header=BB147_12 Depth=1
	global_load_b128 v[4:7], v[32:33], off offset:1024
	s_or_b32 exec_lo, exec_lo, s16
	s_and_saveexec_b32 s16, s3
	s_cbranch_execnz .LBB147_21
	s_branch .LBB147_22
.LBB147_92:
	s_nop 0
	s_sendmsg sendmsg(MSG_DEALLOC_VGPRS)
	s_endpgm
	.section	.rodata,"a",@progbits
	.p2align	6, 0x0
	.amdhsa_kernel _Z25selective_scan_fwd_kernelI32Selective_Scan_fwd_kernel_traitsILi64ELi16ELi1ELb1ELb1ELb1ELb0ELb0EfffEEv13SSMParamsBase
		.amdhsa_group_segment_fixed_size 0
		.amdhsa_private_segment_fixed_size 0
		.amdhsa_kernarg_size 248
		.amdhsa_user_sgpr_count 14
		.amdhsa_user_sgpr_dispatch_ptr 0
		.amdhsa_user_sgpr_queue_ptr 0
		.amdhsa_user_sgpr_kernarg_segment_ptr 1
		.amdhsa_user_sgpr_dispatch_id 0
		.amdhsa_user_sgpr_private_segment_size 0
		.amdhsa_wavefront_size32 1
		.amdhsa_uses_dynamic_stack 0
		.amdhsa_enable_private_segment 0
		.amdhsa_system_sgpr_workgroup_id_x 1
		.amdhsa_system_sgpr_workgroup_id_y 1
		.amdhsa_system_sgpr_workgroup_id_z 0
		.amdhsa_system_sgpr_workgroup_info 0
		.amdhsa_system_vgpr_workitem_id 0
		.amdhsa_next_free_vgpr 173
		.amdhsa_next_free_sgpr 80
		.amdhsa_reserve_vcc 1
		.amdhsa_float_round_mode_32 0
		.amdhsa_float_round_mode_16_64 0
		.amdhsa_float_denorm_mode_32 3
		.amdhsa_float_denorm_mode_16_64 3
		.amdhsa_dx10_clamp 1
		.amdhsa_ieee_mode 1
		.amdhsa_fp16_overflow 0
		.amdhsa_workgroup_processor_mode 1
		.amdhsa_memory_ordered 1
		.amdhsa_forward_progress 0
		.amdhsa_shared_vgpr_count 0
		.amdhsa_exception_fp_ieee_invalid_op 0
		.amdhsa_exception_fp_denorm_src 0
		.amdhsa_exception_fp_ieee_div_zero 0
		.amdhsa_exception_fp_ieee_overflow 0
		.amdhsa_exception_fp_ieee_underflow 0
		.amdhsa_exception_fp_ieee_inexact 0
		.amdhsa_exception_int_div_zero 0
	.end_amdhsa_kernel
	.section	.text._Z25selective_scan_fwd_kernelI32Selective_Scan_fwd_kernel_traitsILi64ELi16ELi1ELb1ELb1ELb1ELb0ELb0EfffEEv13SSMParamsBase,"axG",@progbits,_Z25selective_scan_fwd_kernelI32Selective_Scan_fwd_kernel_traitsILi64ELi16ELi1ELb1ELb1ELb1ELb0ELb0EfffEEv13SSMParamsBase,comdat
.Lfunc_end147:
	.size	_Z25selective_scan_fwd_kernelI32Selective_Scan_fwd_kernel_traitsILi64ELi16ELi1ELb1ELb1ELb1ELb0ELb0EfffEEv13SSMParamsBase, .Lfunc_end147-_Z25selective_scan_fwd_kernelI32Selective_Scan_fwd_kernel_traitsILi64ELi16ELi1ELb1ELb1ELb1ELb0ELb0EfffEEv13SSMParamsBase
                                        ; -- End function
	.section	.AMDGPU.csdata,"",@progbits
; Kernel info:
; codeLenInByte = 17600
; NumSgprs: 82
; NumVgprs: 173
; ScratchSize: 0
; MemoryBound: 1
; FloatMode: 240
; IeeeMode: 1
; LDSByteSize: 0 bytes/workgroup (compile time only)
; SGPRBlocks: 10
; VGPRBlocks: 21
; NumSGPRsForWavesPerEU: 82
; NumVGPRsForWavesPerEU: 173
; Occupancy: 8
; WaveLimiterHint : 1
; COMPUTE_PGM_RSRC2:SCRATCH_EN: 0
; COMPUTE_PGM_RSRC2:USER_SGPR: 14
; COMPUTE_PGM_RSRC2:TRAP_HANDLER: 0
; COMPUTE_PGM_RSRC2:TGID_X_EN: 1
; COMPUTE_PGM_RSRC2:TGID_Y_EN: 1
; COMPUTE_PGM_RSRC2:TGID_Z_EN: 0
; COMPUTE_PGM_RSRC2:TIDIG_COMP_CNT: 0
	.section	.text._Z25selective_scan_fwd_kernelI32Selective_Scan_fwd_kernel_traitsILi64ELi16ELi1ELb0ELb1ELb1ELb1ELb1EfffEEv13SSMParamsBase,"axG",@progbits,_Z25selective_scan_fwd_kernelI32Selective_Scan_fwd_kernel_traitsILi64ELi16ELi1ELb0ELb1ELb1ELb1ELb1EfffEEv13SSMParamsBase,comdat
	.protected	_Z25selective_scan_fwd_kernelI32Selective_Scan_fwd_kernel_traitsILi64ELi16ELi1ELb0ELb1ELb1ELb1ELb1EfffEEv13SSMParamsBase ; -- Begin function _Z25selective_scan_fwd_kernelI32Selective_Scan_fwd_kernel_traitsILi64ELi16ELi1ELb0ELb1ELb1ELb1ELb1EfffEEv13SSMParamsBase
	.globl	_Z25selective_scan_fwd_kernelI32Selective_Scan_fwd_kernel_traitsILi64ELi16ELi1ELb0ELb1ELb1ELb1ELb1EfffEEv13SSMParamsBase
	.p2align	8
	.type	_Z25selective_scan_fwd_kernelI32Selective_Scan_fwd_kernel_traitsILi64ELi16ELi1ELb0ELb1ELb1ELb1ELb1EfffEEv13SSMParamsBase,@function
_Z25selective_scan_fwd_kernelI32Selective_Scan_fwd_kernel_traitsILi64ELi16ELi1ELb0ELb1ELb1ELb1ELb1EfffEEv13SSMParamsBase: ; @_Z25selective_scan_fwd_kernelI32Selective_Scan_fwd_kernel_traitsILi64ELi16ELi1ELb0ELb1ELb1ELb1ELb1EfffEEv13SSMParamsBase
; %bb.0:
	s_clause 0x2
	s_load_b32 s11, s[0:1], 0x18
	s_load_b256 s[36:43], s[0:1], 0xc8
	s_load_b128 s[4:7], s[0:1], 0xe8
	s_mov_b32 s12, s15
	s_ashr_i32 s15, s14, 31
	s_mov_b32 s49, 0
	s_lshl_b64 s[8:9], s[14:15], 2
	s_waitcnt lgkmcnt(0)
	s_abs_i32 s10, s11
	s_add_u32 s2, s42, s8
	v_cvt_f32_u32_e32 v1, s10
	s_addc_u32 s3, s43, s9
	s_cmp_eq_u64 s[6:7], 0
	s_delay_alu instid0(VALU_DEP_1) | instskip(SKIP_2) | instid1(VALU_DEP_1)
	v_rcp_iflag_f32_e32 v1, v1
	s_waitcnt_depctr 0xfff
	v_mul_f32_e32 v1, 0x4f7ffffe, v1
	v_cvt_u32_f32_e32 v1, v1
	s_delay_alu instid0(VALU_DEP_1)
	v_readfirstlane_b32 s33, v1
	s_cbranch_scc1 .LBB148_2
; %bb.1:
	v_mov_b32_e32 v1, 0
	s_add_u32 s6, s6, s14
	s_addc_u32 s7, s7, s15
	global_load_u8 v1, v1, s[6:7]
	s_waitcnt vmcnt(0)
	v_and_b32_e32 v1, 1, v1
	s_delay_alu instid0(VALU_DEP_1)
	v_cmp_eq_u32_e64 s49, 1, v1
.LBB148_2:
	s_load_b64 s[6:7], s[0:1], 0x20
	s_cmp_eq_u64 s[4:5], 0
	s_cbranch_scc1 .LBB148_4
; %bb.3:
	s_add_u32 s4, s4, s8
	s_addc_u32 s5, s5, s9
	s_load_b32 s14, s[4:5], 0x0
	s_waitcnt lgkmcnt(0)
	s_ashr_i32 s15, s14, 31
.LBB148_4:
	s_waitcnt lgkmcnt(0)
	s_cmp_eq_u64 s[6:7], s[14:15]
	s_cbranch_scc1 .LBB148_300
; %bb.5:
	s_load_b512 s[16:31], s[0:1], 0x88
	s_load_b64 s[34:35], s[2:3], 0x0
	s_mov_b32 s84, 0
	s_mov_b32 s85, 0
	s_waitcnt lgkmcnt(0)
	s_cmp_eq_u64 s[22:23], 0
	s_cbranch_scc1 .LBB148_7
; %bb.6:
	s_ashr_i32 s13, s12, 31
	s_delay_alu instid0(SALU_CYCLE_1) | instskip(NEXT) | instid1(SALU_CYCLE_1)
	s_lshl_b64 s[2:3], s[12:13], 2
	s_add_u32 s2, s22, s2
	s_addc_u32 s3, s23, s3
	s_load_b32 s85, s[2:3], 0x0
.LBB148_7:
	s_cmp_eq_u64 s[28:29], 0
	s_cbranch_scc1 .LBB148_9
; %bb.8:
	s_ashr_i32 s13, s12, 31
	s_delay_alu instid0(SALU_CYCLE_1) | instskip(NEXT) | instid1(SALU_CYCLE_1)
	s_lshl_b64 s[2:3], s[12:13], 2
	s_add_u32 s2, s28, s2
	s_addc_u32 s3, s29, s3
	s_load_b32 s84, s[2:3], 0x0
.LBB148_9:
	s_sub_i32 s86, s35, s34
	s_delay_alu instid0(SALU_CYCLE_1)
	s_cmp_lt_i32 s86, 1
	s_cbranch_scc1 .LBB148_300
; %bb.10:
	s_sub_i32 s2, 0, s10
	s_load_b256 s[68:75], s[0:1], 0x4c
	s_mul_i32 s2, s2, s33
	s_abs_i32 s3, s12
	s_mul_hi_u32 s2, s33, s2
	s_ashr_i32 s5, s11, 31
	s_add_i32 s33, s33, s2
	s_ashr_i32 s2, s12, 31
	s_mul_hi_u32 s4, s3, s33
	s_xor_b32 s5, s2, s5
	s_mul_i32 s6, s4, s10
	s_load_b256 s[76:83], s[0:1], 0x2c
	s_sub_i32 s2, s3, s6
	s_add_i32 s3, s4, 1
	s_sub_i32 s6, s2, s10
	s_cmp_ge_u32 s2, s10
	s_mov_b32 s53, 0
	s_cselect_b32 s3, s3, s4
	s_cselect_b32 s2, s6, s2
	s_add_i32 s4, s3, 1
	s_cmp_ge_u32 s2, s10
	s_waitcnt lgkmcnt(0)
	s_mul_i32 s52, s34, s70
	s_cselect_b32 s4, s4, s3
	s_lshl_b64 s[2:3], s[52:53], 2
	s_xor_b32 s4, s4, s5
	s_mul_i32 s52, s71, s12
	s_sub_i32 s6, s4, s5
	s_add_u32 s4, s24, s2
	s_addc_u32 s5, s25, s3
	s_lshl_b64 s[2:3], s[52:53], 2
	s_mul_i32 s52, s34, s72
	s_add_u32 s70, s4, s2
	s_addc_u32 s71, s5, s3
	s_lshl_b64 s[2:3], s[52:53], 2
	s_mul_i32 s52, s73, s12
	;; [unrolled: 4-line block ×3, first 2 shown]
	s_add_u32 s72, s4, s2
	s_addc_u32 s73, s5, s3
	s_load_b64 s[4:5], s[0:1], 0x7c
	s_lshl_b64 s[2:3], s[52:53], 2
	s_mul_i32 s52, s34, s78
	s_add_u32 s76, s16, s2
	v_dual_mov_b32 v1, 0 :: v_dual_lshlrev_b32 v36, 4, v0
	s_addc_u32 s78, s17, s3
	s_lshl_b64 s[2:3], s[52:53], 2
	s_mul_i32 s52, s6, s81
	s_add_u32 s7, s18, s2
	s_addc_u32 s8, s19, s3
	s_clause 0x3
	s_load_b128 s[16:19], s[0:1], 0x6c
	s_load_b32 s83, s[0:1], 0x84
	s_load_b32 s89, s[0:1], 0xc
	;; [unrolled: 1-line block ×3, first 2 shown]
	v_mbcnt_lo_u32_b32 v37, -1, 0
	v_and_b32_e32 v2, 0x200, v36
	s_lshl_b64 s[2:3], s[52:53], 2
	s_mul_i32 s52, s34, s82
	s_add_u32 s79, s7, s2
	s_addc_u32 s81, s8, s3
	s_lshl_b64 s[2:3], s[52:53], 2
	s_mul_i32 s52, s6, s69
	v_or_b32_e32 v38, v37, v2
	s_add_u32 s7, s20, s2
	s_addc_u32 s6, s21, s3
	s_lshl_b64 s[2:3], s[52:53], 2
	s_waitcnt lgkmcnt(0)
	s_mul_i32 s52, s14, s4
	s_add_u32 s69, s7, s2
	s_addc_u32 s82, s6, s3
	s_lshl_b64 s[2:3], s[52:53], 2
	v_or_b32_e32 v39, 32, v38
	v_lshrrev_b32_e32 v3, 5, v2
	v_and_b32_e32 v15, 32, v0
	s_mul_i32 s52, s5, s12
	s_add_u32 s4, s36, s2
	s_addc_u32 s5, s37, s3
	s_lshl_b64 s[2:3], s[52:53], 2
	v_or_b32_e32 v40, 64, v38
	s_add_u32 s87, s4, s2
	v_or_b32_e32 v41, 0x60, v38
	v_or_b32_e32 v42, 0x80, v38
	;; [unrolled: 1-line block ×11, first 2 shown]
	v_add_nc_u32_e32 v3, v3, v38
	v_lshrrev_b32_e32 v4, 5, v39
	v_or_b32_e32 v52, 0x1c0, v38
	v_or_b32_e32 v53, 0x1e0, v38
	;; [unrolled: 1-line block ×3, first 2 shown]
	s_addc_u32 s88, s5, s3
	s_add_i32 s2, s86, 0x7ff
	v_lshrrev_b32_e32 v5, 5, v40
	s_lshr_b32 s90, s2, 11
	s_bitcmp1_b32 s0, 0
	v_lshl_add_u32 v54, v3, 2, 0
	v_add_lshl_u32 v3, v4, v38, 2
	v_lshrrev_b32_e32 v4, 5, v41
	v_lshrrev_b32_e32 v6, 5, v42
	;; [unrolled: 1-line block ×13, first 2 shown]
	v_lshlrev_b32_e32 v20, 4, v18
	v_bfe_u32 v18, v18, 1, 27
	s_cselect_b32 s91, -1, 0
	s_cmp_gt_i32 s89, 0
	v_add_lshl_u32 v5, v5, v38, 2
	s_cselect_b32 s92, -1, 0
	s_add_i32 s0, 0, 0x1080
	v_add_nc_u32_e32 v55, 0, v3
	v_add_lshl_u32 v4, v4, v38, 2
	v_add_lshl_u32 v6, v6, v38, 2
	;; [unrolled: 1-line block ×14, first 2 shown]
	v_add_nc_u32_e32 v71, s0, v3
	v_and_b32_e32 v3, 15, v37
	s_and_b32 s1, s86, 0x3ff
	v_add_nc_u32_e32 v72, s0, v5
	v_add_nc_u32_e32 v73, s0, v4
	;; [unrolled: 1-line block ×14, first 2 shown]
	s_cmp_eq_u32 s1, 0
	v_add_nc_u32_e32 v86, s0, v18
	v_cmp_ne_u32_e64 s0, 0, v3
	v_cmp_lt_u32_e64 s1, 1, v3
	v_cmp_lt_u32_e64 s2, 3, v3
	v_cmp_lt_u32_e64 s3, 7, v3
	v_add_nc_u32_e32 v3, -1, v37
	v_add_nc_u32_e32 v57, 0, v4
	v_lshrrev_b32_e32 v4, 2, v0
	s_mul_i32 s52, s34, s16
	s_cselect_b32 s93, -1, 0
	v_cmp_gt_i32_e32 vcc_lo, 0, v3
	s_lshl_b64 s[14:15], s[52:53], 2
	v_and_b32_e32 v4, 8, v4
	s_add_i32 s94, s90, -1
	s_mul_i32 s52, s17, s12
	v_cndmask_b32_e32 v3, v3, v37, vcc_lo
	s_add_u32 s13, s30, s14
	s_addc_u32 s16, s31, s15
	s_lshl_b64 s[14:15], s[52:53], 2
	v_add_nc_u32_e32 v58, 0, v6
	v_or_b32_e32 v6, 31, v15
	v_lshlrev_b32_e32 v89, 2, v3
	s_mul_i32 s52, s34, s74
	v_lshlrev_b32_e32 v3, 2, v37
	v_add_nc_u32_e32 v56, 0, v5
	v_and_b32_e32 v5, 16, v37
	s_add_u32 s13, s13, s14
	v_add_nc_u32_e32 v87, 0, v4
	v_and_b32_e32 v4, 1, v37
	s_addc_u32 s16, s16, s15
	s_lshl_b64 s[14:15], s[52:53], 2
	s_mul_i32 s52, s75, s12
	s_add_u32 s17, s38, s14
	v_cmp_eq_u32_e64 s5, v6, v0
	v_cmp_gt_u32_e64 s6, 2, v0
	v_lshl_add_u32 v88, v0, 3, 0
	v_cmp_gt_u32_e64 s8, 32, v0
	v_cmp_lt_u32_e64 s9, 31, v0
	v_cmp_eq_u32_e64 s10, 0, v0
	s_addc_u32 s20, s39, s15
	s_lshl_b64 s[14:15], s[52:53], 2
	v_add_co_u32 v0, s13, s13, v3
	v_cmp_ne_u32_e64 s4, 0, v5
	s_mul_i32 s52, s34, s18
	v_lshlrev_b32_e32 v5, 2, v2
	v_cmp_eq_u32_e64 s7, 0, v4
	v_add_co_ci_u32_e64 v4, null, s16, 0, s13
	s_add_u32 s16, s17, s14
	s_addc_u32 s17, s20, s15
	s_lshl_b64 s[14:15], s[52:53], 2
	s_mul_i32 s52, s19, s12
	s_add_u32 s14, s40, s14
	s_addc_u32 s15, s41, s15
	s_lshl_b64 s[12:13], s[52:53], 2
	v_add_co_u32 v0, vcc_lo, v0, v5
	v_add_co_ci_u32_e32 v90, vcc_lo, 0, v4, vcc_lo
	s_add_u32 s12, s14, s12
	v_add_co_u32 v4, s14, s16, v3
	s_delay_alu instid0(VALU_DEP_1)
	v_add_co_ci_u32_e64 v6, null, s17, 0, s14
	s_addc_u32 s13, s15, s13
	v_add_co_u32 v3, s12, s12, v3
	v_add_nc_u32_e32 v59, 0, v7
	v_add_co_ci_u32_e64 v7, null, s13, 0, s12
	v_add_co_u32 v91, vcc_lo, v4, v5
	v_add_co_ci_u32_e32 v92, vcc_lo, 0, v6, vcc_lo
	v_add_co_u32 v93, vcc_lo, v3, v5
	v_add_nc_u32_e32 v60, 0, v8
	v_add_nc_u32_e32 v61, 0, v9
	;; [unrolled: 1-line block ×11, first 2 shown]
	v_cmp_eq_u32_e64 s11, 0, v37
	v_add_co_ci_u32_e32 v94, vcc_lo, 0, v7, vcc_lo
	v_or_b32_e32 v95, 1, v36
	v_or_b32_e32 v96, 2, v36
	;; [unrolled: 1-line block ×15, first 2 shown]
	v_lshlrev_b32_e32 v110, 2, v2
	s_mov_b32 s74, 0x3e9b6dac
	s_add_i32 s75, 0, 0x2110
	s_mov_b32 s95, 0
	s_branch .LBB148_12
.LBB148_11:                             ;   in Loop: Header=BB148_12 Depth=1
	s_or_b32 exec_lo, exec_lo, s12
	s_add_u32 s72, s72, 0x1000
	s_addc_u32 s73, s73, 0
	s_add_u32 s70, s70, 0x1000
	s_addc_u32 s71, s71, 0
	s_add_u32 s79, s79, 0x1000
	s_addc_u32 s81, s81, 0
	s_add_u32 s69, s69, 0x1000
	s_addc_u32 s82, s82, 0
	s_add_i32 s95, s95, 1
	s_delay_alu instid0(SALU_CYCLE_1)
	s_cmp_lg_u32 s95, s90
	s_cbranch_scc0 .LBB148_300
.LBB148_12:                             ; =>This Loop Header: Depth=1
                                        ;     Child Loop BB148_109 Depth 2
	v_lshlrev_b32_e32 v34, 2, v37
	s_lshl_b32 s50, s95, 10
	s_waitcnt lgkmcnt(0)
	v_mov_b32_e32 v4, 0
	s_sub_i32 s40, s86, s50
	v_add_co_u32 v2, s12, s70, v34
	s_delay_alu instid0(VALU_DEP_1) | instskip(SKIP_1) | instid1(VALU_DEP_3)
	v_add_co_ci_u32_e64 v3, null, s71, 0, s12
	v_cmp_gt_u32_e64 s12, s40, v38
	v_add_co_u32 v2, vcc_lo, v2, v110
	s_delay_alu instid0(VALU_DEP_3)
	v_add_co_ci_u32_e32 v3, vcc_lo, 0, v3, vcc_lo
	s_waitcnt_vscnt null, 0x0
	s_barrier
	buffer_gl0_inv
	s_and_saveexec_b32 s13, s12
	s_cbranch_execz .LBB148_14
; %bb.13:                               ;   in Loop: Header=BB148_12 Depth=1
	global_load_b32 v4, v[2:3], off
.LBB148_14:                             ;   in Loop: Header=BB148_12 Depth=1
	s_or_b32 exec_lo, exec_lo, s13
	v_cmp_gt_u32_e64 s13, s40, v39
	v_dual_mov_b32 v5, 0 :: v_dual_mov_b32 v6, 0
	s_delay_alu instid0(VALU_DEP_2)
	s_and_saveexec_b32 s14, s13
	s_cbranch_execz .LBB148_16
; %bb.15:                               ;   in Loop: Header=BB148_12 Depth=1
	global_load_b32 v6, v[2:3], off offset:128
.LBB148_16:                             ;   in Loop: Header=BB148_12 Depth=1
	s_or_b32 exec_lo, exec_lo, s14
	v_cmp_gt_u32_e64 s14, s40, v40
	s_delay_alu instid0(VALU_DEP_1)
	s_and_saveexec_b32 s15, s14
	s_cbranch_execz .LBB148_18
; %bb.17:                               ;   in Loop: Header=BB148_12 Depth=1
	global_load_b32 v5, v[2:3], off offset:256
.LBB148_18:                             ;   in Loop: Header=BB148_12 Depth=1
	s_or_b32 exec_lo, exec_lo, s15
	v_cmp_gt_u32_e64 s15, s40, v41
	v_dual_mov_b32 v7, 0 :: v_dual_mov_b32 v8, 0
	s_delay_alu instid0(VALU_DEP_2)
	s_and_saveexec_b32 s16, s15
	s_cbranch_execz .LBB148_20
; %bb.19:                               ;   in Loop: Header=BB148_12 Depth=1
	global_load_b32 v8, v[2:3], off offset:384
.LBB148_20:                             ;   in Loop: Header=BB148_12 Depth=1
	s_or_b32 exec_lo, exec_lo, s16
	v_cmp_gt_u32_e64 s16, s40, v42
	s_delay_alu instid0(VALU_DEP_1)
	s_and_saveexec_b32 s17, s16
	s_cbranch_execz .LBB148_22
; %bb.21:                               ;   in Loop: Header=BB148_12 Depth=1
	global_load_b32 v7, v[2:3], off offset:512
.LBB148_22:                             ;   in Loop: Header=BB148_12 Depth=1
	;; [unrolled: 17-line block ×7, first 2 shown]
	s_or_b32 exec_lo, exec_lo, s27
	v_cmp_gt_u32_e64 s27, s40, v53
	v_dual_mov_b32 v20, 0 :: v_dual_mov_b32 v19, 0
	s_delay_alu instid0(VALU_DEP_2)
	s_and_saveexec_b32 s28, s27
	s_cbranch_execz .LBB148_44
; %bb.43:                               ;   in Loop: Header=BB148_12 Depth=1
	global_load_b32 v19, v[2:3], off offset:1920
.LBB148_44:                             ;   in Loop: Header=BB148_12 Depth=1
	s_or_b32 exec_lo, exec_lo, s28
	s_waitcnt vmcnt(0)
	ds_store_b32 v54, v4
	ds_store_b32 v55, v6 offset:128
	ds_store_b32 v56, v5 offset:256
	;; [unrolled: 1-line block ×15, first 2 shown]
	; wave barrier
	ds_load_2addr_b32 v[2:3], v70 offset1:1
	ds_load_2addr_b32 v[4:5], v70 offset0:2 offset1:3
	ds_load_2addr_b32 v[6:7], v70 offset0:4 offset1:5
	;; [unrolled: 1-line block ×7, first 2 shown]
	v_add_co_u32 v18, s28, s72, v34
	s_delay_alu instid0(VALU_DEP_1) | instskip(SKIP_1) | instid1(VALU_DEP_2)
	v_add_co_ci_u32_e64 v19, null, s73, 0, s28
	s_waitcnt lgkmcnt(0)
	v_add_co_u32 v18, vcc_lo, v18, v110
	s_delay_alu instid0(VALU_DEP_2)
	v_add_co_ci_u32_e32 v19, vcc_lo, 0, v19, vcc_lo
	s_barrier
	buffer_gl0_inv
	s_and_saveexec_b32 s28, s12
	s_cbranch_execz .LBB148_46
; %bb.45:                               ;   in Loop: Header=BB148_12 Depth=1
	global_load_b32 v20, v[18:19], off
.LBB148_46:                             ;   in Loop: Header=BB148_12 Depth=1
	s_or_b32 exec_lo, exec_lo, s28
	v_dual_mov_b32 v21, 0 :: v_dual_mov_b32 v22, 0
	s_and_saveexec_b32 s28, s13
	s_cbranch_execz .LBB148_48
; %bb.47:                               ;   in Loop: Header=BB148_12 Depth=1
	global_load_b32 v22, v[18:19], off offset:128
.LBB148_48:                             ;   in Loop: Header=BB148_12 Depth=1
	s_or_b32 exec_lo, exec_lo, s28
	s_and_saveexec_b32 s28, s14
	s_cbranch_execz .LBB148_50
; %bb.49:                               ;   in Loop: Header=BB148_12 Depth=1
	global_load_b32 v21, v[18:19], off offset:256
.LBB148_50:                             ;   in Loop: Header=BB148_12 Depth=1
	s_or_b32 exec_lo, exec_lo, s28
	v_dual_mov_b32 v23, 0 :: v_dual_mov_b32 v24, 0
	s_and_saveexec_b32 s28, s15
	s_cbranch_execz .LBB148_52
; %bb.51:                               ;   in Loop: Header=BB148_12 Depth=1
	global_load_b32 v24, v[18:19], off offset:384
.LBB148_52:                             ;   in Loop: Header=BB148_12 Depth=1
	s_or_b32 exec_lo, exec_lo, s28
	s_and_saveexec_b32 s28, s16
	s_cbranch_execz .LBB148_54
; %bb.53:                               ;   in Loop: Header=BB148_12 Depth=1
	global_load_b32 v23, v[18:19], off offset:512
.LBB148_54:                             ;   in Loop: Header=BB148_12 Depth=1
	;; [unrolled: 13-line block ×6, first 2 shown]
	s_or_b32 exec_lo, exec_lo, s28
	v_mov_b32_e32 v33, 0
	v_mov_b32_e32 v35, 0
	s_and_saveexec_b32 s28, s25
	s_cbranch_execnz .LBB148_252
; %bb.71:                               ;   in Loop: Header=BB148_12 Depth=1
	s_or_b32 exec_lo, exec_lo, s28
	s_and_saveexec_b32 s28, s26
	s_cbranch_execnz .LBB148_253
.LBB148_72:                             ;   in Loop: Header=BB148_12 Depth=1
	s_or_b32 exec_lo, exec_lo, s28
	v_mov_b32_e32 v111, 0
	s_and_saveexec_b32 s28, s27
	s_cbranch_execz .LBB148_74
.LBB148_73:                             ;   in Loop: Header=BB148_12 Depth=1
	global_load_b32 v111, v[18:19], off offset:1920
.LBB148_74:                             ;   in Loop: Header=BB148_12 Depth=1
	s_or_b32 exec_lo, exec_lo, s28
	s_waitcnt vmcnt(0)
	ds_store_b32 v54, v20
	ds_store_b32 v55, v22 offset:128
	ds_store_b32 v56, v21 offset:256
	;; [unrolled: 1-line block ×15, first 2 shown]
	; wave barrier
	ds_load_2addr_b32 v[32:33], v70 offset1:1
	ds_load_2addr_b32 v[30:31], v70 offset0:2 offset1:3
	ds_load_2addr_b32 v[28:29], v70 offset0:4 offset1:5
	;; [unrolled: 1-line block ×7, first 2 shown]
	s_waitcnt lgkmcnt(7)
	v_add_f32_e32 v111, s84, v32
	s_delay_alu instid0(VALU_DEP_1) | instskip(SKIP_1) | instid1(SALU_CYCLE_1)
	v_cmp_ge_f32_e32 vcc_lo, 0x41a00000, v111
	s_and_b32 s28, s91, vcc_lo
	s_and_saveexec_b32 s29, s28
	s_cbranch_execz .LBB148_76
; %bb.75:                               ;   in Loop: Header=BB148_12 Depth=1
	v_mul_f32_e32 v32, 0x3fb8aa3b, v111
	v_cmp_ngt_f32_e32 vcc_lo, 0xc2ce8ed0, v111
	s_delay_alu instid0(VALU_DEP_2) | instskip(SKIP_1) | instid1(VALU_DEP_2)
	v_rndne_f32_e32 v35, v32
	v_fma_f32 v112, 0x3fb8aa3b, v111, -v32
	v_sub_f32_e32 v32, v32, v35
	s_delay_alu instid0(VALU_DEP_2) | instskip(SKIP_1) | instid1(VALU_DEP_2)
	v_fmac_f32_e32 v112, 0x32a5705f, v111
	v_cvt_i32_f32_e32 v35, v35
	v_add_f32_e32 v32, v32, v112
	s_delay_alu instid0(VALU_DEP_1) | instskip(SKIP_2) | instid1(VALU_DEP_1)
	v_exp_f32_e32 v32, v32
	s_waitcnt_depctr 0xfff
	v_ldexp_f32 v32, v32, v35
	v_cndmask_b32_e32 v32, 0, v32, vcc_lo
	v_cmp_nlt_f32_e32 vcc_lo, 0x42b17218, v111
	s_delay_alu instid0(VALU_DEP_2) | instskip(NEXT) | instid1(VALU_DEP_1)
	v_cndmask_b32_e32 v32, 0x7f800000, v32, vcc_lo
	v_add_f32_e32 v35, 1.0, v32
	s_delay_alu instid0(VALU_DEP_1) | instskip(NEXT) | instid1(VALU_DEP_1)
	v_cvt_f64_f32_e32 v[111:112], v35
	v_frexp_exp_i32_f64_e32 v111, v[111:112]
	v_frexp_mant_f32_e32 v112, v35
	s_delay_alu instid0(VALU_DEP_1) | instskip(SKIP_1) | instid1(VALU_DEP_1)
	v_cmp_gt_f32_e32 vcc_lo, 0x3f2aaaab, v112
	v_add_f32_e32 v112, -1.0, v35
	v_sub_f32_e32 v114, v112, v35
	v_sub_f32_e32 v112, v32, v112
	s_delay_alu instid0(VALU_DEP_2) | instskip(NEXT) | instid1(VALU_DEP_1)
	v_add_f32_e32 v114, 1.0, v114
	v_add_f32_e32 v112, v112, v114
	v_subrev_co_ci_u32_e32 v111, vcc_lo, 0, v111, vcc_lo
	s_delay_alu instid0(VALU_DEP_1) | instskip(SKIP_1) | instid1(VALU_DEP_2)
	v_sub_nc_u32_e32 v113, 0, v111
	v_cvt_f32_i32_e32 v111, v111
	v_ldexp_f32 v35, v35, v113
	v_ldexp_f32 v112, v112, v113
	s_delay_alu instid0(VALU_DEP_2) | instskip(SKIP_1) | instid1(VALU_DEP_2)
	v_add_f32_e32 v115, 1.0, v35
	v_add_f32_e32 v113, -1.0, v35
	v_add_f32_e32 v114, -1.0, v115
	s_delay_alu instid0(VALU_DEP_2) | instskip(NEXT) | instid1(VALU_DEP_2)
	v_add_f32_e32 v116, 1.0, v113
	v_sub_f32_e32 v114, v35, v114
	s_delay_alu instid0(VALU_DEP_1) | instskip(NEXT) | instid1(VALU_DEP_1)
	v_dual_sub_f32 v35, v35, v116 :: v_dual_add_f32 v114, v112, v114
	v_add_f32_e32 v35, v112, v35
	v_cmp_eq_f32_e32 vcc_lo, 0x7f800000, v32
	v_cmp_gt_f32_e64 s28, 0x33800000, v32
	s_delay_alu instid0(VALU_DEP_3) | instskip(NEXT) | instid1(VALU_DEP_2)
	v_dual_add_f32 v116, v115, v114 :: v_dual_add_f32 v117, v113, v35
	s_or_b32 vcc_lo, s28, vcc_lo
	s_delay_alu instid0(VALU_DEP_1) | instskip(NEXT) | instid1(VALU_DEP_1)
	v_rcp_f32_e32 v112, v116
	v_sub_f32_e32 v113, v113, v117
	v_sub_f32_e32 v115, v115, v116
	s_delay_alu instid0(VALU_DEP_1) | instskip(SKIP_2) | instid1(VALU_DEP_1)
	v_dual_add_f32 v35, v35, v113 :: v_dual_add_f32 v114, v114, v115
	s_waitcnt_depctr 0xfff
	v_mul_f32_e32 v118, v117, v112
	v_mul_f32_e32 v119, v116, v118
	s_delay_alu instid0(VALU_DEP_1) | instskip(NEXT) | instid1(VALU_DEP_1)
	v_fma_f32 v115, v118, v116, -v119
	v_fmac_f32_e32 v115, v118, v114
	s_delay_alu instid0(VALU_DEP_1) | instskip(NEXT) | instid1(VALU_DEP_1)
	v_add_f32_e32 v120, v119, v115
	v_sub_f32_e32 v121, v117, v120
	v_sub_f32_e32 v113, v120, v119
	s_delay_alu instid0(VALU_DEP_2) | instskip(NEXT) | instid1(VALU_DEP_2)
	v_sub_f32_e32 v117, v117, v121
	v_sub_f32_e32 v113, v113, v115
	s_delay_alu instid0(VALU_DEP_2) | instskip(NEXT) | instid1(VALU_DEP_1)
	v_sub_f32_e32 v117, v117, v120
	v_add_f32_e32 v35, v35, v117
	s_delay_alu instid0(VALU_DEP_1) | instskip(NEXT) | instid1(VALU_DEP_1)
	v_add_f32_e32 v35, v113, v35
	v_add_f32_e32 v113, v121, v35
	s_delay_alu instid0(VALU_DEP_1) | instskip(NEXT) | instid1(VALU_DEP_1)
	v_mul_f32_e32 v115, v112, v113
	v_dual_sub_f32 v120, v121, v113 :: v_dual_mul_f32 v117, v116, v115
	s_delay_alu instid0(VALU_DEP_1) | instskip(NEXT) | instid1(VALU_DEP_1)
	v_fma_f32 v116, v115, v116, -v117
	v_fmac_f32_e32 v116, v115, v114
	s_delay_alu instid0(VALU_DEP_3) | instskip(NEXT) | instid1(VALU_DEP_2)
	v_add_f32_e32 v35, v35, v120
	v_add_f32_e32 v114, v117, v116
	s_delay_alu instid0(VALU_DEP_1) | instskip(NEXT) | instid1(VALU_DEP_1)
	v_sub_f32_e32 v119, v113, v114
	v_sub_f32_e32 v113, v113, v119
	s_delay_alu instid0(VALU_DEP_1) | instskip(NEXT) | instid1(VALU_DEP_1)
	v_sub_f32_e32 v113, v113, v114
	v_add_f32_e32 v35, v35, v113
	v_add_f32_e32 v113, v118, v115
	v_sub_f32_e32 v117, v114, v117
	s_delay_alu instid0(VALU_DEP_1) | instskip(NEXT) | instid1(VALU_DEP_1)
	v_sub_f32_e32 v114, v117, v116
	v_dual_add_f32 v35, v114, v35 :: v_dual_sub_f32 v114, v113, v118
	s_delay_alu instid0(VALU_DEP_1) | instskip(NEXT) | instid1(VALU_DEP_1)
	v_add_f32_e32 v35, v119, v35
	v_dual_sub_f32 v114, v115, v114 :: v_dual_mul_f32 v35, v112, v35
	s_delay_alu instid0(VALU_DEP_1) | instskip(NEXT) | instid1(VALU_DEP_1)
	v_add_f32_e32 v35, v114, v35
	v_add_f32_e32 v112, v113, v35
	s_delay_alu instid0(VALU_DEP_1) | instskip(NEXT) | instid1(VALU_DEP_1)
	v_mul_f32_e32 v114, v112, v112
	v_fmaak_f32 v115, s74, v114, 0x3ecc95a3
	v_mul_f32_e32 v116, v112, v114
	s_delay_alu instid0(VALU_DEP_2) | instskip(SKIP_2) | instid1(VALU_DEP_3)
	v_fmaak_f32 v114, v114, v115, 0x3f2aaada
	v_ldexp_f32 v115, v112, 1
	v_sub_f32_e32 v112, v112, v113
	v_mul_f32_e32 v114, v116, v114
	s_delay_alu instid0(VALU_DEP_1) | instskip(NEXT) | instid1(VALU_DEP_1)
	v_dual_mul_f32 v116, 0x3f317218, v111 :: v_dual_add_f32 v113, v115, v114
	v_dual_sub_f32 v35, v35, v112 :: v_dual_sub_f32 v112, v113, v115
	s_delay_alu instid0(VALU_DEP_1) | instskip(NEXT) | instid1(VALU_DEP_3)
	v_ldexp_f32 v35, v35, 1
	v_fma_f32 v115, 0x3f317218, v111, -v116
	s_delay_alu instid0(VALU_DEP_3) | instskip(NEXT) | instid1(VALU_DEP_1)
	v_sub_f32_e32 v112, v114, v112
	v_add_f32_e32 v35, v35, v112
	s_delay_alu instid0(VALU_DEP_1) | instskip(NEXT) | instid1(VALU_DEP_4)
	v_add_f32_e32 v112, v113, v35
	v_fmac_f32_e32 v115, 0xb102e308, v111
	s_delay_alu instid0(VALU_DEP_1) | instskip(NEXT) | instid1(VALU_DEP_1)
	v_add_f32_e32 v111, v116, v115
	v_add_f32_e32 v114, v111, v112
	v_dual_sub_f32 v116, v111, v116 :: v_dual_sub_f32 v113, v112, v113
	s_delay_alu instid0(VALU_DEP_2) | instskip(NEXT) | instid1(VALU_DEP_1)
	v_sub_f32_e32 v117, v114, v111
	v_dual_sub_f32 v115, v115, v116 :: v_dual_sub_f32 v112, v112, v117
	v_sub_f32_e32 v118, v114, v117
	s_delay_alu instid0(VALU_DEP_4) | instskip(NEXT) | instid1(VALU_DEP_2)
	v_sub_f32_e32 v35, v35, v113
	v_sub_f32_e32 v111, v111, v118
	s_delay_alu instid0(VALU_DEP_2) | instskip(NEXT) | instid1(VALU_DEP_2)
	v_add_f32_e32 v113, v115, v35
	v_add_f32_e32 v111, v112, v111
	s_delay_alu instid0(VALU_DEP_2) | instskip(NEXT) | instid1(VALU_DEP_2)
	v_sub_f32_e32 v112, v113, v115
	v_add_f32_e32 v111, v113, v111
	s_delay_alu instid0(VALU_DEP_2) | instskip(NEXT) | instid1(VALU_DEP_2)
	v_sub_f32_e32 v113, v113, v112
	v_dual_sub_f32 v35, v35, v112 :: v_dual_add_f32 v116, v114, v111
	s_delay_alu instid0(VALU_DEP_1) | instskip(NEXT) | instid1(VALU_DEP_1)
	v_dual_sub_f32 v113, v115, v113 :: v_dual_sub_f32 v112, v116, v114
	v_add_f32_e32 v35, v35, v113
	s_delay_alu instid0(VALU_DEP_2) | instskip(NEXT) | instid1(VALU_DEP_1)
	v_sub_f32_e32 v111, v111, v112
	v_add_f32_e32 v35, v35, v111
	s_delay_alu instid0(VALU_DEP_1) | instskip(NEXT) | instid1(VALU_DEP_1)
	v_add_f32_e32 v35, v116, v35
	v_cndmask_b32_e32 v111, v35, v32, vcc_lo
.LBB148_76:                             ;   in Loop: Header=BB148_12 Depth=1
	s_or_b32 exec_lo, exec_lo, s29
	v_add_f32_e32 v112, s84, v33
	s_delay_alu instid0(VALU_DEP_1) | instskip(SKIP_1) | instid1(SALU_CYCLE_1)
	v_cmp_ge_f32_e32 vcc_lo, 0x41a00000, v112
	s_and_b32 s28, s91, vcc_lo
	s_and_saveexec_b32 s29, s28
	s_cbranch_execz .LBB148_78
; %bb.77:                               ;   in Loop: Header=BB148_12 Depth=1
	v_mul_f32_e32 v32, 0x3fb8aa3b, v112
	v_cmp_ngt_f32_e32 vcc_lo, 0xc2ce8ed0, v112
	s_delay_alu instid0(VALU_DEP_2) | instskip(SKIP_1) | instid1(VALU_DEP_1)
	v_rndne_f32_e32 v33, v32
	v_fma_f32 v35, 0x3fb8aa3b, v112, -v32
	v_dual_sub_f32 v32, v32, v33 :: v_dual_fmac_f32 v35, 0x32a5705f, v112
	v_cvt_i32_f32_e32 v33, v33
	s_delay_alu instid0(VALU_DEP_2) | instskip(NEXT) | instid1(VALU_DEP_1)
	v_add_f32_e32 v32, v32, v35
	v_exp_f32_e32 v32, v32
	s_waitcnt_depctr 0xfff
	v_ldexp_f32 v32, v32, v33
	s_delay_alu instid0(VALU_DEP_1) | instskip(SKIP_1) | instid1(VALU_DEP_2)
	v_cndmask_b32_e32 v32, 0, v32, vcc_lo
	v_cmp_nlt_f32_e32 vcc_lo, 0x42b17218, v112
	v_cndmask_b32_e32 v35, 0x7f800000, v32, vcc_lo
	s_delay_alu instid0(VALU_DEP_1) | instskip(NEXT) | instid1(VALU_DEP_1)
	v_add_f32_e32 v112, 1.0, v35
	v_cvt_f64_f32_e32 v[32:33], v112
	s_delay_alu instid0(VALU_DEP_1) | instskip(SKIP_1) | instid1(VALU_DEP_1)
	v_frexp_exp_i32_f64_e32 v32, v[32:33]
	v_frexp_mant_f32_e32 v33, v112
	v_cmp_gt_f32_e32 vcc_lo, 0x3f2aaaab, v33
	v_add_f32_e32 v33, -1.0, v112
	s_delay_alu instid0(VALU_DEP_1) | instskip(NEXT) | instid1(VALU_DEP_1)
	v_sub_f32_e32 v114, v33, v112
	v_dual_add_f32 v114, 1.0, v114 :: v_dual_sub_f32 v33, v35, v33
	v_cmp_gt_f32_e64 s28, 0x33800000, v35
	s_delay_alu instid0(VALU_DEP_2) | instskip(SKIP_2) | instid1(VALU_DEP_2)
	v_add_f32_e32 v33, v33, v114
	v_subrev_co_ci_u32_e32 v32, vcc_lo, 0, v32, vcc_lo
	v_cmp_eq_f32_e32 vcc_lo, 0x7f800000, v35
	v_sub_nc_u32_e32 v113, 0, v32
	v_cvt_f32_i32_e32 v32, v32
	s_or_b32 vcc_lo, s28, vcc_lo
	s_delay_alu instid0(VALU_DEP_2) | instskip(SKIP_1) | instid1(VALU_DEP_2)
	v_ldexp_f32 v112, v112, v113
	v_ldexp_f32 v33, v33, v113
	v_add_f32_e32 v115, 1.0, v112
	s_delay_alu instid0(VALU_DEP_1) | instskip(NEXT) | instid1(VALU_DEP_1)
	v_dual_add_f32 v113, -1.0, v112 :: v_dual_add_f32 v114, -1.0, v115
	v_add_f32_e32 v116, 1.0, v113
	s_delay_alu instid0(VALU_DEP_2) | instskip(NEXT) | instid1(VALU_DEP_2)
	v_sub_f32_e32 v114, v112, v114
	v_sub_f32_e32 v112, v112, v116
	s_delay_alu instid0(VALU_DEP_2) | instskip(NEXT) | instid1(VALU_DEP_2)
	v_add_f32_e32 v114, v33, v114
	v_add_f32_e32 v33, v33, v112
	s_delay_alu instid0(VALU_DEP_1) | instskip(NEXT) | instid1(VALU_DEP_1)
	v_dual_add_f32 v117, v113, v33 :: v_dual_add_f32 v116, v115, v114
	v_sub_f32_e32 v113, v113, v117
	s_delay_alu instid0(VALU_DEP_2) | instskip(SKIP_1) | instid1(VALU_DEP_1)
	v_rcp_f32_e32 v112, v116
	v_sub_f32_e32 v115, v115, v116
	v_dual_add_f32 v114, v114, v115 :: v_dual_add_f32 v33, v33, v113
	s_waitcnt_depctr 0xfff
	v_mul_f32_e32 v118, v117, v112
	s_delay_alu instid0(VALU_DEP_1) | instskip(NEXT) | instid1(VALU_DEP_1)
	v_mul_f32_e32 v119, v116, v118
	v_fma_f32 v115, v118, v116, -v119
	s_delay_alu instid0(VALU_DEP_1) | instskip(NEXT) | instid1(VALU_DEP_1)
	v_fmac_f32_e32 v115, v118, v114
	v_add_f32_e32 v120, v119, v115
	s_delay_alu instid0(VALU_DEP_1) | instskip(NEXT) | instid1(VALU_DEP_1)
	v_sub_f32_e32 v121, v117, v120
	v_sub_f32_e32 v117, v117, v121
	v_sub_f32_e32 v113, v120, v119
	s_delay_alu instid0(VALU_DEP_2) | instskip(NEXT) | instid1(VALU_DEP_2)
	v_sub_f32_e32 v117, v117, v120
	v_sub_f32_e32 v113, v113, v115
	s_delay_alu instid0(VALU_DEP_2) | instskip(NEXT) | instid1(VALU_DEP_1)
	v_add_f32_e32 v33, v33, v117
	v_add_f32_e32 v33, v113, v33
	s_delay_alu instid0(VALU_DEP_1) | instskip(NEXT) | instid1(VALU_DEP_1)
	v_add_f32_e32 v113, v121, v33
	v_mul_f32_e32 v115, v112, v113
	s_delay_alu instid0(VALU_DEP_1) | instskip(NEXT) | instid1(VALU_DEP_1)
	v_dual_sub_f32 v120, v121, v113 :: v_dual_mul_f32 v117, v116, v115
	v_add_f32_e32 v33, v33, v120
	s_delay_alu instid0(VALU_DEP_2) | instskip(NEXT) | instid1(VALU_DEP_1)
	v_fma_f32 v116, v115, v116, -v117
	v_fmac_f32_e32 v116, v115, v114
	s_delay_alu instid0(VALU_DEP_1) | instskip(NEXT) | instid1(VALU_DEP_1)
	v_add_f32_e32 v114, v117, v116
	v_sub_f32_e32 v119, v113, v114
	s_delay_alu instid0(VALU_DEP_1) | instskip(NEXT) | instid1(VALU_DEP_1)
	v_sub_f32_e32 v113, v113, v119
	v_sub_f32_e32 v113, v113, v114
	s_delay_alu instid0(VALU_DEP_1) | instskip(SKIP_2) | instid1(VALU_DEP_1)
	v_add_f32_e32 v33, v33, v113
	v_add_f32_e32 v113, v118, v115
	v_sub_f32_e32 v117, v114, v117
	v_sub_f32_e32 v114, v117, v116
	s_delay_alu instid0(VALU_DEP_1) | instskip(NEXT) | instid1(VALU_DEP_1)
	v_dual_add_f32 v33, v114, v33 :: v_dual_sub_f32 v114, v113, v118
	v_add_f32_e32 v33, v119, v33
	s_delay_alu instid0(VALU_DEP_1) | instskip(NEXT) | instid1(VALU_DEP_1)
	v_dual_sub_f32 v114, v115, v114 :: v_dual_mul_f32 v33, v112, v33
	v_add_f32_e32 v33, v114, v33
	s_delay_alu instid0(VALU_DEP_1) | instskip(NEXT) | instid1(VALU_DEP_1)
	v_add_f32_e32 v112, v113, v33
	v_mul_f32_e32 v114, v112, v112
	s_delay_alu instid0(VALU_DEP_1) | instskip(SKIP_1) | instid1(VALU_DEP_2)
	v_fmaak_f32 v115, s74, v114, 0x3ecc95a3
	v_mul_f32_e32 v116, v112, v114
	v_fmaak_f32 v114, v114, v115, 0x3f2aaada
	v_ldexp_f32 v115, v112, 1
	v_sub_f32_e32 v112, v112, v113
	s_delay_alu instid0(VALU_DEP_3) | instskip(SKIP_1) | instid1(VALU_DEP_3)
	v_mul_f32_e32 v114, v116, v114
	v_mul_f32_e32 v116, 0x3f317218, v32
	v_sub_f32_e32 v33, v33, v112
	s_delay_alu instid0(VALU_DEP_3) | instskip(NEXT) | instid1(VALU_DEP_2)
	v_add_f32_e32 v113, v115, v114
	v_ldexp_f32 v33, v33, 1
	s_delay_alu instid0(VALU_DEP_2) | instskip(SKIP_1) | instid1(VALU_DEP_2)
	v_sub_f32_e32 v112, v113, v115
	v_fma_f32 v115, 0x3f317218, v32, -v116
	v_sub_f32_e32 v112, v114, v112
	s_delay_alu instid0(VALU_DEP_2) | instskip(NEXT) | instid1(VALU_DEP_1)
	v_fmac_f32_e32 v115, 0xb102e308, v32
	v_dual_add_f32 v32, v33, v112 :: v_dual_add_f32 v33, v116, v115
	s_delay_alu instid0(VALU_DEP_1) | instskip(NEXT) | instid1(VALU_DEP_2)
	v_add_f32_e32 v112, v113, v32
	v_sub_f32_e32 v116, v33, v116
	s_delay_alu instid0(VALU_DEP_2) | instskip(NEXT) | instid1(VALU_DEP_1)
	v_dual_add_f32 v114, v33, v112 :: v_dual_sub_f32 v113, v112, v113
	v_sub_f32_e32 v117, v114, v33
	s_delay_alu instid0(VALU_DEP_2) | instskip(NEXT) | instid1(VALU_DEP_2)
	v_sub_f32_e32 v32, v32, v113
	v_sub_f32_e32 v118, v114, v117
	v_dual_sub_f32 v112, v112, v117 :: v_dual_sub_f32 v115, v115, v116
	s_delay_alu instid0(VALU_DEP_2) | instskip(NEXT) | instid1(VALU_DEP_2)
	v_sub_f32_e32 v33, v33, v118
	v_add_f32_e32 v113, v115, v32
	s_delay_alu instid0(VALU_DEP_2) | instskip(NEXT) | instid1(VALU_DEP_1)
	v_add_f32_e32 v33, v112, v33
	v_add_f32_e32 v33, v113, v33
	s_delay_alu instid0(VALU_DEP_1) | instskip(SKIP_1) | instid1(VALU_DEP_1)
	v_add_f32_e32 v116, v114, v33
	v_sub_f32_e32 v112, v113, v115
	v_sub_f32_e32 v113, v113, v112
	;; [unrolled: 1-line block ×3, first 2 shown]
	s_delay_alu instid0(VALU_DEP_2) | instskip(NEXT) | instid1(VALU_DEP_1)
	v_dual_sub_f32 v112, v116, v114 :: v_dual_sub_f32 v113, v115, v113
	v_dual_sub_f32 v33, v33, v112 :: v_dual_add_f32 v32, v32, v113
	s_delay_alu instid0(VALU_DEP_1) | instskip(NEXT) | instid1(VALU_DEP_1)
	v_add_f32_e32 v32, v32, v33
	v_add_f32_e32 v32, v116, v32
	s_delay_alu instid0(VALU_DEP_1)
	v_cndmask_b32_e32 v112, v32, v35, vcc_lo
.LBB148_78:                             ;   in Loop: Header=BB148_12 Depth=1
	s_or_b32 exec_lo, exec_lo, s29
	s_waitcnt lgkmcnt(6)
	v_add_f32_e32 v113, s84, v30
	s_delay_alu instid0(VALU_DEP_1) | instskip(SKIP_1) | instid1(SALU_CYCLE_1)
	v_cmp_ge_f32_e32 vcc_lo, 0x41a00000, v113
	s_and_b32 s28, s91, vcc_lo
	s_and_saveexec_b32 s29, s28
	s_cbranch_execz .LBB148_80
; %bb.79:                               ;   in Loop: Header=BB148_12 Depth=1
	v_mul_f32_e32 v30, 0x3fb8aa3b, v113
	v_cmp_ngt_f32_e32 vcc_lo, 0xc2ce8ed0, v113
	s_delay_alu instid0(VALU_DEP_2) | instskip(SKIP_1) | instid1(VALU_DEP_1)
	v_rndne_f32_e32 v32, v30
	v_fma_f32 v33, 0x3fb8aa3b, v113, -v30
	v_dual_sub_f32 v30, v30, v32 :: v_dual_fmac_f32 v33, 0x32a5705f, v113
	v_cvt_i32_f32_e32 v32, v32
	s_delay_alu instid0(VALU_DEP_2) | instskip(NEXT) | instid1(VALU_DEP_1)
	v_add_f32_e32 v30, v30, v33
	v_exp_f32_e32 v30, v30
	s_waitcnt_depctr 0xfff
	v_ldexp_f32 v30, v30, v32
	s_delay_alu instid0(VALU_DEP_1) | instskip(SKIP_1) | instid1(VALU_DEP_2)
	v_cndmask_b32_e32 v30, 0, v30, vcc_lo
	v_cmp_nlt_f32_e32 vcc_lo, 0x42b17218, v113
	v_cndmask_b32_e32 v30, 0x7f800000, v30, vcc_lo
	s_delay_alu instid0(VALU_DEP_1) | instskip(NEXT) | instid1(VALU_DEP_1)
	v_add_f32_e32 v35, 1.0, v30
	v_cvt_f64_f32_e32 v[32:33], v35
	s_delay_alu instid0(VALU_DEP_1) | instskip(SKIP_1) | instid1(VALU_DEP_1)
	v_frexp_exp_i32_f64_e32 v32, v[32:33]
	v_frexp_mant_f32_e32 v33, v35
	v_cmp_gt_f32_e32 vcc_lo, 0x3f2aaaab, v33
	v_add_f32_e32 v33, -1.0, v35
	s_delay_alu instid0(VALU_DEP_1) | instskip(NEXT) | instid1(VALU_DEP_1)
	v_dual_sub_f32 v114, v33, v35 :: v_dual_sub_f32 v33, v30, v33
	v_add_f32_e32 v114, 1.0, v114
	s_delay_alu instid0(VALU_DEP_1) | instskip(SKIP_1) | instid1(VALU_DEP_1)
	v_add_f32_e32 v33, v33, v114
	v_subrev_co_ci_u32_e32 v32, vcc_lo, 0, v32, vcc_lo
	v_sub_nc_u32_e32 v113, 0, v32
	v_cvt_f32_i32_e32 v32, v32
	s_delay_alu instid0(VALU_DEP_2) | instskip(SKIP_1) | instid1(VALU_DEP_2)
	v_ldexp_f32 v35, v35, v113
	v_ldexp_f32 v33, v33, v113
	v_add_f32_e32 v115, 1.0, v35
	v_add_f32_e32 v113, -1.0, v35
	s_delay_alu instid0(VALU_DEP_2) | instskip(NEXT) | instid1(VALU_DEP_2)
	v_add_f32_e32 v114, -1.0, v115
	v_add_f32_e32 v116, 1.0, v113
	s_delay_alu instid0(VALU_DEP_2) | instskip(NEXT) | instid1(VALU_DEP_2)
	v_sub_f32_e32 v114, v35, v114
	v_sub_f32_e32 v35, v35, v116
	v_cmp_eq_f32_e32 vcc_lo, 0x7f800000, v30
	v_cmp_gt_f32_e64 s28, 0x33800000, v30
	s_delay_alu instid0(VALU_DEP_4) | instskip(NEXT) | instid1(VALU_DEP_4)
	v_add_f32_e32 v114, v33, v114
	v_add_f32_e32 v33, v33, v35
	s_delay_alu instid0(VALU_DEP_3) | instskip(NEXT) | instid1(VALU_DEP_1)
	s_or_b32 vcc_lo, s28, vcc_lo
	v_dual_add_f32 v117, v113, v33 :: v_dual_add_f32 v116, v115, v114
	s_delay_alu instid0(VALU_DEP_1) | instskip(NEXT) | instid1(VALU_DEP_2)
	v_sub_f32_e32 v113, v113, v117
	v_rcp_f32_e32 v35, v116
	v_sub_f32_e32 v115, v115, v116
	s_delay_alu instid0(VALU_DEP_1) | instskip(SKIP_2) | instid1(VALU_DEP_1)
	v_dual_add_f32 v33, v33, v113 :: v_dual_add_f32 v114, v114, v115
	s_waitcnt_depctr 0xfff
	v_mul_f32_e32 v118, v117, v35
	v_mul_f32_e32 v119, v116, v118
	s_delay_alu instid0(VALU_DEP_1) | instskip(NEXT) | instid1(VALU_DEP_1)
	v_fma_f32 v115, v118, v116, -v119
	v_fmac_f32_e32 v115, v118, v114
	s_delay_alu instid0(VALU_DEP_1) | instskip(NEXT) | instid1(VALU_DEP_1)
	v_add_f32_e32 v120, v119, v115
	v_sub_f32_e32 v121, v117, v120
	v_sub_f32_e32 v113, v120, v119
	s_delay_alu instid0(VALU_DEP_2) | instskip(NEXT) | instid1(VALU_DEP_2)
	v_sub_f32_e32 v117, v117, v121
	v_sub_f32_e32 v113, v113, v115
	s_delay_alu instid0(VALU_DEP_2) | instskip(NEXT) | instid1(VALU_DEP_1)
	v_sub_f32_e32 v117, v117, v120
	v_add_f32_e32 v33, v33, v117
	s_delay_alu instid0(VALU_DEP_1) | instskip(NEXT) | instid1(VALU_DEP_1)
	v_add_f32_e32 v33, v113, v33
	v_add_f32_e32 v113, v121, v33
	s_delay_alu instid0(VALU_DEP_1) | instskip(NEXT) | instid1(VALU_DEP_1)
	v_mul_f32_e32 v115, v35, v113
	v_dual_sub_f32 v120, v121, v113 :: v_dual_mul_f32 v117, v116, v115
	s_delay_alu instid0(VALU_DEP_1) | instskip(NEXT) | instid1(VALU_DEP_2)
	v_add_f32_e32 v33, v33, v120
	v_fma_f32 v116, v115, v116, -v117
	s_delay_alu instid0(VALU_DEP_1) | instskip(NEXT) | instid1(VALU_DEP_1)
	v_fmac_f32_e32 v116, v115, v114
	v_add_f32_e32 v114, v117, v116
	s_delay_alu instid0(VALU_DEP_1) | instskip(NEXT) | instid1(VALU_DEP_1)
	v_sub_f32_e32 v119, v113, v114
	v_sub_f32_e32 v113, v113, v119
	s_delay_alu instid0(VALU_DEP_1) | instskip(NEXT) | instid1(VALU_DEP_1)
	v_sub_f32_e32 v113, v113, v114
	v_add_f32_e32 v33, v33, v113
	v_add_f32_e32 v113, v118, v115
	v_sub_f32_e32 v117, v114, v117
	s_delay_alu instid0(VALU_DEP_1) | instskip(NEXT) | instid1(VALU_DEP_1)
	v_sub_f32_e32 v114, v117, v116
	v_dual_add_f32 v33, v114, v33 :: v_dual_sub_f32 v114, v113, v118
	s_delay_alu instid0(VALU_DEP_1) | instskip(NEXT) | instid1(VALU_DEP_2)
	v_add_f32_e32 v33, v119, v33
	v_sub_f32_e32 v114, v115, v114
	s_delay_alu instid0(VALU_DEP_2) | instskip(NEXT) | instid1(VALU_DEP_1)
	v_mul_f32_e32 v33, v35, v33
	v_add_f32_e32 v33, v114, v33
	s_delay_alu instid0(VALU_DEP_1) | instskip(NEXT) | instid1(VALU_DEP_1)
	v_add_f32_e32 v35, v113, v33
	v_mul_f32_e32 v114, v35, v35
	s_delay_alu instid0(VALU_DEP_1) | instskip(SKIP_1) | instid1(VALU_DEP_2)
	v_fmaak_f32 v115, s74, v114, 0x3ecc95a3
	v_mul_f32_e32 v116, v35, v114
	v_fmaak_f32 v114, v114, v115, 0x3f2aaada
	v_ldexp_f32 v115, v35, 1
	s_delay_alu instid0(VALU_DEP_2) | instskip(NEXT) | instid1(VALU_DEP_1)
	v_dual_sub_f32 v35, v35, v113 :: v_dual_mul_f32 v114, v116, v114
	v_dual_mul_f32 v116, 0x3f317218, v32 :: v_dual_sub_f32 v33, v33, v35
	s_delay_alu instid0(VALU_DEP_2) | instskip(NEXT) | instid1(VALU_DEP_2)
	v_add_f32_e32 v113, v115, v114
	v_ldexp_f32 v33, v33, 1
	s_delay_alu instid0(VALU_DEP_2) | instskip(NEXT) | instid1(VALU_DEP_4)
	v_sub_f32_e32 v35, v113, v115
	v_fma_f32 v115, 0x3f317218, v32, -v116
	s_delay_alu instid0(VALU_DEP_2) | instskip(NEXT) | instid1(VALU_DEP_1)
	v_sub_f32_e32 v35, v114, v35
	v_dual_fmac_f32 v115, 0xb102e308, v32 :: v_dual_add_f32 v32, v33, v35
	s_delay_alu instid0(VALU_DEP_1) | instskip(NEXT) | instid1(VALU_DEP_2)
	v_add_f32_e32 v33, v116, v115
	v_add_f32_e32 v35, v113, v32
	s_delay_alu instid0(VALU_DEP_2) | instskip(NEXT) | instid1(VALU_DEP_2)
	v_sub_f32_e32 v116, v33, v116
	v_dual_add_f32 v114, v33, v35 :: v_dual_sub_f32 v113, v35, v113
	s_delay_alu instid0(VALU_DEP_2) | instskip(NEXT) | instid1(VALU_DEP_2)
	v_sub_f32_e32 v115, v115, v116
	v_sub_f32_e32 v117, v114, v33
	s_delay_alu instid0(VALU_DEP_3) | instskip(NEXT) | instid1(VALU_DEP_2)
	v_sub_f32_e32 v32, v32, v113
	v_sub_f32_e32 v118, v114, v117
	;; [unrolled: 1-line block ×3, first 2 shown]
	s_delay_alu instid0(VALU_DEP_3) | instskip(NEXT) | instid1(VALU_DEP_3)
	v_add_f32_e32 v113, v115, v32
	v_sub_f32_e32 v33, v33, v118
	s_delay_alu instid0(VALU_DEP_1) | instskip(NEXT) | instid1(VALU_DEP_3)
	v_add_f32_e32 v33, v35, v33
	v_sub_f32_e32 v35, v113, v115
	s_delay_alu instid0(VALU_DEP_2) | instskip(NEXT) | instid1(VALU_DEP_2)
	v_add_f32_e32 v33, v113, v33
	v_sub_f32_e32 v113, v113, v35
	v_sub_f32_e32 v32, v32, v35
	s_delay_alu instid0(VALU_DEP_3) | instskip(NEXT) | instid1(VALU_DEP_3)
	v_add_f32_e32 v116, v114, v33
	v_sub_f32_e32 v113, v115, v113
	s_delay_alu instid0(VALU_DEP_2) | instskip(NEXT) | instid1(VALU_DEP_1)
	v_sub_f32_e32 v35, v116, v114
	v_dual_add_f32 v32, v32, v113 :: v_dual_sub_f32 v33, v33, v35
	s_delay_alu instid0(VALU_DEP_1) | instskip(NEXT) | instid1(VALU_DEP_1)
	v_add_f32_e32 v32, v32, v33
	v_add_f32_e32 v32, v116, v32
	s_delay_alu instid0(VALU_DEP_1)
	v_cndmask_b32_e32 v113, v32, v30, vcc_lo
.LBB148_80:                             ;   in Loop: Header=BB148_12 Depth=1
	s_or_b32 exec_lo, exec_lo, s29
	v_add_f32_e32 v114, s84, v31
	s_delay_alu instid0(VALU_DEP_1) | instskip(SKIP_1) | instid1(SALU_CYCLE_1)
	v_cmp_ge_f32_e32 vcc_lo, 0x41a00000, v114
	s_and_b32 s28, s91, vcc_lo
	s_and_saveexec_b32 s29, s28
	s_cbranch_execz .LBB148_82
; %bb.81:                               ;   in Loop: Header=BB148_12 Depth=1
	v_mul_f32_e32 v30, 0x3fb8aa3b, v114
	v_cmp_ngt_f32_e32 vcc_lo, 0xc2ce8ed0, v114
	s_delay_alu instid0(VALU_DEP_2) | instskip(SKIP_1) | instid1(VALU_DEP_2)
	v_rndne_f32_e32 v31, v30
	v_fma_f32 v32, 0x3fb8aa3b, v114, -v30
	v_sub_f32_e32 v30, v30, v31
	s_delay_alu instid0(VALU_DEP_2) | instskip(SKIP_1) | instid1(VALU_DEP_2)
	v_fmac_f32_e32 v32, 0x32a5705f, v114
	v_cvt_i32_f32_e32 v31, v31
	v_add_f32_e32 v30, v30, v32
	s_delay_alu instid0(VALU_DEP_1) | instskip(SKIP_2) | instid1(VALU_DEP_1)
	v_exp_f32_e32 v30, v30
	s_waitcnt_depctr 0xfff
	v_ldexp_f32 v30, v30, v31
	v_cndmask_b32_e32 v30, 0, v30, vcc_lo
	v_cmp_nlt_f32_e32 vcc_lo, 0x42b17218, v114
	s_delay_alu instid0(VALU_DEP_2) | instskip(NEXT) | instid1(VALU_DEP_1)
	v_cndmask_b32_e32 v32, 0x7f800000, v30, vcc_lo
	v_add_f32_e32 v33, 1.0, v32
	s_delay_alu instid0(VALU_DEP_1) | instskip(NEXT) | instid1(VALU_DEP_1)
	v_cvt_f64_f32_e32 v[30:31], v33
	v_frexp_exp_i32_f64_e32 v30, v[30:31]
	v_frexp_mant_f32_e32 v31, v33
	s_delay_alu instid0(VALU_DEP_1) | instskip(SKIP_1) | instid1(VALU_DEP_1)
	v_cmp_gt_f32_e32 vcc_lo, 0x3f2aaaab, v31
	v_add_f32_e32 v31, -1.0, v33
	v_dual_sub_f32 v114, v31, v33 :: v_dual_sub_f32 v31, v32, v31
	s_delay_alu instid0(VALU_DEP_1) | instskip(SKIP_1) | instid1(VALU_DEP_1)
	v_add_f32_e32 v114, 1.0, v114
	v_subrev_co_ci_u32_e32 v30, vcc_lo, 0, v30, vcc_lo
	v_sub_nc_u32_e32 v35, 0, v30
	v_cvt_f32_i32_e32 v30, v30
	s_delay_alu instid0(VALU_DEP_2) | instskip(NEXT) | instid1(VALU_DEP_1)
	v_ldexp_f32 v33, v33, v35
	v_add_f32_e32 v115, 1.0, v33
	s_delay_alu instid0(VALU_DEP_1) | instskip(NEXT) | instid1(VALU_DEP_1)
	v_dual_add_f32 v31, v31, v114 :: v_dual_add_f32 v114, -1.0, v115
	v_ldexp_f32 v31, v31, v35
	s_delay_alu instid0(VALU_DEP_2) | instskip(NEXT) | instid1(VALU_DEP_1)
	v_dual_add_f32 v35, -1.0, v33 :: v_dual_sub_f32 v114, v33, v114
	v_add_f32_e32 v116, 1.0, v35
	s_delay_alu instid0(VALU_DEP_1) | instskip(SKIP_2) | instid1(VALU_DEP_3)
	v_dual_add_f32 v114, v31, v114 :: v_dual_sub_f32 v33, v33, v116
	v_cmp_eq_f32_e32 vcc_lo, 0x7f800000, v32
	v_cmp_gt_f32_e64 s28, 0x33800000, v32
	v_add_f32_e32 v31, v31, v33
	s_delay_alu instid0(VALU_DEP_2) | instskip(NEXT) | instid1(VALU_DEP_1)
	s_or_b32 vcc_lo, s28, vcc_lo
	v_add_f32_e32 v117, v35, v31
	v_add_f32_e32 v116, v115, v114
	s_delay_alu instid0(VALU_DEP_2) | instskip(NEXT) | instid1(VALU_DEP_2)
	v_sub_f32_e32 v35, v35, v117
	v_rcp_f32_e32 v33, v116
	v_sub_f32_e32 v115, v115, v116
	s_delay_alu instid0(VALU_DEP_2) | instskip(NEXT) | instid1(VALU_DEP_2)
	v_add_f32_e32 v31, v31, v35
	v_add_f32_e32 v114, v114, v115
	s_waitcnt_depctr 0xfff
	v_mul_f32_e32 v118, v117, v33
	s_delay_alu instid0(VALU_DEP_1) | instskip(NEXT) | instid1(VALU_DEP_1)
	v_mul_f32_e32 v119, v116, v118
	v_fma_f32 v115, v118, v116, -v119
	s_delay_alu instid0(VALU_DEP_1) | instskip(NEXT) | instid1(VALU_DEP_1)
	v_fmac_f32_e32 v115, v118, v114
	v_add_f32_e32 v120, v119, v115
	s_delay_alu instid0(VALU_DEP_1) | instskip(SKIP_1) | instid1(VALU_DEP_2)
	v_sub_f32_e32 v121, v117, v120
	v_sub_f32_e32 v35, v120, v119
	v_sub_f32_e32 v117, v117, v121
	s_delay_alu instid0(VALU_DEP_2) | instskip(NEXT) | instid1(VALU_DEP_2)
	v_sub_f32_e32 v35, v35, v115
	v_sub_f32_e32 v117, v117, v120
	s_delay_alu instid0(VALU_DEP_1) | instskip(NEXT) | instid1(VALU_DEP_1)
	v_add_f32_e32 v31, v31, v117
	v_add_f32_e32 v31, v35, v31
	s_delay_alu instid0(VALU_DEP_1) | instskip(NEXT) | instid1(VALU_DEP_1)
	v_add_f32_e32 v35, v121, v31
	v_mul_f32_e32 v115, v33, v35
	v_sub_f32_e32 v120, v121, v35
	s_delay_alu instid0(VALU_DEP_2) | instskip(NEXT) | instid1(VALU_DEP_2)
	v_mul_f32_e32 v117, v116, v115
	v_add_f32_e32 v31, v31, v120
	s_delay_alu instid0(VALU_DEP_2) | instskip(NEXT) | instid1(VALU_DEP_1)
	v_fma_f32 v116, v115, v116, -v117
	v_fmac_f32_e32 v116, v115, v114
	s_delay_alu instid0(VALU_DEP_1) | instskip(NEXT) | instid1(VALU_DEP_1)
	v_add_f32_e32 v114, v117, v116
	v_sub_f32_e32 v119, v35, v114
	v_sub_f32_e32 v117, v114, v117
	s_delay_alu instid0(VALU_DEP_2) | instskip(NEXT) | instid1(VALU_DEP_1)
	v_sub_f32_e32 v35, v35, v119
	v_dual_sub_f32 v35, v35, v114 :: v_dual_sub_f32 v114, v117, v116
	s_delay_alu instid0(VALU_DEP_1) | instskip(SKIP_1) | instid1(VALU_DEP_1)
	v_add_f32_e32 v31, v31, v35
	v_add_f32_e32 v35, v118, v115
	v_dual_add_f32 v31, v114, v31 :: v_dual_sub_f32 v114, v35, v118
	s_delay_alu instid0(VALU_DEP_1) | instskip(NEXT) | instid1(VALU_DEP_1)
	v_add_f32_e32 v31, v119, v31
	v_dual_sub_f32 v114, v115, v114 :: v_dual_mul_f32 v31, v33, v31
	s_delay_alu instid0(VALU_DEP_1) | instskip(NEXT) | instid1(VALU_DEP_1)
	v_add_f32_e32 v31, v114, v31
	v_add_f32_e32 v33, v35, v31
	s_delay_alu instid0(VALU_DEP_1) | instskip(NEXT) | instid1(VALU_DEP_1)
	v_mul_f32_e32 v114, v33, v33
	v_fmaak_f32 v115, s74, v114, 0x3ecc95a3
	v_mul_f32_e32 v116, v33, v114
	s_delay_alu instid0(VALU_DEP_2) | instskip(SKIP_1) | instid1(VALU_DEP_2)
	v_fmaak_f32 v114, v114, v115, 0x3f2aaada
	v_ldexp_f32 v115, v33, 1
	v_mul_f32_e32 v114, v116, v114
	v_dual_mul_f32 v116, 0x3f317218, v30 :: v_dual_sub_f32 v33, v33, v35
	s_delay_alu instid0(VALU_DEP_2) | instskip(NEXT) | instid1(VALU_DEP_2)
	v_add_f32_e32 v35, v115, v114
	v_sub_f32_e32 v31, v31, v33
	s_delay_alu instid0(VALU_DEP_2) | instskip(NEXT) | instid1(VALU_DEP_4)
	v_sub_f32_e32 v33, v35, v115
	v_fma_f32 v115, 0x3f317218, v30, -v116
	s_delay_alu instid0(VALU_DEP_3) | instskip(NEXT) | instid1(VALU_DEP_3)
	v_ldexp_f32 v31, v31, 1
	v_sub_f32_e32 v33, v114, v33
	s_delay_alu instid0(VALU_DEP_1) | instskip(NEXT) | instid1(VALU_DEP_1)
	v_dual_fmac_f32 v115, 0xb102e308, v30 :: v_dual_add_f32 v30, v31, v33
	v_add_f32_e32 v31, v116, v115
	s_delay_alu instid0(VALU_DEP_2) | instskip(NEXT) | instid1(VALU_DEP_2)
	v_add_f32_e32 v33, v35, v30
	v_sub_f32_e32 v116, v31, v116
	s_delay_alu instid0(VALU_DEP_2) | instskip(NEXT) | instid1(VALU_DEP_2)
	v_dual_add_f32 v114, v31, v33 :: v_dual_sub_f32 v35, v33, v35
	v_sub_f32_e32 v115, v115, v116
	s_delay_alu instid0(VALU_DEP_2) | instskip(NEXT) | instid1(VALU_DEP_3)
	v_sub_f32_e32 v117, v114, v31
	v_sub_f32_e32 v30, v30, v35
	s_delay_alu instid0(VALU_DEP_2) | instskip(SKIP_1) | instid1(VALU_DEP_3)
	v_sub_f32_e32 v118, v114, v117
	v_sub_f32_e32 v33, v33, v117
	v_add_f32_e32 v35, v115, v30
	s_delay_alu instid0(VALU_DEP_3) | instskip(NEXT) | instid1(VALU_DEP_1)
	v_sub_f32_e32 v31, v31, v118
	v_add_f32_e32 v31, v33, v31
	s_delay_alu instid0(VALU_DEP_3) | instskip(NEXT) | instid1(VALU_DEP_2)
	v_sub_f32_e32 v33, v35, v115
	v_add_f32_e32 v31, v35, v31
	s_delay_alu instid0(VALU_DEP_2) | instskip(SKIP_1) | instid1(VALU_DEP_3)
	v_sub_f32_e32 v35, v35, v33
	v_sub_f32_e32 v30, v30, v33
	v_add_f32_e32 v116, v114, v31
	s_delay_alu instid0(VALU_DEP_3) | instskip(NEXT) | instid1(VALU_DEP_1)
	v_sub_f32_e32 v35, v115, v35
	v_dual_sub_f32 v33, v116, v114 :: v_dual_add_f32 v30, v30, v35
	s_delay_alu instid0(VALU_DEP_1) | instskip(NEXT) | instid1(VALU_DEP_1)
	v_sub_f32_e32 v31, v31, v33
	v_add_f32_e32 v30, v30, v31
	s_delay_alu instid0(VALU_DEP_1) | instskip(NEXT) | instid1(VALU_DEP_1)
	v_add_f32_e32 v30, v116, v30
	v_cndmask_b32_e32 v114, v30, v32, vcc_lo
.LBB148_82:                             ;   in Loop: Header=BB148_12 Depth=1
	s_or_b32 exec_lo, exec_lo, s29
	s_waitcnt lgkmcnt(5)
	v_add_f32_e32 v115, s84, v28
	s_delay_alu instid0(VALU_DEP_1) | instskip(SKIP_1) | instid1(SALU_CYCLE_1)
	v_cmp_ge_f32_e32 vcc_lo, 0x41a00000, v115
	s_and_b32 s28, s91, vcc_lo
	s_and_saveexec_b32 s29, s28
	s_cbranch_execz .LBB148_84
; %bb.83:                               ;   in Loop: Header=BB148_12 Depth=1
	v_mul_f32_e32 v28, 0x3fb8aa3b, v115
	v_cmp_ngt_f32_e32 vcc_lo, 0xc2ce8ed0, v115
	s_delay_alu instid0(VALU_DEP_2) | instskip(SKIP_1) | instid1(VALU_DEP_1)
	v_rndne_f32_e32 v30, v28
	v_fma_f32 v31, 0x3fb8aa3b, v115, -v28
	v_dual_sub_f32 v28, v28, v30 :: v_dual_fmac_f32 v31, 0x32a5705f, v115
	v_cvt_i32_f32_e32 v30, v30
	s_delay_alu instid0(VALU_DEP_2) | instskip(NEXT) | instid1(VALU_DEP_1)
	v_add_f32_e32 v28, v28, v31
	v_exp_f32_e32 v28, v28
	s_waitcnt_depctr 0xfff
	v_ldexp_f32 v28, v28, v30
	s_delay_alu instid0(VALU_DEP_1) | instskip(SKIP_1) | instid1(VALU_DEP_2)
	v_cndmask_b32_e32 v28, 0, v28, vcc_lo
	v_cmp_nlt_f32_e32 vcc_lo, 0x42b17218, v115
	v_cndmask_b32_e32 v28, 0x7f800000, v28, vcc_lo
	s_delay_alu instid0(VALU_DEP_1) | instskip(NEXT) | instid1(VALU_DEP_1)
	v_add_f32_e32 v32, 1.0, v28
	v_cvt_f64_f32_e32 v[30:31], v32
	s_delay_alu instid0(VALU_DEP_1) | instskip(SKIP_1) | instid1(VALU_DEP_1)
	v_frexp_exp_i32_f64_e32 v30, v[30:31]
	v_frexp_mant_f32_e32 v31, v32
	v_cmp_gt_f32_e32 vcc_lo, 0x3f2aaaab, v31
	v_add_f32_e32 v31, -1.0, v32
	s_delay_alu instid0(VALU_DEP_1) | instskip(SKIP_1) | instid1(VALU_DEP_2)
	v_sub_f32_e32 v35, v31, v32
	v_sub_f32_e32 v31, v28, v31
	v_add_f32_e32 v35, 1.0, v35
	s_delay_alu instid0(VALU_DEP_1) | instskip(SKIP_3) | instid1(VALU_DEP_2)
	v_add_f32_e32 v31, v31, v35
	v_cmp_gt_f32_e64 s28, 0x33800000, v28
	v_subrev_co_ci_u32_e32 v30, vcc_lo, 0, v30, vcc_lo
	v_cmp_eq_f32_e32 vcc_lo, 0x7f800000, v28
	v_sub_nc_u32_e32 v33, 0, v30
	v_cvt_f32_i32_e32 v30, v30
	s_or_b32 vcc_lo, s28, vcc_lo
	s_delay_alu instid0(VALU_DEP_2) | instskip(SKIP_1) | instid1(VALU_DEP_2)
	v_ldexp_f32 v32, v32, v33
	v_ldexp_f32 v31, v31, v33
	v_add_f32_e32 v33, -1.0, v32
	s_delay_alu instid0(VALU_DEP_1) | instskip(NEXT) | instid1(VALU_DEP_1)
	v_dual_add_f32 v115, 1.0, v32 :: v_dual_add_f32 v116, 1.0, v33
	v_add_f32_e32 v35, -1.0, v115
	s_delay_alu instid0(VALU_DEP_1) | instskip(NEXT) | instid1(VALU_DEP_1)
	v_sub_f32_e32 v35, v32, v35
	v_dual_sub_f32 v32, v32, v116 :: v_dual_add_f32 v35, v31, v35
	s_delay_alu instid0(VALU_DEP_1) | instskip(NEXT) | instid1(VALU_DEP_2)
	v_add_f32_e32 v31, v31, v32
	v_add_f32_e32 v116, v115, v35
	s_delay_alu instid0(VALU_DEP_2) | instskip(NEXT) | instid1(VALU_DEP_2)
	v_add_f32_e32 v117, v33, v31
	v_rcp_f32_e32 v32, v116
	v_sub_f32_e32 v115, v115, v116
	s_delay_alu instid0(VALU_DEP_2) | instskip(NEXT) | instid1(VALU_DEP_2)
	v_sub_f32_e32 v33, v33, v117
	v_add_f32_e32 v35, v35, v115
	s_waitcnt_depctr 0xfff
	v_dual_add_f32 v31, v31, v33 :: v_dual_mul_f32 v118, v117, v32
	s_delay_alu instid0(VALU_DEP_1) | instskip(NEXT) | instid1(VALU_DEP_1)
	v_mul_f32_e32 v119, v116, v118
	v_fma_f32 v115, v118, v116, -v119
	s_delay_alu instid0(VALU_DEP_1) | instskip(NEXT) | instid1(VALU_DEP_1)
	v_fmac_f32_e32 v115, v118, v35
	v_add_f32_e32 v120, v119, v115
	s_delay_alu instid0(VALU_DEP_1) | instskip(SKIP_1) | instid1(VALU_DEP_2)
	v_sub_f32_e32 v121, v117, v120
	v_sub_f32_e32 v33, v120, v119
	;; [unrolled: 1-line block ×3, first 2 shown]
	s_delay_alu instid0(VALU_DEP_2) | instskip(NEXT) | instid1(VALU_DEP_2)
	v_sub_f32_e32 v33, v33, v115
	v_sub_f32_e32 v117, v117, v120
	s_delay_alu instid0(VALU_DEP_1) | instskip(NEXT) | instid1(VALU_DEP_1)
	v_add_f32_e32 v31, v31, v117
	v_add_f32_e32 v31, v33, v31
	s_delay_alu instid0(VALU_DEP_1) | instskip(NEXT) | instid1(VALU_DEP_1)
	v_add_f32_e32 v33, v121, v31
	v_mul_f32_e32 v115, v32, v33
	s_delay_alu instid0(VALU_DEP_1) | instskip(NEXT) | instid1(VALU_DEP_1)
	v_dual_sub_f32 v120, v121, v33 :: v_dual_mul_f32 v117, v116, v115
	v_add_f32_e32 v31, v31, v120
	s_delay_alu instid0(VALU_DEP_2) | instskip(NEXT) | instid1(VALU_DEP_1)
	v_fma_f32 v116, v115, v116, -v117
	v_fmac_f32_e32 v116, v115, v35
	s_delay_alu instid0(VALU_DEP_1) | instskip(NEXT) | instid1(VALU_DEP_1)
	v_add_f32_e32 v35, v117, v116
	v_sub_f32_e32 v119, v33, v35
	v_sub_f32_e32 v117, v35, v117
	s_delay_alu instid0(VALU_DEP_2) | instskip(NEXT) | instid1(VALU_DEP_1)
	v_sub_f32_e32 v33, v33, v119
	v_sub_f32_e32 v33, v33, v35
	s_delay_alu instid0(VALU_DEP_3) | instskip(NEXT) | instid1(VALU_DEP_2)
	v_sub_f32_e32 v35, v117, v116
	v_add_f32_e32 v31, v31, v33
	v_add_f32_e32 v33, v118, v115
	s_delay_alu instid0(VALU_DEP_2) | instskip(NEXT) | instid1(VALU_DEP_2)
	v_add_f32_e32 v31, v35, v31
	v_sub_f32_e32 v35, v33, v118
	s_delay_alu instid0(VALU_DEP_2) | instskip(NEXT) | instid1(VALU_DEP_2)
	v_add_f32_e32 v31, v119, v31
	v_sub_f32_e32 v35, v115, v35
	s_delay_alu instid0(VALU_DEP_2) | instskip(NEXT) | instid1(VALU_DEP_1)
	v_mul_f32_e32 v31, v32, v31
	v_add_f32_e32 v31, v35, v31
	s_delay_alu instid0(VALU_DEP_1) | instskip(NEXT) | instid1(VALU_DEP_1)
	v_add_f32_e32 v32, v33, v31
	v_mul_f32_e32 v35, v32, v32
	s_delay_alu instid0(VALU_DEP_1) | instskip(SKIP_1) | instid1(VALU_DEP_2)
	v_fmaak_f32 v115, s74, v35, 0x3ecc95a3
	v_mul_f32_e32 v116, v32, v35
	v_fmaak_f32 v35, v35, v115, 0x3f2aaada
	v_ldexp_f32 v115, v32, 1
	v_sub_f32_e32 v32, v32, v33
	s_delay_alu instid0(VALU_DEP_3) | instskip(NEXT) | instid1(VALU_DEP_2)
	v_dual_mul_f32 v35, v116, v35 :: v_dual_mul_f32 v116, 0x3f317218, v30
	v_sub_f32_e32 v31, v31, v32
	s_delay_alu instid0(VALU_DEP_2) | instskip(NEXT) | instid1(VALU_DEP_2)
	v_add_f32_e32 v33, v115, v35
	v_ldexp_f32 v31, v31, 1
	s_delay_alu instid0(VALU_DEP_2) | instskip(SKIP_1) | instid1(VALU_DEP_1)
	v_sub_f32_e32 v32, v33, v115
	v_fma_f32 v115, 0x3f317218, v30, -v116
	v_dual_sub_f32 v32, v35, v32 :: v_dual_fmac_f32 v115, 0xb102e308, v30
	s_delay_alu instid0(VALU_DEP_1) | instskip(NEXT) | instid1(VALU_DEP_1)
	v_dual_add_f32 v30, v31, v32 :: v_dual_add_f32 v31, v116, v115
	v_add_f32_e32 v32, v33, v30
	s_delay_alu instid0(VALU_DEP_2) | instskip(NEXT) | instid1(VALU_DEP_2)
	v_sub_f32_e32 v116, v31, v116
	v_add_f32_e32 v35, v31, v32
	v_sub_f32_e32 v33, v32, v33
	s_delay_alu instid0(VALU_DEP_3) | instskip(NEXT) | instid1(VALU_DEP_2)
	v_sub_f32_e32 v115, v115, v116
	v_dual_sub_f32 v117, v35, v31 :: v_dual_sub_f32 v30, v30, v33
	s_delay_alu instid0(VALU_DEP_1) | instskip(NEXT) | instid1(VALU_DEP_2)
	v_sub_f32_e32 v118, v35, v117
	v_dual_sub_f32 v32, v32, v117 :: v_dual_add_f32 v33, v115, v30
	s_delay_alu instid0(VALU_DEP_2) | instskip(NEXT) | instid1(VALU_DEP_1)
	v_sub_f32_e32 v31, v31, v118
	v_add_f32_e32 v31, v32, v31
	s_delay_alu instid0(VALU_DEP_3) | instskip(NEXT) | instid1(VALU_DEP_2)
	v_sub_f32_e32 v32, v33, v115
	v_add_f32_e32 v31, v33, v31
	s_delay_alu instid0(VALU_DEP_2) | instskip(SKIP_1) | instid1(VALU_DEP_3)
	v_sub_f32_e32 v33, v33, v32
	v_sub_f32_e32 v30, v30, v32
	v_add_f32_e32 v116, v35, v31
	s_delay_alu instid0(VALU_DEP_1) | instskip(NEXT) | instid1(VALU_DEP_1)
	v_dual_sub_f32 v33, v115, v33 :: v_dual_sub_f32 v32, v116, v35
	v_dual_add_f32 v30, v30, v33 :: v_dual_sub_f32 v31, v31, v32
	s_delay_alu instid0(VALU_DEP_1) | instskip(NEXT) | instid1(VALU_DEP_1)
	v_add_f32_e32 v30, v30, v31
	v_add_f32_e32 v30, v116, v30
	s_delay_alu instid0(VALU_DEP_1)
	v_cndmask_b32_e32 v115, v30, v28, vcc_lo
.LBB148_84:                             ;   in Loop: Header=BB148_12 Depth=1
	s_or_b32 exec_lo, exec_lo, s29
	v_add_f32_e32 v116, s84, v29
	s_delay_alu instid0(VALU_DEP_1) | instskip(SKIP_1) | instid1(SALU_CYCLE_1)
	v_cmp_ge_f32_e32 vcc_lo, 0x41a00000, v116
	s_and_b32 s28, s91, vcc_lo
	s_and_saveexec_b32 s29, s28
	s_cbranch_execz .LBB148_86
; %bb.85:                               ;   in Loop: Header=BB148_12 Depth=1
	v_mul_f32_e32 v28, 0x3fb8aa3b, v116
	v_cmp_ngt_f32_e32 vcc_lo, 0xc2ce8ed0, v116
	s_delay_alu instid0(VALU_DEP_2) | instskip(SKIP_1) | instid1(VALU_DEP_2)
	v_rndne_f32_e32 v29, v28
	v_fma_f32 v30, 0x3fb8aa3b, v116, -v28
	v_sub_f32_e32 v28, v28, v29
	s_delay_alu instid0(VALU_DEP_2) | instskip(SKIP_1) | instid1(VALU_DEP_2)
	v_fmac_f32_e32 v30, 0x32a5705f, v116
	v_cvt_i32_f32_e32 v29, v29
	v_add_f32_e32 v28, v28, v30
	s_delay_alu instid0(VALU_DEP_1) | instskip(SKIP_2) | instid1(VALU_DEP_1)
	v_exp_f32_e32 v28, v28
	s_waitcnt_depctr 0xfff
	v_ldexp_f32 v28, v28, v29
	v_cndmask_b32_e32 v28, 0, v28, vcc_lo
	v_cmp_nlt_f32_e32 vcc_lo, 0x42b17218, v116
	s_delay_alu instid0(VALU_DEP_2) | instskip(NEXT) | instid1(VALU_DEP_1)
	v_cndmask_b32_e32 v30, 0x7f800000, v28, vcc_lo
	v_add_f32_e32 v31, 1.0, v30
	s_delay_alu instid0(VALU_DEP_1) | instskip(NEXT) | instid1(VALU_DEP_1)
	v_cvt_f64_f32_e32 v[28:29], v31
	v_frexp_exp_i32_f64_e32 v28, v[28:29]
	v_frexp_mant_f32_e32 v29, v31
	s_delay_alu instid0(VALU_DEP_1) | instskip(SKIP_1) | instid1(VALU_DEP_1)
	v_cmp_gt_f32_e32 vcc_lo, 0x3f2aaaab, v29
	v_add_f32_e32 v29, -1.0, v31
	v_sub_f32_e32 v33, v29, v31
	s_delay_alu instid0(VALU_DEP_1) | instskip(SKIP_1) | instid1(VALU_DEP_1)
	v_add_f32_e32 v33, 1.0, v33
	v_subrev_co_ci_u32_e32 v28, vcc_lo, 0, v28, vcc_lo
	v_sub_nc_u32_e32 v32, 0, v28
	v_cvt_f32_i32_e32 v28, v28
	s_delay_alu instid0(VALU_DEP_2) | instskip(NEXT) | instid1(VALU_DEP_1)
	v_ldexp_f32 v31, v31, v32
	v_add_f32_e32 v35, 1.0, v31
	v_sub_f32_e32 v29, v30, v29
	v_cmp_eq_f32_e32 vcc_lo, 0x7f800000, v30
	v_cmp_gt_f32_e64 s28, 0x33800000, v30
	s_delay_alu instid0(VALU_DEP_3) | instskip(NEXT) | instid1(VALU_DEP_2)
	v_add_f32_e32 v29, v29, v33
	s_or_b32 vcc_lo, s28, vcc_lo
	s_delay_alu instid0(VALU_DEP_1) | instskip(SKIP_1) | instid1(VALU_DEP_1)
	v_ldexp_f32 v29, v29, v32
	v_add_f32_e32 v32, -1.0, v31
	v_dual_add_f32 v33, -1.0, v35 :: v_dual_add_f32 v116, 1.0, v32
	s_delay_alu instid0(VALU_DEP_1) | instskip(NEXT) | instid1(VALU_DEP_2)
	v_sub_f32_e32 v33, v31, v33
	v_sub_f32_e32 v31, v31, v116
	s_delay_alu instid0(VALU_DEP_2) | instskip(NEXT) | instid1(VALU_DEP_1)
	v_add_f32_e32 v33, v29, v33
	v_dual_add_f32 v29, v29, v31 :: v_dual_add_f32 v116, v35, v33
	s_delay_alu instid0(VALU_DEP_1) | instskip(NEXT) | instid1(VALU_DEP_2)
	v_add_f32_e32 v117, v32, v29
	v_rcp_f32_e32 v31, v116
	s_delay_alu instid0(VALU_DEP_1) | instskip(SKIP_2) | instid1(VALU_DEP_1)
	v_sub_f32_e32 v32, v32, v117
	s_waitcnt_depctr 0xfff
	v_mul_f32_e32 v118, v117, v31
	v_mul_f32_e32 v119, v116, v118
	v_sub_f32_e32 v35, v35, v116
	s_delay_alu instid0(VALU_DEP_1) | instskip(NEXT) | instid1(VALU_DEP_3)
	v_add_f32_e32 v33, v33, v35
	v_fma_f32 v35, v118, v116, -v119
	v_add_f32_e32 v29, v29, v32
	s_delay_alu instid0(VALU_DEP_2) | instskip(NEXT) | instid1(VALU_DEP_1)
	v_fmac_f32_e32 v35, v118, v33
	v_add_f32_e32 v120, v119, v35
	s_delay_alu instid0(VALU_DEP_1) | instskip(NEXT) | instid1(VALU_DEP_1)
	v_dual_sub_f32 v32, v120, v119 :: v_dual_sub_f32 v121, v117, v120
	v_dual_sub_f32 v32, v32, v35 :: v_dual_sub_f32 v117, v117, v121
	s_delay_alu instid0(VALU_DEP_1) | instskip(NEXT) | instid1(VALU_DEP_1)
	v_sub_f32_e32 v117, v117, v120
	v_add_f32_e32 v29, v29, v117
	s_delay_alu instid0(VALU_DEP_1) | instskip(NEXT) | instid1(VALU_DEP_1)
	v_add_f32_e32 v29, v32, v29
	v_add_f32_e32 v32, v121, v29
	s_delay_alu instid0(VALU_DEP_1) | instskip(NEXT) | instid1(VALU_DEP_1)
	v_mul_f32_e32 v35, v31, v32
	v_dual_sub_f32 v120, v121, v32 :: v_dual_mul_f32 v117, v116, v35
	s_delay_alu instid0(VALU_DEP_1) | instskip(NEXT) | instid1(VALU_DEP_2)
	v_add_f32_e32 v29, v29, v120
	v_fma_f32 v116, v35, v116, -v117
	s_delay_alu instid0(VALU_DEP_1) | instskip(NEXT) | instid1(VALU_DEP_1)
	v_fmac_f32_e32 v116, v35, v33
	v_add_f32_e32 v33, v117, v116
	s_delay_alu instid0(VALU_DEP_1) | instskip(NEXT) | instid1(VALU_DEP_1)
	v_sub_f32_e32 v119, v32, v33
	v_dual_sub_f32 v117, v33, v117 :: v_dual_sub_f32 v32, v32, v119
	s_delay_alu instid0(VALU_DEP_1) | instskip(NEXT) | instid1(VALU_DEP_1)
	v_dual_sub_f32 v32, v32, v33 :: v_dual_sub_f32 v33, v117, v116
	v_dual_add_f32 v29, v29, v32 :: v_dual_add_f32 v32, v118, v35
	s_delay_alu instid0(VALU_DEP_1) | instskip(NEXT) | instid1(VALU_DEP_2)
	v_add_f32_e32 v29, v33, v29
	v_sub_f32_e32 v33, v32, v118
	s_delay_alu instid0(VALU_DEP_2) | instskip(NEXT) | instid1(VALU_DEP_2)
	v_add_f32_e32 v29, v119, v29
	v_sub_f32_e32 v33, v35, v33
	s_delay_alu instid0(VALU_DEP_2) | instskip(NEXT) | instid1(VALU_DEP_1)
	v_mul_f32_e32 v29, v31, v29
	v_add_f32_e32 v29, v33, v29
	s_delay_alu instid0(VALU_DEP_1) | instskip(NEXT) | instid1(VALU_DEP_1)
	v_add_f32_e32 v31, v32, v29
	v_mul_f32_e32 v33, v31, v31
	s_delay_alu instid0(VALU_DEP_1) | instskip(NEXT) | instid1(VALU_DEP_1)
	v_fmaak_f32 v35, s74, v33, 0x3ecc95a3
	v_dual_mul_f32 v116, v31, v33 :: v_dual_fmaak_f32 v33, v33, v35, 0x3f2aaada
	v_ldexp_f32 v35, v31, 1
	v_sub_f32_e32 v31, v31, v32
	s_delay_alu instid0(VALU_DEP_3) | instskip(NEXT) | instid1(VALU_DEP_1)
	v_dual_mul_f32 v33, v116, v33 :: v_dual_mul_f32 v116, 0x3f317218, v28
	v_dual_sub_f32 v29, v29, v31 :: v_dual_add_f32 v32, v35, v33
	s_delay_alu instid0(VALU_DEP_1) | instskip(NEXT) | instid1(VALU_DEP_2)
	v_ldexp_f32 v29, v29, 1
	v_sub_f32_e32 v31, v32, v35
	s_delay_alu instid0(VALU_DEP_4) | instskip(NEXT) | instid1(VALU_DEP_2)
	v_fma_f32 v35, 0x3f317218, v28, -v116
	v_sub_f32_e32 v31, v33, v31
	s_delay_alu instid0(VALU_DEP_1) | instskip(NEXT) | instid1(VALU_DEP_1)
	v_dual_fmac_f32 v35, 0xb102e308, v28 :: v_dual_add_f32 v28, v29, v31
	v_add_f32_e32 v29, v116, v35
	s_delay_alu instid0(VALU_DEP_2) | instskip(NEXT) | instid1(VALU_DEP_2)
	v_add_f32_e32 v31, v32, v28
	v_sub_f32_e32 v116, v29, v116
	s_delay_alu instid0(VALU_DEP_2) | instskip(NEXT) | instid1(VALU_DEP_2)
	v_dual_add_f32 v33, v29, v31 :: v_dual_sub_f32 v32, v31, v32
	v_sub_f32_e32 v35, v35, v116
	s_delay_alu instid0(VALU_DEP_2) | instskip(NEXT) | instid1(VALU_DEP_1)
	v_dual_sub_f32 v117, v33, v29 :: v_dual_sub_f32 v28, v28, v32
	v_sub_f32_e32 v118, v33, v117
	v_sub_f32_e32 v31, v31, v117
	s_delay_alu instid0(VALU_DEP_2) | instskip(NEXT) | instid1(VALU_DEP_1)
	v_dual_add_f32 v32, v35, v28 :: v_dual_sub_f32 v29, v29, v118
	v_add_f32_e32 v29, v31, v29
	s_delay_alu instid0(VALU_DEP_2) | instskip(NEXT) | instid1(VALU_DEP_2)
	v_sub_f32_e32 v31, v32, v35
	v_add_f32_e32 v29, v32, v29
	s_delay_alu instid0(VALU_DEP_2) | instskip(SKIP_1) | instid1(VALU_DEP_3)
	v_sub_f32_e32 v32, v32, v31
	v_sub_f32_e32 v28, v28, v31
	v_add_f32_e32 v116, v33, v29
	s_delay_alu instid0(VALU_DEP_1) | instskip(NEXT) | instid1(VALU_DEP_1)
	v_dual_sub_f32 v32, v35, v32 :: v_dual_sub_f32 v31, v116, v33
	v_dual_add_f32 v28, v28, v32 :: v_dual_sub_f32 v29, v29, v31
	s_delay_alu instid0(VALU_DEP_1) | instskip(NEXT) | instid1(VALU_DEP_1)
	v_add_f32_e32 v28, v28, v29
	v_add_f32_e32 v28, v116, v28
	s_delay_alu instid0(VALU_DEP_1)
	v_cndmask_b32_e32 v116, v28, v30, vcc_lo
.LBB148_86:                             ;   in Loop: Header=BB148_12 Depth=1
	s_or_b32 exec_lo, exec_lo, s29
	s_waitcnt lgkmcnt(4)
	v_add_f32_e32 v117, s84, v26
	s_delay_alu instid0(VALU_DEP_1) | instskip(SKIP_1) | instid1(SALU_CYCLE_1)
	v_cmp_ge_f32_e32 vcc_lo, 0x41a00000, v117
	s_and_b32 s28, s91, vcc_lo
	s_and_saveexec_b32 s29, s28
	s_cbranch_execz .LBB148_88
; %bb.87:                               ;   in Loop: Header=BB148_12 Depth=1
	v_mul_f32_e32 v26, 0x3fb8aa3b, v117
	v_cmp_ngt_f32_e32 vcc_lo, 0xc2ce8ed0, v117
	s_delay_alu instid0(VALU_DEP_2) | instskip(SKIP_1) | instid1(VALU_DEP_1)
	v_rndne_f32_e32 v28, v26
	v_fma_f32 v29, 0x3fb8aa3b, v117, -v26
	v_dual_sub_f32 v26, v26, v28 :: v_dual_fmac_f32 v29, 0x32a5705f, v117
	v_cvt_i32_f32_e32 v28, v28
	s_delay_alu instid0(VALU_DEP_2) | instskip(NEXT) | instid1(VALU_DEP_1)
	v_add_f32_e32 v26, v26, v29
	v_exp_f32_e32 v26, v26
	s_waitcnt_depctr 0xfff
	v_ldexp_f32 v26, v26, v28
	s_delay_alu instid0(VALU_DEP_1) | instskip(SKIP_1) | instid1(VALU_DEP_2)
	v_cndmask_b32_e32 v26, 0, v26, vcc_lo
	v_cmp_nlt_f32_e32 vcc_lo, 0x42b17218, v117
	v_cndmask_b32_e32 v26, 0x7f800000, v26, vcc_lo
	s_delay_alu instid0(VALU_DEP_1) | instskip(NEXT) | instid1(VALU_DEP_1)
	v_add_f32_e32 v30, 1.0, v26
	v_cvt_f64_f32_e32 v[28:29], v30
	s_delay_alu instid0(VALU_DEP_1) | instskip(SKIP_1) | instid1(VALU_DEP_1)
	v_frexp_exp_i32_f64_e32 v28, v[28:29]
	v_frexp_mant_f32_e32 v29, v30
	v_cmp_gt_f32_e32 vcc_lo, 0x3f2aaaab, v29
	v_add_f32_e32 v29, -1.0, v30
	s_delay_alu instid0(VALU_DEP_1) | instskip(SKIP_1) | instid1(VALU_DEP_1)
	v_dual_sub_f32 v32, v29, v30 :: v_dual_sub_f32 v29, v26, v29
	v_subrev_co_ci_u32_e32 v28, vcc_lo, 0, v28, vcc_lo
	v_sub_nc_u32_e32 v31, 0, v28
	v_cvt_f32_i32_e32 v28, v28
	s_delay_alu instid0(VALU_DEP_2) | instskip(NEXT) | instid1(VALU_DEP_1)
	v_ldexp_f32 v30, v30, v31
	v_dual_add_f32 v32, 1.0, v32 :: v_dual_add_f32 v33, 1.0, v30
	s_delay_alu instid0(VALU_DEP_1) | instskip(NEXT) | instid1(VALU_DEP_1)
	v_add_f32_e32 v29, v29, v32
	v_ldexp_f32 v29, v29, v31
	s_delay_alu instid0(VALU_DEP_3) | instskip(NEXT) | instid1(VALU_DEP_1)
	v_dual_add_f32 v31, -1.0, v30 :: v_dual_add_f32 v32, -1.0, v33
	v_dual_add_f32 v35, 1.0, v31 :: v_dual_sub_f32 v32, v30, v32
	v_cmp_eq_f32_e32 vcc_lo, 0x7f800000, v26
	v_cmp_gt_f32_e64 s28, 0x33800000, v26
	s_delay_alu instid0(VALU_DEP_3) | instskip(NEXT) | instid1(VALU_DEP_4)
	v_add_f32_e32 v32, v29, v32
	v_sub_f32_e32 v30, v30, v35
	s_delay_alu instid0(VALU_DEP_3) | instskip(NEXT) | instid1(VALU_DEP_2)
	s_or_b32 vcc_lo, s28, vcc_lo
	v_add_f32_e32 v35, v33, v32
	s_delay_alu instid0(VALU_DEP_2) | instskip(NEXT) | instid1(VALU_DEP_2)
	v_add_f32_e32 v29, v29, v30
	v_rcp_f32_e32 v30, v35
	s_delay_alu instid0(VALU_DEP_1) | instskip(SKIP_3) | instid1(VALU_DEP_1)
	v_add_f32_e32 v117, v31, v29
	v_sub_f32_e32 v33, v33, v35
	s_waitcnt_depctr 0xfff
	v_dual_sub_f32 v31, v31, v117 :: v_dual_mul_f32 v118, v117, v30
	v_add_f32_e32 v29, v29, v31
	s_delay_alu instid0(VALU_DEP_2) | instskip(NEXT) | instid1(VALU_DEP_1)
	v_dual_mul_f32 v119, v35, v118 :: v_dual_add_f32 v32, v32, v33
	v_fma_f32 v33, v118, v35, -v119
	s_delay_alu instid0(VALU_DEP_1) | instskip(NEXT) | instid1(VALU_DEP_1)
	v_fmac_f32_e32 v33, v118, v32
	v_add_f32_e32 v120, v119, v33
	s_delay_alu instid0(VALU_DEP_1) | instskip(SKIP_1) | instid1(VALU_DEP_2)
	v_sub_f32_e32 v121, v117, v120
	v_sub_f32_e32 v31, v120, v119
	;; [unrolled: 1-line block ×3, first 2 shown]
	s_delay_alu instid0(VALU_DEP_2) | instskip(NEXT) | instid1(VALU_DEP_2)
	v_sub_f32_e32 v31, v31, v33
	v_sub_f32_e32 v117, v117, v120
	s_delay_alu instid0(VALU_DEP_1) | instskip(NEXT) | instid1(VALU_DEP_1)
	v_add_f32_e32 v29, v29, v117
	v_add_f32_e32 v29, v31, v29
	s_delay_alu instid0(VALU_DEP_1) | instskip(NEXT) | instid1(VALU_DEP_1)
	v_add_f32_e32 v31, v121, v29
	v_mul_f32_e32 v33, v30, v31
	s_delay_alu instid0(VALU_DEP_1) | instskip(NEXT) | instid1(VALU_DEP_1)
	v_dual_sub_f32 v120, v121, v31 :: v_dual_mul_f32 v117, v35, v33
	v_add_f32_e32 v29, v29, v120
	s_delay_alu instid0(VALU_DEP_2) | instskip(NEXT) | instid1(VALU_DEP_1)
	v_fma_f32 v35, v33, v35, -v117
	v_fmac_f32_e32 v35, v33, v32
	s_delay_alu instid0(VALU_DEP_1) | instskip(NEXT) | instid1(VALU_DEP_1)
	v_add_f32_e32 v32, v117, v35
	v_sub_f32_e32 v119, v31, v32
	v_sub_f32_e32 v117, v32, v117
	s_delay_alu instid0(VALU_DEP_2) | instskip(NEXT) | instid1(VALU_DEP_1)
	v_sub_f32_e32 v31, v31, v119
	v_dual_sub_f32 v31, v31, v32 :: v_dual_sub_f32 v32, v117, v35
	s_delay_alu instid0(VALU_DEP_1) | instskip(SKIP_1) | instid1(VALU_DEP_1)
	v_add_f32_e32 v29, v29, v31
	v_add_f32_e32 v31, v118, v33
	v_dual_add_f32 v29, v32, v29 :: v_dual_sub_f32 v32, v31, v118
	s_delay_alu instid0(VALU_DEP_1) | instskip(NEXT) | instid1(VALU_DEP_1)
	v_dual_add_f32 v29, v119, v29 :: v_dual_sub_f32 v32, v33, v32
	v_mul_f32_e32 v29, v30, v29
	s_delay_alu instid0(VALU_DEP_1) | instskip(NEXT) | instid1(VALU_DEP_1)
	v_add_f32_e32 v29, v32, v29
	v_add_f32_e32 v30, v31, v29
	s_delay_alu instid0(VALU_DEP_1) | instskip(NEXT) | instid1(VALU_DEP_1)
	v_mul_f32_e32 v32, v30, v30
	v_fmaak_f32 v33, s74, v32, 0x3ecc95a3
	s_delay_alu instid0(VALU_DEP_1) | instskip(SKIP_2) | instid1(VALU_DEP_3)
	v_dual_mul_f32 v35, v30, v32 :: v_dual_fmaak_f32 v32, v32, v33, 0x3f2aaada
	v_ldexp_f32 v33, v30, 1
	v_sub_f32_e32 v30, v30, v31
	v_mul_f32_e32 v32, v35, v32
	v_mul_f32_e32 v35, 0x3f317218, v28
	s_delay_alu instid0(VALU_DEP_3) | instskip(NEXT) | instid1(VALU_DEP_3)
	v_sub_f32_e32 v29, v29, v30
	v_add_f32_e32 v31, v33, v32
	s_delay_alu instid0(VALU_DEP_2) | instskip(NEXT) | instid1(VALU_DEP_2)
	v_ldexp_f32 v29, v29, 1
	v_sub_f32_e32 v30, v31, v33
	v_fma_f32 v33, 0x3f317218, v28, -v35
	s_delay_alu instid0(VALU_DEP_1) | instskip(NEXT) | instid1(VALU_DEP_1)
	v_dual_sub_f32 v30, v32, v30 :: v_dual_fmac_f32 v33, 0xb102e308, v28
	v_dual_add_f32 v28, v29, v30 :: v_dual_add_f32 v29, v35, v33
	s_delay_alu instid0(VALU_DEP_1) | instskip(NEXT) | instid1(VALU_DEP_1)
	v_dual_add_f32 v30, v31, v28 :: v_dual_sub_f32 v35, v29, v35
	v_dual_add_f32 v32, v29, v30 :: v_dual_sub_f32 v31, v30, v31
	s_delay_alu instid0(VALU_DEP_2) | instskip(NEXT) | instid1(VALU_DEP_2)
	v_sub_f32_e32 v33, v33, v35
	v_sub_f32_e32 v117, v32, v29
	s_delay_alu instid0(VALU_DEP_3) | instskip(NEXT) | instid1(VALU_DEP_2)
	v_sub_f32_e32 v28, v28, v31
	v_sub_f32_e32 v118, v32, v117
	s_delay_alu instid0(VALU_DEP_2) | instskip(NEXT) | instid1(VALU_DEP_2)
	v_dual_sub_f32 v30, v30, v117 :: v_dual_add_f32 v31, v33, v28
	v_sub_f32_e32 v29, v29, v118
	s_delay_alu instid0(VALU_DEP_1) | instskip(NEXT) | instid1(VALU_DEP_3)
	v_add_f32_e32 v29, v30, v29
	v_sub_f32_e32 v30, v31, v33
	s_delay_alu instid0(VALU_DEP_2) | instskip(NEXT) | instid1(VALU_DEP_2)
	v_add_f32_e32 v29, v31, v29
	v_sub_f32_e32 v31, v31, v30
	v_sub_f32_e32 v28, v28, v30
	s_delay_alu instid0(VALU_DEP_3) | instskip(NEXT) | instid1(VALU_DEP_1)
	v_add_f32_e32 v35, v32, v29
	v_dual_sub_f32 v31, v33, v31 :: v_dual_sub_f32 v30, v35, v32
	s_delay_alu instid0(VALU_DEP_1) | instskip(NEXT) | instid1(VALU_DEP_1)
	v_dual_add_f32 v28, v28, v31 :: v_dual_sub_f32 v29, v29, v30
	v_add_f32_e32 v28, v28, v29
	s_delay_alu instid0(VALU_DEP_1) | instskip(NEXT) | instid1(VALU_DEP_1)
	v_add_f32_e32 v28, v35, v28
	v_cndmask_b32_e32 v117, v28, v26, vcc_lo
.LBB148_88:                             ;   in Loop: Header=BB148_12 Depth=1
	s_or_b32 exec_lo, exec_lo, s29
	v_add_f32_e32 v118, s84, v27
	s_delay_alu instid0(VALU_DEP_1) | instskip(SKIP_1) | instid1(SALU_CYCLE_1)
	v_cmp_ge_f32_e32 vcc_lo, 0x41a00000, v118
	s_and_b32 s28, s91, vcc_lo
	s_and_saveexec_b32 s29, s28
	s_cbranch_execz .LBB148_90
; %bb.89:                               ;   in Loop: Header=BB148_12 Depth=1
	v_mul_f32_e32 v26, 0x3fb8aa3b, v118
	v_cmp_ngt_f32_e32 vcc_lo, 0xc2ce8ed0, v118
	s_delay_alu instid0(VALU_DEP_2) | instskip(SKIP_1) | instid1(VALU_DEP_2)
	v_rndne_f32_e32 v27, v26
	v_fma_f32 v28, 0x3fb8aa3b, v118, -v26
	v_sub_f32_e32 v26, v26, v27
	s_delay_alu instid0(VALU_DEP_2) | instskip(SKIP_1) | instid1(VALU_DEP_2)
	v_fmac_f32_e32 v28, 0x32a5705f, v118
	v_cvt_i32_f32_e32 v27, v27
	v_add_f32_e32 v26, v26, v28
	s_delay_alu instid0(VALU_DEP_1) | instskip(SKIP_2) | instid1(VALU_DEP_1)
	v_exp_f32_e32 v26, v26
	s_waitcnt_depctr 0xfff
	v_ldexp_f32 v26, v26, v27
	v_cndmask_b32_e32 v26, 0, v26, vcc_lo
	v_cmp_nlt_f32_e32 vcc_lo, 0x42b17218, v118
	s_delay_alu instid0(VALU_DEP_2) | instskip(NEXT) | instid1(VALU_DEP_1)
	v_cndmask_b32_e32 v28, 0x7f800000, v26, vcc_lo
	v_add_f32_e32 v29, 1.0, v28
	s_delay_alu instid0(VALU_DEP_1) | instskip(NEXT) | instid1(VALU_DEP_1)
	v_cvt_f64_f32_e32 v[26:27], v29
	v_frexp_exp_i32_f64_e32 v26, v[26:27]
	v_frexp_mant_f32_e32 v27, v29
	s_delay_alu instid0(VALU_DEP_1) | instskip(SKIP_1) | instid1(VALU_DEP_1)
	v_cmp_gt_f32_e32 vcc_lo, 0x3f2aaaab, v27
	v_add_f32_e32 v27, -1.0, v29
	v_sub_f32_e32 v31, v27, v29
	v_sub_f32_e32 v27, v28, v27
	s_delay_alu instid0(VALU_DEP_2) | instskip(NEXT) | instid1(VALU_DEP_1)
	v_add_f32_e32 v31, 1.0, v31
	v_add_f32_e32 v27, v27, v31
	v_cmp_gt_f32_e64 s28, 0x33800000, v28
	v_subrev_co_ci_u32_e32 v26, vcc_lo, 0, v26, vcc_lo
	v_cmp_eq_f32_e32 vcc_lo, 0x7f800000, v28
	s_delay_alu instid0(VALU_DEP_2) | instskip(SKIP_2) | instid1(VALU_DEP_2)
	v_sub_nc_u32_e32 v30, 0, v26
	v_cvt_f32_i32_e32 v26, v26
	s_or_b32 vcc_lo, s28, vcc_lo
	v_ldexp_f32 v29, v29, v30
	v_ldexp_f32 v27, v27, v30
	s_delay_alu instid0(VALU_DEP_2) | instskip(NEXT) | instid1(VALU_DEP_1)
	v_add_f32_e32 v32, 1.0, v29
	v_dual_add_f32 v30, -1.0, v29 :: v_dual_add_f32 v31, -1.0, v32
	s_delay_alu instid0(VALU_DEP_1) | instskip(NEXT) | instid1(VALU_DEP_2)
	v_add_f32_e32 v33, 1.0, v30
	v_sub_f32_e32 v31, v29, v31
	s_delay_alu instid0(VALU_DEP_2) | instskip(NEXT) | instid1(VALU_DEP_2)
	v_sub_f32_e32 v29, v29, v33
	v_add_f32_e32 v31, v27, v31
	s_delay_alu instid0(VALU_DEP_2) | instskip(NEXT) | instid1(VALU_DEP_2)
	v_add_f32_e32 v27, v27, v29
	v_add_f32_e32 v33, v32, v31
	s_delay_alu instid0(VALU_DEP_1) | instskip(NEXT) | instid1(VALU_DEP_2)
	v_rcp_f32_e32 v29, v33
	v_dual_add_f32 v35, v30, v27 :: v_dual_sub_f32 v32, v32, v33
	s_delay_alu instid0(VALU_DEP_1) | instskip(SKIP_3) | instid1(VALU_DEP_2)
	v_sub_f32_e32 v30, v30, v35
	s_waitcnt_depctr 0xfff
	v_mul_f32_e32 v118, v35, v29
	v_add_f32_e32 v27, v27, v30
	v_mul_f32_e32 v119, v33, v118
	v_add_f32_e32 v31, v31, v32
	s_delay_alu instid0(VALU_DEP_2) | instskip(NEXT) | instid1(VALU_DEP_1)
	v_fma_f32 v32, v118, v33, -v119
	v_fmac_f32_e32 v32, v118, v31
	s_delay_alu instid0(VALU_DEP_1) | instskip(NEXT) | instid1(VALU_DEP_1)
	v_add_f32_e32 v120, v119, v32
	v_dual_sub_f32 v30, v120, v119 :: v_dual_sub_f32 v121, v35, v120
	s_delay_alu instid0(VALU_DEP_1) | instskip(NEXT) | instid1(VALU_DEP_1)
	v_dual_sub_f32 v30, v30, v32 :: v_dual_sub_f32 v35, v35, v121
	v_sub_f32_e32 v35, v35, v120
	s_delay_alu instid0(VALU_DEP_1) | instskip(NEXT) | instid1(VALU_DEP_1)
	v_add_f32_e32 v27, v27, v35
	v_add_f32_e32 v27, v30, v27
	s_delay_alu instid0(VALU_DEP_1) | instskip(NEXT) | instid1(VALU_DEP_1)
	v_add_f32_e32 v30, v121, v27
	v_mul_f32_e32 v32, v29, v30
	v_sub_f32_e32 v120, v121, v30
	s_delay_alu instid0(VALU_DEP_2) | instskip(NEXT) | instid1(VALU_DEP_2)
	v_mul_f32_e32 v35, v33, v32
	v_add_f32_e32 v27, v27, v120
	s_delay_alu instid0(VALU_DEP_2) | instskip(NEXT) | instid1(VALU_DEP_1)
	v_fma_f32 v33, v32, v33, -v35
	v_fmac_f32_e32 v33, v32, v31
	s_delay_alu instid0(VALU_DEP_1) | instskip(NEXT) | instid1(VALU_DEP_1)
	v_add_f32_e32 v31, v35, v33
	v_sub_f32_e32 v119, v30, v31
	v_sub_f32_e32 v35, v31, v35
	s_delay_alu instid0(VALU_DEP_2) | instskip(NEXT) | instid1(VALU_DEP_1)
	v_sub_f32_e32 v30, v30, v119
	v_dual_sub_f32 v30, v30, v31 :: v_dual_sub_f32 v31, v35, v33
	s_delay_alu instid0(VALU_DEP_1) | instskip(NEXT) | instid1(VALU_DEP_1)
	v_dual_add_f32 v27, v27, v30 :: v_dual_add_f32 v30, v118, v32
	v_add_f32_e32 v27, v31, v27
	s_delay_alu instid0(VALU_DEP_2) | instskip(NEXT) | instid1(VALU_DEP_2)
	v_sub_f32_e32 v31, v30, v118
	v_add_f32_e32 v27, v119, v27
	s_delay_alu instid0(VALU_DEP_2) | instskip(NEXT) | instid1(VALU_DEP_2)
	v_sub_f32_e32 v31, v32, v31
	v_mul_f32_e32 v27, v29, v27
	s_delay_alu instid0(VALU_DEP_1) | instskip(NEXT) | instid1(VALU_DEP_1)
	v_add_f32_e32 v27, v31, v27
	v_add_f32_e32 v29, v30, v27
	s_delay_alu instid0(VALU_DEP_1) | instskip(NEXT) | instid1(VALU_DEP_1)
	v_mul_f32_e32 v31, v29, v29
	v_fmaak_f32 v32, s74, v31, 0x3ecc95a3
	v_mul_f32_e32 v33, v29, v31
	s_delay_alu instid0(VALU_DEP_2) | instskip(SKIP_2) | instid1(VALU_DEP_3)
	v_fmaak_f32 v31, v31, v32, 0x3f2aaada
	v_ldexp_f32 v32, v29, 1
	v_sub_f32_e32 v29, v29, v30
	v_mul_f32_e32 v31, v33, v31
	v_mul_f32_e32 v33, 0x3f317218, v26
	s_delay_alu instid0(VALU_DEP_2) | instskip(NEXT) | instid1(VALU_DEP_1)
	v_dual_sub_f32 v27, v27, v29 :: v_dual_add_f32 v30, v32, v31
	v_ldexp_f32 v27, v27, 1
	s_delay_alu instid0(VALU_DEP_2) | instskip(NEXT) | instid1(VALU_DEP_4)
	v_sub_f32_e32 v29, v30, v32
	v_fma_f32 v32, 0x3f317218, v26, -v33
	s_delay_alu instid0(VALU_DEP_1) | instskip(NEXT) | instid1(VALU_DEP_1)
	v_dual_sub_f32 v29, v31, v29 :: v_dual_fmac_f32 v32, 0xb102e308, v26
	v_dual_add_f32 v26, v27, v29 :: v_dual_add_f32 v27, v33, v32
	s_delay_alu instid0(VALU_DEP_1) | instskip(NEXT) | instid1(VALU_DEP_2)
	v_add_f32_e32 v29, v30, v26
	v_sub_f32_e32 v33, v27, v33
	s_delay_alu instid0(VALU_DEP_2) | instskip(NEXT) | instid1(VALU_DEP_1)
	v_dual_add_f32 v31, v27, v29 :: v_dual_sub_f32 v30, v29, v30
	v_dual_sub_f32 v32, v32, v33 :: v_dual_sub_f32 v35, v31, v27
	s_delay_alu instid0(VALU_DEP_2) | instskip(NEXT) | instid1(VALU_DEP_2)
	v_sub_f32_e32 v26, v26, v30
	v_sub_f32_e32 v118, v31, v35
	s_delay_alu instid0(VALU_DEP_2) | instskip(NEXT) | instid1(VALU_DEP_2)
	v_dual_sub_f32 v29, v29, v35 :: v_dual_add_f32 v30, v32, v26
	v_sub_f32_e32 v27, v27, v118
	s_delay_alu instid0(VALU_DEP_1) | instskip(NEXT) | instid1(VALU_DEP_3)
	v_add_f32_e32 v27, v29, v27
	v_sub_f32_e32 v29, v30, v32
	s_delay_alu instid0(VALU_DEP_2) | instskip(NEXT) | instid1(VALU_DEP_2)
	v_add_f32_e32 v27, v30, v27
	v_sub_f32_e32 v30, v30, v29
	s_delay_alu instid0(VALU_DEP_2) | instskip(NEXT) | instid1(VALU_DEP_1)
	v_dual_sub_f32 v26, v26, v29 :: v_dual_add_f32 v33, v31, v27
	v_dual_sub_f32 v30, v32, v30 :: v_dual_sub_f32 v29, v33, v31
	s_delay_alu instid0(VALU_DEP_1) | instskip(NEXT) | instid1(VALU_DEP_1)
	v_dual_add_f32 v26, v26, v30 :: v_dual_sub_f32 v27, v27, v29
	v_add_f32_e32 v26, v26, v27
	s_delay_alu instid0(VALU_DEP_1) | instskip(NEXT) | instid1(VALU_DEP_1)
	v_add_f32_e32 v26, v33, v26
	v_cndmask_b32_e32 v118, v26, v28, vcc_lo
.LBB148_90:                             ;   in Loop: Header=BB148_12 Depth=1
	s_or_b32 exec_lo, exec_lo, s29
	s_waitcnt lgkmcnt(3)
	v_add_f32_e32 v119, s84, v24
	s_delay_alu instid0(VALU_DEP_1) | instskip(SKIP_1) | instid1(SALU_CYCLE_1)
	v_cmp_ge_f32_e32 vcc_lo, 0x41a00000, v119
	s_and_b32 s28, s91, vcc_lo
	s_and_saveexec_b32 s29, s28
	s_cbranch_execz .LBB148_92
; %bb.91:                               ;   in Loop: Header=BB148_12 Depth=1
	v_mul_f32_e32 v24, 0x3fb8aa3b, v119
	v_cmp_ngt_f32_e32 vcc_lo, 0xc2ce8ed0, v119
	s_delay_alu instid0(VALU_DEP_2) | instskip(SKIP_1) | instid1(VALU_DEP_1)
	v_rndne_f32_e32 v26, v24
	v_fma_f32 v27, 0x3fb8aa3b, v119, -v24
	v_dual_sub_f32 v24, v24, v26 :: v_dual_fmac_f32 v27, 0x32a5705f, v119
	v_cvt_i32_f32_e32 v26, v26
	s_delay_alu instid0(VALU_DEP_2) | instskip(NEXT) | instid1(VALU_DEP_1)
	v_add_f32_e32 v24, v24, v27
	v_exp_f32_e32 v24, v24
	s_waitcnt_depctr 0xfff
	v_ldexp_f32 v24, v24, v26
	s_delay_alu instid0(VALU_DEP_1) | instskip(SKIP_1) | instid1(VALU_DEP_2)
	v_cndmask_b32_e32 v24, 0, v24, vcc_lo
	v_cmp_nlt_f32_e32 vcc_lo, 0x42b17218, v119
	v_cndmask_b32_e32 v24, 0x7f800000, v24, vcc_lo
	s_delay_alu instid0(VALU_DEP_1) | instskip(NEXT) | instid1(VALU_DEP_1)
	v_add_f32_e32 v28, 1.0, v24
	v_cvt_f64_f32_e32 v[26:27], v28
	s_delay_alu instid0(VALU_DEP_1) | instskip(SKIP_1) | instid1(VALU_DEP_1)
	v_frexp_exp_i32_f64_e32 v26, v[26:27]
	v_frexp_mant_f32_e32 v27, v28
	v_cmp_gt_f32_e32 vcc_lo, 0x3f2aaaab, v27
	v_add_f32_e32 v27, -1.0, v28
	s_delay_alu instid0(VALU_DEP_1) | instskip(SKIP_1) | instid1(VALU_DEP_1)
	v_dual_sub_f32 v30, v27, v28 :: v_dual_sub_f32 v27, v24, v27
	v_subrev_co_ci_u32_e32 v26, vcc_lo, 0, v26, vcc_lo
	v_sub_nc_u32_e32 v29, 0, v26
	v_cvt_f32_i32_e32 v26, v26
	s_delay_alu instid0(VALU_DEP_2) | instskip(NEXT) | instid1(VALU_DEP_1)
	v_ldexp_f32 v28, v28, v29
	v_dual_add_f32 v30, 1.0, v30 :: v_dual_add_f32 v31, 1.0, v28
	s_delay_alu instid0(VALU_DEP_1) | instskip(NEXT) | instid1(VALU_DEP_1)
	v_add_f32_e32 v27, v27, v30
	v_ldexp_f32 v27, v27, v29
	s_delay_alu instid0(VALU_DEP_3) | instskip(NEXT) | instid1(VALU_DEP_1)
	v_dual_add_f32 v29, -1.0, v28 :: v_dual_add_f32 v30, -1.0, v31
	v_add_f32_e32 v32, 1.0, v29
	s_delay_alu instid0(VALU_DEP_2) | instskip(NEXT) | instid1(VALU_DEP_2)
	v_sub_f32_e32 v30, v28, v30
	v_sub_f32_e32 v28, v28, v32
	s_delay_alu instid0(VALU_DEP_2) | instskip(NEXT) | instid1(VALU_DEP_2)
	v_add_f32_e32 v30, v27, v30
	v_add_f32_e32 v27, v27, v28
	s_delay_alu instid0(VALU_DEP_1) | instskip(SKIP_2) | instid1(VALU_DEP_3)
	v_dual_add_f32 v33, v29, v27 :: v_dual_add_f32 v32, v31, v30
	v_cmp_eq_f32_e32 vcc_lo, 0x7f800000, v24
	v_cmp_gt_f32_e64 s28, 0x33800000, v24
	v_sub_f32_e32 v29, v29, v33
	s_delay_alu instid0(VALU_DEP_4) | instskip(SKIP_1) | instid1(VALU_DEP_3)
	v_rcp_f32_e32 v28, v32
	v_sub_f32_e32 v31, v31, v32
	s_or_b32 vcc_lo, s28, vcc_lo
	s_delay_alu instid0(VALU_DEP_1) | instskip(SKIP_2) | instid1(VALU_DEP_1)
	v_dual_add_f32 v27, v27, v29 :: v_dual_add_f32 v30, v30, v31
	s_waitcnt_depctr 0xfff
	v_mul_f32_e32 v35, v33, v28
	v_mul_f32_e32 v119, v32, v35
	s_delay_alu instid0(VALU_DEP_1) | instskip(NEXT) | instid1(VALU_DEP_1)
	v_fma_f32 v31, v35, v32, -v119
	v_fmac_f32_e32 v31, v35, v30
	s_delay_alu instid0(VALU_DEP_1) | instskip(NEXT) | instid1(VALU_DEP_1)
	v_add_f32_e32 v120, v119, v31
	v_sub_f32_e32 v121, v33, v120
	v_sub_f32_e32 v29, v120, v119
	s_delay_alu instid0(VALU_DEP_2) | instskip(NEXT) | instid1(VALU_DEP_2)
	v_sub_f32_e32 v33, v33, v121
	v_sub_f32_e32 v29, v29, v31
	s_delay_alu instid0(VALU_DEP_2) | instskip(NEXT) | instid1(VALU_DEP_1)
	v_sub_f32_e32 v33, v33, v120
	v_add_f32_e32 v27, v27, v33
	s_delay_alu instid0(VALU_DEP_1) | instskip(NEXT) | instid1(VALU_DEP_1)
	v_add_f32_e32 v27, v29, v27
	v_add_f32_e32 v29, v121, v27
	s_delay_alu instid0(VALU_DEP_1) | instskip(NEXT) | instid1(VALU_DEP_1)
	v_mul_f32_e32 v31, v28, v29
	v_dual_sub_f32 v120, v121, v29 :: v_dual_mul_f32 v33, v32, v31
	s_delay_alu instid0(VALU_DEP_1) | instskip(NEXT) | instid1(VALU_DEP_2)
	v_add_f32_e32 v27, v27, v120
	v_fma_f32 v32, v31, v32, -v33
	s_delay_alu instid0(VALU_DEP_1) | instskip(NEXT) | instid1(VALU_DEP_1)
	v_fmac_f32_e32 v32, v31, v30
	v_add_f32_e32 v30, v33, v32
	s_delay_alu instid0(VALU_DEP_1) | instskip(NEXT) | instid1(VALU_DEP_1)
	v_sub_f32_e32 v119, v29, v30
	v_sub_f32_e32 v29, v29, v119
	s_delay_alu instid0(VALU_DEP_1) | instskip(NEXT) | instid1(VALU_DEP_1)
	v_sub_f32_e32 v29, v29, v30
	v_add_f32_e32 v27, v27, v29
	v_add_f32_e32 v29, v35, v31
	v_sub_f32_e32 v33, v30, v33
	s_delay_alu instid0(VALU_DEP_1) | instskip(NEXT) | instid1(VALU_DEP_1)
	v_sub_f32_e32 v30, v33, v32
	v_add_f32_e32 v27, v30, v27
	s_delay_alu instid0(VALU_DEP_4) | instskip(NEXT) | instid1(VALU_DEP_2)
	v_sub_f32_e32 v30, v29, v35
	v_add_f32_e32 v27, v119, v27
	s_delay_alu instid0(VALU_DEP_1) | instskip(NEXT) | instid1(VALU_DEP_1)
	v_dual_sub_f32 v30, v31, v30 :: v_dual_mul_f32 v27, v28, v27
	v_add_f32_e32 v27, v30, v27
	s_delay_alu instid0(VALU_DEP_1) | instskip(NEXT) | instid1(VALU_DEP_1)
	v_add_f32_e32 v28, v29, v27
	v_mul_f32_e32 v30, v28, v28
	s_delay_alu instid0(VALU_DEP_1) | instskip(SKIP_1) | instid1(VALU_DEP_2)
	v_fmaak_f32 v31, s74, v30, 0x3ecc95a3
	v_mul_f32_e32 v32, v28, v30
	v_fmaak_f32 v30, v30, v31, 0x3f2aaada
	v_ldexp_f32 v31, v28, 1
	v_sub_f32_e32 v28, v28, v29
	s_delay_alu instid0(VALU_DEP_3) | instskip(NEXT) | instid1(VALU_DEP_2)
	v_mul_f32_e32 v30, v32, v30
	v_dual_mul_f32 v32, 0x3f317218, v26 :: v_dual_sub_f32 v27, v27, v28
	s_delay_alu instid0(VALU_DEP_2) | instskip(NEXT) | instid1(VALU_DEP_2)
	v_add_f32_e32 v29, v31, v30
	v_ldexp_f32 v27, v27, 1
	s_delay_alu instid0(VALU_DEP_2) | instskip(NEXT) | instid1(VALU_DEP_4)
	v_sub_f32_e32 v28, v29, v31
	v_fma_f32 v31, 0x3f317218, v26, -v32
	s_delay_alu instid0(VALU_DEP_1) | instskip(NEXT) | instid1(VALU_DEP_1)
	v_dual_sub_f32 v28, v30, v28 :: v_dual_fmac_f32 v31, 0xb102e308, v26
	v_add_f32_e32 v26, v27, v28
	s_delay_alu instid0(VALU_DEP_1) | instskip(NEXT) | instid1(VALU_DEP_1)
	v_add_f32_e32 v28, v29, v26
	v_sub_f32_e32 v29, v28, v29
	s_delay_alu instid0(VALU_DEP_1) | instskip(NEXT) | instid1(VALU_DEP_1)
	v_dual_sub_f32 v26, v26, v29 :: v_dual_add_f32 v27, v32, v31
	v_add_f32_e32 v30, v27, v28
	s_delay_alu instid0(VALU_DEP_1) | instskip(NEXT) | instid1(VALU_DEP_1)
	v_dual_sub_f32 v32, v27, v32 :: v_dual_sub_f32 v33, v30, v27
	v_dual_sub_f32 v31, v31, v32 :: v_dual_sub_f32 v28, v28, v33
	s_delay_alu instid0(VALU_DEP_1) | instskip(SKIP_1) | instid1(VALU_DEP_1)
	v_add_f32_e32 v29, v31, v26
	v_sub_f32_e32 v35, v30, v33
	v_sub_f32_e32 v27, v27, v35
	s_delay_alu instid0(VALU_DEP_1) | instskip(NEXT) | instid1(VALU_DEP_4)
	v_add_f32_e32 v27, v28, v27
	v_sub_f32_e32 v28, v29, v31
	s_delay_alu instid0(VALU_DEP_2) | instskip(NEXT) | instid1(VALU_DEP_2)
	v_add_f32_e32 v27, v29, v27
	v_sub_f32_e32 v29, v29, v28
	v_sub_f32_e32 v26, v26, v28
	s_delay_alu instid0(VALU_DEP_2) | instskip(NEXT) | instid1(VALU_DEP_1)
	v_dual_add_f32 v32, v30, v27 :: v_dual_sub_f32 v29, v31, v29
	v_sub_f32_e32 v28, v32, v30
	s_delay_alu instid0(VALU_DEP_1) | instskip(NEXT) | instid1(VALU_DEP_1)
	v_dual_add_f32 v26, v26, v29 :: v_dual_sub_f32 v27, v27, v28
	v_add_f32_e32 v26, v26, v27
	s_delay_alu instid0(VALU_DEP_1) | instskip(NEXT) | instid1(VALU_DEP_1)
	v_add_f32_e32 v26, v32, v26
	v_cndmask_b32_e32 v119, v26, v24, vcc_lo
.LBB148_92:                             ;   in Loop: Header=BB148_12 Depth=1
	s_or_b32 exec_lo, exec_lo, s29
	v_add_f32_e32 v128, s84, v25
	s_delay_alu instid0(VALU_DEP_1) | instskip(SKIP_1) | instid1(SALU_CYCLE_1)
	v_cmp_ge_f32_e32 vcc_lo, 0x41a00000, v128
	s_and_b32 s28, s91, vcc_lo
	s_and_saveexec_b32 s29, s28
	s_cbranch_execz .LBB148_94
; %bb.93:                               ;   in Loop: Header=BB148_12 Depth=1
	v_mul_f32_e32 v24, 0x3fb8aa3b, v128
	v_cmp_ngt_f32_e32 vcc_lo, 0xc2ce8ed0, v128
	s_delay_alu instid0(VALU_DEP_2) | instskip(SKIP_1) | instid1(VALU_DEP_2)
	v_rndne_f32_e32 v25, v24
	v_fma_f32 v26, 0x3fb8aa3b, v128, -v24
	v_sub_f32_e32 v24, v24, v25
	s_delay_alu instid0(VALU_DEP_2) | instskip(SKIP_1) | instid1(VALU_DEP_2)
	v_fmac_f32_e32 v26, 0x32a5705f, v128
	v_cvt_i32_f32_e32 v25, v25
	v_add_f32_e32 v24, v24, v26
	s_delay_alu instid0(VALU_DEP_1) | instskip(SKIP_2) | instid1(VALU_DEP_1)
	v_exp_f32_e32 v24, v24
	s_waitcnt_depctr 0xfff
	v_ldexp_f32 v24, v24, v25
	v_cndmask_b32_e32 v24, 0, v24, vcc_lo
	v_cmp_nlt_f32_e32 vcc_lo, 0x42b17218, v128
	s_delay_alu instid0(VALU_DEP_2) | instskip(NEXT) | instid1(VALU_DEP_1)
	v_cndmask_b32_e32 v26, 0x7f800000, v24, vcc_lo
	v_add_f32_e32 v27, 1.0, v26
	s_delay_alu instid0(VALU_DEP_1) | instskip(NEXT) | instid1(VALU_DEP_1)
	v_cvt_f64_f32_e32 v[24:25], v27
	v_frexp_exp_i32_f64_e32 v24, v[24:25]
	v_frexp_mant_f32_e32 v25, v27
	s_delay_alu instid0(VALU_DEP_1) | instskip(SKIP_1) | instid1(VALU_DEP_1)
	v_cmp_gt_f32_e32 vcc_lo, 0x3f2aaaab, v25
	v_add_f32_e32 v25, -1.0, v27
	v_sub_f32_e32 v29, v25, v27
	v_sub_f32_e32 v25, v26, v25
	s_delay_alu instid0(VALU_DEP_2) | instskip(NEXT) | instid1(VALU_DEP_1)
	v_add_f32_e32 v29, 1.0, v29
	v_add_f32_e32 v25, v25, v29
	v_cmp_gt_f32_e64 s28, 0x33800000, v26
	v_subrev_co_ci_u32_e32 v24, vcc_lo, 0, v24, vcc_lo
	v_cmp_eq_f32_e32 vcc_lo, 0x7f800000, v26
	s_delay_alu instid0(VALU_DEP_2) | instskip(SKIP_2) | instid1(VALU_DEP_2)
	v_sub_nc_u32_e32 v28, 0, v24
	v_cvt_f32_i32_e32 v24, v24
	s_or_b32 vcc_lo, s28, vcc_lo
	v_ldexp_f32 v27, v27, v28
	v_ldexp_f32 v25, v25, v28
	s_delay_alu instid0(VALU_DEP_2) | instskip(NEXT) | instid1(VALU_DEP_1)
	v_add_f32_e32 v30, 1.0, v27
	v_dual_add_f32 v28, -1.0, v27 :: v_dual_add_f32 v29, -1.0, v30
	s_delay_alu instid0(VALU_DEP_1) | instskip(NEXT) | instid1(VALU_DEP_2)
	v_add_f32_e32 v31, 1.0, v28
	v_sub_f32_e32 v29, v27, v29
	s_delay_alu instid0(VALU_DEP_2) | instskip(NEXT) | instid1(VALU_DEP_2)
	v_sub_f32_e32 v27, v27, v31
	v_add_f32_e32 v29, v25, v29
	s_delay_alu instid0(VALU_DEP_2) | instskip(NEXT) | instid1(VALU_DEP_2)
	v_add_f32_e32 v25, v25, v27
	v_add_f32_e32 v31, v30, v29
	s_delay_alu instid0(VALU_DEP_2) | instskip(NEXT) | instid1(VALU_DEP_2)
	v_add_f32_e32 v32, v28, v25
	v_rcp_f32_e32 v27, v31
	v_sub_f32_e32 v30, v30, v31
	s_delay_alu instid0(VALU_DEP_1) | instskip(SKIP_2) | instid1(VALU_DEP_1)
	v_dual_sub_f32 v28, v28, v32 :: v_dual_add_f32 v29, v29, v30
	s_waitcnt_depctr 0xfff
	v_mul_f32_e32 v33, v32, v27
	v_mul_f32_e32 v35, v31, v33
	s_delay_alu instid0(VALU_DEP_1) | instskip(NEXT) | instid1(VALU_DEP_1)
	v_fma_f32 v30, v33, v31, -v35
	v_fmac_f32_e32 v30, v33, v29
	s_delay_alu instid0(VALU_DEP_1) | instskip(NEXT) | instid1(VALU_DEP_1)
	v_add_f32_e32 v120, v35, v30
	v_sub_f32_e32 v121, v32, v120
	s_delay_alu instid0(VALU_DEP_1) | instskip(NEXT) | instid1(VALU_DEP_1)
	v_sub_f32_e32 v32, v32, v121
	v_sub_f32_e32 v32, v32, v120
	v_dual_add_f32 v25, v25, v28 :: v_dual_sub_f32 v28, v120, v35
	s_delay_alu instid0(VALU_DEP_1) | instskip(NEXT) | instid1(VALU_DEP_1)
	v_dual_add_f32 v25, v25, v32 :: v_dual_sub_f32 v28, v28, v30
	v_add_f32_e32 v25, v28, v25
	s_delay_alu instid0(VALU_DEP_1) | instskip(NEXT) | instid1(VALU_DEP_1)
	v_add_f32_e32 v28, v121, v25
	v_mul_f32_e32 v30, v27, v28
	s_delay_alu instid0(VALU_DEP_1) | instskip(SKIP_1) | instid1(VALU_DEP_2)
	v_mul_f32_e32 v32, v31, v30
	v_sub_f32_e32 v120, v121, v28
	v_fma_f32 v31, v30, v31, -v32
	s_delay_alu instid0(VALU_DEP_2) | instskip(NEXT) | instid1(VALU_DEP_2)
	v_add_f32_e32 v25, v25, v120
	v_fmac_f32_e32 v31, v30, v29
	s_delay_alu instid0(VALU_DEP_1) | instskip(NEXT) | instid1(VALU_DEP_1)
	v_add_f32_e32 v29, v32, v31
	v_sub_f32_e32 v35, v28, v29
	s_delay_alu instid0(VALU_DEP_1) | instskip(NEXT) | instid1(VALU_DEP_1)
	v_sub_f32_e32 v28, v28, v35
	v_sub_f32_e32 v28, v28, v29
	s_delay_alu instid0(VALU_DEP_1) | instskip(SKIP_2) | instid1(VALU_DEP_1)
	v_add_f32_e32 v25, v25, v28
	v_add_f32_e32 v28, v33, v30
	v_sub_f32_e32 v32, v29, v32
	v_sub_f32_e32 v29, v32, v31
	s_delay_alu instid0(VALU_DEP_1) | instskip(NEXT) | instid1(VALU_DEP_4)
	v_add_f32_e32 v25, v29, v25
	v_sub_f32_e32 v29, v28, v33
	s_delay_alu instid0(VALU_DEP_2) | instskip(NEXT) | instid1(VALU_DEP_2)
	v_add_f32_e32 v25, v35, v25
	v_sub_f32_e32 v29, v30, v29
	s_delay_alu instid0(VALU_DEP_2) | instskip(NEXT) | instid1(VALU_DEP_1)
	v_mul_f32_e32 v25, v27, v25
	v_add_f32_e32 v25, v29, v25
	s_delay_alu instid0(VALU_DEP_1) | instskip(NEXT) | instid1(VALU_DEP_1)
	v_add_f32_e32 v27, v28, v25
	v_mul_f32_e32 v29, v27, v27
	s_delay_alu instid0(VALU_DEP_1) | instskip(SKIP_1) | instid1(VALU_DEP_2)
	v_fmaak_f32 v30, s74, v29, 0x3ecc95a3
	v_mul_f32_e32 v31, v27, v29
	v_fmaak_f32 v29, v29, v30, 0x3f2aaada
	v_ldexp_f32 v30, v27, 1
	s_delay_alu instid0(VALU_DEP_2) | instskip(SKIP_1) | instid1(VALU_DEP_2)
	v_mul_f32_e32 v29, v31, v29
	v_sub_f32_e32 v27, v27, v28
	v_dual_mul_f32 v31, 0x3f317218, v24 :: v_dual_add_f32 v28, v30, v29
	s_delay_alu instid0(VALU_DEP_2) | instskip(NEXT) | instid1(VALU_DEP_2)
	v_sub_f32_e32 v25, v25, v27
	v_sub_f32_e32 v27, v28, v30
	s_delay_alu instid0(VALU_DEP_3) | instskip(NEXT) | instid1(VALU_DEP_3)
	v_fma_f32 v30, 0x3f317218, v24, -v31
	v_ldexp_f32 v25, v25, 1
	s_delay_alu instid0(VALU_DEP_2) | instskip(NEXT) | instid1(VALU_DEP_1)
	v_dual_sub_f32 v27, v29, v27 :: v_dual_fmac_f32 v30, 0xb102e308, v24
	v_dual_add_f32 v24, v25, v27 :: v_dual_add_f32 v25, v31, v30
	s_delay_alu instid0(VALU_DEP_1) | instskip(NEXT) | instid1(VALU_DEP_1)
	v_add_f32_e32 v27, v28, v24
	v_dual_add_f32 v29, v25, v27 :: v_dual_sub_f32 v28, v27, v28
	s_delay_alu instid0(VALU_DEP_1) | instskip(NEXT) | instid1(VALU_DEP_2)
	v_sub_f32_e32 v32, v29, v25
	v_dual_sub_f32 v31, v25, v31 :: v_dual_sub_f32 v24, v24, v28
	s_delay_alu instid0(VALU_DEP_1) | instskip(SKIP_1) | instid1(VALU_DEP_2)
	v_dual_sub_f32 v33, v29, v32 :: v_dual_sub_f32 v30, v30, v31
	v_sub_f32_e32 v27, v27, v32
	v_dual_sub_f32 v25, v25, v33 :: v_dual_add_f32 v28, v30, v24
	s_delay_alu instid0(VALU_DEP_1) | instskip(NEXT) | instid1(VALU_DEP_2)
	v_add_f32_e32 v25, v27, v25
	v_sub_f32_e32 v27, v28, v30
	s_delay_alu instid0(VALU_DEP_2) | instskip(NEXT) | instid1(VALU_DEP_2)
	v_add_f32_e32 v25, v28, v25
	v_sub_f32_e32 v28, v28, v27
	s_delay_alu instid0(VALU_DEP_2) | instskip(NEXT) | instid1(VALU_DEP_1)
	v_dual_sub_f32 v24, v24, v27 :: v_dual_add_f32 v31, v29, v25
	v_dual_sub_f32 v28, v30, v28 :: v_dual_sub_f32 v27, v31, v29
	s_delay_alu instid0(VALU_DEP_1) | instskip(NEXT) | instid1(VALU_DEP_1)
	v_dual_add_f32 v24, v24, v28 :: v_dual_sub_f32 v25, v25, v27
	v_add_f32_e32 v24, v24, v25
	s_delay_alu instid0(VALU_DEP_1) | instskip(NEXT) | instid1(VALU_DEP_1)
	v_add_f32_e32 v24, v31, v24
	v_cndmask_b32_e32 v128, v24, v26, vcc_lo
.LBB148_94:                             ;   in Loop: Header=BB148_12 Depth=1
	s_or_b32 exec_lo, exec_lo, s29
	s_waitcnt lgkmcnt(2)
	v_add_f32_e32 v131, s84, v22
	s_delay_alu instid0(VALU_DEP_1) | instskip(SKIP_1) | instid1(SALU_CYCLE_1)
	v_cmp_ge_f32_e32 vcc_lo, 0x41a00000, v131
	s_and_b32 s28, s91, vcc_lo
	s_and_saveexec_b32 s29, s28
	s_cbranch_execz .LBB148_96
; %bb.95:                               ;   in Loop: Header=BB148_12 Depth=1
	v_mul_f32_e32 v22, 0x3fb8aa3b, v131
	v_cmp_ngt_f32_e32 vcc_lo, 0xc2ce8ed0, v131
	s_delay_alu instid0(VALU_DEP_2) | instskip(SKIP_1) | instid1(VALU_DEP_1)
	v_rndne_f32_e32 v24, v22
	v_fma_f32 v25, 0x3fb8aa3b, v131, -v22
	v_dual_sub_f32 v22, v22, v24 :: v_dual_fmac_f32 v25, 0x32a5705f, v131
	v_cvt_i32_f32_e32 v24, v24
	s_delay_alu instid0(VALU_DEP_2) | instskip(NEXT) | instid1(VALU_DEP_1)
	v_add_f32_e32 v22, v22, v25
	v_exp_f32_e32 v22, v22
	s_waitcnt_depctr 0xfff
	v_ldexp_f32 v22, v22, v24
	s_delay_alu instid0(VALU_DEP_1) | instskip(SKIP_1) | instid1(VALU_DEP_2)
	v_cndmask_b32_e32 v22, 0, v22, vcc_lo
	v_cmp_nlt_f32_e32 vcc_lo, 0x42b17218, v131
	v_cndmask_b32_e32 v22, 0x7f800000, v22, vcc_lo
	s_delay_alu instid0(VALU_DEP_1) | instskip(NEXT) | instid1(VALU_DEP_1)
	v_add_f32_e32 v26, 1.0, v22
	v_cvt_f64_f32_e32 v[24:25], v26
	s_delay_alu instid0(VALU_DEP_1) | instskip(SKIP_1) | instid1(VALU_DEP_1)
	v_frexp_exp_i32_f64_e32 v24, v[24:25]
	v_frexp_mant_f32_e32 v25, v26
	v_cmp_gt_f32_e32 vcc_lo, 0x3f2aaaab, v25
	v_add_f32_e32 v25, -1.0, v26
	s_delay_alu instid0(VALU_DEP_1) | instskip(SKIP_1) | instid1(VALU_DEP_1)
	v_dual_sub_f32 v28, v25, v26 :: v_dual_sub_f32 v25, v22, v25
	v_subrev_co_ci_u32_e32 v24, vcc_lo, 0, v24, vcc_lo
	v_sub_nc_u32_e32 v27, 0, v24
	v_cvt_f32_i32_e32 v24, v24
	s_delay_alu instid0(VALU_DEP_2) | instskip(NEXT) | instid1(VALU_DEP_1)
	v_ldexp_f32 v26, v26, v27
	v_dual_add_f32 v28, 1.0, v28 :: v_dual_add_f32 v29, 1.0, v26
	s_delay_alu instid0(VALU_DEP_1) | instskip(NEXT) | instid1(VALU_DEP_1)
	v_add_f32_e32 v25, v25, v28
	v_ldexp_f32 v25, v25, v27
	s_delay_alu instid0(VALU_DEP_3) | instskip(NEXT) | instid1(VALU_DEP_1)
	v_dual_add_f32 v27, -1.0, v26 :: v_dual_add_f32 v28, -1.0, v29
	v_add_f32_e32 v30, 1.0, v27
	s_delay_alu instid0(VALU_DEP_2) | instskip(NEXT) | instid1(VALU_DEP_2)
	v_sub_f32_e32 v28, v26, v28
	v_sub_f32_e32 v26, v26, v30
	s_delay_alu instid0(VALU_DEP_2) | instskip(NEXT) | instid1(VALU_DEP_2)
	v_add_f32_e32 v28, v25, v28
	v_add_f32_e32 v25, v25, v26
	s_delay_alu instid0(VALU_DEP_1) | instskip(SKIP_2) | instid1(VALU_DEP_3)
	v_add_f32_e32 v31, v27, v25
	v_cmp_eq_f32_e32 vcc_lo, 0x7f800000, v22
	v_cmp_gt_f32_e64 s28, 0x33800000, v22
	v_dual_sub_f32 v27, v27, v31 :: v_dual_add_f32 v30, v29, v28
	s_delay_alu instid0(VALU_DEP_2) | instskip(NEXT) | instid1(VALU_DEP_1)
	s_or_b32 vcc_lo, s28, vcc_lo
	v_add_f32_e32 v25, v25, v27
	s_delay_alu instid0(VALU_DEP_2) | instskip(SKIP_1) | instid1(VALU_DEP_1)
	v_rcp_f32_e32 v26, v30
	v_sub_f32_e32 v29, v29, v30
	v_add_f32_e32 v28, v28, v29
	s_waitcnt_depctr 0xfff
	v_mul_f32_e32 v32, v31, v26
	s_delay_alu instid0(VALU_DEP_1) | instskip(NEXT) | instid1(VALU_DEP_1)
	v_mul_f32_e32 v33, v30, v32
	v_fma_f32 v29, v32, v30, -v33
	s_delay_alu instid0(VALU_DEP_1) | instskip(NEXT) | instid1(VALU_DEP_1)
	v_fmac_f32_e32 v29, v32, v28
	v_add_f32_e32 v35, v33, v29
	s_delay_alu instid0(VALU_DEP_1) | instskip(SKIP_1) | instid1(VALU_DEP_2)
	v_sub_f32_e32 v27, v35, v33
	v_sub_f32_e32 v120, v31, v35
	;; [unrolled: 1-line block ×3, first 2 shown]
	s_delay_alu instid0(VALU_DEP_2) | instskip(NEXT) | instid1(VALU_DEP_1)
	v_sub_f32_e32 v31, v31, v120
	v_sub_f32_e32 v31, v31, v35
	s_delay_alu instid0(VALU_DEP_1) | instskip(NEXT) | instid1(VALU_DEP_1)
	v_add_f32_e32 v25, v25, v31
	v_add_f32_e32 v25, v27, v25
	s_delay_alu instid0(VALU_DEP_1) | instskip(NEXT) | instid1(VALU_DEP_1)
	v_add_f32_e32 v27, v120, v25
	v_mul_f32_e32 v29, v26, v27
	s_delay_alu instid0(VALU_DEP_1) | instskip(SKIP_1) | instid1(VALU_DEP_2)
	v_mul_f32_e32 v31, v30, v29
	v_sub_f32_e32 v35, v120, v27
	v_fma_f32 v30, v29, v30, -v31
	s_delay_alu instid0(VALU_DEP_2) | instskip(NEXT) | instid1(VALU_DEP_2)
	v_add_f32_e32 v25, v25, v35
	v_fmac_f32_e32 v30, v29, v28
	s_delay_alu instid0(VALU_DEP_1) | instskip(NEXT) | instid1(VALU_DEP_1)
	v_add_f32_e32 v28, v31, v30
	v_sub_f32_e32 v33, v27, v28
	v_sub_f32_e32 v31, v28, v31
	s_delay_alu instid0(VALU_DEP_2) | instskip(NEXT) | instid1(VALU_DEP_1)
	v_sub_f32_e32 v27, v27, v33
	v_sub_f32_e32 v27, v27, v28
	s_delay_alu instid0(VALU_DEP_1) | instskip(SKIP_1) | instid1(VALU_DEP_1)
	v_dual_sub_f32 v28, v31, v30 :: v_dual_add_f32 v25, v25, v27
	v_add_f32_e32 v27, v32, v29
	v_dual_add_f32 v25, v28, v25 :: v_dual_sub_f32 v28, v27, v32
	s_delay_alu instid0(VALU_DEP_1) | instskip(NEXT) | instid1(VALU_DEP_1)
	v_add_f32_e32 v25, v33, v25
	v_dual_sub_f32 v28, v29, v28 :: v_dual_mul_f32 v25, v26, v25
	s_delay_alu instid0(VALU_DEP_1) | instskip(NEXT) | instid1(VALU_DEP_1)
	v_add_f32_e32 v25, v28, v25
	v_add_f32_e32 v26, v27, v25
	s_delay_alu instid0(VALU_DEP_1) | instskip(NEXT) | instid1(VALU_DEP_1)
	v_mul_f32_e32 v28, v26, v26
	v_fmaak_f32 v29, s74, v28, 0x3ecc95a3
	v_mul_f32_e32 v30, v26, v28
	s_delay_alu instid0(VALU_DEP_2) | instskip(SKIP_2) | instid1(VALU_DEP_3)
	v_fmaak_f32 v28, v28, v29, 0x3f2aaada
	v_ldexp_f32 v29, v26, 1
	v_sub_f32_e32 v26, v26, v27
	v_mul_f32_e32 v28, v30, v28
	s_delay_alu instid0(VALU_DEP_2) | instskip(NEXT) | instid1(VALU_DEP_2)
	v_dual_mul_f32 v30, 0x3f317218, v24 :: v_dual_sub_f32 v25, v25, v26
	v_add_f32_e32 v27, v29, v28
	s_delay_alu instid0(VALU_DEP_2) | instskip(NEXT) | instid1(VALU_DEP_2)
	v_ldexp_f32 v25, v25, 1
	v_sub_f32_e32 v26, v27, v29
	s_delay_alu instid0(VALU_DEP_4) | instskip(NEXT) | instid1(VALU_DEP_1)
	v_fma_f32 v29, 0x3f317218, v24, -v30
	v_dual_sub_f32 v26, v28, v26 :: v_dual_fmac_f32 v29, 0xb102e308, v24
	s_delay_alu instid0(VALU_DEP_1) | instskip(NEXT) | instid1(VALU_DEP_1)
	v_add_f32_e32 v24, v25, v26
	v_add_f32_e32 v26, v27, v24
	s_delay_alu instid0(VALU_DEP_1) | instskip(NEXT) | instid1(VALU_DEP_1)
	v_sub_f32_e32 v27, v26, v27
	v_dual_sub_f32 v24, v24, v27 :: v_dual_add_f32 v25, v30, v29
	s_delay_alu instid0(VALU_DEP_1) | instskip(NEXT) | instid1(VALU_DEP_1)
	v_add_f32_e32 v28, v25, v26
	v_dual_sub_f32 v30, v25, v30 :: v_dual_sub_f32 v31, v28, v25
	s_delay_alu instid0(VALU_DEP_1) | instskip(NEXT) | instid1(VALU_DEP_1)
	v_dual_sub_f32 v29, v29, v30 :: v_dual_sub_f32 v32, v28, v31
	v_dual_sub_f32 v26, v26, v31 :: v_dual_add_f32 v27, v29, v24
	s_delay_alu instid0(VALU_DEP_2) | instskip(NEXT) | instid1(VALU_DEP_1)
	v_sub_f32_e32 v25, v25, v32
	v_add_f32_e32 v25, v26, v25
	s_delay_alu instid0(VALU_DEP_3) | instskip(NEXT) | instid1(VALU_DEP_2)
	v_sub_f32_e32 v26, v27, v29
	v_add_f32_e32 v25, v27, v25
	s_delay_alu instid0(VALU_DEP_2) | instskip(SKIP_1) | instid1(VALU_DEP_2)
	v_sub_f32_e32 v27, v27, v26
	v_sub_f32_e32 v24, v24, v26
	v_dual_add_f32 v30, v28, v25 :: v_dual_sub_f32 v27, v29, v27
	s_delay_alu instid0(VALU_DEP_1) | instskip(NEXT) | instid1(VALU_DEP_1)
	v_sub_f32_e32 v26, v30, v28
	v_dual_add_f32 v24, v24, v27 :: v_dual_sub_f32 v25, v25, v26
	s_delay_alu instid0(VALU_DEP_1) | instskip(NEXT) | instid1(VALU_DEP_1)
	v_add_f32_e32 v24, v24, v25
	v_add_f32_e32 v24, v30, v24
	s_delay_alu instid0(VALU_DEP_1)
	v_cndmask_b32_e32 v131, v24, v22, vcc_lo
.LBB148_96:                             ;   in Loop: Header=BB148_12 Depth=1
	s_or_b32 exec_lo, exec_lo, s29
	v_add_f32_e32 v137, s84, v23
	s_delay_alu instid0(VALU_DEP_1) | instskip(SKIP_1) | instid1(SALU_CYCLE_1)
	v_cmp_ge_f32_e32 vcc_lo, 0x41a00000, v137
	s_and_b32 s28, s91, vcc_lo
	s_and_saveexec_b32 s29, s28
	s_cbranch_execz .LBB148_98
; %bb.97:                               ;   in Loop: Header=BB148_12 Depth=1
	v_mul_f32_e32 v22, 0x3fb8aa3b, v137
	v_cmp_ngt_f32_e32 vcc_lo, 0xc2ce8ed0, v137
	s_delay_alu instid0(VALU_DEP_2) | instskip(SKIP_1) | instid1(VALU_DEP_2)
	v_rndne_f32_e32 v23, v22
	v_fma_f32 v24, 0x3fb8aa3b, v137, -v22
	v_sub_f32_e32 v22, v22, v23
	s_delay_alu instid0(VALU_DEP_2) | instskip(SKIP_1) | instid1(VALU_DEP_2)
	v_fmac_f32_e32 v24, 0x32a5705f, v137
	v_cvt_i32_f32_e32 v23, v23
	v_add_f32_e32 v22, v22, v24
	s_delay_alu instid0(VALU_DEP_1) | instskip(SKIP_2) | instid1(VALU_DEP_1)
	v_exp_f32_e32 v22, v22
	s_waitcnt_depctr 0xfff
	v_ldexp_f32 v22, v22, v23
	v_cndmask_b32_e32 v22, 0, v22, vcc_lo
	v_cmp_nlt_f32_e32 vcc_lo, 0x42b17218, v137
	s_delay_alu instid0(VALU_DEP_2) | instskip(NEXT) | instid1(VALU_DEP_1)
	v_cndmask_b32_e32 v24, 0x7f800000, v22, vcc_lo
	v_add_f32_e32 v25, 1.0, v24
	s_delay_alu instid0(VALU_DEP_1) | instskip(NEXT) | instid1(VALU_DEP_1)
	v_cvt_f64_f32_e32 v[22:23], v25
	v_frexp_exp_i32_f64_e32 v22, v[22:23]
	v_frexp_mant_f32_e32 v23, v25
	s_delay_alu instid0(VALU_DEP_1) | instskip(SKIP_1) | instid1(VALU_DEP_1)
	v_cmp_gt_f32_e32 vcc_lo, 0x3f2aaaab, v23
	v_add_f32_e32 v23, -1.0, v25
	v_sub_f32_e32 v27, v23, v25
	v_sub_f32_e32 v23, v24, v23
	s_delay_alu instid0(VALU_DEP_2) | instskip(NEXT) | instid1(VALU_DEP_1)
	v_add_f32_e32 v27, 1.0, v27
	v_add_f32_e32 v23, v23, v27
	v_cmp_gt_f32_e64 s28, 0x33800000, v24
	v_subrev_co_ci_u32_e32 v22, vcc_lo, 0, v22, vcc_lo
	v_cmp_eq_f32_e32 vcc_lo, 0x7f800000, v24
	s_delay_alu instid0(VALU_DEP_2) | instskip(SKIP_2) | instid1(VALU_DEP_2)
	v_sub_nc_u32_e32 v26, 0, v22
	v_cvt_f32_i32_e32 v22, v22
	s_or_b32 vcc_lo, s28, vcc_lo
	v_ldexp_f32 v25, v25, v26
	v_ldexp_f32 v23, v23, v26
	s_delay_alu instid0(VALU_DEP_2) | instskip(NEXT) | instid1(VALU_DEP_1)
	v_add_f32_e32 v28, 1.0, v25
	v_dual_add_f32 v26, -1.0, v25 :: v_dual_add_f32 v27, -1.0, v28
	s_delay_alu instid0(VALU_DEP_1) | instskip(NEXT) | instid1(VALU_DEP_2)
	v_add_f32_e32 v29, 1.0, v26
	v_sub_f32_e32 v27, v25, v27
	s_delay_alu instid0(VALU_DEP_2) | instskip(NEXT) | instid1(VALU_DEP_2)
	v_sub_f32_e32 v25, v25, v29
	v_add_f32_e32 v27, v23, v27
	s_delay_alu instid0(VALU_DEP_2) | instskip(NEXT) | instid1(VALU_DEP_1)
	v_add_f32_e32 v23, v23, v25
	v_add_f32_e32 v30, v26, v23
	s_delay_alu instid0(VALU_DEP_1) | instskip(NEXT) | instid1(VALU_DEP_1)
	v_dual_add_f32 v29, v28, v27 :: v_dual_sub_f32 v26, v26, v30
	v_rcp_f32_e32 v25, v29
	v_sub_f32_e32 v28, v28, v29
	s_delay_alu instid0(VALU_DEP_1) | instskip(SKIP_2) | instid1(VALU_DEP_1)
	v_add_f32_e32 v27, v27, v28
	s_waitcnt_depctr 0xfff
	v_mul_f32_e32 v31, v30, v25
	v_mul_f32_e32 v32, v29, v31
	s_delay_alu instid0(VALU_DEP_1) | instskip(NEXT) | instid1(VALU_DEP_1)
	v_fma_f32 v28, v31, v29, -v32
	v_fmac_f32_e32 v28, v31, v27
	s_delay_alu instid0(VALU_DEP_1) | instskip(NEXT) | instid1(VALU_DEP_1)
	v_add_f32_e32 v33, v32, v28
	v_sub_f32_e32 v35, v30, v33
	s_delay_alu instid0(VALU_DEP_1) | instskip(SKIP_1) | instid1(VALU_DEP_2)
	v_dual_sub_f32 v30, v30, v35 :: v_dual_add_f32 v23, v23, v26
	v_sub_f32_e32 v26, v33, v32
	v_sub_f32_e32 v30, v30, v33
	s_delay_alu instid0(VALU_DEP_1) | instskip(NEXT) | instid1(VALU_DEP_1)
	v_dual_sub_f32 v26, v26, v28 :: v_dual_add_f32 v23, v23, v30
	v_add_f32_e32 v23, v26, v23
	s_delay_alu instid0(VALU_DEP_1) | instskip(NEXT) | instid1(VALU_DEP_1)
	v_add_f32_e32 v26, v35, v23
	v_mul_f32_e32 v28, v25, v26
	s_delay_alu instid0(VALU_DEP_1) | instskip(NEXT) | instid1(VALU_DEP_1)
	v_dual_sub_f32 v33, v35, v26 :: v_dual_mul_f32 v30, v29, v28
	v_fma_f32 v29, v28, v29, -v30
	s_delay_alu instid0(VALU_DEP_1) | instskip(NEXT) | instid1(VALU_DEP_1)
	v_fmac_f32_e32 v29, v28, v27
	v_add_f32_e32 v27, v30, v29
	s_delay_alu instid0(VALU_DEP_1) | instskip(NEXT) | instid1(VALU_DEP_1)
	v_sub_f32_e32 v32, v26, v27
	v_dual_sub_f32 v26, v26, v32 :: v_dual_add_f32 v23, v23, v33
	s_delay_alu instid0(VALU_DEP_1) | instskip(NEXT) | instid1(VALU_DEP_1)
	v_sub_f32_e32 v26, v26, v27
	v_add_f32_e32 v23, v23, v26
	v_add_f32_e32 v26, v31, v28
	v_sub_f32_e32 v30, v27, v30
	s_delay_alu instid0(VALU_DEP_1) | instskip(NEXT) | instid1(VALU_DEP_1)
	v_sub_f32_e32 v27, v30, v29
	v_add_f32_e32 v23, v27, v23
	s_delay_alu instid0(VALU_DEP_4) | instskip(NEXT) | instid1(VALU_DEP_2)
	v_sub_f32_e32 v27, v26, v31
	v_add_f32_e32 v23, v32, v23
	s_delay_alu instid0(VALU_DEP_2) | instskip(NEXT) | instid1(VALU_DEP_2)
	v_sub_f32_e32 v27, v28, v27
	v_mul_f32_e32 v23, v25, v23
	s_delay_alu instid0(VALU_DEP_1) | instskip(NEXT) | instid1(VALU_DEP_1)
	v_add_f32_e32 v23, v27, v23
	v_add_f32_e32 v25, v26, v23
	s_delay_alu instid0(VALU_DEP_1) | instskip(NEXT) | instid1(VALU_DEP_1)
	v_mul_f32_e32 v27, v25, v25
	v_fmaak_f32 v28, s74, v27, 0x3ecc95a3
	v_mul_f32_e32 v29, v25, v27
	s_delay_alu instid0(VALU_DEP_2) | instskip(SKIP_1) | instid1(VALU_DEP_2)
	v_fmaak_f32 v27, v27, v28, 0x3f2aaada
	v_ldexp_f32 v28, v25, 1
	v_mul_f32_e32 v27, v29, v27
	v_sub_f32_e32 v25, v25, v26
	s_delay_alu instid0(VALU_DEP_2) | instskip(NEXT) | instid1(VALU_DEP_2)
	v_dual_mul_f32 v29, 0x3f317218, v22 :: v_dual_add_f32 v26, v28, v27
	v_sub_f32_e32 v23, v23, v25
	s_delay_alu instid0(VALU_DEP_2) | instskip(NEXT) | instid1(VALU_DEP_3)
	v_sub_f32_e32 v25, v26, v28
	v_fma_f32 v28, 0x3f317218, v22, -v29
	s_delay_alu instid0(VALU_DEP_3) | instskip(NEXT) | instid1(VALU_DEP_2)
	v_ldexp_f32 v23, v23, 1
	v_dual_sub_f32 v25, v27, v25 :: v_dual_fmac_f32 v28, 0xb102e308, v22
	s_delay_alu instid0(VALU_DEP_1) | instskip(NEXT) | instid1(VALU_DEP_1)
	v_dual_add_f32 v22, v23, v25 :: v_dual_add_f32 v23, v29, v28
	v_add_f32_e32 v25, v26, v22
	s_delay_alu instid0(VALU_DEP_1) | instskip(NEXT) | instid1(VALU_DEP_1)
	v_dual_add_f32 v27, v23, v25 :: v_dual_sub_f32 v26, v25, v26
	v_sub_f32_e32 v30, v27, v23
	s_delay_alu instid0(VALU_DEP_2) | instskip(NEXT) | instid1(VALU_DEP_1)
	v_dual_sub_f32 v29, v23, v29 :: v_dual_sub_f32 v22, v22, v26
	v_dual_sub_f32 v31, v27, v30 :: v_dual_sub_f32 v28, v28, v29
	v_sub_f32_e32 v25, v25, v30
	s_delay_alu instid0(VALU_DEP_2) | instskip(NEXT) | instid1(VALU_DEP_1)
	v_dual_sub_f32 v23, v23, v31 :: v_dual_add_f32 v26, v28, v22
	v_add_f32_e32 v23, v25, v23
	s_delay_alu instid0(VALU_DEP_2) | instskip(NEXT) | instid1(VALU_DEP_2)
	v_sub_f32_e32 v25, v26, v28
	v_add_f32_e32 v23, v26, v23
	s_delay_alu instid0(VALU_DEP_2) | instskip(NEXT) | instid1(VALU_DEP_2)
	v_sub_f32_e32 v26, v26, v25
	v_dual_sub_f32 v22, v22, v25 :: v_dual_add_f32 v29, v27, v23
	s_delay_alu instid0(VALU_DEP_1) | instskip(NEXT) | instid1(VALU_DEP_1)
	v_dual_sub_f32 v26, v28, v26 :: v_dual_sub_f32 v25, v29, v27
	v_dual_add_f32 v22, v22, v26 :: v_dual_sub_f32 v23, v23, v25
	s_delay_alu instid0(VALU_DEP_1) | instskip(NEXT) | instid1(VALU_DEP_1)
	v_add_f32_e32 v22, v22, v23
	v_add_f32_e32 v22, v29, v22
	s_delay_alu instid0(VALU_DEP_1)
	v_cndmask_b32_e32 v137, v22, v24, vcc_lo
.LBB148_98:                             ;   in Loop: Header=BB148_12 Depth=1
	s_or_b32 exec_lo, exec_lo, s29
	s_waitcnt lgkmcnt(1)
	v_add_f32_e32 v139, s84, v20
	s_delay_alu instid0(VALU_DEP_1) | instskip(SKIP_1) | instid1(SALU_CYCLE_1)
	v_cmp_ge_f32_e32 vcc_lo, 0x41a00000, v139
	s_and_b32 s28, s91, vcc_lo
	s_and_saveexec_b32 s29, s28
	s_cbranch_execz .LBB148_100
; %bb.99:                               ;   in Loop: Header=BB148_12 Depth=1
	v_mul_f32_e32 v20, 0x3fb8aa3b, v139
	v_cmp_ngt_f32_e32 vcc_lo, 0xc2ce8ed0, v139
	s_delay_alu instid0(VALU_DEP_2) | instskip(SKIP_1) | instid1(VALU_DEP_1)
	v_rndne_f32_e32 v22, v20
	v_fma_f32 v23, 0x3fb8aa3b, v139, -v20
	v_dual_sub_f32 v20, v20, v22 :: v_dual_fmac_f32 v23, 0x32a5705f, v139
	v_cvt_i32_f32_e32 v22, v22
	s_delay_alu instid0(VALU_DEP_2) | instskip(NEXT) | instid1(VALU_DEP_1)
	v_add_f32_e32 v20, v20, v23
	v_exp_f32_e32 v20, v20
	s_waitcnt_depctr 0xfff
	v_ldexp_f32 v20, v20, v22
	s_delay_alu instid0(VALU_DEP_1) | instskip(SKIP_1) | instid1(VALU_DEP_2)
	v_cndmask_b32_e32 v20, 0, v20, vcc_lo
	v_cmp_nlt_f32_e32 vcc_lo, 0x42b17218, v139
	v_cndmask_b32_e32 v20, 0x7f800000, v20, vcc_lo
	s_delay_alu instid0(VALU_DEP_1) | instskip(NEXT) | instid1(VALU_DEP_1)
	v_add_f32_e32 v24, 1.0, v20
	v_cvt_f64_f32_e32 v[22:23], v24
	s_delay_alu instid0(VALU_DEP_1) | instskip(SKIP_1) | instid1(VALU_DEP_1)
	v_frexp_exp_i32_f64_e32 v22, v[22:23]
	v_frexp_mant_f32_e32 v23, v24
	v_cmp_gt_f32_e32 vcc_lo, 0x3f2aaaab, v23
	v_add_f32_e32 v23, -1.0, v24
	s_delay_alu instid0(VALU_DEP_1) | instskip(SKIP_1) | instid1(VALU_DEP_1)
	v_dual_sub_f32 v26, v23, v24 :: v_dual_sub_f32 v23, v20, v23
	v_subrev_co_ci_u32_e32 v22, vcc_lo, 0, v22, vcc_lo
	v_sub_nc_u32_e32 v25, 0, v22
	v_cvt_f32_i32_e32 v22, v22
	s_delay_alu instid0(VALU_DEP_2) | instskip(NEXT) | instid1(VALU_DEP_1)
	v_ldexp_f32 v24, v24, v25
	v_dual_add_f32 v26, 1.0, v26 :: v_dual_add_f32 v27, 1.0, v24
	s_delay_alu instid0(VALU_DEP_1) | instskip(NEXT) | instid1(VALU_DEP_1)
	v_add_f32_e32 v23, v23, v26
	v_ldexp_f32 v23, v23, v25
	s_delay_alu instid0(VALU_DEP_3) | instskip(NEXT) | instid1(VALU_DEP_1)
	v_dual_add_f32 v25, -1.0, v24 :: v_dual_add_f32 v26, -1.0, v27
	v_add_f32_e32 v28, 1.0, v25
	s_delay_alu instid0(VALU_DEP_2) | instskip(NEXT) | instid1(VALU_DEP_2)
	v_sub_f32_e32 v26, v24, v26
	v_sub_f32_e32 v24, v24, v28
	s_delay_alu instid0(VALU_DEP_2) | instskip(NEXT) | instid1(VALU_DEP_2)
	v_add_f32_e32 v26, v23, v26
	v_add_f32_e32 v23, v23, v24
	s_delay_alu instid0(VALU_DEP_1) | instskip(SKIP_2) | instid1(VALU_DEP_3)
	v_dual_add_f32 v29, v25, v23 :: v_dual_add_f32 v28, v27, v26
	v_cmp_eq_f32_e32 vcc_lo, 0x7f800000, v20
	v_cmp_gt_f32_e64 s28, 0x33800000, v20
	v_sub_f32_e32 v25, v25, v29
	s_delay_alu instid0(VALU_DEP_4) | instskip(SKIP_1) | instid1(VALU_DEP_3)
	v_rcp_f32_e32 v24, v28
	v_sub_f32_e32 v27, v27, v28
	s_or_b32 vcc_lo, s28, vcc_lo
	s_delay_alu instid0(VALU_DEP_1) | instskip(SKIP_2) | instid1(VALU_DEP_1)
	v_dual_add_f32 v23, v23, v25 :: v_dual_add_f32 v26, v26, v27
	s_waitcnt_depctr 0xfff
	v_mul_f32_e32 v30, v29, v24
	v_mul_f32_e32 v31, v28, v30
	s_delay_alu instid0(VALU_DEP_1) | instskip(NEXT) | instid1(VALU_DEP_1)
	v_fma_f32 v27, v30, v28, -v31
	v_fmac_f32_e32 v27, v30, v26
	s_delay_alu instid0(VALU_DEP_1) | instskip(NEXT) | instid1(VALU_DEP_1)
	v_add_f32_e32 v32, v31, v27
	v_sub_f32_e32 v33, v29, v32
	s_delay_alu instid0(VALU_DEP_1) | instskip(NEXT) | instid1(VALU_DEP_1)
	v_sub_f32_e32 v29, v29, v33
	v_sub_f32_e32 v29, v29, v32
	;; [unrolled: 1-line block ×3, first 2 shown]
	s_delay_alu instid0(VALU_DEP_2) | instskip(NEXT) | instid1(VALU_DEP_2)
	v_add_f32_e32 v23, v23, v29
	v_sub_f32_e32 v25, v25, v27
	s_delay_alu instid0(VALU_DEP_1) | instskip(NEXT) | instid1(VALU_DEP_1)
	v_add_f32_e32 v23, v25, v23
	v_add_f32_e32 v25, v33, v23
	s_delay_alu instid0(VALU_DEP_1) | instskip(NEXT) | instid1(VALU_DEP_1)
	v_mul_f32_e32 v27, v24, v25
	v_dual_sub_f32 v32, v33, v25 :: v_dual_mul_f32 v29, v28, v27
	s_delay_alu instid0(VALU_DEP_1) | instskip(NEXT) | instid1(VALU_DEP_2)
	v_add_f32_e32 v23, v23, v32
	v_fma_f32 v28, v27, v28, -v29
	s_delay_alu instid0(VALU_DEP_1) | instskip(NEXT) | instid1(VALU_DEP_1)
	v_fmac_f32_e32 v28, v27, v26
	v_add_f32_e32 v26, v29, v28
	s_delay_alu instid0(VALU_DEP_1) | instskip(NEXT) | instid1(VALU_DEP_1)
	v_sub_f32_e32 v31, v25, v26
	v_sub_f32_e32 v25, v25, v31
	s_delay_alu instid0(VALU_DEP_1) | instskip(NEXT) | instid1(VALU_DEP_1)
	v_sub_f32_e32 v25, v25, v26
	v_add_f32_e32 v23, v23, v25
	v_add_f32_e32 v25, v30, v27
	v_sub_f32_e32 v29, v26, v29
	s_delay_alu instid0(VALU_DEP_1) | instskip(NEXT) | instid1(VALU_DEP_1)
	v_sub_f32_e32 v26, v29, v28
	v_dual_add_f32 v23, v26, v23 :: v_dual_sub_f32 v26, v25, v30
	s_delay_alu instid0(VALU_DEP_1) | instskip(NEXT) | instid1(VALU_DEP_1)
	v_add_f32_e32 v23, v31, v23
	v_dual_sub_f32 v26, v27, v26 :: v_dual_mul_f32 v23, v24, v23
	s_delay_alu instid0(VALU_DEP_1) | instskip(NEXT) | instid1(VALU_DEP_1)
	v_add_f32_e32 v23, v26, v23
	v_add_f32_e32 v24, v25, v23
	s_delay_alu instid0(VALU_DEP_1) | instskip(NEXT) | instid1(VALU_DEP_1)
	v_mul_f32_e32 v26, v24, v24
	v_fmaak_f32 v27, s74, v26, 0x3ecc95a3
	v_mul_f32_e32 v28, v24, v26
	s_delay_alu instid0(VALU_DEP_2) | instskip(SKIP_2) | instid1(VALU_DEP_3)
	v_fmaak_f32 v26, v26, v27, 0x3f2aaada
	v_ldexp_f32 v27, v24, 1
	v_sub_f32_e32 v24, v24, v25
	v_mul_f32_e32 v26, v28, v26
	v_mul_f32_e32 v28, 0x3f317218, v22
	s_delay_alu instid0(VALU_DEP_2) | instskip(NEXT) | instid1(VALU_DEP_1)
	v_add_f32_e32 v25, v27, v26
	v_dual_sub_f32 v23, v23, v24 :: v_dual_sub_f32 v24, v25, v27
	s_delay_alu instid0(VALU_DEP_3) | instskip(NEXT) | instid1(VALU_DEP_2)
	v_fma_f32 v27, 0x3f317218, v22, -v28
	v_ldexp_f32 v23, v23, 1
	s_delay_alu instid0(VALU_DEP_2) | instskip(NEXT) | instid1(VALU_DEP_1)
	v_dual_sub_f32 v24, v26, v24 :: v_dual_fmac_f32 v27, 0xb102e308, v22
	v_dual_add_f32 v22, v23, v24 :: v_dual_add_f32 v23, v28, v27
	s_delay_alu instid0(VALU_DEP_1) | instskip(NEXT) | instid1(VALU_DEP_1)
	v_add_f32_e32 v24, v25, v22
	v_add_f32_e32 v26, v23, v24
	s_delay_alu instid0(VALU_DEP_1) | instskip(NEXT) | instid1(VALU_DEP_1)
	v_sub_f32_e32 v29, v26, v23
	v_sub_f32_e32 v30, v26, v29
	;; [unrolled: 1-line block ×4, first 2 shown]
	s_delay_alu instid0(VALU_DEP_2) | instskip(SKIP_1) | instid1(VALU_DEP_1)
	v_sub_f32_e32 v22, v22, v25
	v_sub_f32_e32 v28, v23, v28
	;; [unrolled: 1-line block ×3, first 2 shown]
	s_delay_alu instid0(VALU_DEP_1) | instskip(SKIP_1) | instid1(VALU_DEP_1)
	v_add_f32_e32 v25, v27, v22
	v_sub_f32_e32 v23, v23, v30
	v_add_f32_e32 v23, v24, v23
	s_delay_alu instid0(VALU_DEP_3) | instskip(NEXT) | instid1(VALU_DEP_1)
	v_sub_f32_e32 v24, v25, v27
	v_dual_sub_f32 v22, v22, v24 :: v_dual_add_f32 v23, v25, v23
	s_delay_alu instid0(VALU_DEP_1) | instskip(NEXT) | instid1(VALU_DEP_1)
	v_dual_sub_f32 v25, v25, v24 :: v_dual_add_f32 v28, v26, v23
	v_dual_sub_f32 v25, v27, v25 :: v_dual_sub_f32 v24, v28, v26
	s_delay_alu instid0(VALU_DEP_1) | instskip(NEXT) | instid1(VALU_DEP_1)
	v_dual_add_f32 v22, v22, v25 :: v_dual_sub_f32 v23, v23, v24
	v_add_f32_e32 v22, v22, v23
	s_delay_alu instid0(VALU_DEP_1) | instskip(NEXT) | instid1(VALU_DEP_1)
	v_add_f32_e32 v22, v28, v22
	v_cndmask_b32_e32 v139, v22, v20, vcc_lo
.LBB148_100:                            ;   in Loop: Header=BB148_12 Depth=1
	s_or_b32 exec_lo, exec_lo, s29
	v_add_f32_e32 v140, s84, v21
	s_delay_alu instid0(VALU_DEP_1) | instskip(SKIP_1) | instid1(SALU_CYCLE_1)
	v_cmp_ge_f32_e32 vcc_lo, 0x41a00000, v140
	s_and_b32 s28, s91, vcc_lo
	s_and_saveexec_b32 s29, s28
	s_cbranch_execz .LBB148_102
; %bb.101:                              ;   in Loop: Header=BB148_12 Depth=1
	v_mul_f32_e32 v20, 0x3fb8aa3b, v140
	v_cmp_ngt_f32_e32 vcc_lo, 0xc2ce8ed0, v140
	s_delay_alu instid0(VALU_DEP_2) | instskip(SKIP_1) | instid1(VALU_DEP_2)
	v_rndne_f32_e32 v21, v20
	v_fma_f32 v22, 0x3fb8aa3b, v140, -v20
	v_sub_f32_e32 v20, v20, v21
	s_delay_alu instid0(VALU_DEP_2) | instskip(SKIP_1) | instid1(VALU_DEP_2)
	v_fmac_f32_e32 v22, 0x32a5705f, v140
	v_cvt_i32_f32_e32 v21, v21
	v_add_f32_e32 v20, v20, v22
	s_delay_alu instid0(VALU_DEP_1) | instskip(SKIP_2) | instid1(VALU_DEP_1)
	v_exp_f32_e32 v20, v20
	s_waitcnt_depctr 0xfff
	v_ldexp_f32 v20, v20, v21
	v_cndmask_b32_e32 v20, 0, v20, vcc_lo
	v_cmp_nlt_f32_e32 vcc_lo, 0x42b17218, v140
	s_delay_alu instid0(VALU_DEP_2) | instskip(NEXT) | instid1(VALU_DEP_1)
	v_cndmask_b32_e32 v22, 0x7f800000, v20, vcc_lo
	v_add_f32_e32 v23, 1.0, v22
	s_delay_alu instid0(VALU_DEP_1) | instskip(NEXT) | instid1(VALU_DEP_1)
	v_cvt_f64_f32_e32 v[20:21], v23
	v_frexp_exp_i32_f64_e32 v20, v[20:21]
	v_frexp_mant_f32_e32 v21, v23
	s_delay_alu instid0(VALU_DEP_1) | instskip(SKIP_1) | instid1(VALU_DEP_1)
	v_cmp_gt_f32_e32 vcc_lo, 0x3f2aaaab, v21
	v_add_f32_e32 v21, -1.0, v23
	v_sub_f32_e32 v25, v21, v23
	v_sub_f32_e32 v21, v22, v21
	s_delay_alu instid0(VALU_DEP_2) | instskip(NEXT) | instid1(VALU_DEP_1)
	v_add_f32_e32 v25, 1.0, v25
	v_add_f32_e32 v21, v21, v25
	v_cmp_gt_f32_e64 s28, 0x33800000, v22
	v_subrev_co_ci_u32_e32 v20, vcc_lo, 0, v20, vcc_lo
	v_cmp_eq_f32_e32 vcc_lo, 0x7f800000, v22
	s_delay_alu instid0(VALU_DEP_2) | instskip(SKIP_2) | instid1(VALU_DEP_2)
	v_sub_nc_u32_e32 v24, 0, v20
	v_cvt_f32_i32_e32 v20, v20
	s_or_b32 vcc_lo, s28, vcc_lo
	v_ldexp_f32 v23, v23, v24
	v_ldexp_f32 v21, v21, v24
	s_delay_alu instid0(VALU_DEP_2) | instskip(NEXT) | instid1(VALU_DEP_1)
	v_add_f32_e32 v26, 1.0, v23
	v_dual_add_f32 v24, -1.0, v23 :: v_dual_add_f32 v25, -1.0, v26
	s_delay_alu instid0(VALU_DEP_1) | instskip(NEXT) | instid1(VALU_DEP_2)
	v_add_f32_e32 v27, 1.0, v24
	v_sub_f32_e32 v25, v23, v25
	s_delay_alu instid0(VALU_DEP_2) | instskip(NEXT) | instid1(VALU_DEP_2)
	v_sub_f32_e32 v23, v23, v27
	v_add_f32_e32 v25, v21, v25
	s_delay_alu instid0(VALU_DEP_2) | instskip(NEXT) | instid1(VALU_DEP_1)
	v_add_f32_e32 v21, v21, v23
	v_add_f32_e32 v28, v24, v21
	s_delay_alu instid0(VALU_DEP_1) | instskip(NEXT) | instid1(VALU_DEP_1)
	v_dual_add_f32 v27, v26, v25 :: v_dual_sub_f32 v24, v24, v28
	v_rcp_f32_e32 v23, v27
	v_sub_f32_e32 v26, v26, v27
	s_delay_alu instid0(VALU_DEP_1) | instskip(SKIP_2) | instid1(VALU_DEP_1)
	v_add_f32_e32 v25, v25, v26
	s_waitcnt_depctr 0xfff
	v_mul_f32_e32 v29, v28, v23
	v_mul_f32_e32 v30, v27, v29
	s_delay_alu instid0(VALU_DEP_1) | instskip(NEXT) | instid1(VALU_DEP_1)
	v_fma_f32 v26, v29, v27, -v30
	v_fmac_f32_e32 v26, v29, v25
	s_delay_alu instid0(VALU_DEP_1) | instskip(NEXT) | instid1(VALU_DEP_1)
	v_add_f32_e32 v31, v30, v26
	v_sub_f32_e32 v32, v28, v31
	s_delay_alu instid0(VALU_DEP_1) | instskip(SKIP_1) | instid1(VALU_DEP_2)
	v_sub_f32_e32 v28, v28, v32
	v_dual_add_f32 v21, v21, v24 :: v_dual_sub_f32 v24, v31, v30
	v_sub_f32_e32 v28, v28, v31
	s_delay_alu instid0(VALU_DEP_1) | instskip(NEXT) | instid1(VALU_DEP_1)
	v_dual_sub_f32 v24, v24, v26 :: v_dual_add_f32 v21, v21, v28
	v_add_f32_e32 v21, v24, v21
	s_delay_alu instid0(VALU_DEP_1) | instskip(NEXT) | instid1(VALU_DEP_1)
	v_add_f32_e32 v24, v32, v21
	v_mul_f32_e32 v26, v23, v24
	s_delay_alu instid0(VALU_DEP_1) | instskip(NEXT) | instid1(VALU_DEP_1)
	v_dual_sub_f32 v31, v32, v24 :: v_dual_mul_f32 v28, v27, v26
	v_add_f32_e32 v21, v21, v31
	s_delay_alu instid0(VALU_DEP_2) | instskip(NEXT) | instid1(VALU_DEP_1)
	v_fma_f32 v27, v26, v27, -v28
	v_fmac_f32_e32 v27, v26, v25
	s_delay_alu instid0(VALU_DEP_1) | instskip(NEXT) | instid1(VALU_DEP_1)
	v_add_f32_e32 v25, v28, v27
	v_sub_f32_e32 v30, v24, v25
	s_delay_alu instid0(VALU_DEP_1) | instskip(NEXT) | instid1(VALU_DEP_1)
	v_sub_f32_e32 v24, v24, v30
	v_sub_f32_e32 v24, v24, v25
	s_delay_alu instid0(VALU_DEP_1) | instskip(SKIP_2) | instid1(VALU_DEP_1)
	v_add_f32_e32 v21, v21, v24
	v_add_f32_e32 v24, v29, v26
	v_sub_f32_e32 v28, v25, v28
	v_sub_f32_e32 v25, v28, v27
	s_delay_alu instid0(VALU_DEP_1) | instskip(NEXT) | instid1(VALU_DEP_4)
	v_add_f32_e32 v21, v25, v21
	v_sub_f32_e32 v25, v24, v29
	s_delay_alu instid0(VALU_DEP_2) | instskip(NEXT) | instid1(VALU_DEP_2)
	v_add_f32_e32 v21, v30, v21
	v_sub_f32_e32 v25, v26, v25
	s_delay_alu instid0(VALU_DEP_2) | instskip(NEXT) | instid1(VALU_DEP_1)
	v_mul_f32_e32 v21, v23, v21
	v_add_f32_e32 v21, v25, v21
	s_delay_alu instid0(VALU_DEP_1) | instskip(NEXT) | instid1(VALU_DEP_1)
	v_add_f32_e32 v23, v24, v21
	v_mul_f32_e32 v25, v23, v23
	s_delay_alu instid0(VALU_DEP_1) | instskip(SKIP_1) | instid1(VALU_DEP_2)
	v_fmaak_f32 v26, s74, v25, 0x3ecc95a3
	v_mul_f32_e32 v27, v23, v25
	v_fmaak_f32 v25, v25, v26, 0x3f2aaada
	v_ldexp_f32 v26, v23, 1
	s_delay_alu instid0(VALU_DEP_2) | instskip(SKIP_1) | instid1(VALU_DEP_2)
	v_mul_f32_e32 v25, v27, v25
	v_sub_f32_e32 v23, v23, v24
	v_dual_mul_f32 v27, 0x3f317218, v20 :: v_dual_add_f32 v24, v26, v25
	s_delay_alu instid0(VALU_DEP_2) | instskip(NEXT) | instid1(VALU_DEP_2)
	v_sub_f32_e32 v21, v21, v23
	v_sub_f32_e32 v23, v24, v26
	s_delay_alu instid0(VALU_DEP_3) | instskip(NEXT) | instid1(VALU_DEP_3)
	v_fma_f32 v26, 0x3f317218, v20, -v27
	v_ldexp_f32 v21, v21, 1
	s_delay_alu instid0(VALU_DEP_2) | instskip(NEXT) | instid1(VALU_DEP_1)
	v_dual_sub_f32 v23, v25, v23 :: v_dual_fmac_f32 v26, 0xb102e308, v20
	v_dual_add_f32 v20, v21, v23 :: v_dual_add_f32 v21, v27, v26
	s_delay_alu instid0(VALU_DEP_1) | instskip(NEXT) | instid1(VALU_DEP_1)
	v_add_f32_e32 v23, v24, v20
	v_dual_add_f32 v25, v21, v23 :: v_dual_sub_f32 v24, v23, v24
	s_delay_alu instid0(VALU_DEP_1) | instskip(NEXT) | instid1(VALU_DEP_2)
	v_sub_f32_e32 v28, v25, v21
	v_dual_sub_f32 v27, v21, v27 :: v_dual_sub_f32 v20, v20, v24
	s_delay_alu instid0(VALU_DEP_1) | instskip(SKIP_1) | instid1(VALU_DEP_2)
	v_dual_sub_f32 v29, v25, v28 :: v_dual_sub_f32 v26, v26, v27
	v_sub_f32_e32 v23, v23, v28
	v_dual_sub_f32 v21, v21, v29 :: v_dual_add_f32 v24, v26, v20
	s_delay_alu instid0(VALU_DEP_1) | instskip(NEXT) | instid1(VALU_DEP_2)
	v_add_f32_e32 v21, v23, v21
	v_sub_f32_e32 v23, v24, v26
	s_delay_alu instid0(VALU_DEP_2) | instskip(NEXT) | instid1(VALU_DEP_2)
	v_add_f32_e32 v21, v24, v21
	v_sub_f32_e32 v24, v24, v23
	s_delay_alu instid0(VALU_DEP_2) | instskip(NEXT) | instid1(VALU_DEP_1)
	v_dual_sub_f32 v20, v20, v23 :: v_dual_add_f32 v27, v25, v21
	v_dual_sub_f32 v24, v26, v24 :: v_dual_sub_f32 v23, v27, v25
	s_delay_alu instid0(VALU_DEP_1) | instskip(NEXT) | instid1(VALU_DEP_1)
	v_dual_add_f32 v20, v20, v24 :: v_dual_sub_f32 v21, v21, v23
	v_add_f32_e32 v20, v20, v21
	s_delay_alu instid0(VALU_DEP_1) | instskip(NEXT) | instid1(VALU_DEP_1)
	v_add_f32_e32 v20, v27, v20
	v_cndmask_b32_e32 v140, v20, v22, vcc_lo
.LBB148_102:                            ;   in Loop: Header=BB148_12 Depth=1
	s_or_b32 exec_lo, exec_lo, s29
	s_waitcnt lgkmcnt(0)
	v_add_f32_e32 v141, s84, v18
	s_delay_alu instid0(VALU_DEP_1) | instskip(SKIP_1) | instid1(SALU_CYCLE_1)
	v_cmp_ge_f32_e32 vcc_lo, 0x41a00000, v141
	s_and_b32 s28, s91, vcc_lo
	s_and_saveexec_b32 s29, s28
	s_cbranch_execz .LBB148_104
; %bb.103:                              ;   in Loop: Header=BB148_12 Depth=1
	v_mul_f32_e32 v18, 0x3fb8aa3b, v141
	v_cmp_ngt_f32_e32 vcc_lo, 0xc2ce8ed0, v141
	s_delay_alu instid0(VALU_DEP_2) | instskip(SKIP_1) | instid1(VALU_DEP_1)
	v_rndne_f32_e32 v20, v18
	v_fma_f32 v21, 0x3fb8aa3b, v141, -v18
	v_dual_sub_f32 v18, v18, v20 :: v_dual_fmac_f32 v21, 0x32a5705f, v141
	v_cvt_i32_f32_e32 v20, v20
	s_delay_alu instid0(VALU_DEP_2) | instskip(NEXT) | instid1(VALU_DEP_1)
	v_add_f32_e32 v18, v18, v21
	v_exp_f32_e32 v18, v18
	s_waitcnt_depctr 0xfff
	v_ldexp_f32 v18, v18, v20
	s_delay_alu instid0(VALU_DEP_1) | instskip(SKIP_1) | instid1(VALU_DEP_2)
	v_cndmask_b32_e32 v18, 0, v18, vcc_lo
	v_cmp_nlt_f32_e32 vcc_lo, 0x42b17218, v141
	v_cndmask_b32_e32 v18, 0x7f800000, v18, vcc_lo
	s_delay_alu instid0(VALU_DEP_1) | instskip(NEXT) | instid1(VALU_DEP_1)
	v_add_f32_e32 v22, 1.0, v18
	v_cvt_f64_f32_e32 v[20:21], v22
	s_delay_alu instid0(VALU_DEP_1) | instskip(SKIP_1) | instid1(VALU_DEP_1)
	v_frexp_exp_i32_f64_e32 v20, v[20:21]
	v_frexp_mant_f32_e32 v21, v22
	v_cmp_gt_f32_e32 vcc_lo, 0x3f2aaaab, v21
	v_add_f32_e32 v21, -1.0, v22
	s_delay_alu instid0(VALU_DEP_1) | instskip(SKIP_1) | instid1(VALU_DEP_1)
	v_dual_sub_f32 v24, v21, v22 :: v_dual_sub_f32 v21, v18, v21
	v_subrev_co_ci_u32_e32 v20, vcc_lo, 0, v20, vcc_lo
	v_sub_nc_u32_e32 v23, 0, v20
	v_cvt_f32_i32_e32 v20, v20
	s_delay_alu instid0(VALU_DEP_2) | instskip(NEXT) | instid1(VALU_DEP_1)
	v_ldexp_f32 v22, v22, v23
	v_dual_add_f32 v24, 1.0, v24 :: v_dual_add_f32 v25, 1.0, v22
	s_delay_alu instid0(VALU_DEP_1) | instskip(NEXT) | instid1(VALU_DEP_1)
	v_add_f32_e32 v21, v21, v24
	v_ldexp_f32 v21, v21, v23
	s_delay_alu instid0(VALU_DEP_3) | instskip(NEXT) | instid1(VALU_DEP_1)
	v_dual_add_f32 v23, -1.0, v22 :: v_dual_add_f32 v24, -1.0, v25
	v_add_f32_e32 v26, 1.0, v23
	s_delay_alu instid0(VALU_DEP_2) | instskip(NEXT) | instid1(VALU_DEP_2)
	v_sub_f32_e32 v24, v22, v24
	v_sub_f32_e32 v22, v22, v26
	s_delay_alu instid0(VALU_DEP_2) | instskip(NEXT) | instid1(VALU_DEP_2)
	v_add_f32_e32 v24, v21, v24
	v_add_f32_e32 v21, v21, v22
	s_delay_alu instid0(VALU_DEP_1) | instskip(SKIP_2) | instid1(VALU_DEP_3)
	v_dual_add_f32 v27, v23, v21 :: v_dual_add_f32 v26, v25, v24
	v_cmp_eq_f32_e32 vcc_lo, 0x7f800000, v18
	v_cmp_gt_f32_e64 s28, 0x33800000, v18
	v_sub_f32_e32 v23, v23, v27
	s_delay_alu instid0(VALU_DEP_4) | instskip(SKIP_1) | instid1(VALU_DEP_3)
	v_rcp_f32_e32 v22, v26
	v_sub_f32_e32 v25, v25, v26
	s_or_b32 vcc_lo, s28, vcc_lo
	s_delay_alu instid0(VALU_DEP_1) | instskip(SKIP_2) | instid1(VALU_DEP_1)
	v_dual_add_f32 v21, v21, v23 :: v_dual_add_f32 v24, v24, v25
	s_waitcnt_depctr 0xfff
	v_mul_f32_e32 v28, v27, v22
	v_mul_f32_e32 v29, v26, v28
	s_delay_alu instid0(VALU_DEP_1) | instskip(NEXT) | instid1(VALU_DEP_1)
	v_fma_f32 v25, v28, v26, -v29
	v_fmac_f32_e32 v25, v28, v24
	s_delay_alu instid0(VALU_DEP_1) | instskip(NEXT) | instid1(VALU_DEP_1)
	v_add_f32_e32 v30, v29, v25
	v_sub_f32_e32 v31, v27, v30
	s_delay_alu instid0(VALU_DEP_1) | instskip(NEXT) | instid1(VALU_DEP_1)
	v_sub_f32_e32 v27, v27, v31
	v_sub_f32_e32 v27, v27, v30
	;; [unrolled: 1-line block ×3, first 2 shown]
	s_delay_alu instid0(VALU_DEP_2) | instskip(NEXT) | instid1(VALU_DEP_2)
	v_add_f32_e32 v21, v21, v27
	v_sub_f32_e32 v23, v23, v25
	s_delay_alu instid0(VALU_DEP_1) | instskip(NEXT) | instid1(VALU_DEP_1)
	v_add_f32_e32 v21, v23, v21
	v_add_f32_e32 v23, v31, v21
	s_delay_alu instid0(VALU_DEP_1) | instskip(NEXT) | instid1(VALU_DEP_1)
	v_mul_f32_e32 v25, v22, v23
	v_dual_sub_f32 v30, v31, v23 :: v_dual_mul_f32 v27, v26, v25
	s_delay_alu instid0(VALU_DEP_1) | instskip(NEXT) | instid1(VALU_DEP_2)
	v_add_f32_e32 v21, v21, v30
	v_fma_f32 v26, v25, v26, -v27
	s_delay_alu instid0(VALU_DEP_1) | instskip(NEXT) | instid1(VALU_DEP_1)
	v_fmac_f32_e32 v26, v25, v24
	v_add_f32_e32 v24, v27, v26
	s_delay_alu instid0(VALU_DEP_1) | instskip(NEXT) | instid1(VALU_DEP_1)
	v_sub_f32_e32 v29, v23, v24
	v_sub_f32_e32 v23, v23, v29
	s_delay_alu instid0(VALU_DEP_1) | instskip(NEXT) | instid1(VALU_DEP_1)
	v_sub_f32_e32 v23, v23, v24
	v_add_f32_e32 v21, v21, v23
	v_add_f32_e32 v23, v28, v25
	v_sub_f32_e32 v27, v24, v27
	s_delay_alu instid0(VALU_DEP_1) | instskip(NEXT) | instid1(VALU_DEP_1)
	v_sub_f32_e32 v24, v27, v26
	v_dual_add_f32 v21, v24, v21 :: v_dual_sub_f32 v24, v23, v28
	s_delay_alu instid0(VALU_DEP_1) | instskip(NEXT) | instid1(VALU_DEP_1)
	v_add_f32_e32 v21, v29, v21
	v_dual_sub_f32 v24, v25, v24 :: v_dual_mul_f32 v21, v22, v21
	s_delay_alu instid0(VALU_DEP_1) | instskip(NEXT) | instid1(VALU_DEP_1)
	v_add_f32_e32 v21, v24, v21
	v_add_f32_e32 v22, v23, v21
	s_delay_alu instid0(VALU_DEP_1) | instskip(NEXT) | instid1(VALU_DEP_1)
	v_mul_f32_e32 v24, v22, v22
	v_fmaak_f32 v25, s74, v24, 0x3ecc95a3
	v_mul_f32_e32 v26, v22, v24
	s_delay_alu instid0(VALU_DEP_2) | instskip(SKIP_2) | instid1(VALU_DEP_3)
	v_fmaak_f32 v24, v24, v25, 0x3f2aaada
	v_ldexp_f32 v25, v22, 1
	v_sub_f32_e32 v22, v22, v23
	v_mul_f32_e32 v24, v26, v24
	v_mul_f32_e32 v26, 0x3f317218, v20
	s_delay_alu instid0(VALU_DEP_2) | instskip(NEXT) | instid1(VALU_DEP_1)
	v_add_f32_e32 v23, v25, v24
	v_dual_sub_f32 v21, v21, v22 :: v_dual_sub_f32 v22, v23, v25
	s_delay_alu instid0(VALU_DEP_3) | instskip(NEXT) | instid1(VALU_DEP_2)
	v_fma_f32 v25, 0x3f317218, v20, -v26
	v_ldexp_f32 v21, v21, 1
	s_delay_alu instid0(VALU_DEP_2) | instskip(NEXT) | instid1(VALU_DEP_1)
	v_dual_sub_f32 v22, v24, v22 :: v_dual_fmac_f32 v25, 0xb102e308, v20
	v_dual_add_f32 v20, v21, v22 :: v_dual_add_f32 v21, v26, v25
	s_delay_alu instid0(VALU_DEP_1) | instskip(NEXT) | instid1(VALU_DEP_1)
	v_add_f32_e32 v22, v23, v20
	v_add_f32_e32 v24, v21, v22
	s_delay_alu instid0(VALU_DEP_1) | instskip(NEXT) | instid1(VALU_DEP_1)
	v_sub_f32_e32 v27, v24, v21
	v_sub_f32_e32 v28, v24, v27
	;; [unrolled: 1-line block ×4, first 2 shown]
	s_delay_alu instid0(VALU_DEP_2) | instskip(SKIP_1) | instid1(VALU_DEP_1)
	v_sub_f32_e32 v20, v20, v23
	v_sub_f32_e32 v26, v21, v26
	;; [unrolled: 1-line block ×3, first 2 shown]
	s_delay_alu instid0(VALU_DEP_1) | instskip(SKIP_1) | instid1(VALU_DEP_1)
	v_add_f32_e32 v23, v25, v20
	v_sub_f32_e32 v21, v21, v28
	v_add_f32_e32 v21, v22, v21
	s_delay_alu instid0(VALU_DEP_3) | instskip(NEXT) | instid1(VALU_DEP_1)
	v_sub_f32_e32 v22, v23, v25
	v_dual_sub_f32 v20, v20, v22 :: v_dual_add_f32 v21, v23, v21
	s_delay_alu instid0(VALU_DEP_1) | instskip(NEXT) | instid1(VALU_DEP_1)
	v_dual_sub_f32 v23, v23, v22 :: v_dual_add_f32 v26, v24, v21
	v_dual_sub_f32 v23, v25, v23 :: v_dual_sub_f32 v22, v26, v24
	s_delay_alu instid0(VALU_DEP_1) | instskip(NEXT) | instid1(VALU_DEP_1)
	v_dual_add_f32 v20, v20, v23 :: v_dual_sub_f32 v21, v21, v22
	v_add_f32_e32 v20, v20, v21
	s_delay_alu instid0(VALU_DEP_1) | instskip(NEXT) | instid1(VALU_DEP_1)
	v_add_f32_e32 v20, v26, v20
	v_cndmask_b32_e32 v141, v20, v18, vcc_lo
.LBB148_104:                            ;   in Loop: Header=BB148_12 Depth=1
	s_or_b32 exec_lo, exec_lo, s29
	v_add_f32_e32 v142, s84, v19
	s_delay_alu instid0(VALU_DEP_1) | instskip(SKIP_1) | instid1(SALU_CYCLE_1)
	v_cmp_ge_f32_e32 vcc_lo, 0x41a00000, v142
	s_and_b32 s28, s91, vcc_lo
	s_and_saveexec_b32 s29, s28
	s_cbranch_execz .LBB148_106
; %bb.105:                              ;   in Loop: Header=BB148_12 Depth=1
	v_mul_f32_e32 v18, 0x3fb8aa3b, v142
	v_cmp_ngt_f32_e32 vcc_lo, 0xc2ce8ed0, v142
	s_delay_alu instid0(VALU_DEP_2) | instskip(SKIP_1) | instid1(VALU_DEP_2)
	v_rndne_f32_e32 v19, v18
	v_fma_f32 v20, 0x3fb8aa3b, v142, -v18
	v_sub_f32_e32 v18, v18, v19
	s_delay_alu instid0(VALU_DEP_2) | instskip(SKIP_1) | instid1(VALU_DEP_2)
	v_fmac_f32_e32 v20, 0x32a5705f, v142
	v_cvt_i32_f32_e32 v19, v19
	v_add_f32_e32 v18, v18, v20
	s_delay_alu instid0(VALU_DEP_1) | instskip(SKIP_2) | instid1(VALU_DEP_1)
	v_exp_f32_e32 v18, v18
	s_waitcnt_depctr 0xfff
	v_ldexp_f32 v18, v18, v19
	v_cndmask_b32_e32 v18, 0, v18, vcc_lo
	v_cmp_nlt_f32_e32 vcc_lo, 0x42b17218, v142
	s_delay_alu instid0(VALU_DEP_2) | instskip(NEXT) | instid1(VALU_DEP_1)
	v_cndmask_b32_e32 v20, 0x7f800000, v18, vcc_lo
	v_add_f32_e32 v21, 1.0, v20
	s_delay_alu instid0(VALU_DEP_1) | instskip(NEXT) | instid1(VALU_DEP_1)
	v_cvt_f64_f32_e32 v[18:19], v21
	v_frexp_exp_i32_f64_e32 v18, v[18:19]
	v_frexp_mant_f32_e32 v19, v21
	s_delay_alu instid0(VALU_DEP_1) | instskip(SKIP_1) | instid1(VALU_DEP_1)
	v_cmp_gt_f32_e32 vcc_lo, 0x3f2aaaab, v19
	v_add_f32_e32 v19, -1.0, v21
	v_sub_f32_e32 v23, v19, v21
	v_sub_f32_e32 v19, v20, v19
	s_delay_alu instid0(VALU_DEP_2) | instskip(NEXT) | instid1(VALU_DEP_1)
	v_add_f32_e32 v23, 1.0, v23
	v_add_f32_e32 v19, v19, v23
	v_cmp_gt_f32_e64 s28, 0x33800000, v20
	v_subrev_co_ci_u32_e32 v18, vcc_lo, 0, v18, vcc_lo
	v_cmp_eq_f32_e32 vcc_lo, 0x7f800000, v20
	s_delay_alu instid0(VALU_DEP_2) | instskip(SKIP_2) | instid1(VALU_DEP_2)
	v_sub_nc_u32_e32 v22, 0, v18
	v_cvt_f32_i32_e32 v18, v18
	s_or_b32 vcc_lo, s28, vcc_lo
	v_ldexp_f32 v21, v21, v22
	v_ldexp_f32 v19, v19, v22
	s_delay_alu instid0(VALU_DEP_2) | instskip(NEXT) | instid1(VALU_DEP_1)
	v_add_f32_e32 v24, 1.0, v21
	v_dual_add_f32 v22, -1.0, v21 :: v_dual_add_f32 v23, -1.0, v24
	s_delay_alu instid0(VALU_DEP_1) | instskip(NEXT) | instid1(VALU_DEP_2)
	v_add_f32_e32 v25, 1.0, v22
	v_sub_f32_e32 v23, v21, v23
	s_delay_alu instid0(VALU_DEP_2) | instskip(NEXT) | instid1(VALU_DEP_2)
	v_sub_f32_e32 v21, v21, v25
	v_add_f32_e32 v23, v19, v23
	s_delay_alu instid0(VALU_DEP_2) | instskip(NEXT) | instid1(VALU_DEP_1)
	v_add_f32_e32 v19, v19, v21
	v_add_f32_e32 v26, v22, v19
	s_delay_alu instid0(VALU_DEP_1) | instskip(NEXT) | instid1(VALU_DEP_1)
	v_dual_add_f32 v25, v24, v23 :: v_dual_sub_f32 v22, v22, v26
	v_rcp_f32_e32 v21, v25
	v_sub_f32_e32 v24, v24, v25
	s_delay_alu instid0(VALU_DEP_1) | instskip(SKIP_2) | instid1(VALU_DEP_1)
	v_add_f32_e32 v23, v23, v24
	s_waitcnt_depctr 0xfff
	v_mul_f32_e32 v27, v26, v21
	v_mul_f32_e32 v28, v25, v27
	s_delay_alu instid0(VALU_DEP_1) | instskip(NEXT) | instid1(VALU_DEP_1)
	v_fma_f32 v24, v27, v25, -v28
	v_fmac_f32_e32 v24, v27, v23
	s_delay_alu instid0(VALU_DEP_1) | instskip(NEXT) | instid1(VALU_DEP_1)
	v_add_f32_e32 v29, v28, v24
	v_sub_f32_e32 v30, v26, v29
	s_delay_alu instid0(VALU_DEP_1) | instskip(SKIP_1) | instid1(VALU_DEP_2)
	v_sub_f32_e32 v26, v26, v30
	v_dual_add_f32 v19, v19, v22 :: v_dual_sub_f32 v22, v29, v28
	v_sub_f32_e32 v26, v26, v29
	s_delay_alu instid0(VALU_DEP_1) | instskip(NEXT) | instid1(VALU_DEP_1)
	v_dual_sub_f32 v22, v22, v24 :: v_dual_add_f32 v19, v19, v26
	v_add_f32_e32 v19, v22, v19
	s_delay_alu instid0(VALU_DEP_1) | instskip(NEXT) | instid1(VALU_DEP_1)
	v_add_f32_e32 v22, v30, v19
	v_mul_f32_e32 v24, v21, v22
	s_delay_alu instid0(VALU_DEP_1) | instskip(NEXT) | instid1(VALU_DEP_1)
	v_dual_sub_f32 v29, v30, v22 :: v_dual_mul_f32 v26, v25, v24
	v_add_f32_e32 v19, v19, v29
	s_delay_alu instid0(VALU_DEP_2) | instskip(NEXT) | instid1(VALU_DEP_1)
	v_fma_f32 v25, v24, v25, -v26
	v_fmac_f32_e32 v25, v24, v23
	s_delay_alu instid0(VALU_DEP_1) | instskip(NEXT) | instid1(VALU_DEP_1)
	v_add_f32_e32 v23, v26, v25
	v_sub_f32_e32 v28, v22, v23
	s_delay_alu instid0(VALU_DEP_1) | instskip(NEXT) | instid1(VALU_DEP_1)
	v_sub_f32_e32 v22, v22, v28
	v_sub_f32_e32 v22, v22, v23
	s_delay_alu instid0(VALU_DEP_1) | instskip(SKIP_2) | instid1(VALU_DEP_1)
	v_add_f32_e32 v19, v19, v22
	v_add_f32_e32 v22, v27, v24
	v_sub_f32_e32 v26, v23, v26
	v_sub_f32_e32 v23, v26, v25
	s_delay_alu instid0(VALU_DEP_1) | instskip(NEXT) | instid1(VALU_DEP_4)
	v_add_f32_e32 v19, v23, v19
	v_sub_f32_e32 v23, v22, v27
	s_delay_alu instid0(VALU_DEP_2) | instskip(NEXT) | instid1(VALU_DEP_2)
	v_add_f32_e32 v19, v28, v19
	v_sub_f32_e32 v23, v24, v23
	s_delay_alu instid0(VALU_DEP_2) | instskip(NEXT) | instid1(VALU_DEP_1)
	v_mul_f32_e32 v19, v21, v19
	v_add_f32_e32 v19, v23, v19
	s_delay_alu instid0(VALU_DEP_1) | instskip(NEXT) | instid1(VALU_DEP_1)
	v_add_f32_e32 v21, v22, v19
	v_mul_f32_e32 v23, v21, v21
	s_delay_alu instid0(VALU_DEP_1) | instskip(SKIP_1) | instid1(VALU_DEP_2)
	v_fmaak_f32 v24, s74, v23, 0x3ecc95a3
	v_mul_f32_e32 v25, v21, v23
	v_fmaak_f32 v23, v23, v24, 0x3f2aaada
	v_ldexp_f32 v24, v21, 1
	s_delay_alu instid0(VALU_DEP_2) | instskip(SKIP_1) | instid1(VALU_DEP_2)
	v_mul_f32_e32 v23, v25, v23
	v_sub_f32_e32 v21, v21, v22
	v_dual_mul_f32 v25, 0x3f317218, v18 :: v_dual_add_f32 v22, v24, v23
	s_delay_alu instid0(VALU_DEP_2) | instskip(NEXT) | instid1(VALU_DEP_2)
	v_sub_f32_e32 v19, v19, v21
	v_sub_f32_e32 v21, v22, v24
	s_delay_alu instid0(VALU_DEP_3) | instskip(NEXT) | instid1(VALU_DEP_3)
	v_fma_f32 v24, 0x3f317218, v18, -v25
	v_ldexp_f32 v19, v19, 1
	s_delay_alu instid0(VALU_DEP_2) | instskip(NEXT) | instid1(VALU_DEP_1)
	v_dual_sub_f32 v21, v23, v21 :: v_dual_fmac_f32 v24, 0xb102e308, v18
	v_dual_add_f32 v18, v19, v21 :: v_dual_add_f32 v19, v25, v24
	s_delay_alu instid0(VALU_DEP_1) | instskip(NEXT) | instid1(VALU_DEP_1)
	v_add_f32_e32 v21, v22, v18
	v_dual_add_f32 v23, v19, v21 :: v_dual_sub_f32 v22, v21, v22
	s_delay_alu instid0(VALU_DEP_1) | instskip(NEXT) | instid1(VALU_DEP_2)
	v_sub_f32_e32 v26, v23, v19
	v_dual_sub_f32 v25, v19, v25 :: v_dual_sub_f32 v18, v18, v22
	s_delay_alu instid0(VALU_DEP_1) | instskip(SKIP_1) | instid1(VALU_DEP_2)
	v_dual_sub_f32 v27, v23, v26 :: v_dual_sub_f32 v24, v24, v25
	v_sub_f32_e32 v21, v21, v26
	v_dual_sub_f32 v19, v19, v27 :: v_dual_add_f32 v22, v24, v18
	s_delay_alu instid0(VALU_DEP_1) | instskip(NEXT) | instid1(VALU_DEP_2)
	v_add_f32_e32 v19, v21, v19
	v_sub_f32_e32 v21, v22, v24
	s_delay_alu instid0(VALU_DEP_2) | instskip(NEXT) | instid1(VALU_DEP_2)
	v_add_f32_e32 v19, v22, v19
	v_sub_f32_e32 v22, v22, v21
	s_delay_alu instid0(VALU_DEP_2) | instskip(NEXT) | instid1(VALU_DEP_1)
	v_dual_sub_f32 v18, v18, v21 :: v_dual_add_f32 v25, v23, v19
	v_dual_sub_f32 v22, v24, v22 :: v_dual_sub_f32 v21, v25, v23
	s_delay_alu instid0(VALU_DEP_1) | instskip(NEXT) | instid1(VALU_DEP_1)
	v_dual_add_f32 v18, v18, v22 :: v_dual_sub_f32 v19, v19, v21
	v_add_f32_e32 v18, v18, v19
	s_delay_alu instid0(VALU_DEP_1) | instskip(NEXT) | instid1(VALU_DEP_1)
	v_add_f32_e32 v18, v25, v18
	v_cndmask_b32_e32 v142, v18, v20, vcc_lo
.LBB148_106:                            ;   in Loop: Header=BB148_12 Depth=1
	s_or_b32 exec_lo, exec_lo, s29
	v_dual_mul_f32 v120, s85, v16 :: v_dual_mul_f32 v121, s85, v15
	v_dual_mul_f32 v122, s85, v14 :: v_dual_mul_f32 v123, s85, v13
	v_dual_mul_f32 v125, s85, v12 :: v_dual_mul_f32 v126, s85, v11
	v_dual_mul_f32 v127, s85, v10 :: v_dual_mul_f32 v130, s85, v8
	v_dual_mul_f32 v129, s85, v9 :: v_dual_mul_f32 v132, s85, v7
	v_dual_mul_f32 v133, s85, v6 :: v_dual_mul_f32 v134, s85, v5
	v_dual_mul_f32 v135, s85, v4 :: v_dual_mul_f32 v136, s85, v3
	v_mul_f32_e32 v138, s85, v2
	v_mul_f32_e32 v124, s85, v17
	s_and_b32 vcc_lo, exec_lo, s92
	s_barrier
	buffer_gl0_inv
	s_cbranch_vccz .LBB148_202
; %bb.107:                              ;   in Loop: Header=BB148_12 Depth=1
	v_dual_mul_f32 v143, v17, v142 :: v_dual_mul_f32 v148, v16, v141
	v_add_co_u32 v17, s28, s79, v34
	s_delay_alu instid0(VALU_DEP_1) | instskip(SKIP_1) | instid1(VALU_DEP_1)
	v_add_co_ci_u32_e64 v18, null, s81, 0, s28
	v_add_co_u32 v19, s28, s69, v34
	v_add_co_ci_u32_e64 v20, null, s82, 0, s28
	s_delay_alu instid0(VALU_DEP_4) | instskip(NEXT) | instid1(VALU_DEP_4)
	v_add_co_u32 v144, vcc_lo, v17, v110
	v_add_co_ci_u32_e32 v145, vcc_lo, 0, v18, vcc_lo
	s_delay_alu instid0(VALU_DEP_4) | instskip(NEXT) | instid1(VALU_DEP_4)
	v_add_co_u32 v146, vcc_lo, v19, v110
	v_add_co_ci_u32_e32 v147, vcc_lo, 0, v20, vcc_lo
	v_cmp_gt_u32_e32 vcc_lo, s40, v36
	s_cmp_lg_u32 s95, 0
	v_cmp_gt_u32_e64 s30, s40, v96
	s_cselect_b32 s51, -1, 0
	s_cmp_eq_u32 s95, s94
	v_cmp_gt_u32_e64 s31, s40, v97
	s_cselect_b32 s60, -1, 0
	s_or_b32 s28, s93, vcc_lo
	v_cmp_gt_u32_e32 vcc_lo, s40, v95
	v_cmp_gt_u32_e64 s33, s40, v98
	v_cmp_gt_u32_e64 s34, s40, v99
	;; [unrolled: 1-line block ×4, first 2 shown]
	s_or_b32 s29, s93, vcc_lo
	v_cmp_gt_u32_e32 vcc_lo, s40, v100
	v_cmp_gt_u32_e64 s38, s40, v103
	v_cmp_gt_u32_e64 s39, s40, v104
	;; [unrolled: 1-line block ×4, first 2 shown]
	s_or_b32 s35, s93, vcc_lo
	v_cmp_gt_u32_e32 vcc_lo, s40, v105
	v_cmp_gt_u32_e64 s43, s40, v108
	v_cmp_gt_u32_e64 s44, s40, v109
	v_dual_mul_f32 v149, v15, v140 :: v_dual_mul_f32 v150, v14, v139
	v_dual_mul_f32 v151, v13, v137 :: v_dual_mul_f32 v152, v12, v131
	;; [unrolled: 1-line block ×7, first 2 shown]
	s_mov_b32 s52, 0
	s_or_b32 s30, s93, s30
	s_or_b32 s31, s93, s31
	;; [unrolled: 1-line block ×8, first 2 shown]
	s_or_b32 s40, s93, vcc_lo
	s_or_b32 s41, s93, s41
	s_or_b32 s42, s93, s42
	;; [unrolled: 1-line block ×4, first 2 shown]
	s_mov_b32 s54, s52
	s_mov_b32 s56, s52
	s_mov_b32 s58, s52
	s_mov_b32 s61, s89
	s_mov_b32 s62, s75
	s_branch .LBB148_109
.LBB148_108:                            ;   in Loop: Header=BB148_109 Depth=2
	s_or_b32 exec_lo, exec_lo, s45
	v_cndmask_b32_e64 v18, v184, v23, s11
	v_cndmask_b32_e64 v19, v183, v22, s11
	s_add_i32 s61, s61, -1
	s_add_i32 s62, s62, 8
	s_add_i32 s58, s58, s83
	v_fma_f32 v18, v18, v165, v35
	v_mul_f32_e32 v19, v19, v165
	s_add_i32 s56, s56, s68
	s_add_i32 s54, s54, s80
	;; [unrolled: 1-line block ×3, first 2 shown]
	v_cndmask_b32_e64 v18, v18, v35, s10
	v_cndmask_b32_e64 v19, v19, v165, s10
	s_cmp_eq_u32 s61, 0
	s_waitcnt lgkmcnt(0)
	s_delay_alu instid0(VALU_DEP_1) | instskip(NEXT) | instid1(VALU_DEP_1)
	v_fmac_f32_e32 v18, v20, v19
	v_fmac_f32_e32 v32, v18, v164
	s_delay_alu instid0(VALU_DEP_1) | instskip(NEXT) | instid1(VALU_DEP_1)
	v_fmac_f32_e32 v34, v32, v163
	v_dual_fmac_f32 v136, v17, v32 :: v_dual_fmac_f32 v33, v34, v166
	s_delay_alu instid0(VALU_DEP_1) | instskip(NEXT) | instid1(VALU_DEP_1)
	v_fmac_f32_e32 v30, v33, v167
	v_fmac_f32_e32 v31, v30, v168
	s_delay_alu instid0(VALU_DEP_1) | instskip(NEXT) | instid1(VALU_DEP_1)
	v_dual_fmac_f32 v135, v14, v34 :: v_dual_fmac_f32 v28, v31, v169
	v_fmac_f32_e32 v29, v28, v170
	v_fmac_f32_e32 v133, v12, v30
	s_delay_alu instid0(VALU_DEP_2) | instskip(SKIP_1) | instid1(VALU_DEP_1)
	v_dual_fmac_f32 v138, v16, v18 :: v_dual_fmac_f32 v129, v11, v29
	v_fmac_f32_e32 v26, v29, v171
	v_dual_fmac_f32 v134, v15, v33 :: v_dual_fmac_f32 v127, v8, v26
	v_fmac_f32_e32 v27, v26, v172
	v_fmac_f32_e32 v130, v10, v28
	s_delay_alu instid0(VALU_DEP_2) | instskip(NEXT) | instid1(VALU_DEP_1)
	v_fmac_f32_e32 v24, v27, v173
	v_dual_fmac_f32 v132, v13, v31 :: v_dual_fmac_f32 v125, v6, v24
	v_fmac_f32_e32 v25, v24, v179
	s_delay_alu instid0(VALU_DEP_1) | instskip(NEXT) | instid1(VALU_DEP_1)
	v_dual_fmac_f32 v174, v25, v175 :: v_dual_fmac_f32 v123, v7, v25
	v_fmac_f32_e32 v176, v174, v178
	s_delay_alu instid0(VALU_DEP_1) | instskip(SKIP_1) | instid1(VALU_DEP_1)
	v_dual_fmac_f32 v126, v9, v27 :: v_dual_fmac_f32 v121, v3, v176
	v_dual_fmac_f32 v177, v176, v181 :: v_dual_fmac_f32 v122, v2, v174
	v_fmac_f32_e32 v180, v177, v182
	v_fmac_f32_e32 v120, v4, v177
	s_delay_alu instid0(VALU_DEP_2)
	v_fmac_f32_e32 v124, v5, v180
	s_cbranch_scc1 .LBB148_202
.LBB148_109:                            ;   Parent Loop BB148_12 Depth=1
                                        ; =>  This Inner Loop Header: Depth=2
	s_lshl_b64 s[46:47], s[52:53], 2
	s_mov_b32 s55, s53
	s_add_u32 s46, s76, s46
	s_addc_u32 s47, s78, s47
	v_dual_mov_b32 v4, 0 :: v_dual_mov_b32 v5, 0
	global_load_b32 v163, v1, s[46:47]
	s_lshl_b64 s[46:47], s[54:55], 2
	s_delay_alu instid0(SALU_CYCLE_1)
	v_add_co_u32 v2, vcc_lo, v144, s46
	v_add_co_ci_u32_e32 v3, vcc_lo, s47, v145, vcc_lo
	s_and_saveexec_b32 s45, s12
	s_cbranch_execz .LBB148_111
; %bb.110:                              ;   in Loop: Header=BB148_109 Depth=2
	global_load_b32 v5, v[2:3], off
.LBB148_111:                            ;   in Loop: Header=BB148_109 Depth=2
	s_or_b32 exec_lo, exec_lo, s45
	s_and_saveexec_b32 s45, s13
	s_cbranch_execz .LBB148_113
; %bb.112:                              ;   in Loop: Header=BB148_109 Depth=2
	global_load_b32 v4, v[2:3], off offset:128
.LBB148_113:                            ;   in Loop: Header=BB148_109 Depth=2
	s_or_b32 exec_lo, exec_lo, s45
	v_dual_mov_b32 v6, 0 :: v_dual_mov_b32 v7, 0
	s_and_saveexec_b32 s45, s14
	s_cbranch_execz .LBB148_115
; %bb.114:                              ;   in Loop: Header=BB148_109 Depth=2
	global_load_b32 v7, v[2:3], off offset:256
.LBB148_115:                            ;   in Loop: Header=BB148_109 Depth=2
	s_or_b32 exec_lo, exec_lo, s45
	s_and_saveexec_b32 s45, s15
	s_cbranch_execz .LBB148_117
; %bb.116:                              ;   in Loop: Header=BB148_109 Depth=2
	global_load_b32 v6, v[2:3], off offset:384
.LBB148_117:                            ;   in Loop: Header=BB148_109 Depth=2
	s_or_b32 exec_lo, exec_lo, s45
	v_dual_mov_b32 v8, 0 :: v_dual_mov_b32 v9, 0
	s_and_saveexec_b32 s45, s16
	s_cbranch_execz .LBB148_119
; %bb.118:                              ;   in Loop: Header=BB148_109 Depth=2
	global_load_b32 v9, v[2:3], off offset:512
.LBB148_119:                            ;   in Loop: Header=BB148_109 Depth=2
	;; [unrolled: 13-line block ×7, first 2 shown]
	s_or_b32 exec_lo, exec_lo, s45
	s_and_saveexec_b32 s45, s27
	s_cbranch_execz .LBB148_141
; %bb.140:                              ;   in Loop: Header=BB148_109 Depth=2
	global_load_b32 v18, v[2:3], off offset:1920
.LBB148_141:                            ;   in Loop: Header=BB148_109 Depth=2
	s_or_b32 exec_lo, exec_lo, s45
	s_waitcnt vmcnt(0)
	ds_store_b32 v54, v5
	ds_store_b32 v55, v4 offset:128
	ds_store_b32 v56, v7 offset:256
	;; [unrolled: 1-line block ×15, first 2 shown]
	; wave barrier
	ds_load_2addr_b32 v[34:35], v70 offset1:1
	ds_load_2addr_b32 v[32:33], v70 offset0:2 offset1:3
	ds_load_2addr_b32 v[30:31], v70 offset0:4 offset1:5
	;; [unrolled: 1-line block ×7, first 2 shown]
	s_mov_b32 s57, s53
	v_dual_mov_b32 v4, 0 :: v_dual_mov_b32 v5, 0
	s_lshl_b64 s[46:47], s[56:57], 2
	s_delay_alu instid0(SALU_CYCLE_1)
	v_add_co_u32 v2, vcc_lo, v146, s46
	v_add_co_ci_u32_e32 v3, vcc_lo, s47, v147, vcc_lo
	s_and_saveexec_b32 s45, s12
	s_cbranch_execz .LBB148_143
; %bb.142:                              ;   in Loop: Header=BB148_109 Depth=2
	global_load_b32 v5, v[2:3], off
.LBB148_143:                            ;   in Loop: Header=BB148_109 Depth=2
	s_or_b32 exec_lo, exec_lo, s45
	s_and_saveexec_b32 s45, s13
	s_cbranch_execz .LBB148_145
; %bb.144:                              ;   in Loop: Header=BB148_109 Depth=2
	global_load_b32 v4, v[2:3], off offset:128
.LBB148_145:                            ;   in Loop: Header=BB148_109 Depth=2
	s_or_b32 exec_lo, exec_lo, s45
	v_dual_mov_b32 v6, 0 :: v_dual_mov_b32 v7, 0
	s_and_saveexec_b32 s45, s14
	s_cbranch_execz .LBB148_147
; %bb.146:                              ;   in Loop: Header=BB148_109 Depth=2
	global_load_b32 v7, v[2:3], off offset:256
.LBB148_147:                            ;   in Loop: Header=BB148_109 Depth=2
	s_or_b32 exec_lo, exec_lo, s45
	s_and_saveexec_b32 s45, s15
	s_cbranch_execz .LBB148_149
; %bb.148:                              ;   in Loop: Header=BB148_109 Depth=2
	global_load_b32 v6, v[2:3], off offset:384
.LBB148_149:                            ;   in Loop: Header=BB148_109 Depth=2
	s_or_b32 exec_lo, exec_lo, s45
	v_dual_mov_b32 v8, 0 :: v_dual_mov_b32 v9, 0
	s_and_saveexec_b32 s45, s16
	s_cbranch_execz .LBB148_151
; %bb.150:                              ;   in Loop: Header=BB148_109 Depth=2
	global_load_b32 v9, v[2:3], off offset:512
.LBB148_151:                            ;   in Loop: Header=BB148_109 Depth=2
	;; [unrolled: 13-line block ×7, first 2 shown]
	s_or_b32 exec_lo, exec_lo, s45
	s_and_saveexec_b32 s45, s27
	s_cbranch_execz .LBB148_173
; %bb.172:                              ;   in Loop: Header=BB148_109 Depth=2
	global_load_b32 v18, v[2:3], off offset:1920
.LBB148_173:                            ;   in Loop: Header=BB148_109 Depth=2
	s_or_b32 exec_lo, exec_lo, s45
	s_waitcnt vmcnt(0)
	ds_store_b32 v54, v5 offset:4224
	ds_store_b32 v71, v4 offset:128
	ds_store_b32 v72, v7 offset:256
	ds_store_b32 v73, v6 offset:384
	ds_store_b32 v74, v9 offset:512
	ds_store_b32 v75, v8 offset:640
	ds_store_b32 v76, v11 offset:768
	ds_store_b32 v77, v10 offset:896
	ds_store_b32 v78, v13 offset:1024
	ds_store_b32 v79, v12 offset:1152
	ds_store_b32 v80, v15 offset:1280
	ds_store_b32 v81, v14 offset:1408
	ds_store_b32 v82, v17 offset:1536
	ds_store_b32 v83, v16 offset:1664
	ds_store_b32 v84, v19 offset:1792
	ds_store_b32 v85, v18 offset:1920
	v_add_nc_u32_e32 v4, 0x1080, v70
	; wave barrier
	ds_load_2addr_b32 v[14:15], v86 offset0:2 offset1:3
	ds_load_2addr_b32 v[12:13], v86 offset0:4 offset1:5
	;; [unrolled: 1-line block ×6, first 2 shown]
	ds_load_2addr_b32 v[16:17], v4 offset1:1
	ds_load_2addr_b32 v[4:5], v86 offset0:14 offset1:15
	s_and_not1_b32 vcc_lo, exec_lo, s51
	s_cbranch_vccnz .LBB148_175
; %bb.174:                              ;   in Loop: Header=BB148_109 Depth=2
	v_mov_b32_e32 v18, s62
	ds_load_b64 v[18:19], v18
	s_cbranch_execz .LBB148_176
	s_branch .LBB148_179
.LBB148_175:                            ;   in Loop: Header=BB148_109 Depth=2
                                        ; implicit-def: $vgpr18
.LBB148_176:                            ;   in Loop: Header=BB148_109 Depth=2
	s_waitcnt lgkmcnt(0)
	v_mov_b32_e32 v19, 0
	s_and_not1_b32 vcc_lo, exec_lo, s49
	s_cbranch_vccnz .LBB148_178
; %bb.177:                              ;   in Loop: Header=BB148_109 Depth=2
	s_mov_b32 s59, s53
	s_delay_alu instid0(SALU_CYCLE_1) | instskip(NEXT) | instid1(SALU_CYCLE_1)
	s_lshl_b64 s[46:47], s[58:59], 2
	s_add_u32 s46, s87, s46
	s_addc_u32 s47, s88, s47
	global_load_b32 v19, v1, s[46:47]
.LBB148_178:                            ;   in Loop: Header=BB148_109 Depth=2
	v_mov_b32_e32 v18, 1.0
.LBB148_179:                            ;   in Loop: Header=BB148_109 Depth=2
	s_waitcnt lgkmcnt(31)
	v_dual_mul_f32 v177, 0x3fb8aa3b, v163 :: v_dual_mul_f32 v34, v34, v162
	s_waitcnt lgkmcnt(30)
	v_dual_mul_f32 v163, v35, v161 :: v_dual_mul_f32 v164, v32, v160
	;; [unrolled: 2-line block ×3, first 2 shown]
	v_mul_f32_e32 v165, v177, v112
	v_mul_f32_e32 v166, v177, v113
	v_dual_mul_f32 v167, v177, v114 :: v_dual_mul_f32 v28, v28, v156
	v_cndmask_b32_e64 v35, 0, v34, s28
	s_delay_alu instid0(VALU_DEP_4) | instskip(NEXT) | instid1(VALU_DEP_4)
	v_cmp_gt_f32_e64 s45, 0xc2fc0000, v165
	v_cmp_gt_f32_e64 s46, 0xc2fc0000, v166
	s_delay_alu instid0(VALU_DEP_4)
	v_cmp_gt_f32_e64 s47, 0xc2fc0000, v167
	v_cndmask_b32_e64 v34, 0, v164, s30
	v_cndmask_b32_e64 v28, 0, v28, s35
	;; [unrolled: 1-line block ×5, first 2 shown]
	v_cndmask_b32_e64 v169, 1.0, 0x1f800000, s45
	s_delay_alu instid0(VALU_DEP_4) | instskip(NEXT) | instid1(VALU_DEP_4)
	v_dual_mul_f32 v31, v31, v157 :: v_dual_fmac_f32 v166, v177, v112
	v_fmac_f32_e32 v168, v177, v113
	s_delay_alu instid0(VALU_DEP_4) | instskip(SKIP_1) | instid1(VALU_DEP_4)
	v_fmac_f32_e32 v164, v177, v114
	v_cndmask_b32_e64 v170, 1.0, 0x1f800000, s46
	v_cndmask_b32_e64 v31, 0, v31, s34
	v_exp_f32_e32 v166, v166
	v_exp_f32_e32 v168, v168
	v_mul_f32_e32 v167, v177, v116
	v_exp_f32_e32 v172, v164
	v_cndmask_b32_e64 v25, 0, v25, s40
	v_dual_mul_f32 v27, v27, v153 :: v_dual_mul_f32 v30, v30, v158
	v_mul_f32_e32 v24, v24, v152
	v_mul_f32_e32 v26, v26, v154
	;; [unrolled: 1-line block ×3, first 2 shown]
	s_delay_alu instid0(TRANS32_DEP_3) | instskip(NEXT) | instid1(TRANS32_DEP_2)
	v_mul_f32_e32 v164, v166, v169
	v_mul_f32_e32 v166, v168, v170
	v_cndmask_b32_e64 v168, 1.0, 0x1f800000, s47
	v_mul_f32_e32 v32, v177, v111
	v_mul_f32_e32 v170, v177, v118
	v_cndmask_b32_e64 v164, 1.0, v164, s29
	v_cndmask_b32_e64 v30, 0, v30, s33
	v_cndmask_b32_e64 v26, 0, v26, s37
	v_cmp_gt_f32_e32 vcc_lo, 0xc2fc0000, v32
	v_cndmask_b32_e64 v32, 0, v163, s29
	v_mul_f32_e32 v163, v177, v115
	v_cmp_gt_f32_e64 s46, 0xc2fc0000, v170
	v_cndmask_b32_e64 v27, 0, v27, s38
	v_cndmask_b32_e64 v165, 0, 0x42800000, vcc_lo
	v_fma_f32 v179, v164, v35, v32
	v_cmp_gt_f32_e64 s48, 0xc2fc0000, v163
	v_cndmask_b32_e64 v163, 1.0, 0x1f800000, vcc_lo
	v_cmp_gt_f32_e32 vcc_lo, 0xc2fc0000, v167
	v_mul_f32_e32 v167, v172, v168
	v_cndmask_b32_e64 v24, 0, v24, s39
	v_cndmask_b32_e64 v171, 0, 0x42800000, s48
	v_mul_f32_e32 v23, v23, v149
	v_cndmask_b32_e64 v170, 1.0, 0x1f800000, vcc_lo
	v_fmac_f32_e32 v165, v177, v111
	v_cndmask_b32_e64 v169, 0, 0x42800000, vcc_lo
	v_fmac_f32_e32 v171, v177, v115
	s_delay_alu instid0(VALU_DEP_3) | instskip(NEXT) | instid1(VALU_DEP_2)
	v_exp_f32_e32 v165, v165
	v_fmac_f32_e32 v169, v177, v116
	s_delay_alu instid0(VALU_DEP_2) | instskip(SKIP_2) | instid1(VALU_DEP_1)
	v_exp_f32_e32 v168, v171
	s_waitcnt_depctr 0xfff
	v_mul_f32_e32 v163, v165, v163
	v_cndmask_b32_e64 v165, 1.0, v163, s28
	v_cndmask_b32_e64 v163, 1.0, v166, s30
	v_mul_f32_e32 v166, v177, v117
	s_delay_alu instid0(VALU_DEP_1) | instskip(SKIP_3) | instid1(VALU_DEP_4)
	v_cmp_gt_f32_e64 s45, 0xc2fc0000, v166
	v_cndmask_b32_e64 v166, 1.0, v167, s31
	v_cndmask_b32_e64 v167, 1.0, 0x1f800000, s48
	v_mul_f32_e32 v172, v177, v119
	v_cndmask_b32_e64 v171, 0, 0x42800000, s45
	s_delay_alu instid0(VALU_DEP_3) | instskip(SKIP_2) | instid1(VALU_DEP_3)
	v_mul_f32_e32 v167, v168, v167
	v_exp_f32_e32 v168, v169
	v_cndmask_b32_e64 v169, 0, 0x42800000, s46
	v_fmac_f32_e32 v171, v177, v117
	v_cmp_gt_f32_e32 vcc_lo, 0xc2fc0000, v172
	v_cndmask_b32_e64 v167, 1.0, v167, s33
	v_mul_f32_e32 v172, v177, v128
	v_fmac_f32_e32 v169, v177, v118
	v_exp_f32_e32 v171, v171
	s_delay_alu instid0(TRANS32_DEP_2) | instskip(SKIP_1) | instid1(VALU_DEP_3)
	v_mul_f32_e32 v168, v168, v170
	v_cndmask_b32_e64 v170, 1.0, 0x1f800000, s45
	v_exp_f32_e32 v173, v169
	v_cmp_gt_f32_e64 s45, 0xc2fc0000, v172
	v_mul_f32_e32 v172, v177, v137
	v_cndmask_b32_e64 v168, 1.0, v168, s34
	s_delay_alu instid0(TRANS32_DEP_2) | instskip(SKIP_3) | instid1(VALU_DEP_4)
	v_dual_mul_f32 v174, v177, v131 :: v_dual_mul_f32 v169, v171, v170
	v_cndmask_b32_e64 v171, 0, 0x42800000, vcc_lo
	v_cndmask_b32_e64 v170, 1.0, 0x1f800000, s46
	v_cmp_gt_f32_e64 s47, 0xc2fc0000, v172
	v_cmp_gt_f32_e64 s46, 0xc2fc0000, v174
	v_cndmask_b32_e64 v172, 1.0, 0x1f800000, vcc_lo
	v_fmac_f32_e32 v171, v177, v119
	v_mul_f32_e32 v170, v173, v170
	v_cndmask_b32_e64 v173, 0, 0x42800000, s45
	v_cndmask_b32_e64 v174, 0, 0x42800000, s46
	;; [unrolled: 1-line block ×3, first 2 shown]
	v_exp_f32_e32 v171, v171
	v_cndmask_b32_e64 v170, 1.0, v170, s36
	v_fmac_f32_e32 v173, v177, v128
	v_fmac_f32_e32 v174, v177, v131
	v_cndmask_b32_e64 v176, 1.0, 0x1f800000, s46
	v_cndmask_b32_e64 v178, 1.0, 0x1f800000, s47
	;; [unrolled: 1-line block ×3, first 2 shown]
	v_exp_f32_e32 v173, v173
	s_delay_alu instid0(TRANS32_DEP_2) | instskip(SKIP_3) | instid1(VALU_DEP_3)
	v_mul_f32_e32 v171, v171, v172
	v_exp_f32_e32 v172, v174
	v_cndmask_b32_e64 v174, 1.0, 0x1f800000, s45
	v_mul_f32_e32 v33, v33, v159
	v_cndmask_b32_e64 v171, 1.0, v171, s37
	v_fmac_f32_e32 v175, v177, v137
	s_delay_alu instid0(TRANS32_DEP_2) | instid1(VALU_DEP_4)
	v_mul_f32_e32 v173, v173, v174
	v_mul_f32_e32 v174, v177, v139
	s_delay_alu instid0(VALU_DEP_3) | instskip(NEXT) | instid1(TRANS32_DEP_2)
	v_exp_f32_e32 v175, v175
	v_mul_f32_e32 v176, v172, v176
	s_delay_alu instid0(VALU_DEP_2) | instskip(SKIP_2) | instid1(VALU_DEP_4)
	v_cmp_gt_f32_e32 vcc_lo, 0xc2fc0000, v174
	v_cndmask_b32_e64 v172, 1.0, v173, s38
	v_cndmask_b32_e64 v33, 0, v33, s31
	v_cndmask_b32_e64 v173, 1.0, v176, s39
	v_cndmask_b32_e64 v176, 0, 0x42800000, vcc_lo
	s_delay_alu instid0(TRANS32_DEP_1) | instskip(SKIP_1) | instid1(VALU_DEP_3)
	v_dual_mul_f32 v174, v175, v178 :: v_dual_mul_f32 v175, v177, v140
	v_mul_f32_e32 v178, v164, v165
	v_fmac_f32_e32 v176, v177, v139
	s_delay_alu instid0(VALU_DEP_3) | instskip(NEXT) | instid1(VALU_DEP_3)
	v_cmp_gt_f32_e64 s45, 0xc2fc0000, v175
	v_mul_f32_e32 v175, v178, v163
	v_fma_f32 v178, v179, v163, v34
	s_delay_alu instid0(VALU_DEP_4)
	v_exp_f32_e32 v176, v176
	v_cndmask_b32_e64 v179, 1.0, v174, s40
	v_cndmask_b32_e64 v180, 0, 0x42800000, s45
	v_mul_f32_e32 v175, v175, v166
	v_fma_f32 v178, v178, v166, v33
	v_cndmask_b32_e64 v174, 1.0, 0x1f800000, vcc_lo
	v_mul_f32_e32 v29, v29, v155
	s_delay_alu instid0(VALU_DEP_4) | instskip(NEXT) | instid1(VALU_DEP_4)
	v_dual_fmac_f32 v180, v177, v140 :: v_dual_mul_f32 v175, v175, v167
	v_fma_f32 v178, v178, v167, v30
	s_delay_alu instid0(TRANS32_DEP_1) | instid1(VALU_DEP_4)
	v_mul_f32_e32 v176, v176, v174
	v_cndmask_b32_e64 v174, 0, v22, s41
	s_delay_alu instid0(VALU_DEP_4)
	v_exp_f32_e32 v180, v180
	v_mul_f32_e32 v181, v175, v168
	v_fma_f32 v178, v178, v168, v31
	v_mul_f32_e32 v22, v177, v141
	v_cndmask_b32_e64 v182, 1.0, 0x1f800000, s45
	v_cndmask_b32_e64 v175, 1.0, v176, s41
	v_mul_f32_e32 v176, v181, v169
	v_cndmask_b32_e64 v29, 0, v29, s36
	v_fma_f32 v178, v178, v169, v28
	v_cmp_gt_f32_e32 vcc_lo, 0xc2fc0000, v22
	v_mul_f32_e32 v22, v180, v182
	v_mul_f32_e32 v180, v177, v142
	;; [unrolled: 1-line block ×3, first 2 shown]
	v_fma_f32 v178, v178, v170, v29
	v_cndmask_b32_e64 v181, 0, 0x42800000, vcc_lo
	s_delay_alu instid0(VALU_DEP_4) | instskip(NEXT) | instid1(VALU_DEP_4)
	v_cmp_gt_f32_e64 s45, 0xc2fc0000, v180
	v_mul_f32_e32 v180, v176, v171
	s_delay_alu instid0(VALU_DEP_4) | instskip(SKIP_1) | instid1(VALU_DEP_4)
	v_fma_f32 v178, v178, v171, v26
	v_cndmask_b32_e64 v176, 0, v23, s42
	v_cndmask_b32_e64 v23, 0, 0x42800000, s45
	s_delay_alu instid0(VALU_DEP_4) | instskip(NEXT) | instid1(VALU_DEP_4)
	v_mul_f32_e32 v180, v180, v172
	v_fma_f32 v182, v178, v172, v27
	v_cndmask_b32_e64 v178, 1.0, v22, s42
	s_delay_alu instid0(VALU_DEP_3) | instskip(SKIP_2) | instid1(VALU_DEP_3)
	v_mul_f32_e32 v22, v180, v173
	v_fmac_f32_e32 v181, v177, v141
	v_cndmask_b32_e64 v180, 1.0, 0x1f800000, vcc_lo
	v_mul_f32_e32 v22, v22, v179
	s_delay_alu instid0(VALU_DEP_3) | instskip(SKIP_2) | instid1(VALU_DEP_3)
	v_exp_f32_e32 v181, v181
	v_fmac_f32_e32 v23, v177, v142
	v_fma_f32 v177, v182, v173, v24
	v_mul_f32_e32 v22, v22, v175
	s_delay_alu instid0(VALU_DEP_3) | instskip(NEXT) | instid1(VALU_DEP_2)
	v_exp_f32_e32 v23, v23
	v_fma_f32 v182, v177, v179, v25
	v_cndmask_b32_e64 v177, 0, v20, s43
	v_cndmask_b32_e64 v20, 1.0, 0x1f800000, s45
	s_delay_alu instid0(TRANS32_DEP_2) | instskip(SKIP_3) | instid1(VALU_DEP_4)
	v_mul_f32_e32 v180, v181, v180
	v_mul_f32_e32 v21, v21, v143
	v_fma_f32 v182, v182, v175, v174
	v_mul_f32_e32 v22, v22, v178
	v_cndmask_b32_e64 v181, 1.0, v180, s43
	s_delay_alu instid0(TRANS32_DEP_1) | instskip(NEXT) | instid1(VALU_DEP_4)
	v_mul_f32_e32 v20, v23, v20
	v_fma_f32 v23, v182, v178, v176
	v_cndmask_b32_e64 v180, 0, v21, s44
	s_delay_alu instid0(VALU_DEP_3) | instskip(SKIP_1) | instid1(VALU_DEP_4)
	v_cndmask_b32_e64 v182, 1.0, v20, s44
	v_mul_f32_e32 v20, v22, v181
	v_fma_f32 v21, v23, v181, v177
	s_delay_alu instid0(VALU_DEP_2) | instskip(NEXT) | instid1(VALU_DEP_2)
	v_mul_f32_e32 v20, v20, v182
	v_fma_f32 v21, v21, v182, v180
	s_delay_alu instid0(VALU_DEP_2) | instskip(NEXT) | instid1(VALU_DEP_2)
	v_mov_b32_dpp v23, v20 row_shr:1 row_mask:0xf bank_mask:0xf
	v_mov_b32_dpp v22, v21 row_shr:1 row_mask:0xf bank_mask:0xf
	s_and_saveexec_b32 s45, s0
; %bb.180:                              ;   in Loop: Header=BB148_109 Depth=2
	s_delay_alu instid0(VALU_DEP_2) | instskip(NEXT) | instid1(VALU_DEP_1)
	v_mul_f32_e32 v23, v20, v23
	v_dual_fmac_f32 v21, v20, v22 :: v_dual_mov_b32 v20, v23
; %bb.181:                              ;   in Loop: Header=BB148_109 Depth=2
	s_or_b32 exec_lo, exec_lo, s45
	s_delay_alu instid0(VALU_DEP_1) | instskip(NEXT) | instid1(VALU_DEP_2)
	v_mov_b32_dpp v22, v20 row_shr:2 row_mask:0xf bank_mask:0xf
	v_mov_b32_dpp v23, v21 row_shr:2 row_mask:0xf bank_mask:0xf
	s_and_saveexec_b32 s45, s1
; %bb.182:                              ;   in Loop: Header=BB148_109 Depth=2
	s_delay_alu instid0(VALU_DEP_1) | instskip(NEXT) | instid1(VALU_DEP_3)
	v_fmac_f32_e32 v21, v20, v23
	v_mul_f32_e32 v20, v20, v22
; %bb.183:                              ;   in Loop: Header=BB148_109 Depth=2
	s_or_b32 exec_lo, exec_lo, s45
	s_delay_alu instid0(VALU_DEP_1) | instskip(NEXT) | instid1(VALU_DEP_3)
	v_mov_b32_dpp v22, v20 row_shr:4 row_mask:0xf bank_mask:0xf
	v_mov_b32_dpp v23, v21 row_shr:4 row_mask:0xf bank_mask:0xf
	s_and_saveexec_b32 s45, s2
; %bb.184:                              ;   in Loop: Header=BB148_109 Depth=2
	s_delay_alu instid0(VALU_DEP_1) | instskip(NEXT) | instid1(VALU_DEP_3)
	v_fmac_f32_e32 v21, v20, v23
	v_mul_f32_e32 v20, v20, v22
; %bb.185:                              ;   in Loop: Header=BB148_109 Depth=2
	s_or_b32 exec_lo, exec_lo, s45
	s_delay_alu instid0(VALU_DEP_1) | instskip(NEXT) | instid1(VALU_DEP_3)
	v_mov_b32_dpp v22, v20 row_shr:8 row_mask:0xf bank_mask:0xf
	v_mov_b32_dpp v23, v21 row_shr:8 row_mask:0xf bank_mask:0xf
	s_and_saveexec_b32 s45, s3
; %bb.186:                              ;   in Loop: Header=BB148_109 Depth=2
	s_delay_alu instid0(VALU_DEP_1) | instskip(NEXT) | instid1(VALU_DEP_3)
	v_fmac_f32_e32 v21, v20, v23
	v_mul_f32_e32 v20, v20, v22
; %bb.187:                              ;   in Loop: Header=BB148_109 Depth=2
	s_or_b32 exec_lo, exec_lo, s45
	ds_swizzle_b32 v23, v20 offset:swizzle(BROADCAST,32,15)
	ds_swizzle_b32 v22, v21 offset:swizzle(BROADCAST,32,15)
	s_and_saveexec_b32 s45, s4
	s_cbranch_execz .LBB148_189
; %bb.188:                              ;   in Loop: Header=BB148_109 Depth=2
	s_waitcnt lgkmcnt(1)
	v_mul_f32_e32 v23, v20, v23
	s_waitcnt lgkmcnt(0)
	s_delay_alu instid0(VALU_DEP_1)
	v_dual_fmac_f32 v21, v20, v22 :: v_dual_mov_b32 v20, v23
.LBB148_189:                            ;   in Loop: Header=BB148_109 Depth=2
	s_or_b32 exec_lo, exec_lo, s45
	s_and_saveexec_b32 s45, s5
	s_cbranch_execz .LBB148_191
; %bb.190:                              ;   in Loop: Header=BB148_109 Depth=2
	ds_store_b64 v87, v[20:21] offset:8448
.LBB148_191:                            ;   in Loop: Header=BB148_109 Depth=2
	s_or_b32 exec_lo, exec_lo, s45
	s_waitcnt vmcnt(0) lgkmcnt(0)
	s_waitcnt_vscnt null, 0x0
	s_barrier
	buffer_gl0_inv
	s_and_saveexec_b32 s45, s6
	s_cbranch_execz .LBB148_193
; %bb.192:                              ;   in Loop: Header=BB148_109 Depth=2
	ds_load_b64 v[22:23], v88 offset:8448
	s_waitcnt lgkmcnt(0)
	v_mov_b32_dpp v183, v22 row_shr:1 row_mask:0xf bank_mask:0xf
	v_mov_b32_dpp v184, v23 row_shr:1 row_mask:0xf bank_mask:0xf
	s_delay_alu instid0(VALU_DEP_2) | instskip(NEXT) | instid1(VALU_DEP_2)
	v_mul_f32_e32 v183, v22, v183
	v_fma_f32 v184, v22, v184, v23
	s_delay_alu instid0(VALU_DEP_2) | instskip(NEXT) | instid1(VALU_DEP_2)
	v_cndmask_b32_e64 v22, v183, v22, s7
	v_cndmask_b32_e64 v23, v184, v23, s7
	ds_store_b64 v88, v[22:23] offset:8448
.LBB148_193:                            ;   in Loop: Header=BB148_109 Depth=2
	s_or_b32 exec_lo, exec_lo, s45
	s_waitcnt lgkmcnt(0)
	s_barrier
	buffer_gl0_inv
                                        ; implicit-def: $vgpr23
	s_and_saveexec_b32 s45, s9
	s_cbranch_execz .LBB148_195
; %bb.194:                              ;   in Loop: Header=BB148_109 Depth=2
	ds_load_b64 v[22:23], v87 offset:8440
	s_waitcnt lgkmcnt(0)
	v_mul_f32_e32 v183, v20, v22
	s_delay_alu instid0(VALU_DEP_1)
	v_dual_fmac_f32 v21, v20, v23 :: v_dual_mov_b32 v20, v183
.LBB148_195:                            ;   in Loop: Header=BB148_109 Depth=2
	s_or_b32 exec_lo, exec_lo, s45
	ds_bpermute_b32 v183, v89, v20
	ds_bpermute_b32 v184, v89, v21
	s_and_saveexec_b32 s45, s8
	s_cbranch_execz .LBB148_199
; %bb.196:                              ;   in Loop: Header=BB148_109 Depth=2
	ds_load_b64 v[20:21], v1 offset:8456
	s_and_saveexec_b32 s46, s10
	s_cbranch_execz .LBB148_198
; %bb.197:                              ;   in Loop: Header=BB148_109 Depth=2
	ds_store_b64 v1, v[18:19] offset:8456
.LBB148_198:                            ;   in Loop: Header=BB148_109 Depth=2
	s_or_b32 exec_lo, exec_lo, s46
	s_waitcnt lgkmcnt(0)
	v_fmac_f32_e32 v21, v19, v20
	s_delay_alu instid0(VALU_DEP_1)
	v_dual_mul_f32 v18, v18, v20 :: v_dual_mov_b32 v19, v21
.LBB148_199:                            ;   in Loop: Header=BB148_109 Depth=2
	s_or_b32 exec_lo, exec_lo, s45
	s_waitcnt lgkmcnt(0)
	s_barrier
	buffer_gl0_inv
	ds_load_b32 v20, v1 offset:8460
	s_and_saveexec_b32 s45, s10
	s_cbranch_execz .LBB148_108
; %bb.200:                              ;   in Loop: Header=BB148_109 Depth=2
	v_mov_b32_e32 v21, s62
	s_and_not1_b32 vcc_lo, exec_lo, s60
	ds_store_b64 v21, v[18:19]
	s_cbranch_vccnz .LBB148_108
; %bb.201:                              ;   in Loop: Header=BB148_109 Depth=2
	s_mov_b32 s59, s53
	s_delay_alu instid0(SALU_CYCLE_1) | instskip(NEXT) | instid1(SALU_CYCLE_1)
	s_lshl_b64 s[46:47], s[58:59], 2
	s_add_u32 s46, s87, s46
	s_addc_u32 s47, s88, s47
	global_store_b32 v1, v19, s[46:47]
	s_branch .LBB148_108
.LBB148_202:                            ;   in Loop: Header=BB148_12 Depth=1
	s_waitcnt_vscnt null, 0x0
	s_barrier
	buffer_gl0_inv
	ds_store_2addr_b32 v70, v138, v136 offset1:1
	ds_store_2addr_b32 v70, v135, v134 offset0:2 offset1:3
	ds_store_2addr_b32 v70, v133, v132 offset0:4 offset1:5
	;; [unrolled: 1-line block ×7, first 2 shown]
	; wave barrier
	ds_load_b32 v18, v55 offset:128
	ds_load_b32 v17, v56 offset:256
	;; [unrolled: 1-line block ×15, first 2 shown]
	s_mov_b32 s51, s53
	s_delay_alu instid0(SALU_CYCLE_1) | instskip(NEXT) | instid1(SALU_CYCLE_1)
	s_lshl_b64 s[34:35], s[50:51], 2
	v_add_co_u32 v2, vcc_lo, v0, s34
	v_add_co_ci_u32_e32 v3, vcc_lo, s35, v90, vcc_lo
	s_and_saveexec_b32 s28, s12
	s_cbranch_execnz .LBB148_254
; %bb.203:                              ;   in Loop: Header=BB148_12 Depth=1
	s_or_b32 exec_lo, exec_lo, s28
	s_and_saveexec_b32 s28, s13
	s_cbranch_execnz .LBB148_255
.LBB148_204:                            ;   in Loop: Header=BB148_12 Depth=1
	s_or_b32 exec_lo, exec_lo, s28
	s_and_saveexec_b32 s28, s14
	s_cbranch_execnz .LBB148_256
.LBB148_205:                            ;   in Loop: Header=BB148_12 Depth=1
	s_or_b32 exec_lo, exec_lo, s28
	s_and_saveexec_b32 s28, s15
	s_cbranch_execnz .LBB148_257
.LBB148_206:                            ;   in Loop: Header=BB148_12 Depth=1
	s_or_b32 exec_lo, exec_lo, s28
	s_and_saveexec_b32 s28, s16
	s_cbranch_execnz .LBB148_258
.LBB148_207:                            ;   in Loop: Header=BB148_12 Depth=1
	s_or_b32 exec_lo, exec_lo, s28
	s_and_saveexec_b32 s28, s17
	s_cbranch_execnz .LBB148_259
.LBB148_208:                            ;   in Loop: Header=BB148_12 Depth=1
	s_or_b32 exec_lo, exec_lo, s28
	s_and_saveexec_b32 s28, s18
	s_cbranch_execnz .LBB148_260
.LBB148_209:                            ;   in Loop: Header=BB148_12 Depth=1
	s_or_b32 exec_lo, exec_lo, s28
	s_and_saveexec_b32 s28, s19
	s_cbranch_execnz .LBB148_261
.LBB148_210:                            ;   in Loop: Header=BB148_12 Depth=1
	s_or_b32 exec_lo, exec_lo, s28
	s_and_saveexec_b32 s28, s20
	s_cbranch_execnz .LBB148_262
.LBB148_211:                            ;   in Loop: Header=BB148_12 Depth=1
	s_or_b32 exec_lo, exec_lo, s28
	s_and_saveexec_b32 s28, s21
	s_cbranch_execnz .LBB148_263
.LBB148_212:                            ;   in Loop: Header=BB148_12 Depth=1
	s_or_b32 exec_lo, exec_lo, s28
	s_and_saveexec_b32 s28, s22
	s_cbranch_execnz .LBB148_264
.LBB148_213:                            ;   in Loop: Header=BB148_12 Depth=1
	s_or_b32 exec_lo, exec_lo, s28
	s_and_saveexec_b32 s28, s23
	s_cbranch_execnz .LBB148_265
.LBB148_214:                            ;   in Loop: Header=BB148_12 Depth=1
	s_or_b32 exec_lo, exec_lo, s28
	s_and_saveexec_b32 s28, s24
	s_cbranch_execnz .LBB148_266
.LBB148_215:                            ;   in Loop: Header=BB148_12 Depth=1
	s_or_b32 exec_lo, exec_lo, s28
	s_and_saveexec_b32 s28, s25
	s_cbranch_execnz .LBB148_267
.LBB148_216:                            ;   in Loop: Header=BB148_12 Depth=1
	s_or_b32 exec_lo, exec_lo, s28
	s_and_saveexec_b32 s28, s26
	s_cbranch_execnz .LBB148_268
.LBB148_217:                            ;   in Loop: Header=BB148_12 Depth=1
	s_or_b32 exec_lo, exec_lo, s28
	s_and_saveexec_b32 s28, s27
	s_cbranch_execz .LBB148_219
.LBB148_218:                            ;   in Loop: Header=BB148_12 Depth=1
	s_waitcnt lgkmcnt(0)
	global_store_b32 v[2:3], v4, off offset:1920
.LBB148_219:                            ;   in Loop: Header=BB148_12 Depth=1
	s_or_b32 exec_lo, exec_lo, s28
	s_mov_b32 s52, s53
	s_mov_b32 s54, s53
	;; [unrolled: 1-line block ×15, first 2 shown]
	s_waitcnt lgkmcnt(14)
	v_add_co_u32 v18, vcc_lo, v91, s34
	s_waitcnt lgkmcnt(0)
	v_dual_mov_b32 v2, s52 :: v_dual_mov_b32 v3, s53
	v_add_co_ci_u32_e32 v19, vcc_lo, s35, v92, vcc_lo
	v_dual_mov_b32 v4, s54 :: v_dual_mov_b32 v5, s55
	v_dual_mov_b32 v6, s56 :: v_dual_mov_b32 v7, s57
	;; [unrolled: 1-line block ×7, first 2 shown]
	v_mov_b32_e32 v20, 0
	s_waitcnt_vscnt null, 0x0
	s_barrier
	buffer_gl0_inv
	s_and_saveexec_b32 s28, s12
	s_cbranch_execnz .LBB148_269
; %bb.220:                              ;   in Loop: Header=BB148_12 Depth=1
	s_or_b32 exec_lo, exec_lo, s28
	s_and_saveexec_b32 s28, s13
	s_cbranch_execnz .LBB148_270
.LBB148_221:                            ;   in Loop: Header=BB148_12 Depth=1
	s_or_b32 exec_lo, exec_lo, s28
	s_and_saveexec_b32 s28, s14
	s_cbranch_execnz .LBB148_271
.LBB148_222:                            ;   in Loop: Header=BB148_12 Depth=1
	s_or_b32 exec_lo, exec_lo, s28
	s_and_saveexec_b32 s28, s15
	s_cbranch_execnz .LBB148_272
.LBB148_223:                            ;   in Loop: Header=BB148_12 Depth=1
	s_or_b32 exec_lo, exec_lo, s28
	s_and_saveexec_b32 s28, s16
	s_cbranch_execnz .LBB148_273
.LBB148_224:                            ;   in Loop: Header=BB148_12 Depth=1
	s_or_b32 exec_lo, exec_lo, s28
	s_and_saveexec_b32 s28, s17
	s_cbranch_execnz .LBB148_274
.LBB148_225:                            ;   in Loop: Header=BB148_12 Depth=1
	s_or_b32 exec_lo, exec_lo, s28
	s_and_saveexec_b32 s28, s18
	s_cbranch_execnz .LBB148_275
.LBB148_226:                            ;   in Loop: Header=BB148_12 Depth=1
	s_or_b32 exec_lo, exec_lo, s28
	s_and_saveexec_b32 s28, s19
	s_cbranch_execnz .LBB148_276
.LBB148_227:                            ;   in Loop: Header=BB148_12 Depth=1
	s_or_b32 exec_lo, exec_lo, s28
	s_and_saveexec_b32 s28, s20
	s_cbranch_execnz .LBB148_277
.LBB148_228:                            ;   in Loop: Header=BB148_12 Depth=1
	s_or_b32 exec_lo, exec_lo, s28
	s_and_saveexec_b32 s28, s21
	s_cbranch_execnz .LBB148_278
.LBB148_229:                            ;   in Loop: Header=BB148_12 Depth=1
	s_or_b32 exec_lo, exec_lo, s28
	s_and_saveexec_b32 s28, s22
	s_cbranch_execnz .LBB148_279
.LBB148_230:                            ;   in Loop: Header=BB148_12 Depth=1
	s_or_b32 exec_lo, exec_lo, s28
	s_and_saveexec_b32 s28, s23
	s_cbranch_execnz .LBB148_280
.LBB148_231:                            ;   in Loop: Header=BB148_12 Depth=1
	s_or_b32 exec_lo, exec_lo, s28
	s_and_saveexec_b32 s28, s24
	s_cbranch_execnz .LBB148_281
.LBB148_232:                            ;   in Loop: Header=BB148_12 Depth=1
	s_or_b32 exec_lo, exec_lo, s28
	s_and_saveexec_b32 s28, s25
	s_cbranch_execnz .LBB148_282
.LBB148_233:                            ;   in Loop: Header=BB148_12 Depth=1
	s_or_b32 exec_lo, exec_lo, s28
	s_and_saveexec_b32 s28, s26
	s_cbranch_execnz .LBB148_283
.LBB148_234:                            ;   in Loop: Header=BB148_12 Depth=1
	s_or_b32 exec_lo, exec_lo, s28
	s_and_saveexec_b32 s28, s27
	s_cbranch_execz .LBB148_236
.LBB148_235:                            ;   in Loop: Header=BB148_12 Depth=1
	global_load_b32 v17, v[18:19], off offset:1920
.LBB148_236:                            ;   in Loop: Header=BB148_12 Depth=1
	s_or_b32 exec_lo, exec_lo, s28
	s_waitcnt vmcnt(0)
	ds_store_b32 v54, v20
	ds_store_b32 v55, v3 offset:128
	ds_store_b32 v56, v4 offset:256
	;; [unrolled: 1-line block ×15, first 2 shown]
	; wave barrier
	ds_load_2addr_b32 v[12:13], v70 offset1:1
	ds_load_2addr_b32 v[14:15], v70 offset0:2 offset1:3
	ds_load_2addr_b32 v[16:17], v70 offset0:4 offset1:5
	;; [unrolled: 1-line block ×3, first 2 shown]
	s_waitcnt lgkmcnt(3)
	v_dual_mul_f32 v2, 0xbfb8aa3b, v12 :: v_dual_mul_f32 v19, 0xbfb8aa3b, v13
	s_waitcnt lgkmcnt(2)
	v_dual_mul_f32 v23, 0xbfb8aa3b, v14 :: v_dual_mul_f32 v24, 0xbfb8aa3b, v15
	v_cmp_nlt_f32_e32 vcc_lo, 0x42ce8ed0, v12
	s_delay_alu instid0(VALU_DEP_3) | instskip(SKIP_4) | instid1(VALU_DEP_4)
	v_rndne_f32_e32 v18, v2
	v_fma_f32 v3, 0xbfb8aa3b, v12, -v2
	v_rndne_f32_e32 v20, v19
	v_fma_f32 v21, 0xbfb8aa3b, v13, -v19
	v_fma_f32 v26, 0xbfb8aa3b, v14, -v23
	v_dual_sub_f32 v2, v2, v18 :: v_dual_fmac_f32 v3, 0xb2a5705f, v12
	s_delay_alu instid0(VALU_DEP_4)
	v_sub_f32_e32 v19, v19, v20
	v_cvt_i32_f32_e32 v18, v18
	v_rndne_f32_e32 v27, v24
	s_waitcnt lgkmcnt(1)
	v_dual_mul_f32 v25, 0xbfb8aa3b, v16 :: v_dual_add_f32 v22, v2, v3
	v_cvt_i32_f32_e32 v20, v20
	v_fma_f32 v28, 0xbfb8aa3b, v15, -v24
	v_sub_f32_e32 v24, v24, v27
	v_cvt_i32_f32_e32 v27, v27
	v_exp_f32_e32 v22, v22
	v_cmp_ngt_f32_e64 s28, 0xc2b17218, v14
	v_cmp_ngt_f32_e64 s29, 0xc2b17218, v15
	ds_load_2addr_b32 v[8:9], v70 offset0:8 offset1:9
	ds_load_2addr_b32 v[6:7], v70 offset0:10 offset1:11
	;; [unrolled: 1-line block ×4, first 2 shown]
	s_waitcnt lgkmcnt(0)
	s_barrier
	buffer_gl0_inv
	v_fmac_f32_e32 v26, 0xb2a5705f, v14
	v_ldexp_f32 v18, v22, v18
	v_fmac_f32_e32 v21, 0xb2a5705f, v13
	v_rndne_f32_e32 v22, v25
	v_fmac_f32_e32 v28, 0xb2a5705f, v15
	s_delay_alu instid0(VALU_DEP_3) | instskip(SKIP_2) | instid1(VALU_DEP_3)
	v_dual_cndmask_b32 v18, 0, v18 :: v_dual_add_f32 v19, v19, v21
	v_rndne_f32_e32 v21, v23
	v_cmp_ngt_f32_e32 vcc_lo, 0xc2b17218, v12
	v_exp_f32_e32 v19, v19
	s_delay_alu instid0(VALU_DEP_2)
	v_dual_sub_f32 v23, v23, v21 :: v_dual_cndmask_b32 v18, 0x7f800000, v18
	v_cmp_nlt_f32_e32 vcc_lo, 0x42ce8ed0, v13
	v_cvt_i32_f32_e32 v21, v21
	s_waitcnt_depctr 0xfff
	v_ldexp_f32 v19, v19, v20
	v_add_f32_e32 v20, v23, v26
	v_fma_f32 v26, 0xbfb8aa3b, v16, -v25
	v_sub_f32_e32 v25, v25, v22
	v_dual_add_f32 v18, 1.0, v18 :: v_dual_add_f32 v23, v24, v28
	v_cndmask_b32_e32 v19, 0, v19, vcc_lo
	v_exp_f32_e32 v20, v20
	v_cmp_ngt_f32_e32 vcc_lo, 0xc2b17218, v13
	s_delay_alu instid0(VALU_DEP_3) | instskip(SKIP_3) | instid1(VALU_DEP_3)
	v_div_scale_f32 v24, null, v18, v18, v12
	v_exp_f32_e32 v23, v23
	v_cvt_i32_f32_e32 v22, v22
	v_fmac_f32_e32 v26, 0xb2a5705f, v16
	v_rcp_f32_e32 v28, v24
	s_delay_alu instid0(TRANS32_DEP_3) | instskip(NEXT) | instid1(VALU_DEP_2)
	v_ldexp_f32 v20, v20, v21
	v_add_f32_e32 v25, v25, v26
	s_waitcnt_depctr 0xfff
	v_ldexp_f32 v21, v23, v27
	v_exp_f32_e32 v25, v25
	v_fma_f32 v27, -v24, v28, 1.0
	v_cndmask_b32_e32 v19, 0x7f800000, v19, vcc_lo
	v_cmp_nlt_f32_e32 vcc_lo, 0x42ce8ed0, v14
	s_delay_alu instid0(VALU_DEP_2) | instskip(SKIP_3) | instid1(VALU_DEP_1)
	v_dual_fmac_f32 v28, v27, v28 :: v_dual_add_f32 v19, 1.0, v19
	s_waitcnt_depctr 0xfff
	v_ldexp_f32 v22, v25, v22
	v_div_scale_f32 v29, null, v19, v19, v13
	v_rcp_f32_e32 v23, v29
	s_waitcnt_depctr 0xfff
	v_fma_f32 v27, -v29, v23, 1.0
	v_cndmask_b32_e32 v20, 0, v20, vcc_lo
	v_div_scale_f32 v30, vcc_lo, v12, v18, v12
	s_delay_alu instid0(VALU_DEP_3) | instskip(NEXT) | instid1(VALU_DEP_3)
	v_fmac_f32_e32 v23, v27, v23
	v_cndmask_b32_e64 v20, 0x7f800000, v20, s28
	v_cmp_nlt_f32_e64 s28, 0x42ce8ed0, v15
	s_delay_alu instid0(VALU_DEP_2) | instskip(NEXT) | instid1(VALU_DEP_2)
	v_add_f32_e32 v20, 1.0, v20
	v_cndmask_b32_e64 v21, 0, v21, s28
	v_div_scale_f32 v32, s28, v13, v19, v13
	v_mul_f32_e32 v31, v30, v28
	s_delay_alu instid0(VALU_DEP_4) | instskip(NEXT) | instid1(VALU_DEP_3)
	v_div_scale_f32 v33, null, v20, v20, v14
	v_mul_f32_e32 v34, v32, v23
	v_cndmask_b32_e64 v21, 0x7f800000, v21, s29
	s_delay_alu instid0(VALU_DEP_4) | instskip(NEXT) | instid1(VALU_DEP_4)
	v_fma_f32 v27, -v24, v31, v30
	v_rcp_f32_e32 v26, v33
	s_delay_alu instid0(VALU_DEP_1) | instskip(SKIP_2) | instid1(VALU_DEP_3)
	v_fmac_f32_e32 v31, v27, v28
	v_fma_f32 v27, -v29, v34, v32
	v_add_f32_e32 v21, 1.0, v21
	v_fma_f32 v24, -v24, v31, v30
	s_delay_alu instid0(VALU_DEP_3) | instskip(SKIP_1) | instid1(VALU_DEP_3)
	v_fmac_f32_e32 v34, v27, v23
	v_mul_f32_e32 v30, 0xbfb8aa3b, v17
	v_div_fmas_f32 v24, v24, v28, v31
	s_delay_alu instid0(TRANS32_DEP_1) | instskip(NEXT) | instid1(VALU_DEP_3)
	v_fma_f32 v28, -v33, v26, 1.0
	v_rndne_f32_e32 v25, v30
	v_cmp_nlt_f32_e32 vcc_lo, 0x42ce8ed0, v16
	v_div_scale_f32 v31, s29, v14, v20, v14
	v_div_fixup_f32 v12, v24, v18, v12
	v_div_scale_f32 v18, null, v21, v21, v15
	v_fma_f32 v24, -v29, v34, v32
	s_delay_alu instid0(VALU_DEP_2) | instskip(SKIP_3) | instid1(VALU_DEP_2)
	v_rcp_f32_e32 v29, v18
	v_fmac_f32_e32 v26, v28, v26
	v_fma_f32 v28, 0xbfb8aa3b, v17, -v30
	v_sub_f32_e32 v30, v30, v25
	v_fmac_f32_e32 v28, 0xb2a5705f, v17
	s_delay_alu instid0(VALU_DEP_1) | instskip(SKIP_2) | instid1(VALU_DEP_1)
	v_add_f32_e32 v28, v30, v28
	s_waitcnt_depctr 0xfff
	v_fma_f32 v30, -v18, v29, 1.0
	v_dual_fmac_f32 v29, v30, v29 :: v_dual_cndmask_b32 v22, 0, v22
	s_mov_b32 vcc_lo, s28
	v_mul_f32_e32 v27, v31, v26
	v_div_fmas_f32 v23, v24, v23, v34
	v_cmp_ngt_f32_e32 vcc_lo, 0xc2b17218, v16
	s_delay_alu instid0(VALU_DEP_3) | instskip(NEXT) | instid1(VALU_DEP_3)
	v_fma_f32 v24, -v33, v27, v31
	v_div_fixup_f32 v13, v23, v19, v13
	v_exp_f32_e32 v19, v28
	v_cvt_i32_f32_e32 v23, v25
	v_div_scale_f32 v28, s28, v15, v21, v15
	v_fmac_f32_e32 v27, v24, v26
	v_dual_mul_f32 v24, 0xbfb8aa3b, v10 :: v_dual_mul_f32 v13, v13, v136
	s_delay_alu instid0(VALU_DEP_2)
	v_fma_f32 v31, -v33, v27, v31
	s_waitcnt_depctr 0xfff
	v_ldexp_f32 v19, v19, v23
	v_rndne_f32_e32 v23, v24
	v_fma_f32 v30, 0xbfb8aa3b, v10, -v24
	v_dual_mul_f32 v33, v28, v29 :: v_dual_cndmask_b32 v22, 0x7f800000, v22
	v_cmp_nlt_f32_e32 vcc_lo, 0x42ce8ed0, v17
	s_delay_alu instid0(VALU_DEP_4) | instskip(NEXT) | instid1(VALU_DEP_4)
	v_sub_f32_e32 v24, v24, v23
	v_fmac_f32_e32 v30, 0xb2a5705f, v10
	v_mul_f32_e32 v12, v12, v138
	v_cvt_i32_f32_e32 v23, v23
	v_cndmask_b32_e32 v19, 0, v19, vcc_lo
	v_cmp_ngt_f32_e32 vcc_lo, 0xc2b17218, v17
	v_add_f32_e32 v24, v24, v30
	v_fma_f32 v30, -v18, v33, v28
	s_delay_alu instid0(VALU_DEP_4) | instskip(NEXT) | instid1(VALU_DEP_3)
	v_dual_add_f32 v22, 1.0, v22 :: v_dual_cndmask_b32 v19, 0x7f800000, v19
	v_exp_f32_e32 v24, v24
	s_delay_alu instid0(VALU_DEP_2) | instskip(SKIP_1) | instid1(VALU_DEP_2)
	v_fmac_f32_e32 v33, v30, v29
	s_mov_b32 vcc_lo, s29
	v_div_scale_f32 v25, null, v22, v22, v16
	v_div_fmas_f32 v26, v31, v26, v27
	v_cmp_nlt_f32_e32 vcc_lo, 0x42ce8ed0, v10
	v_add_f32_e32 v19, 1.0, v19
	v_fma_f32 v18, -v18, v33, v28
	v_rcp_f32_e32 v32, v25
	s_delay_alu instid0(TRANS32_DEP_2) | instskip(SKIP_2) | instid1(VALU_DEP_3)
	v_ldexp_f32 v23, v24, v23
	v_div_fixup_f32 v14, v26, v20, v14
	v_div_scale_f32 v31, null, v19, v19, v17
	v_cndmask_b32_e32 v20, 0, v23, vcc_lo
	v_cmp_ngt_f32_e32 vcc_lo, 0xc2b17218, v10
	s_delay_alu instid0(VALU_DEP_3) | instskip(NEXT) | instid1(TRANS32_DEP_2)
	v_rcp_f32_e32 v34, v31
	v_fma_f32 v27, -v25, v32, 1.0
	s_delay_alu instid0(VALU_DEP_3)
	v_cndmask_b32_e32 v20, 0x7f800000, v20, vcc_lo
	s_mov_b32 vcc_lo, s28
	v_div_fmas_f32 v18, v18, v29, v33
	s_waitcnt_depctr 0xfff
	v_fma_f32 v26, -v31, v34, 1.0
	v_div_fixup_f32 v15, v18, v21, v15
	s_delay_alu instid0(VALU_DEP_2) | instskip(SKIP_1) | instid1(VALU_DEP_3)
	v_fmac_f32_e32 v34, v26, v34
	v_div_scale_f32 v26, s28, v17, v19, v17
	v_dual_mul_f32 v15, v15, v134 :: v_dual_add_f32 v20, 1.0, v20
	v_fmac_f32_e32 v32, v27, v32
	v_div_scale_f32 v27, s29, v16, v22, v16
	s_delay_alu instid0(VALU_DEP_1) | instskip(NEXT) | instid1(VALU_DEP_3)
	s_mov_b32 vcc_lo, s29
	v_div_scale_f32 v30, null, v20, v20, v10
	s_delay_alu instid0(VALU_DEP_2) | instskip(NEXT) | instid1(VALU_DEP_2)
	v_mul_f32_e32 v24, v27, v32
	v_rcp_f32_e32 v33, v30
	s_delay_alu instid0(VALU_DEP_1) | instskip(SKIP_3) | instid1(VALU_DEP_2)
	v_fma_f32 v23, -v25, v24, v27
	s_waitcnt_depctr 0xfff
	v_fma_f32 v21, -v30, v33, 1.0
	v_dual_fmac_f32 v24, v23, v32 :: v_dual_mul_f32 v23, 0xbfb8aa3b, v11
	v_fmac_f32_e32 v33, v21, v33
	s_delay_alu instid0(VALU_DEP_2) | instskip(NEXT) | instid1(VALU_DEP_3)
	v_fma_f32 v25, -v25, v24, v27
	v_rndne_f32_e32 v28, v23
	v_fma_f32 v29, 0xbfb8aa3b, v11, -v23
	v_mul_f32_e32 v27, v26, v34
	v_div_scale_f32 v21, s29, v10, v20, v10
	s_delay_alu instid0(VALU_DEP_4) | instskip(NEXT) | instid1(VALU_DEP_4)
	v_sub_f32_e32 v23, v23, v28
	v_fmac_f32_e32 v29, 0xb2a5705f, v11
	v_div_fmas_f32 v24, v25, v32, v24
	v_fma_f32 v25, -v31, v27, v26
	s_mov_b32 vcc_lo, s28
	v_cmp_nlt_f32_e64 s28, 0x42ce8ed0, v9
	v_add_f32_e32 v23, v23, v29
	v_div_fixup_f32 v16, v24, v22, v16
	v_fmac_f32_e32 v27, v25, v34
	v_cvt_i32_f32_e32 v22, v28
	v_mul_f32_e32 v24, 0xbfb8aa3b, v8
	v_exp_f32_e32 v18, v23
	s_delay_alu instid0(VALU_DEP_3) | instskip(NEXT) | instid1(VALU_DEP_2)
	v_fma_f32 v23, -v31, v27, v26
	v_fma_f32 v25, 0xbfb8aa3b, v8, -v24
	s_delay_alu instid0(VALU_DEP_1)
	v_dual_mul_f32 v16, v16, v133 :: v_dual_fmac_f32 v25, 0xb2a5705f, v8
	s_waitcnt_depctr 0xfff
	v_ldexp_f32 v18, v18, v22
	v_div_fmas_f32 v22, v23, v34, v27
	v_mul_f32_e32 v23, v21, v33
	v_cmp_nlt_f32_e32 vcc_lo, 0x42ce8ed0, v11
	s_delay_alu instid0(VALU_DEP_3) | instskip(NEXT) | instid1(VALU_DEP_3)
	v_div_fixup_f32 v17, v22, v19, v17
	v_fma_f32 v19, -v30, v23, v21
	v_rndne_f32_e32 v22, v24
	s_delay_alu instid0(VALU_DEP_3) | instskip(NEXT) | instid1(VALU_DEP_3)
	v_dual_mul_f32 v14, v14, v135 :: v_dual_mul_f32 v17, v17, v132
	v_fmac_f32_e32 v23, v19, v33
	s_delay_alu instid0(VALU_DEP_3) | instskip(SKIP_2) | instid1(VALU_DEP_4)
	v_dual_sub_f32 v19, v24, v22 :: v_dual_mul_f32 v24, 0xbfb8aa3b, v9
	v_cndmask_b32_e32 v18, 0, v18, vcc_lo
	v_cmp_ngt_f32_e32 vcc_lo, 0xc2b17218, v11
	v_fma_f32 v21, -v30, v23, v21
	s_delay_alu instid0(VALU_DEP_4) | instskip(SKIP_3) | instid1(VALU_DEP_4)
	v_add_f32_e32 v19, v19, v25
	v_rndne_f32_e32 v25, v24
	v_fma_f32 v27, 0xbfb8aa3b, v9, -v24
	v_cvt_i32_f32_e32 v22, v22
	v_exp_f32_e32 v19, v19
	s_delay_alu instid0(VALU_DEP_3) | instskip(NEXT) | instid1(VALU_DEP_3)
	v_sub_f32_e32 v24, v24, v25
	v_fmac_f32_e32 v27, 0xb2a5705f, v9
	v_cndmask_b32_e32 v18, 0x7f800000, v18, vcc_lo
	s_mov_b32 vcc_lo, s29
	v_div_fmas_f32 v21, v21, v33, v23
	v_cmp_nlt_f32_e32 vcc_lo, 0x42ce8ed0, v8
	s_waitcnt_depctr 0xfff
	v_ldexp_f32 v19, v19, v22
	v_div_fixup_f32 v10, v21, v20, v10
	s_delay_alu instid0(VALU_DEP_2) | instskip(SKIP_1) | instid1(VALU_DEP_2)
	v_cndmask_b32_e32 v19, 0, v19, vcc_lo
	v_cmp_ngt_f32_e32 vcc_lo, 0xc2b17218, v8
	v_cndmask_b32_e32 v19, 0x7f800000, v19, vcc_lo
	s_delay_alu instid0(VALU_DEP_1) | instskip(NEXT) | instid1(VALU_DEP_1)
	v_dual_mul_f32 v28, 0xbfb8aa3b, v6 :: v_dual_add_f32 v19, 1.0, v19
	v_fma_f32 v31, 0xbfb8aa3b, v6, -v28
	v_rndne_f32_e32 v30, v28
	s_delay_alu instid0(VALU_DEP_2) | instskip(SKIP_1) | instid1(VALU_DEP_3)
	v_fmac_f32_e32 v31, 0xb2a5705f, v6
	v_dual_add_f32 v23, v24, v27 :: v_dual_add_f32 v18, 1.0, v18
	v_sub_f32_e32 v24, v28, v30
	s_delay_alu instid0(VALU_DEP_2) | instskip(NEXT) | instid1(VALU_DEP_2)
	v_exp_f32_e32 v20, v23
	v_div_scale_f32 v26, null, v18, v18, v11
	s_delay_alu instid0(VALU_DEP_2) | instskip(SKIP_1) | instid1(VALU_DEP_3)
	v_add_f32_e32 v22, v24, v31
	v_cvt_i32_f32_e32 v23, v25
	v_rcp_f32_e32 v29, v26
	s_waitcnt_depctr 0xfff
	v_ldexp_f32 v20, v20, v23
	s_delay_alu instid0(VALU_DEP_1) | instskip(SKIP_2) | instid1(VALU_DEP_2)
	v_cndmask_b32_e64 v20, 0, v20, s28
	v_fma_f32 v21, -v26, v29, 1.0
	v_cmp_ngt_f32_e64 s28, 0xc2b17218, v9
	v_fmac_f32_e32 v29, v21, v29
	v_exp_f32_e32 v21, v22
	v_cvt_i32_f32_e32 v22, v30
	v_div_scale_f32 v23, vcc_lo, v11, v18, v11
	v_cndmask_b32_e64 v20, 0x7f800000, v20, s28
	v_cmp_nlt_f32_e64 s28, 0x42ce8ed0, v6
	s_delay_alu instid0(VALU_DEP_3) | instskip(SKIP_4) | instid1(VALU_DEP_3)
	v_mul_f32_e32 v24, v23, v29
	s_waitcnt_depctr 0xfff
	v_ldexp_f32 v21, v21, v22
	v_div_scale_f32 v22, null, v19, v19, v8
	v_fma_f32 v27, -v26, v24, v23
	v_cndmask_b32_e64 v21, 0, v21, s28
	s_delay_alu instid0(VALU_DEP_3) | instskip(SKIP_1) | instid1(VALU_DEP_3)
	v_rcp_f32_e32 v25, v22
	v_cmp_ngt_f32_e64 s28, 0xc2b17218, v6
	v_fmac_f32_e32 v24, v27, v29
	s_delay_alu instid0(VALU_DEP_2) | instskip(NEXT) | instid1(VALU_DEP_2)
	v_cndmask_b32_e64 v21, 0x7f800000, v21, s28
	v_fma_f32 v23, -v26, v24, v23
	s_waitcnt_depctr 0xfff
	v_fma_f32 v27, -v22, v25, 1.0
	v_dual_add_f32 v20, 1.0, v20 :: v_dual_add_f32 v21, 1.0, v21
	v_div_fmas_f32 v23, v23, v29, v24
	v_cmp_nlt_f32_e32 vcc_lo, 0x42ce8ed0, v7
	s_delay_alu instid0(VALU_DEP_4) | instskip(NEXT) | instid1(VALU_DEP_4)
	v_fmac_f32_e32 v25, v27, v25
	v_div_scale_f32 v28, null, v20, v20, v9
	v_div_scale_f32 v31, null, v21, v21, v6
	v_div_fixup_f32 v11, v23, v18, v11
	s_delay_alu instid0(VALU_DEP_3) | instskip(SKIP_1) | instid1(VALU_DEP_3)
	v_rcp_f32_e32 v30, v28
	v_div_scale_f32 v27, s28, v8, v19, v8
	v_rcp_f32_e32 v33, v31
	s_delay_alu instid0(VALU_DEP_2) | instskip(NEXT) | instid1(VALU_DEP_2)
	v_mul_f32_e32 v11, v11, v129
	v_mul_f32_e32 v26, v27, v25
	s_waitcnt_depctr 0xfff
	v_fma_f32 v111, -v28, v30, 1.0
	v_fma_f32 v24, -v22, v26, v27
	v_fma_f32 v112, -v31, v33, 1.0
	s_delay_alu instid0(VALU_DEP_3) | instskip(SKIP_1) | instid1(VALU_DEP_3)
	v_fmac_f32_e32 v30, v111, v30
	v_div_scale_f32 v111, s29, v9, v20, v9
	v_dual_fmac_f32 v33, v112, v33 :: v_dual_mul_f32 v32, 0xbfb8aa3b, v7
	s_delay_alu instid0(VALU_DEP_2) | instskip(NEXT) | instid1(VALU_DEP_2)
	v_dual_fmac_f32 v26, v24, v25 :: v_dual_mul_f32 v29, v111, v30
	v_rndne_f32_e32 v34, v32
	v_fma_f32 v35, 0xbfb8aa3b, v7, -v32
	v_mul_f32_e32 v10, v10, v130
	s_delay_alu instid0(VALU_DEP_4) | instskip(SKIP_1) | instid1(VALU_DEP_4)
	v_fma_f32 v23, -v28, v29, v111
	v_fma_f32 v22, -v22, v26, v27
	v_dual_sub_f32 v32, v32, v34 :: v_dual_fmac_f32 v35, 0xb2a5705f, v7
	v_cvt_i32_f32_e32 v18, v34
	s_delay_alu instid0(VALU_DEP_2) | instskip(SKIP_1) | instid1(VALU_DEP_2)
	v_dual_fmac_f32 v29, v23, v30 :: v_dual_add_f32 v32, v32, v35
	v_div_scale_f32 v35, s30, v6, v21, v6
	v_exp_f32_e32 v32, v32
	s_delay_alu instid0(VALU_DEP_1) | instskip(NEXT) | instid1(VALU_DEP_1)
	v_mul_f32_e32 v24, v35, v33
	v_fma_f32 v23, -v31, v24, v35
	s_waitcnt_depctr 0xfff
	v_ldexp_f32 v18, v32, v18
	v_dual_fmac_f32 v24, v23, v33 :: v_dual_mul_f32 v23, 0xbfb8aa3b, v4
	s_delay_alu instid0(VALU_DEP_2) | instskip(SKIP_1) | instid1(VALU_DEP_2)
	v_cndmask_b32_e32 v18, 0, v18, vcc_lo
	s_mov_b32 vcc_lo, s28
	v_rndne_f32_e32 v27, v23
	v_div_fmas_f32 v22, v22, v25, v26
	v_cmp_ngt_f32_e32 vcc_lo, 0xc2b17218, v7
	v_fma_f32 v25, -v28, v29, v111
	v_fma_f32 v26, -v31, v24, v35
	v_fma_f32 v28, 0xbfb8aa3b, v4, -v23
	v_dual_sub_f32 v23, v23, v27 :: v_dual_cndmask_b32 v18, 0x7f800000, v18
	s_mov_b32 vcc_lo, s29
	v_div_fixup_f32 v8, v22, v19, v8
	v_div_fmas_f32 v25, v25, v30, v29
	s_mov_b32 vcc_lo, s30
	v_fmac_f32_e32 v28, 0xb2a5705f, v4
	v_div_fmas_f32 v24, v26, v33, v24
	v_cvt_i32_f32_e32 v27, v27
	v_div_fixup_f32 v9, v25, v20, v9
	v_cmp_nlt_f32_e32 vcc_lo, 0x42ce8ed0, v4
	s_delay_alu instid0(VALU_DEP_4) | instskip(SKIP_1) | instid1(VALU_DEP_4)
	v_div_fixup_f32 v6, v24, v21, v6
	v_dual_mul_f32 v21, 0xbfb8aa3b, v5 :: v_dual_mul_f32 v24, 0xbfb8aa3b, v2
	v_mul_f32_e32 v9, v9, v126
	s_delay_alu instid0(VALU_DEP_2) | instskip(NEXT) | instid1(VALU_DEP_3)
	v_rndne_f32_e32 v22, v21
	v_fma_f32 v29, 0xbfb8aa3b, v2, -v24
	v_add_f32_e32 v20, v23, v28
	v_fma_f32 v23, 0xbfb8aa3b, v5, -v21
	v_rndne_f32_e32 v28, v24
	v_sub_f32_e32 v21, v21, v22
	v_fmac_f32_e32 v29, 0xb2a5705f, v2
	v_exp_f32_e32 v20, v20
	v_fmac_f32_e32 v23, 0xb2a5705f, v5
	v_cvt_i32_f32_e32 v22, v22
	s_delay_alu instid0(VALU_DEP_2)
	v_add_f32_e32 v21, v21, v23
	v_dual_sub_f32 v23, v24, v28 :: v_dual_add_f32 v18, 1.0, v18
	s_waitcnt_depctr 0xfff
	v_ldexp_f32 v20, v20, v27
	v_exp_f32_e32 v21, v21
	v_add_f32_e32 v23, v23, v29
	v_div_scale_f32 v26, null, v18, v18, v7
	s_delay_alu instid0(VALU_DEP_2) | instskip(NEXT) | instid1(VALU_DEP_1)
	v_exp_f32_e32 v23, v23
	v_rcp_f32_e32 v19, v26
	s_delay_alu instid0(TRANS32_DEP_3) | instskip(SKIP_4) | instid1(VALU_DEP_3)
	v_ldexp_f32 v21, v21, v22
	s_waitcnt_depctr 0xfff
	v_fma_f32 v25, -v26, v19, 1.0
	v_cndmask_b32_e32 v20, 0, v20, vcc_lo
	v_cmp_ngt_f32_e32 vcc_lo, 0xc2b17218, v4
	v_fmac_f32_e32 v19, v25, v19
	v_cvt_i32_f32_e32 v25, v28
	s_delay_alu instid0(VALU_DEP_4) | instskip(SKIP_2) | instid1(VALU_DEP_4)
	v_cndmask_b32_e32 v20, 0x7f800000, v20, vcc_lo
	v_cmp_nlt_f32_e32 vcc_lo, 0x42ce8ed0, v5
	v_mul_f32_e32 v30, 0xbfb8aa3b, v3
	v_ldexp_f32 v23, v23, v25
	v_cndmask_b32_e32 v21, 0, v21, vcc_lo
	s_delay_alu instid0(VALU_DEP_3)
	v_rndne_f32_e32 v24, v30
	v_fma_f32 v27, 0xbfb8aa3b, v3, -v30
	v_mul_f32_e32 v8, v8, v127
	v_mul_f32_e32 v6, v6, v125
	v_cmp_nlt_f32_e32 vcc_lo, 0x42ce8ed0, v2
	v_sub_f32_e32 v29, v30, v24
	v_fmac_f32_e32 v27, 0xb2a5705f, v3
	v_cvt_i32_f32_e32 v24, v24
	s_delay_alu instid0(VALU_DEP_2) | instskip(NEXT) | instid1(VALU_DEP_1)
	v_add_f32_e32 v27, v29, v27
	v_exp_f32_e32 v22, v27
	s_waitcnt_depctr 0xfff
	v_ldexp_f32 v22, v22, v24
	v_cndmask_b32_e32 v23, 0, v23, vcc_lo
	v_cmp_ngt_f32_e32 vcc_lo, 0xc2b17218, v5
	v_cndmask_b32_e32 v21, 0x7f800000, v21, vcc_lo
	v_cmp_ngt_f32_e32 vcc_lo, 0xc2b17218, v2
	s_delay_alu instid0(VALU_DEP_2) | instskip(SKIP_2) | instid1(VALU_DEP_3)
	v_dual_add_f32 v21, 1.0, v21 :: v_dual_add_f32 v20, 1.0, v20
	v_cndmask_b32_e32 v23, 0x7f800000, v23, vcc_lo
	v_cmp_nlt_f32_e32 vcc_lo, 0x42ce8ed0, v3
	v_div_scale_f32 v25, null, v21, v21, v5
	s_delay_alu instid0(VALU_DEP_4) | instskip(SKIP_3) | instid1(VALU_DEP_4)
	v_div_scale_f32 v27, null, v20, v20, v4
	v_cndmask_b32_e32 v22, 0, v22, vcc_lo
	v_cmp_ngt_f32_e32 vcc_lo, 0xc2b17218, v3
	v_add_f32_e32 v23, 1.0, v23
	v_rcp_f32_e32 v24, v27
	v_rcp_f32_e32 v30, v25
	v_cndmask_b32_e32 v22, 0x7f800000, v22, vcc_lo
	s_delay_alu instid0(VALU_DEP_2) | instskip(SKIP_1) | instid1(VALU_DEP_3)
	v_div_scale_f32 v28, null, v23, v23, v2
	v_div_scale_f32 v29, vcc_lo, v7, v18, v7
	v_add_f32_e32 v22, 1.0, v22
	s_delay_alu instid0(VALU_DEP_3) | instskip(NEXT) | instid1(TRANS32_DEP_3)
	v_rcp_f32_e32 v32, v28
	v_fma_f32 v31, -v27, v24, 1.0
	s_delay_alu instid0(VALU_DEP_3) | instskip(NEXT) | instid1(TRANS32_DEP_2)
	v_mul_f32_e32 v33, v29, v19
	v_fma_f32 v35, -v25, v30, 1.0
	v_div_scale_f32 v34, null, v22, v22, v3
	s_delay_alu instid0(VALU_DEP_4) | instskip(SKIP_1) | instid1(VALU_DEP_3)
	v_fmac_f32_e32 v24, v31, v24
	v_div_scale_f32 v31, s28, v4, v20, v4
	v_rcp_f32_e32 v111, v34
	v_fma_f32 v112, -v26, v33, v29
	s_delay_alu instid0(TRANS32_DEP_2) | instskip(NEXT) | instid1(VALU_DEP_2)
	v_fma_f32 v113, -v28, v32, 1.0
	v_dual_mul_f32 v114, v31, v24 :: v_dual_fmac_f32 v33, v112, v19
	s_delay_alu instid0(VALU_DEP_1)
	v_fma_f32 v112, -v27, v114, v31
	s_waitcnt_depctr 0xfff
	v_fma_f32 v115, -v34, v111, 1.0
	v_fmac_f32_e32 v32, v113, v32
	v_div_scale_f32 v113, s30, v2, v23, v2
	v_fma_f32 v26, -v26, v33, v29
	s_delay_alu instid0(VALU_DEP_4) | instskip(NEXT) | instid1(VALU_DEP_3)
	v_fmac_f32_e32 v111, v115, v111
	v_dual_fmac_f32 v30, v35, v30 :: v_dual_mul_f32 v117, v113, v32
	v_div_scale_f32 v35, s29, v5, v21, v5
	s_delay_alu instid0(VALU_DEP_4) | instskip(SKIP_2) | instid1(VALU_DEP_2)
	v_div_fmas_f32 v19, v26, v19, v33
	s_mov_b32 vcc_lo, s28
	v_div_scale_f32 v115, s31, v3, v22, v3
	v_div_fixup_f32 v7, v19, v18, v7
	v_fmac_f32_e32 v114, v112, v24
	v_fma_f32 v112, -v28, v117, v113
	v_mul_f32_e32 v116, v35, v30
	s_delay_alu instid0(VALU_DEP_4) | instskip(NEXT) | instid1(VALU_DEP_4)
	v_mul_f32_e32 v7, v7, v123
	v_fma_f32 v26, -v27, v114, v31
	s_delay_alu instid0(VALU_DEP_4) | instskip(NEXT) | instid1(VALU_DEP_4)
	v_fmac_f32_e32 v117, v112, v32
	v_fma_f32 v29, -v25, v116, v35
	s_delay_alu instid0(VALU_DEP_3) | instskip(SKIP_1) | instid1(VALU_DEP_2)
	v_div_fmas_f32 v24, v26, v24, v114
	s_mov_b32 vcc_lo, s29
	v_fmac_f32_e32 v116, v29, v30
	v_fma_f32 v26, -v28, v117, v113
	s_delay_alu instid0(VALU_DEP_3) | instskip(NEXT) | instid1(VALU_DEP_3)
	v_div_fixup_f32 v4, v24, v20, v4
	v_fma_f32 v25, -v25, v116, v35
	s_delay_alu instid0(VALU_DEP_2) | instskip(NEXT) | instid1(VALU_DEP_2)
	v_mul_f32_e32 v4, v4, v122
	v_div_fmas_f32 v25, v25, v30, v116
	s_mov_b32 vcc_lo, s30
	v_div_fmas_f32 v26, v26, v32, v117
	s_mov_b32 vcc_lo, s31
	s_delay_alu instid0(VALU_DEP_2) | instskip(SKIP_1) | instid1(VALU_DEP_3)
	v_div_fixup_f32 v5, v25, v21, v5
	v_mul_f32_e32 v118, v115, v111
	v_div_fixup_f32 v2, v26, v23, v2
	s_delay_alu instid0(VALU_DEP_3) | instskip(NEXT) | instid1(VALU_DEP_3)
	v_mul_f32_e32 v5, v5, v121
	v_fma_f32 v27, -v34, v118, v115
	s_delay_alu instid0(VALU_DEP_3) | instskip(NEXT) | instid1(VALU_DEP_2)
	v_mul_f32_e32 v2, v2, v120
	v_fmac_f32_e32 v118, v27, v111
	s_delay_alu instid0(VALU_DEP_1) | instskip(NEXT) | instid1(VALU_DEP_1)
	v_fma_f32 v27, -v34, v118, v115
	v_div_fmas_f32 v27, v27, v111, v118
	s_delay_alu instid0(VALU_DEP_1) | instskip(NEXT) | instid1(VALU_DEP_1)
	v_div_fixup_f32 v3, v27, v22, v3
	v_mul_f32_e32 v3, v3, v124
	ds_store_2addr_b32 v70, v12, v13 offset1:1
	ds_store_2addr_b32 v70, v14, v15 offset0:2 offset1:3
	ds_store_2addr_b32 v70, v16, v17 offset0:4 offset1:5
	;; [unrolled: 1-line block ×7, first 2 shown]
	; wave barrier
	ds_load_b32 v18, v55 offset:128
	ds_load_b32 v17, v56 offset:256
	;; [unrolled: 1-line block ×15, first 2 shown]
	v_add_co_u32 v2, vcc_lo, v93, s34
	v_add_co_ci_u32_e32 v3, vcc_lo, s35, v94, vcc_lo
	s_and_saveexec_b32 s28, s12
	s_cbranch_execnz .LBB148_284
; %bb.237:                              ;   in Loop: Header=BB148_12 Depth=1
	s_or_b32 exec_lo, exec_lo, s28
	s_and_saveexec_b32 s12, s13
	s_cbranch_execnz .LBB148_285
.LBB148_238:                            ;   in Loop: Header=BB148_12 Depth=1
	s_or_b32 exec_lo, exec_lo, s12
	s_and_saveexec_b32 s12, s14
	s_cbranch_execnz .LBB148_286
.LBB148_239:                            ;   in Loop: Header=BB148_12 Depth=1
	s_or_b32 exec_lo, exec_lo, s12
	s_and_saveexec_b32 s12, s15
	s_cbranch_execnz .LBB148_287
.LBB148_240:                            ;   in Loop: Header=BB148_12 Depth=1
	s_or_b32 exec_lo, exec_lo, s12
	s_and_saveexec_b32 s12, s16
	s_cbranch_execnz .LBB148_288
.LBB148_241:                            ;   in Loop: Header=BB148_12 Depth=1
	s_or_b32 exec_lo, exec_lo, s12
	s_and_saveexec_b32 s12, s17
	s_cbranch_execnz .LBB148_289
.LBB148_242:                            ;   in Loop: Header=BB148_12 Depth=1
	s_or_b32 exec_lo, exec_lo, s12
	s_and_saveexec_b32 s12, s18
	s_cbranch_execnz .LBB148_290
.LBB148_243:                            ;   in Loop: Header=BB148_12 Depth=1
	s_or_b32 exec_lo, exec_lo, s12
	s_and_saveexec_b32 s12, s19
	s_cbranch_execnz .LBB148_291
.LBB148_244:                            ;   in Loop: Header=BB148_12 Depth=1
	s_or_b32 exec_lo, exec_lo, s12
	s_and_saveexec_b32 s12, s20
	s_cbranch_execnz .LBB148_292
.LBB148_245:                            ;   in Loop: Header=BB148_12 Depth=1
	s_or_b32 exec_lo, exec_lo, s12
	s_and_saveexec_b32 s12, s21
	s_cbranch_execnz .LBB148_293
.LBB148_246:                            ;   in Loop: Header=BB148_12 Depth=1
	s_or_b32 exec_lo, exec_lo, s12
	s_and_saveexec_b32 s12, s22
	s_cbranch_execnz .LBB148_294
.LBB148_247:                            ;   in Loop: Header=BB148_12 Depth=1
	s_or_b32 exec_lo, exec_lo, s12
	s_and_saveexec_b32 s12, s23
	s_cbranch_execnz .LBB148_295
.LBB148_248:                            ;   in Loop: Header=BB148_12 Depth=1
	s_or_b32 exec_lo, exec_lo, s12
	s_and_saveexec_b32 s12, s24
	s_cbranch_execnz .LBB148_296
.LBB148_249:                            ;   in Loop: Header=BB148_12 Depth=1
	s_or_b32 exec_lo, exec_lo, s12
	s_and_saveexec_b32 s12, s25
	s_cbranch_execnz .LBB148_297
.LBB148_250:                            ;   in Loop: Header=BB148_12 Depth=1
	s_or_b32 exec_lo, exec_lo, s12
	s_and_saveexec_b32 s12, s26
	s_cbranch_execnz .LBB148_298
.LBB148_251:                            ;   in Loop: Header=BB148_12 Depth=1
	s_or_b32 exec_lo, exec_lo, s12
	s_and_saveexec_b32 s12, s27
	s_cbranch_execz .LBB148_11
	s_branch .LBB148_299
.LBB148_252:                            ;   in Loop: Header=BB148_12 Depth=1
	global_load_b32 v35, v[18:19], off offset:1664
	s_or_b32 exec_lo, exec_lo, s28
	s_and_saveexec_b32 s28, s26
	s_cbranch_execz .LBB148_72
.LBB148_253:                            ;   in Loop: Header=BB148_12 Depth=1
	global_load_b32 v33, v[18:19], off offset:1792
	s_or_b32 exec_lo, exec_lo, s28
	v_mov_b32_e32 v111, 0
	s_and_saveexec_b32 s28, s27
	s_cbranch_execnz .LBB148_73
	s_branch .LBB148_74
.LBB148_254:                            ;   in Loop: Header=BB148_12 Depth=1
	ds_load_b32 v19, v54
	s_waitcnt lgkmcnt(0)
	global_store_b32 v[2:3], v19, off
	s_or_b32 exec_lo, exec_lo, s28
	s_and_saveexec_b32 s28, s13
	s_cbranch_execz .LBB148_204
.LBB148_255:                            ;   in Loop: Header=BB148_12 Depth=1
	s_waitcnt lgkmcnt(14)
	global_store_b32 v[2:3], v18, off offset:128
	s_or_b32 exec_lo, exec_lo, s28
	s_and_saveexec_b32 s28, s14
	s_cbranch_execz .LBB148_205
.LBB148_256:                            ;   in Loop: Header=BB148_12 Depth=1
	s_waitcnt lgkmcnt(13)
	global_store_b32 v[2:3], v17, off offset:256
	s_or_b32 exec_lo, exec_lo, s28
	s_and_saveexec_b32 s28, s15
	s_cbranch_execz .LBB148_206
.LBB148_257:                            ;   in Loop: Header=BB148_12 Depth=1
	s_waitcnt lgkmcnt(12)
	global_store_b32 v[2:3], v16, off offset:384
	s_or_b32 exec_lo, exec_lo, s28
	s_and_saveexec_b32 s28, s16
	s_cbranch_execz .LBB148_207
.LBB148_258:                            ;   in Loop: Header=BB148_12 Depth=1
	s_waitcnt lgkmcnt(11)
	global_store_b32 v[2:3], v15, off offset:512
	s_or_b32 exec_lo, exec_lo, s28
	s_and_saveexec_b32 s28, s17
	s_cbranch_execz .LBB148_208
.LBB148_259:                            ;   in Loop: Header=BB148_12 Depth=1
	s_waitcnt lgkmcnt(10)
	global_store_b32 v[2:3], v14, off offset:640
	s_or_b32 exec_lo, exec_lo, s28
	s_and_saveexec_b32 s28, s18
	s_cbranch_execz .LBB148_209
.LBB148_260:                            ;   in Loop: Header=BB148_12 Depth=1
	s_waitcnt lgkmcnt(9)
	global_store_b32 v[2:3], v13, off offset:768
	s_or_b32 exec_lo, exec_lo, s28
	s_and_saveexec_b32 s28, s19
	s_cbranch_execz .LBB148_210
.LBB148_261:                            ;   in Loop: Header=BB148_12 Depth=1
	s_waitcnt lgkmcnt(8)
	global_store_b32 v[2:3], v12, off offset:896
	s_or_b32 exec_lo, exec_lo, s28
	s_and_saveexec_b32 s28, s20
	s_cbranch_execz .LBB148_211
.LBB148_262:                            ;   in Loop: Header=BB148_12 Depth=1
	s_waitcnt lgkmcnt(7)
	global_store_b32 v[2:3], v11, off offset:1024
	s_or_b32 exec_lo, exec_lo, s28
	s_and_saveexec_b32 s28, s21
	s_cbranch_execz .LBB148_212
.LBB148_263:                            ;   in Loop: Header=BB148_12 Depth=1
	s_waitcnt lgkmcnt(6)
	global_store_b32 v[2:3], v10, off offset:1152
	s_or_b32 exec_lo, exec_lo, s28
	s_and_saveexec_b32 s28, s22
	s_cbranch_execz .LBB148_213
.LBB148_264:                            ;   in Loop: Header=BB148_12 Depth=1
	s_waitcnt lgkmcnt(5)
	global_store_b32 v[2:3], v9, off offset:1280
	s_or_b32 exec_lo, exec_lo, s28
	s_and_saveexec_b32 s28, s23
	s_cbranch_execz .LBB148_214
.LBB148_265:                            ;   in Loop: Header=BB148_12 Depth=1
	s_waitcnt lgkmcnt(4)
	global_store_b32 v[2:3], v8, off offset:1408
	s_or_b32 exec_lo, exec_lo, s28
	s_and_saveexec_b32 s28, s24
	s_cbranch_execz .LBB148_215
.LBB148_266:                            ;   in Loop: Header=BB148_12 Depth=1
	s_waitcnt lgkmcnt(3)
	global_store_b32 v[2:3], v7, off offset:1536
	s_or_b32 exec_lo, exec_lo, s28
	s_and_saveexec_b32 s28, s25
	s_cbranch_execz .LBB148_216
.LBB148_267:                            ;   in Loop: Header=BB148_12 Depth=1
	s_waitcnt lgkmcnt(2)
	global_store_b32 v[2:3], v6, off offset:1664
	s_or_b32 exec_lo, exec_lo, s28
	s_and_saveexec_b32 s28, s26
	s_cbranch_execz .LBB148_217
.LBB148_268:                            ;   in Loop: Header=BB148_12 Depth=1
	s_waitcnt lgkmcnt(1)
	global_store_b32 v[2:3], v5, off offset:1792
	s_or_b32 exec_lo, exec_lo, s28
	s_and_saveexec_b32 s28, s27
	s_cbranch_execnz .LBB148_218
	s_branch .LBB148_219
.LBB148_269:                            ;   in Loop: Header=BB148_12 Depth=1
	global_load_b32 v20, v[18:19], off
	v_mov_b32_e32 v15, v1
	v_mov_b32_e32 v2, v1
	;; [unrolled: 1-line block ×15, first 2 shown]
	s_delay_alu instid0(VALU_DEP_2)
	v_dual_mov_b32 v16, v14 :: v_dual_mov_b32 v15, v13
	v_mov_b32_e32 v14, v12
	v_mov_b32_e32 v13, v11
	;; [unrolled: 1-line block ×13, first 2 shown]
	s_or_b32 exec_lo, exec_lo, s28
	s_and_saveexec_b32 s28, s13
	s_cbranch_execz .LBB148_221
.LBB148_270:                            ;   in Loop: Header=BB148_12 Depth=1
	global_load_b32 v3, v[18:19], off offset:128
	s_or_b32 exec_lo, exec_lo, s28
	s_and_saveexec_b32 s28, s14
	s_cbranch_execz .LBB148_222
.LBB148_271:                            ;   in Loop: Header=BB148_12 Depth=1
	global_load_b32 v4, v[18:19], off offset:256
	s_or_b32 exec_lo, exec_lo, s28
	s_and_saveexec_b32 s28, s15
	s_cbranch_execz .LBB148_223
.LBB148_272:                            ;   in Loop: Header=BB148_12 Depth=1
	global_load_b32 v5, v[18:19], off offset:384
	s_or_b32 exec_lo, exec_lo, s28
	s_and_saveexec_b32 s28, s16
	s_cbranch_execz .LBB148_224
.LBB148_273:                            ;   in Loop: Header=BB148_12 Depth=1
	global_load_b32 v6, v[18:19], off offset:512
	s_or_b32 exec_lo, exec_lo, s28
	s_and_saveexec_b32 s28, s17
	s_cbranch_execz .LBB148_225
.LBB148_274:                            ;   in Loop: Header=BB148_12 Depth=1
	global_load_b32 v7, v[18:19], off offset:640
	s_or_b32 exec_lo, exec_lo, s28
	s_and_saveexec_b32 s28, s18
	s_cbranch_execz .LBB148_226
.LBB148_275:                            ;   in Loop: Header=BB148_12 Depth=1
	global_load_b32 v8, v[18:19], off offset:768
	s_or_b32 exec_lo, exec_lo, s28
	s_and_saveexec_b32 s28, s19
	s_cbranch_execz .LBB148_227
.LBB148_276:                            ;   in Loop: Header=BB148_12 Depth=1
	global_load_b32 v9, v[18:19], off offset:896
	s_or_b32 exec_lo, exec_lo, s28
	s_and_saveexec_b32 s28, s20
	s_cbranch_execz .LBB148_228
.LBB148_277:                            ;   in Loop: Header=BB148_12 Depth=1
	global_load_b32 v10, v[18:19], off offset:1024
	s_or_b32 exec_lo, exec_lo, s28
	s_and_saveexec_b32 s28, s21
	s_cbranch_execz .LBB148_229
.LBB148_278:                            ;   in Loop: Header=BB148_12 Depth=1
	global_load_b32 v11, v[18:19], off offset:1152
	s_or_b32 exec_lo, exec_lo, s28
	s_and_saveexec_b32 s28, s22
	s_cbranch_execz .LBB148_230
.LBB148_279:                            ;   in Loop: Header=BB148_12 Depth=1
	global_load_b32 v12, v[18:19], off offset:1280
	s_or_b32 exec_lo, exec_lo, s28
	s_and_saveexec_b32 s28, s23
	s_cbranch_execz .LBB148_231
.LBB148_280:                            ;   in Loop: Header=BB148_12 Depth=1
	global_load_b32 v13, v[18:19], off offset:1408
	s_or_b32 exec_lo, exec_lo, s28
	s_and_saveexec_b32 s28, s24
	s_cbranch_execz .LBB148_232
.LBB148_281:                            ;   in Loop: Header=BB148_12 Depth=1
	global_load_b32 v14, v[18:19], off offset:1536
	s_or_b32 exec_lo, exec_lo, s28
	s_and_saveexec_b32 s28, s25
	s_cbranch_execz .LBB148_233
.LBB148_282:                            ;   in Loop: Header=BB148_12 Depth=1
	global_load_b32 v15, v[18:19], off offset:1664
	s_or_b32 exec_lo, exec_lo, s28
	s_and_saveexec_b32 s28, s26
	s_cbranch_execz .LBB148_234
.LBB148_283:                            ;   in Loop: Header=BB148_12 Depth=1
	global_load_b32 v16, v[18:19], off offset:1792
	s_or_b32 exec_lo, exec_lo, s28
	s_and_saveexec_b32 s28, s27
	s_cbranch_execnz .LBB148_235
	s_branch .LBB148_236
.LBB148_284:                            ;   in Loop: Header=BB148_12 Depth=1
	ds_load_b32 v19, v54
	s_waitcnt lgkmcnt(0)
	global_store_b32 v[2:3], v19, off
	s_or_b32 exec_lo, exec_lo, s28
	s_and_saveexec_b32 s12, s13
	s_cbranch_execz .LBB148_238
.LBB148_285:                            ;   in Loop: Header=BB148_12 Depth=1
	s_waitcnt lgkmcnt(14)
	global_store_b32 v[2:3], v18, off offset:128
	s_or_b32 exec_lo, exec_lo, s12
	s_and_saveexec_b32 s12, s14
	s_cbranch_execz .LBB148_239
.LBB148_286:                            ;   in Loop: Header=BB148_12 Depth=1
	s_waitcnt lgkmcnt(13)
	global_store_b32 v[2:3], v17, off offset:256
	s_or_b32 exec_lo, exec_lo, s12
	s_and_saveexec_b32 s12, s15
	s_cbranch_execz .LBB148_240
.LBB148_287:                            ;   in Loop: Header=BB148_12 Depth=1
	s_waitcnt lgkmcnt(12)
	global_store_b32 v[2:3], v16, off offset:384
	s_or_b32 exec_lo, exec_lo, s12
	s_and_saveexec_b32 s12, s16
	s_cbranch_execz .LBB148_241
.LBB148_288:                            ;   in Loop: Header=BB148_12 Depth=1
	s_waitcnt lgkmcnt(11)
	global_store_b32 v[2:3], v15, off offset:512
	s_or_b32 exec_lo, exec_lo, s12
	s_and_saveexec_b32 s12, s17
	s_cbranch_execz .LBB148_242
.LBB148_289:                            ;   in Loop: Header=BB148_12 Depth=1
	s_waitcnt lgkmcnt(10)
	global_store_b32 v[2:3], v14, off offset:640
	s_or_b32 exec_lo, exec_lo, s12
	s_and_saveexec_b32 s12, s18
	s_cbranch_execz .LBB148_243
.LBB148_290:                            ;   in Loop: Header=BB148_12 Depth=1
	s_waitcnt lgkmcnt(9)
	global_store_b32 v[2:3], v13, off offset:768
	s_or_b32 exec_lo, exec_lo, s12
	s_and_saveexec_b32 s12, s19
	s_cbranch_execz .LBB148_244
.LBB148_291:                            ;   in Loop: Header=BB148_12 Depth=1
	s_waitcnt lgkmcnt(8)
	global_store_b32 v[2:3], v12, off offset:896
	s_or_b32 exec_lo, exec_lo, s12
	s_and_saveexec_b32 s12, s20
	s_cbranch_execz .LBB148_245
.LBB148_292:                            ;   in Loop: Header=BB148_12 Depth=1
	s_waitcnt lgkmcnt(7)
	global_store_b32 v[2:3], v11, off offset:1024
	s_or_b32 exec_lo, exec_lo, s12
	s_and_saveexec_b32 s12, s21
	s_cbranch_execz .LBB148_246
.LBB148_293:                            ;   in Loop: Header=BB148_12 Depth=1
	s_waitcnt lgkmcnt(6)
	global_store_b32 v[2:3], v10, off offset:1152
	s_or_b32 exec_lo, exec_lo, s12
	s_and_saveexec_b32 s12, s22
	s_cbranch_execz .LBB148_247
.LBB148_294:                            ;   in Loop: Header=BB148_12 Depth=1
	s_waitcnt lgkmcnt(5)
	global_store_b32 v[2:3], v9, off offset:1280
	s_or_b32 exec_lo, exec_lo, s12
	s_and_saveexec_b32 s12, s23
	s_cbranch_execz .LBB148_248
.LBB148_295:                            ;   in Loop: Header=BB148_12 Depth=1
	s_waitcnt lgkmcnt(4)
	global_store_b32 v[2:3], v8, off offset:1408
	s_or_b32 exec_lo, exec_lo, s12
	s_and_saveexec_b32 s12, s24
	s_cbranch_execz .LBB148_249
.LBB148_296:                            ;   in Loop: Header=BB148_12 Depth=1
	s_waitcnt lgkmcnt(3)
	global_store_b32 v[2:3], v7, off offset:1536
	s_or_b32 exec_lo, exec_lo, s12
	s_and_saveexec_b32 s12, s25
	s_cbranch_execz .LBB148_250
.LBB148_297:                            ;   in Loop: Header=BB148_12 Depth=1
	s_waitcnt lgkmcnt(2)
	global_store_b32 v[2:3], v6, off offset:1664
	s_or_b32 exec_lo, exec_lo, s12
	s_and_saveexec_b32 s12, s26
	s_cbranch_execz .LBB148_251
.LBB148_298:                            ;   in Loop: Header=BB148_12 Depth=1
	s_waitcnt lgkmcnt(1)
	global_store_b32 v[2:3], v5, off offset:1792
	s_or_b32 exec_lo, exec_lo, s12
	s_and_saveexec_b32 s12, s27
	s_cbranch_execz .LBB148_11
.LBB148_299:                            ;   in Loop: Header=BB148_12 Depth=1
	s_waitcnt lgkmcnt(0)
	global_store_b32 v[2:3], v4, off offset:1920
	s_branch .LBB148_11
.LBB148_300:
	s_nop 0
	s_sendmsg sendmsg(MSG_DEALLOC_VGPRS)
	s_endpgm
	.section	.rodata,"a",@progbits
	.p2align	6, 0x0
	.amdhsa_kernel _Z25selective_scan_fwd_kernelI32Selective_Scan_fwd_kernel_traitsILi64ELi16ELi1ELb0ELb1ELb1ELb1ELb1EfffEEv13SSMParamsBase
		.amdhsa_group_segment_fixed_size 0
		.amdhsa_private_segment_fixed_size 0
		.amdhsa_kernarg_size 248
		.amdhsa_user_sgpr_count 14
		.amdhsa_user_sgpr_dispatch_ptr 0
		.amdhsa_user_sgpr_queue_ptr 0
		.amdhsa_user_sgpr_kernarg_segment_ptr 1
		.amdhsa_user_sgpr_dispatch_id 0
		.amdhsa_user_sgpr_private_segment_size 0
		.amdhsa_wavefront_size32 1
		.amdhsa_uses_dynamic_stack 0
		.amdhsa_enable_private_segment 0
		.amdhsa_system_sgpr_workgroup_id_x 1
		.amdhsa_system_sgpr_workgroup_id_y 1
		.amdhsa_system_sgpr_workgroup_id_z 0
		.amdhsa_system_sgpr_workgroup_info 0
		.amdhsa_system_vgpr_workitem_id 0
		.amdhsa_next_free_vgpr 185
		.amdhsa_next_free_sgpr 96
		.amdhsa_reserve_vcc 1
		.amdhsa_float_round_mode_32 0
		.amdhsa_float_round_mode_16_64 0
		.amdhsa_float_denorm_mode_32 3
		.amdhsa_float_denorm_mode_16_64 3
		.amdhsa_dx10_clamp 1
		.amdhsa_ieee_mode 1
		.amdhsa_fp16_overflow 0
		.amdhsa_workgroup_processor_mode 1
		.amdhsa_memory_ordered 1
		.amdhsa_forward_progress 0
		.amdhsa_shared_vgpr_count 0
		.amdhsa_exception_fp_ieee_invalid_op 0
		.amdhsa_exception_fp_denorm_src 0
		.amdhsa_exception_fp_ieee_div_zero 0
		.amdhsa_exception_fp_ieee_overflow 0
		.amdhsa_exception_fp_ieee_underflow 0
		.amdhsa_exception_fp_ieee_inexact 0
		.amdhsa_exception_int_div_zero 0
	.end_amdhsa_kernel
	.section	.text._Z25selective_scan_fwd_kernelI32Selective_Scan_fwd_kernel_traitsILi64ELi16ELi1ELb0ELb1ELb1ELb1ELb1EfffEEv13SSMParamsBase,"axG",@progbits,_Z25selective_scan_fwd_kernelI32Selective_Scan_fwd_kernel_traitsILi64ELi16ELi1ELb0ELb1ELb1ELb1ELb1EfffEEv13SSMParamsBase,comdat
.Lfunc_end148:
	.size	_Z25selective_scan_fwd_kernelI32Selective_Scan_fwd_kernel_traitsILi64ELi16ELi1ELb0ELb1ELb1ELb1ELb1EfffEEv13SSMParamsBase, .Lfunc_end148-_Z25selective_scan_fwd_kernelI32Selective_Scan_fwd_kernel_traitsILi64ELi16ELi1ELb0ELb1ELb1ELb1ELb1EfffEEv13SSMParamsBase
                                        ; -- End function
	.section	.AMDGPU.csdata,"",@progbits
; Kernel info:
; codeLenInByte = 25532
; NumSgprs: 98
; NumVgprs: 185
; ScratchSize: 0
; MemoryBound: 0
; FloatMode: 240
; IeeeMode: 1
; LDSByteSize: 0 bytes/workgroup (compile time only)
; SGPRBlocks: 12
; VGPRBlocks: 23
; NumSGPRsForWavesPerEU: 98
; NumVGPRsForWavesPerEU: 185
; Occupancy: 8
; WaveLimiterHint : 1
; COMPUTE_PGM_RSRC2:SCRATCH_EN: 0
; COMPUTE_PGM_RSRC2:USER_SGPR: 14
; COMPUTE_PGM_RSRC2:TRAP_HANDLER: 0
; COMPUTE_PGM_RSRC2:TGID_X_EN: 1
; COMPUTE_PGM_RSRC2:TGID_Y_EN: 1
; COMPUTE_PGM_RSRC2:TGID_Z_EN: 0
; COMPUTE_PGM_RSRC2:TIDIG_COMP_CNT: 0
	.section	.text._Z25selective_scan_fwd_kernelI32Selective_Scan_fwd_kernel_traitsILi64ELi16ELi1ELb0ELb1ELb1ELb1ELb0EfffEEv13SSMParamsBase,"axG",@progbits,_Z25selective_scan_fwd_kernelI32Selective_Scan_fwd_kernel_traitsILi64ELi16ELi1ELb0ELb1ELb1ELb1ELb0EfffEEv13SSMParamsBase,comdat
	.protected	_Z25selective_scan_fwd_kernelI32Selective_Scan_fwd_kernel_traitsILi64ELi16ELi1ELb0ELb1ELb1ELb1ELb0EfffEEv13SSMParamsBase ; -- Begin function _Z25selective_scan_fwd_kernelI32Selective_Scan_fwd_kernel_traitsILi64ELi16ELi1ELb0ELb1ELb1ELb1ELb0EfffEEv13SSMParamsBase
	.globl	_Z25selective_scan_fwd_kernelI32Selective_Scan_fwd_kernel_traitsILi64ELi16ELi1ELb0ELb1ELb1ELb1ELb0EfffEEv13SSMParamsBase
	.p2align	8
	.type	_Z25selective_scan_fwd_kernelI32Selective_Scan_fwd_kernel_traitsILi64ELi16ELi1ELb0ELb1ELb1ELb1ELb0EfffEEv13SSMParamsBase,@function
_Z25selective_scan_fwd_kernelI32Selective_Scan_fwd_kernel_traitsILi64ELi16ELi1ELb0ELb1ELb1ELb1ELb0EfffEEv13SSMParamsBase: ; @_Z25selective_scan_fwd_kernelI32Selective_Scan_fwd_kernel_traitsILi64ELi16ELi1ELb0ELb1ELb1ELb1ELb0EfffEEv13SSMParamsBase
; %bb.0:
	s_clause 0x1
	s_load_b32 s9, s[0:1], 0x18
	s_load_b128 s[4:7], s[0:1], 0xe8
	s_mov_b32 s12, s15
	s_mov_b32 s49, 0
	s_waitcnt lgkmcnt(0)
	s_abs_i32 s8, s9
	s_cmp_eq_u64 s[6:7], 0
	v_cvt_f32_u32_e32 v1, s8
	s_delay_alu instid0(VALU_DEP_1) | instskip(SKIP_2) | instid1(VALU_DEP_1)
	v_rcp_iflag_f32_e32 v1, v1
	s_waitcnt_depctr 0xfff
	v_mul_f32_e32 v1, 0x4f7ffffe, v1
	v_cvt_u32_f32_e32 v1, v1
	s_delay_alu instid0(VALU_DEP_1)
	v_readfirstlane_b32 s10, v1
	s_cbranch_scc1 .LBB149_2
; %bb.1:
	v_mov_b32_e32 v1, 0
	s_ashr_i32 s3, s14, 31
	s_add_u32 s2, s6, s14
	s_addc_u32 s3, s7, s3
	global_load_u8 v1, v1, s[2:3]
	s_waitcnt vmcnt(0)
	v_and_b32_e32 v1, 1, v1
	s_delay_alu instid0(VALU_DEP_1)
	v_cmp_eq_u32_e64 s49, 1, v1
.LBB149_2:
	s_load_b64 s[6:7], s[0:1], 0x20
	s_cmp_eq_u64 s[4:5], 0
	s_cbranch_scc1 .LBB149_4
; %bb.3:
	s_ashr_i32 s15, s14, 31
	s_delay_alu instid0(SALU_CYCLE_1) | instskip(NEXT) | instid1(SALU_CYCLE_1)
	s_lshl_b64 s[2:3], s[14:15], 2
	s_add_u32 s2, s4, s2
	s_addc_u32 s3, s5, s3
	s_load_b32 s2, s[2:3], 0x0
	s_waitcnt lgkmcnt(0)
	s_ashr_i32 s3, s2, 31
	s_delay_alu instid0(SALU_CYCLE_1)
	s_cmp_eq_u64 s[6:7], s[2:3]
	s_cbranch_scc0 .LBB149_5
	s_branch .LBB149_300
.LBB149_4:
	s_mov_b32 s2, s14
	s_delay_alu instid0(SALU_CYCLE_1)
	s_ashr_i32 s3, s2, 31
	s_waitcnt lgkmcnt(0)
	s_cmp_eq_u64 s[6:7], s[2:3]
	s_cbranch_scc1 .LBB149_300
.LBB149_5:
	s_clause 0x1
	s_load_b512 s[16:31], s[0:1], 0x88
	s_load_b64 s[50:51], s[0:1], 0x8
	s_mov_b32 s84, 0
	s_mov_b32 s85, 0
	s_waitcnt lgkmcnt(0)
	s_cmp_eq_u64 s[22:23], 0
	s_cbranch_scc1 .LBB149_7
; %bb.6:
	s_ashr_i32 s13, s12, 31
	s_delay_alu instid0(SALU_CYCLE_1) | instskip(NEXT) | instid1(SALU_CYCLE_1)
	s_lshl_b64 s[4:5], s[12:13], 2
	s_add_u32 s4, s22, s4
	s_addc_u32 s5, s23, s5
	s_load_b32 s85, s[4:5], 0x0
.LBB149_7:
	s_cmp_eq_u64 s[28:29], 0
	s_cbranch_scc1 .LBB149_9
; %bb.8:
	s_ashr_i32 s13, s12, 31
	s_delay_alu instid0(SALU_CYCLE_1) | instskip(NEXT) | instid1(SALU_CYCLE_1)
	s_lshl_b64 s[4:5], s[12:13], 2
	s_add_u32 s4, s28, s4
	s_addc_u32 s5, s29, s5
	s_load_b32 s84, s[4:5], 0x0
.LBB149_9:
	s_cmp_lt_i32 s50, 1
	s_cbranch_scc1 .LBB149_300
; %bb.10:
	s_sub_i32 s3, 0, s8
	s_load_b256 s[68:75], s[0:1], 0x4c
	s_mul_i32 s3, s3, s10
	s_abs_i32 s4, s12
	s_mul_hi_u32 s3, s10, s3
	s_ashr_i32 s6, s9, 31
	s_add_i32 s10, s10, s3
	s_ashr_i32 s3, s12, 31
	s_mul_hi_u32 s5, s4, s10
	s_xor_b32 s3, s3, s6
	s_mul_i32 s7, s5, s8
	s_add_i32 s6, s5, 1
	s_sub_i32 s4, s4, s7
	s_load_b256 s[76:83], s[0:1], 0x2c
	s_sub_i32 s7, s4, s8
	s_cmp_ge_u32 s4, s8
	s_mov_b32 s53, 0
	s_cselect_b32 s5, s6, s5
	s_cselect_b32 s4, s7, s4
	s_add_i32 s6, s5, 1
	s_cmp_ge_u32 s4, s8
	s_waitcnt lgkmcnt(0)
	s_mul_i32 s52, s70, s14
	s_cselect_b32 s6, s6, s5
	s_lshl_b64 s[4:5], s[52:53], 2
	s_xor_b32 s6, s6, s3
	s_mul_i32 s52, s71, s12
	s_sub_i32 s3, s6, s3
	s_add_u32 s6, s24, s4
	s_addc_u32 s7, s25, s5
	s_lshl_b64 s[4:5], s[52:53], 2
	s_mul_i32 s52, s72, s14
	s_add_u32 s70, s6, s4
	s_addc_u32 s71, s7, s5
	s_lshl_b64 s[4:5], s[52:53], 2
	s_mul_i32 s52, s73, s12
	s_add_u32 s6, s26, s4
	s_addc_u32 s7, s27, s5
	s_lshl_b64 s[4:5], s[52:53], 2
	s_mul_i32 s52, s76, s12
	s_add_u32 s72, s6, s4
	s_addc_u32 s73, s7, s5
	s_lshl_b64 s[4:5], s[52:53], 2
	s_mul_i32 s52, s78, s14
	s_load_b64 s[6:7], s[0:1], 0x7c
	s_add_u32 s76, s16, s4
	s_addc_u32 s78, s17, s5
	s_lshl_b64 s[4:5], s[52:53], 2
	s_mul_i32 s52, s3, s81
	s_load_b128 s[24:27], s[0:1], 0xc8
	s_add_u32 s8, s18, s4
	s_addc_u32 s9, s19, s5
	s_lshl_b64 s[4:5], s[52:53], 2
	s_mul_i32 s52, s82, s14
	s_add_u32 s79, s8, s4
	v_dual_mov_b32 v1, 0 :: v_dual_lshlrev_b32 v36, 4, v0
	s_addc_u32 s81, s9, s5
	s_lshl_b64 s[4:5], s[52:53], 2
	s_load_b128 s[16:19], s[0:1], 0x6c
	s_add_u32 s8, s20, s4
	s_mul_i32 s52, s3, s69
	s_addc_u32 s3, s21, s5
	s_clause 0x2
	s_load_b32 s69, s[0:1], 0x84
	s_load_b64 s[20:21], s[0:1], 0xd8
	s_load_b32 s0, s[0:1], 0x28
	v_mbcnt_lo_u32_b32 v37, -1, 0
	v_and_b32_e32 v2, 0x200, v36
	s_lshl_b64 s[4:5], s[52:53], 2
	s_waitcnt lgkmcnt(0)
	s_mul_i32 s52, s2, s6
	s_add_u32 s82, s8, s4
	s_addc_u32 s83, s3, s5
	v_or_b32_e32 v38, v37, v2
	s_lshl_b64 s[2:3], s[52:53], 2
	v_lshrrev_b32_e32 v3, 5, v2
	v_and_b32_e32 v15, 32, v0
	s_mul_i32 s52, s7, s12
	v_or_b32_e32 v39, 32, v38
	s_add_u32 s4, s24, s2
	s_addc_u32 s5, s25, s3
	s_lshl_b64 s[2:3], s[52:53], 2
	v_or_b32_e32 v40, 64, v38
	s_add_u32 s86, s4, s2
	v_or_b32_e32 v41, 0x60, v38
	v_or_b32_e32 v42, 0x80, v38
	;; [unrolled: 1-line block ×11, first 2 shown]
	v_add_nc_u32_e32 v3, v3, v38
	v_lshrrev_b32_e32 v4, 5, v39
	v_or_b32_e32 v52, 0x1c0, v38
	v_or_b32_e32 v53, 0x1e0, v38
	;; [unrolled: 1-line block ×3, first 2 shown]
	s_addc_u32 s87, s5, s3
	s_add_i32 s2, s50, 0x7ff
	v_lshrrev_b32_e32 v5, 5, v40
	s_lshr_b32 s88, s2, 11
	s_bitcmp1_b32 s0, 0
	v_lshl_add_u32 v54, v3, 2, 0
	v_add_lshl_u32 v3, v4, v38, 2
	v_lshrrev_b32_e32 v4, 5, v41
	v_lshrrev_b32_e32 v6, 5, v42
	;; [unrolled: 1-line block ×13, first 2 shown]
	v_lshlrev_b32_e32 v20, 4, v18
	v_bfe_u32 v18, v18, 1, 27
	s_cselect_b32 s89, -1, 0
	s_cmp_gt_i32 s51, 0
	v_add_lshl_u32 v5, v5, v38, 2
	s_cselect_b32 s90, -1, 0
	s_add_i32 s0, 0, 0x1080
	v_add_nc_u32_e32 v55, 0, v3
	v_add_lshl_u32 v4, v4, v38, 2
	v_add_lshl_u32 v6, v6, v38, 2
	;; [unrolled: 1-line block ×14, first 2 shown]
	v_add_nc_u32_e32 v71, s0, v3
	v_and_b32_e32 v3, 15, v37
	s_and_b32 s1, s50, 0x3ff
	v_add_nc_u32_e32 v72, s0, v5
	v_add_nc_u32_e32 v73, s0, v4
	;; [unrolled: 1-line block ×14, first 2 shown]
	s_cmp_eq_u32 s1, 0
	v_add_nc_u32_e32 v86, s0, v18
	v_cmp_ne_u32_e64 s0, 0, v3
	v_cmp_lt_u32_e64 s1, 1, v3
	v_cmp_lt_u32_e64 s2, 3, v3
	;; [unrolled: 1-line block ×3, first 2 shown]
	v_add_nc_u32_e32 v3, -1, v37
	v_add_nc_u32_e32 v57, 0, v4
	v_lshrrev_b32_e32 v4, 2, v0
	s_mul_i32 s52, s16, s14
	s_cselect_b32 s91, -1, 0
	v_cmp_gt_i32_e32 vcc_lo, 0, v3
	s_lshl_b64 s[22:23], s[52:53], 2
	s_add_i32 s92, s88, -1
	s_mul_i32 s52, s17, s12
	v_dual_cndmask_b32 v3, v3, v37 :: v_dual_and_b32 v4, 8, v4
	s_add_u32 s13, s30, s22
	s_addc_u32 s15, s31, s23
	s_lshl_b64 s[16:17], s[52:53], 2
	s_mul_i32 s52, s74, s14
	v_add_nc_u32_e32 v56, 0, v5
	v_add_nc_u32_e32 v58, 0, v6
	v_and_b32_e32 v5, 16, v37
	v_or_b32_e32 v6, 31, v15
	v_lshlrev_b32_e32 v89, 2, v3
	s_add_u32 s13, s13, s16
	v_lshlrev_b32_e32 v3, 2, v37
	s_addc_u32 s15, s15, s17
	s_lshl_b64 s[16:17], s[52:53], 2
	v_add_nc_u32_e32 v87, 0, v4
	v_and_b32_e32 v4, 1, v37
	s_mul_i32 s52, s75, s12
	s_add_u32 s22, s26, s16
	s_addc_u32 s23, s27, s17
	s_lshl_b64 s[16:17], s[52:53], 2
	v_cmp_ne_u32_e64 s4, 0, v5
	v_cmp_eq_u32_e64 s5, v6, v0
	v_cmp_gt_u32_e64 s6, 2, v0
	v_lshl_add_u32 v88, v0, 3, 0
	v_cmp_gt_u32_e64 s8, 32, v0
	v_cmp_lt_u32_e64 s9, 31, v0
	v_cmp_eq_u32_e64 s10, 0, v0
	v_add_co_u32 v0, s13, s13, v3
	s_mul_i32 s52, s18, s14
	v_lshlrev_b32_e32 v5, 2, v2
	s_add_u32 s16, s22, s16
	v_cmp_eq_u32_e64 s7, 0, v4
	v_add_co_ci_u32_e64 v4, null, s15, 0, s13
	s_addc_u32 s17, s23, s17
	s_lshl_b64 s[14:15], s[52:53], 2
	s_mul_i32 s52, s19, s12
	s_add_u32 s14, s20, s14
	s_addc_u32 s15, s21, s15
	s_lshl_b64 s[12:13], s[52:53], 2
	v_add_co_u32 v0, vcc_lo, v0, v5
	v_add_co_ci_u32_e32 v90, vcc_lo, 0, v4, vcc_lo
	s_add_u32 s12, s14, s12
	v_add_co_u32 v4, s14, s16, v3
	s_delay_alu instid0(VALU_DEP_1)
	v_add_co_ci_u32_e64 v6, null, s17, 0, s14
	s_addc_u32 s13, s15, s13
	v_add_co_u32 v3, s12, s12, v3
	v_add_nc_u32_e32 v59, 0, v7
	v_add_co_ci_u32_e64 v7, null, s13, 0, s12
	v_add_co_u32 v91, vcc_lo, v4, v5
	v_add_co_ci_u32_e32 v92, vcc_lo, 0, v6, vcc_lo
	v_add_co_u32 v93, vcc_lo, v3, v5
	v_add_nc_u32_e32 v60, 0, v8
	v_add_nc_u32_e32 v61, 0, v9
	;; [unrolled: 1-line block ×11, first 2 shown]
	v_cmp_eq_u32_e64 s11, 0, v37
	v_add_co_ci_u32_e32 v94, vcc_lo, 0, v7, vcc_lo
	v_or_b32_e32 v95, 1, v36
	v_or_b32_e32 v96, 2, v36
	;; [unrolled: 1-line block ×15, first 2 shown]
	v_lshlrev_b32_e32 v110, 2, v2
	s_mov_b32 s74, 0x3e9b6dac
	s_add_i32 s75, 0, 0x2110
	s_mov_b32 s93, 0
	s_branch .LBB149_12
.LBB149_11:                             ;   in Loop: Header=BB149_12 Depth=1
	s_or_b32 exec_lo, exec_lo, s12
	s_add_u32 s72, s72, 0x1000
	s_addc_u32 s73, s73, 0
	s_add_u32 s70, s70, 0x1000
	s_addc_u32 s71, s71, 0
	;; [unrolled: 2-line block ×4, first 2 shown]
	s_add_i32 s93, s93, 1
	s_delay_alu instid0(SALU_CYCLE_1)
	s_cmp_lg_u32 s93, s88
	s_cbranch_scc0 .LBB149_300
.LBB149_12:                             ; =>This Loop Header: Depth=1
                                        ;     Child Loop BB149_109 Depth 2
	v_lshlrev_b32_e32 v34, 2, v37
	s_lshl_b32 s54, s93, 10
	s_waitcnt lgkmcnt(0)
	v_mov_b32_e32 v4, 0
	s_sub_i32 s40, s50, s54
	v_add_co_u32 v2, s12, s70, v34
	s_delay_alu instid0(VALU_DEP_1) | instskip(SKIP_1) | instid1(VALU_DEP_3)
	v_add_co_ci_u32_e64 v3, null, s71, 0, s12
	v_cmp_gt_u32_e64 s12, s40, v38
	v_add_co_u32 v2, vcc_lo, v2, v110
	s_delay_alu instid0(VALU_DEP_3)
	v_add_co_ci_u32_e32 v3, vcc_lo, 0, v3, vcc_lo
	s_waitcnt_vscnt null, 0x0
	s_barrier
	buffer_gl0_inv
	s_and_saveexec_b32 s13, s12
	s_cbranch_execz .LBB149_14
; %bb.13:                               ;   in Loop: Header=BB149_12 Depth=1
	global_load_b32 v4, v[2:3], off
.LBB149_14:                             ;   in Loop: Header=BB149_12 Depth=1
	s_or_b32 exec_lo, exec_lo, s13
	v_cmp_gt_u32_e64 s13, s40, v39
	v_dual_mov_b32 v5, 0 :: v_dual_mov_b32 v6, 0
	s_delay_alu instid0(VALU_DEP_2)
	s_and_saveexec_b32 s14, s13
	s_cbranch_execz .LBB149_16
; %bb.15:                               ;   in Loop: Header=BB149_12 Depth=1
	global_load_b32 v6, v[2:3], off offset:128
.LBB149_16:                             ;   in Loop: Header=BB149_12 Depth=1
	s_or_b32 exec_lo, exec_lo, s14
	v_cmp_gt_u32_e64 s14, s40, v40
	s_delay_alu instid0(VALU_DEP_1)
	s_and_saveexec_b32 s15, s14
	s_cbranch_execz .LBB149_18
; %bb.17:                               ;   in Loop: Header=BB149_12 Depth=1
	global_load_b32 v5, v[2:3], off offset:256
.LBB149_18:                             ;   in Loop: Header=BB149_12 Depth=1
	s_or_b32 exec_lo, exec_lo, s15
	v_cmp_gt_u32_e64 s15, s40, v41
	v_dual_mov_b32 v7, 0 :: v_dual_mov_b32 v8, 0
	s_delay_alu instid0(VALU_DEP_2)
	s_and_saveexec_b32 s16, s15
	s_cbranch_execz .LBB149_20
; %bb.19:                               ;   in Loop: Header=BB149_12 Depth=1
	global_load_b32 v8, v[2:3], off offset:384
.LBB149_20:                             ;   in Loop: Header=BB149_12 Depth=1
	s_or_b32 exec_lo, exec_lo, s16
	v_cmp_gt_u32_e64 s16, s40, v42
	s_delay_alu instid0(VALU_DEP_1)
	s_and_saveexec_b32 s17, s16
	s_cbranch_execz .LBB149_22
; %bb.21:                               ;   in Loop: Header=BB149_12 Depth=1
	global_load_b32 v7, v[2:3], off offset:512
.LBB149_22:                             ;   in Loop: Header=BB149_12 Depth=1
	;; [unrolled: 17-line block ×7, first 2 shown]
	s_or_b32 exec_lo, exec_lo, s27
	v_cmp_gt_u32_e64 s27, s40, v53
	v_dual_mov_b32 v20, 0 :: v_dual_mov_b32 v19, 0
	s_delay_alu instid0(VALU_DEP_2)
	s_and_saveexec_b32 s28, s27
	s_cbranch_execz .LBB149_44
; %bb.43:                               ;   in Loop: Header=BB149_12 Depth=1
	global_load_b32 v19, v[2:3], off offset:1920
.LBB149_44:                             ;   in Loop: Header=BB149_12 Depth=1
	s_or_b32 exec_lo, exec_lo, s28
	s_waitcnt vmcnt(0)
	ds_store_b32 v54, v4
	ds_store_b32 v55, v6 offset:128
	ds_store_b32 v56, v5 offset:256
	;; [unrolled: 1-line block ×15, first 2 shown]
	; wave barrier
	ds_load_2addr_b32 v[2:3], v70 offset1:1
	ds_load_2addr_b32 v[4:5], v70 offset0:2 offset1:3
	ds_load_2addr_b32 v[6:7], v70 offset0:4 offset1:5
	;; [unrolled: 1-line block ×7, first 2 shown]
	v_add_co_u32 v18, s28, s72, v34
	s_delay_alu instid0(VALU_DEP_1) | instskip(SKIP_1) | instid1(VALU_DEP_2)
	v_add_co_ci_u32_e64 v19, null, s73, 0, s28
	s_waitcnt lgkmcnt(0)
	v_add_co_u32 v18, vcc_lo, v18, v110
	s_delay_alu instid0(VALU_DEP_2)
	v_add_co_ci_u32_e32 v19, vcc_lo, 0, v19, vcc_lo
	s_barrier
	buffer_gl0_inv
	s_and_saveexec_b32 s28, s12
	s_cbranch_execz .LBB149_46
; %bb.45:                               ;   in Loop: Header=BB149_12 Depth=1
	global_load_b32 v20, v[18:19], off
.LBB149_46:                             ;   in Loop: Header=BB149_12 Depth=1
	s_or_b32 exec_lo, exec_lo, s28
	v_dual_mov_b32 v21, 0 :: v_dual_mov_b32 v22, 0
	s_and_saveexec_b32 s28, s13
	s_cbranch_execz .LBB149_48
; %bb.47:                               ;   in Loop: Header=BB149_12 Depth=1
	global_load_b32 v22, v[18:19], off offset:128
.LBB149_48:                             ;   in Loop: Header=BB149_12 Depth=1
	s_or_b32 exec_lo, exec_lo, s28
	s_and_saveexec_b32 s28, s14
	s_cbranch_execz .LBB149_50
; %bb.49:                               ;   in Loop: Header=BB149_12 Depth=1
	global_load_b32 v21, v[18:19], off offset:256
.LBB149_50:                             ;   in Loop: Header=BB149_12 Depth=1
	s_or_b32 exec_lo, exec_lo, s28
	v_dual_mov_b32 v23, 0 :: v_dual_mov_b32 v24, 0
	s_and_saveexec_b32 s28, s15
	s_cbranch_execz .LBB149_52
; %bb.51:                               ;   in Loop: Header=BB149_12 Depth=1
	global_load_b32 v24, v[18:19], off offset:384
.LBB149_52:                             ;   in Loop: Header=BB149_12 Depth=1
	s_or_b32 exec_lo, exec_lo, s28
	s_and_saveexec_b32 s28, s16
	s_cbranch_execz .LBB149_54
; %bb.53:                               ;   in Loop: Header=BB149_12 Depth=1
	global_load_b32 v23, v[18:19], off offset:512
.LBB149_54:                             ;   in Loop: Header=BB149_12 Depth=1
	;; [unrolled: 13-line block ×6, first 2 shown]
	s_or_b32 exec_lo, exec_lo, s28
	v_mov_b32_e32 v33, 0
	v_mov_b32_e32 v35, 0
	s_and_saveexec_b32 s28, s25
	s_cbranch_execnz .LBB149_252
; %bb.71:                               ;   in Loop: Header=BB149_12 Depth=1
	s_or_b32 exec_lo, exec_lo, s28
	s_and_saveexec_b32 s28, s26
	s_cbranch_execnz .LBB149_253
.LBB149_72:                             ;   in Loop: Header=BB149_12 Depth=1
	s_or_b32 exec_lo, exec_lo, s28
	v_mov_b32_e32 v111, 0
	s_and_saveexec_b32 s28, s27
	s_cbranch_execz .LBB149_74
.LBB149_73:                             ;   in Loop: Header=BB149_12 Depth=1
	global_load_b32 v111, v[18:19], off offset:1920
.LBB149_74:                             ;   in Loop: Header=BB149_12 Depth=1
	s_or_b32 exec_lo, exec_lo, s28
	s_waitcnt vmcnt(0)
	ds_store_b32 v54, v20
	ds_store_b32 v55, v22 offset:128
	ds_store_b32 v56, v21 offset:256
	;; [unrolled: 1-line block ×15, first 2 shown]
	; wave barrier
	ds_load_2addr_b32 v[32:33], v70 offset1:1
	ds_load_2addr_b32 v[30:31], v70 offset0:2 offset1:3
	ds_load_2addr_b32 v[28:29], v70 offset0:4 offset1:5
	ds_load_2addr_b32 v[26:27], v70 offset0:6 offset1:7
	ds_load_2addr_b32 v[24:25], v70 offset0:8 offset1:9
	ds_load_2addr_b32 v[22:23], v70 offset0:10 offset1:11
	ds_load_2addr_b32 v[20:21], v70 offset0:12 offset1:13
	ds_load_2addr_b32 v[18:19], v70 offset0:14 offset1:15
	s_waitcnt lgkmcnt(7)
	v_add_f32_e32 v111, s84, v32
	s_delay_alu instid0(VALU_DEP_1) | instskip(SKIP_1) | instid1(SALU_CYCLE_1)
	v_cmp_ge_f32_e32 vcc_lo, 0x41a00000, v111
	s_and_b32 s28, s89, vcc_lo
	s_and_saveexec_b32 s29, s28
	s_cbranch_execz .LBB149_76
; %bb.75:                               ;   in Loop: Header=BB149_12 Depth=1
	v_mul_f32_e32 v32, 0x3fb8aa3b, v111
	v_cmp_ngt_f32_e32 vcc_lo, 0xc2ce8ed0, v111
	s_delay_alu instid0(VALU_DEP_2) | instskip(SKIP_1) | instid1(VALU_DEP_2)
	v_rndne_f32_e32 v35, v32
	v_fma_f32 v112, 0x3fb8aa3b, v111, -v32
	v_sub_f32_e32 v32, v32, v35
	s_delay_alu instid0(VALU_DEP_2) | instskip(SKIP_1) | instid1(VALU_DEP_2)
	v_fmac_f32_e32 v112, 0x32a5705f, v111
	v_cvt_i32_f32_e32 v35, v35
	v_add_f32_e32 v32, v32, v112
	s_delay_alu instid0(VALU_DEP_1) | instskip(SKIP_2) | instid1(VALU_DEP_1)
	v_exp_f32_e32 v32, v32
	s_waitcnt_depctr 0xfff
	v_ldexp_f32 v32, v32, v35
	v_cndmask_b32_e32 v32, 0, v32, vcc_lo
	v_cmp_nlt_f32_e32 vcc_lo, 0x42b17218, v111
	s_delay_alu instid0(VALU_DEP_2) | instskip(NEXT) | instid1(VALU_DEP_1)
	v_cndmask_b32_e32 v32, 0x7f800000, v32, vcc_lo
	v_add_f32_e32 v35, 1.0, v32
	s_delay_alu instid0(VALU_DEP_1) | instskip(NEXT) | instid1(VALU_DEP_1)
	v_cvt_f64_f32_e32 v[111:112], v35
	v_frexp_exp_i32_f64_e32 v111, v[111:112]
	v_frexp_mant_f32_e32 v112, v35
	s_delay_alu instid0(VALU_DEP_1) | instskip(SKIP_1) | instid1(VALU_DEP_1)
	v_cmp_gt_f32_e32 vcc_lo, 0x3f2aaaab, v112
	v_add_f32_e32 v112, -1.0, v35
	v_sub_f32_e32 v114, v112, v35
	v_sub_f32_e32 v112, v32, v112
	s_delay_alu instid0(VALU_DEP_2) | instskip(NEXT) | instid1(VALU_DEP_1)
	v_add_f32_e32 v114, 1.0, v114
	v_add_f32_e32 v112, v112, v114
	v_subrev_co_ci_u32_e32 v111, vcc_lo, 0, v111, vcc_lo
	s_delay_alu instid0(VALU_DEP_1) | instskip(SKIP_1) | instid1(VALU_DEP_2)
	v_sub_nc_u32_e32 v113, 0, v111
	v_cvt_f32_i32_e32 v111, v111
	v_ldexp_f32 v35, v35, v113
	v_ldexp_f32 v112, v112, v113
	s_delay_alu instid0(VALU_DEP_2) | instskip(SKIP_1) | instid1(VALU_DEP_2)
	v_add_f32_e32 v115, 1.0, v35
	v_add_f32_e32 v113, -1.0, v35
	v_add_f32_e32 v114, -1.0, v115
	s_delay_alu instid0(VALU_DEP_2) | instskip(NEXT) | instid1(VALU_DEP_2)
	v_add_f32_e32 v116, 1.0, v113
	v_sub_f32_e32 v114, v35, v114
	s_delay_alu instid0(VALU_DEP_1) | instskip(NEXT) | instid1(VALU_DEP_1)
	v_dual_sub_f32 v35, v35, v116 :: v_dual_add_f32 v114, v112, v114
	v_add_f32_e32 v35, v112, v35
	v_cmp_eq_f32_e32 vcc_lo, 0x7f800000, v32
	v_cmp_gt_f32_e64 s28, 0x33800000, v32
	s_delay_alu instid0(VALU_DEP_3) | instskip(NEXT) | instid1(VALU_DEP_2)
	v_dual_add_f32 v116, v115, v114 :: v_dual_add_f32 v117, v113, v35
	s_or_b32 vcc_lo, s28, vcc_lo
	s_delay_alu instid0(VALU_DEP_1) | instskip(NEXT) | instid1(VALU_DEP_1)
	v_rcp_f32_e32 v112, v116
	v_sub_f32_e32 v113, v113, v117
	v_sub_f32_e32 v115, v115, v116
	s_delay_alu instid0(VALU_DEP_1) | instskip(SKIP_2) | instid1(VALU_DEP_1)
	v_dual_add_f32 v35, v35, v113 :: v_dual_add_f32 v114, v114, v115
	s_waitcnt_depctr 0xfff
	v_mul_f32_e32 v118, v117, v112
	v_mul_f32_e32 v119, v116, v118
	s_delay_alu instid0(VALU_DEP_1) | instskip(NEXT) | instid1(VALU_DEP_1)
	v_fma_f32 v115, v118, v116, -v119
	v_fmac_f32_e32 v115, v118, v114
	s_delay_alu instid0(VALU_DEP_1) | instskip(NEXT) | instid1(VALU_DEP_1)
	v_add_f32_e32 v120, v119, v115
	v_sub_f32_e32 v121, v117, v120
	v_sub_f32_e32 v113, v120, v119
	s_delay_alu instid0(VALU_DEP_2) | instskip(NEXT) | instid1(VALU_DEP_2)
	v_sub_f32_e32 v117, v117, v121
	v_sub_f32_e32 v113, v113, v115
	s_delay_alu instid0(VALU_DEP_2) | instskip(NEXT) | instid1(VALU_DEP_1)
	v_sub_f32_e32 v117, v117, v120
	v_add_f32_e32 v35, v35, v117
	s_delay_alu instid0(VALU_DEP_1) | instskip(NEXT) | instid1(VALU_DEP_1)
	v_add_f32_e32 v35, v113, v35
	v_add_f32_e32 v113, v121, v35
	s_delay_alu instid0(VALU_DEP_1) | instskip(NEXT) | instid1(VALU_DEP_1)
	v_mul_f32_e32 v115, v112, v113
	v_dual_sub_f32 v120, v121, v113 :: v_dual_mul_f32 v117, v116, v115
	s_delay_alu instid0(VALU_DEP_1) | instskip(NEXT) | instid1(VALU_DEP_1)
	v_fma_f32 v116, v115, v116, -v117
	v_fmac_f32_e32 v116, v115, v114
	s_delay_alu instid0(VALU_DEP_3) | instskip(NEXT) | instid1(VALU_DEP_2)
	v_add_f32_e32 v35, v35, v120
	v_add_f32_e32 v114, v117, v116
	s_delay_alu instid0(VALU_DEP_1) | instskip(NEXT) | instid1(VALU_DEP_1)
	v_sub_f32_e32 v119, v113, v114
	v_sub_f32_e32 v113, v113, v119
	s_delay_alu instid0(VALU_DEP_1) | instskip(NEXT) | instid1(VALU_DEP_1)
	v_sub_f32_e32 v113, v113, v114
	v_add_f32_e32 v35, v35, v113
	v_add_f32_e32 v113, v118, v115
	v_sub_f32_e32 v117, v114, v117
	s_delay_alu instid0(VALU_DEP_1) | instskip(NEXT) | instid1(VALU_DEP_1)
	v_sub_f32_e32 v114, v117, v116
	v_dual_add_f32 v35, v114, v35 :: v_dual_sub_f32 v114, v113, v118
	s_delay_alu instid0(VALU_DEP_1) | instskip(NEXT) | instid1(VALU_DEP_1)
	v_add_f32_e32 v35, v119, v35
	v_dual_sub_f32 v114, v115, v114 :: v_dual_mul_f32 v35, v112, v35
	s_delay_alu instid0(VALU_DEP_1) | instskip(NEXT) | instid1(VALU_DEP_1)
	v_add_f32_e32 v35, v114, v35
	v_add_f32_e32 v112, v113, v35
	s_delay_alu instid0(VALU_DEP_1) | instskip(NEXT) | instid1(VALU_DEP_1)
	v_mul_f32_e32 v114, v112, v112
	v_fmaak_f32 v115, s74, v114, 0x3ecc95a3
	v_mul_f32_e32 v116, v112, v114
	s_delay_alu instid0(VALU_DEP_2) | instskip(SKIP_2) | instid1(VALU_DEP_3)
	v_fmaak_f32 v114, v114, v115, 0x3f2aaada
	v_ldexp_f32 v115, v112, 1
	v_sub_f32_e32 v112, v112, v113
	v_mul_f32_e32 v114, v116, v114
	s_delay_alu instid0(VALU_DEP_1) | instskip(NEXT) | instid1(VALU_DEP_1)
	v_dual_mul_f32 v116, 0x3f317218, v111 :: v_dual_add_f32 v113, v115, v114
	v_dual_sub_f32 v35, v35, v112 :: v_dual_sub_f32 v112, v113, v115
	s_delay_alu instid0(VALU_DEP_1) | instskip(NEXT) | instid1(VALU_DEP_3)
	v_ldexp_f32 v35, v35, 1
	v_fma_f32 v115, 0x3f317218, v111, -v116
	s_delay_alu instid0(VALU_DEP_3) | instskip(NEXT) | instid1(VALU_DEP_1)
	v_sub_f32_e32 v112, v114, v112
	v_add_f32_e32 v35, v35, v112
	s_delay_alu instid0(VALU_DEP_1) | instskip(NEXT) | instid1(VALU_DEP_4)
	v_add_f32_e32 v112, v113, v35
	v_fmac_f32_e32 v115, 0xb102e308, v111
	s_delay_alu instid0(VALU_DEP_1) | instskip(NEXT) | instid1(VALU_DEP_1)
	v_add_f32_e32 v111, v116, v115
	v_add_f32_e32 v114, v111, v112
	v_dual_sub_f32 v116, v111, v116 :: v_dual_sub_f32 v113, v112, v113
	s_delay_alu instid0(VALU_DEP_2) | instskip(NEXT) | instid1(VALU_DEP_1)
	v_sub_f32_e32 v117, v114, v111
	v_dual_sub_f32 v115, v115, v116 :: v_dual_sub_f32 v112, v112, v117
	v_sub_f32_e32 v118, v114, v117
	s_delay_alu instid0(VALU_DEP_4) | instskip(NEXT) | instid1(VALU_DEP_2)
	v_sub_f32_e32 v35, v35, v113
	v_sub_f32_e32 v111, v111, v118
	s_delay_alu instid0(VALU_DEP_2) | instskip(NEXT) | instid1(VALU_DEP_2)
	v_add_f32_e32 v113, v115, v35
	v_add_f32_e32 v111, v112, v111
	s_delay_alu instid0(VALU_DEP_2) | instskip(NEXT) | instid1(VALU_DEP_2)
	v_sub_f32_e32 v112, v113, v115
	v_add_f32_e32 v111, v113, v111
	s_delay_alu instid0(VALU_DEP_2) | instskip(NEXT) | instid1(VALU_DEP_2)
	v_sub_f32_e32 v113, v113, v112
	v_dual_sub_f32 v35, v35, v112 :: v_dual_add_f32 v116, v114, v111
	s_delay_alu instid0(VALU_DEP_1) | instskip(NEXT) | instid1(VALU_DEP_1)
	v_dual_sub_f32 v113, v115, v113 :: v_dual_sub_f32 v112, v116, v114
	v_add_f32_e32 v35, v35, v113
	s_delay_alu instid0(VALU_DEP_2) | instskip(NEXT) | instid1(VALU_DEP_1)
	v_sub_f32_e32 v111, v111, v112
	v_add_f32_e32 v35, v35, v111
	s_delay_alu instid0(VALU_DEP_1) | instskip(NEXT) | instid1(VALU_DEP_1)
	v_add_f32_e32 v35, v116, v35
	v_cndmask_b32_e32 v111, v35, v32, vcc_lo
.LBB149_76:                             ;   in Loop: Header=BB149_12 Depth=1
	s_or_b32 exec_lo, exec_lo, s29
	v_add_f32_e32 v112, s84, v33
	s_delay_alu instid0(VALU_DEP_1) | instskip(SKIP_1) | instid1(SALU_CYCLE_1)
	v_cmp_ge_f32_e32 vcc_lo, 0x41a00000, v112
	s_and_b32 s28, s89, vcc_lo
	s_and_saveexec_b32 s29, s28
	s_cbranch_execz .LBB149_78
; %bb.77:                               ;   in Loop: Header=BB149_12 Depth=1
	v_mul_f32_e32 v32, 0x3fb8aa3b, v112
	v_cmp_ngt_f32_e32 vcc_lo, 0xc2ce8ed0, v112
	s_delay_alu instid0(VALU_DEP_2) | instskip(SKIP_1) | instid1(VALU_DEP_1)
	v_rndne_f32_e32 v33, v32
	v_fma_f32 v35, 0x3fb8aa3b, v112, -v32
	v_dual_sub_f32 v32, v32, v33 :: v_dual_fmac_f32 v35, 0x32a5705f, v112
	v_cvt_i32_f32_e32 v33, v33
	s_delay_alu instid0(VALU_DEP_2) | instskip(NEXT) | instid1(VALU_DEP_1)
	v_add_f32_e32 v32, v32, v35
	v_exp_f32_e32 v32, v32
	s_waitcnt_depctr 0xfff
	v_ldexp_f32 v32, v32, v33
	s_delay_alu instid0(VALU_DEP_1) | instskip(SKIP_1) | instid1(VALU_DEP_2)
	v_cndmask_b32_e32 v32, 0, v32, vcc_lo
	v_cmp_nlt_f32_e32 vcc_lo, 0x42b17218, v112
	v_cndmask_b32_e32 v35, 0x7f800000, v32, vcc_lo
	s_delay_alu instid0(VALU_DEP_1) | instskip(NEXT) | instid1(VALU_DEP_1)
	v_add_f32_e32 v112, 1.0, v35
	v_cvt_f64_f32_e32 v[32:33], v112
	s_delay_alu instid0(VALU_DEP_1) | instskip(SKIP_1) | instid1(VALU_DEP_1)
	v_frexp_exp_i32_f64_e32 v32, v[32:33]
	v_frexp_mant_f32_e32 v33, v112
	v_cmp_gt_f32_e32 vcc_lo, 0x3f2aaaab, v33
	v_add_f32_e32 v33, -1.0, v112
	s_delay_alu instid0(VALU_DEP_1) | instskip(NEXT) | instid1(VALU_DEP_1)
	v_sub_f32_e32 v114, v33, v112
	v_dual_add_f32 v114, 1.0, v114 :: v_dual_sub_f32 v33, v35, v33
	v_cmp_gt_f32_e64 s28, 0x33800000, v35
	s_delay_alu instid0(VALU_DEP_2) | instskip(SKIP_2) | instid1(VALU_DEP_2)
	v_add_f32_e32 v33, v33, v114
	v_subrev_co_ci_u32_e32 v32, vcc_lo, 0, v32, vcc_lo
	v_cmp_eq_f32_e32 vcc_lo, 0x7f800000, v35
	v_sub_nc_u32_e32 v113, 0, v32
	v_cvt_f32_i32_e32 v32, v32
	s_or_b32 vcc_lo, s28, vcc_lo
	s_delay_alu instid0(VALU_DEP_2) | instskip(SKIP_1) | instid1(VALU_DEP_2)
	v_ldexp_f32 v112, v112, v113
	v_ldexp_f32 v33, v33, v113
	v_add_f32_e32 v115, 1.0, v112
	s_delay_alu instid0(VALU_DEP_1) | instskip(NEXT) | instid1(VALU_DEP_1)
	v_dual_add_f32 v113, -1.0, v112 :: v_dual_add_f32 v114, -1.0, v115
	v_add_f32_e32 v116, 1.0, v113
	s_delay_alu instid0(VALU_DEP_2) | instskip(NEXT) | instid1(VALU_DEP_2)
	v_sub_f32_e32 v114, v112, v114
	v_sub_f32_e32 v112, v112, v116
	s_delay_alu instid0(VALU_DEP_2) | instskip(NEXT) | instid1(VALU_DEP_2)
	v_add_f32_e32 v114, v33, v114
	v_add_f32_e32 v33, v33, v112
	s_delay_alu instid0(VALU_DEP_1) | instskip(NEXT) | instid1(VALU_DEP_1)
	v_dual_add_f32 v117, v113, v33 :: v_dual_add_f32 v116, v115, v114
	v_sub_f32_e32 v113, v113, v117
	s_delay_alu instid0(VALU_DEP_2) | instskip(SKIP_1) | instid1(VALU_DEP_1)
	v_rcp_f32_e32 v112, v116
	v_sub_f32_e32 v115, v115, v116
	v_dual_add_f32 v114, v114, v115 :: v_dual_add_f32 v33, v33, v113
	s_waitcnt_depctr 0xfff
	v_mul_f32_e32 v118, v117, v112
	s_delay_alu instid0(VALU_DEP_1) | instskip(NEXT) | instid1(VALU_DEP_1)
	v_mul_f32_e32 v119, v116, v118
	v_fma_f32 v115, v118, v116, -v119
	s_delay_alu instid0(VALU_DEP_1) | instskip(NEXT) | instid1(VALU_DEP_1)
	v_fmac_f32_e32 v115, v118, v114
	v_add_f32_e32 v120, v119, v115
	s_delay_alu instid0(VALU_DEP_1) | instskip(NEXT) | instid1(VALU_DEP_1)
	v_sub_f32_e32 v121, v117, v120
	v_sub_f32_e32 v117, v117, v121
	;; [unrolled: 1-line block ×3, first 2 shown]
	s_delay_alu instid0(VALU_DEP_2) | instskip(NEXT) | instid1(VALU_DEP_2)
	v_sub_f32_e32 v117, v117, v120
	v_sub_f32_e32 v113, v113, v115
	s_delay_alu instid0(VALU_DEP_2) | instskip(NEXT) | instid1(VALU_DEP_1)
	v_add_f32_e32 v33, v33, v117
	v_add_f32_e32 v33, v113, v33
	s_delay_alu instid0(VALU_DEP_1) | instskip(NEXT) | instid1(VALU_DEP_1)
	v_add_f32_e32 v113, v121, v33
	v_mul_f32_e32 v115, v112, v113
	s_delay_alu instid0(VALU_DEP_1) | instskip(NEXT) | instid1(VALU_DEP_1)
	v_dual_sub_f32 v120, v121, v113 :: v_dual_mul_f32 v117, v116, v115
	v_add_f32_e32 v33, v33, v120
	s_delay_alu instid0(VALU_DEP_2) | instskip(NEXT) | instid1(VALU_DEP_1)
	v_fma_f32 v116, v115, v116, -v117
	v_fmac_f32_e32 v116, v115, v114
	s_delay_alu instid0(VALU_DEP_1) | instskip(NEXT) | instid1(VALU_DEP_1)
	v_add_f32_e32 v114, v117, v116
	v_sub_f32_e32 v119, v113, v114
	s_delay_alu instid0(VALU_DEP_1) | instskip(NEXT) | instid1(VALU_DEP_1)
	v_sub_f32_e32 v113, v113, v119
	v_sub_f32_e32 v113, v113, v114
	s_delay_alu instid0(VALU_DEP_1) | instskip(SKIP_2) | instid1(VALU_DEP_1)
	v_add_f32_e32 v33, v33, v113
	v_add_f32_e32 v113, v118, v115
	v_sub_f32_e32 v117, v114, v117
	v_sub_f32_e32 v114, v117, v116
	s_delay_alu instid0(VALU_DEP_1) | instskip(NEXT) | instid1(VALU_DEP_1)
	v_dual_add_f32 v33, v114, v33 :: v_dual_sub_f32 v114, v113, v118
	v_add_f32_e32 v33, v119, v33
	s_delay_alu instid0(VALU_DEP_1) | instskip(NEXT) | instid1(VALU_DEP_1)
	v_dual_sub_f32 v114, v115, v114 :: v_dual_mul_f32 v33, v112, v33
	v_add_f32_e32 v33, v114, v33
	s_delay_alu instid0(VALU_DEP_1) | instskip(NEXT) | instid1(VALU_DEP_1)
	v_add_f32_e32 v112, v113, v33
	v_mul_f32_e32 v114, v112, v112
	s_delay_alu instid0(VALU_DEP_1) | instskip(SKIP_1) | instid1(VALU_DEP_2)
	v_fmaak_f32 v115, s74, v114, 0x3ecc95a3
	v_mul_f32_e32 v116, v112, v114
	v_fmaak_f32 v114, v114, v115, 0x3f2aaada
	v_ldexp_f32 v115, v112, 1
	v_sub_f32_e32 v112, v112, v113
	s_delay_alu instid0(VALU_DEP_3) | instskip(SKIP_1) | instid1(VALU_DEP_3)
	v_mul_f32_e32 v114, v116, v114
	v_mul_f32_e32 v116, 0x3f317218, v32
	v_sub_f32_e32 v33, v33, v112
	s_delay_alu instid0(VALU_DEP_3) | instskip(NEXT) | instid1(VALU_DEP_2)
	v_add_f32_e32 v113, v115, v114
	v_ldexp_f32 v33, v33, 1
	s_delay_alu instid0(VALU_DEP_2) | instskip(SKIP_1) | instid1(VALU_DEP_2)
	v_sub_f32_e32 v112, v113, v115
	v_fma_f32 v115, 0x3f317218, v32, -v116
	v_sub_f32_e32 v112, v114, v112
	s_delay_alu instid0(VALU_DEP_2) | instskip(NEXT) | instid1(VALU_DEP_1)
	v_fmac_f32_e32 v115, 0xb102e308, v32
	v_dual_add_f32 v32, v33, v112 :: v_dual_add_f32 v33, v116, v115
	s_delay_alu instid0(VALU_DEP_1) | instskip(NEXT) | instid1(VALU_DEP_2)
	v_add_f32_e32 v112, v113, v32
	v_sub_f32_e32 v116, v33, v116
	s_delay_alu instid0(VALU_DEP_2) | instskip(NEXT) | instid1(VALU_DEP_1)
	v_dual_add_f32 v114, v33, v112 :: v_dual_sub_f32 v113, v112, v113
	v_sub_f32_e32 v117, v114, v33
	s_delay_alu instid0(VALU_DEP_2) | instskip(NEXT) | instid1(VALU_DEP_2)
	v_sub_f32_e32 v32, v32, v113
	v_sub_f32_e32 v118, v114, v117
	v_dual_sub_f32 v112, v112, v117 :: v_dual_sub_f32 v115, v115, v116
	s_delay_alu instid0(VALU_DEP_2) | instskip(NEXT) | instid1(VALU_DEP_2)
	v_sub_f32_e32 v33, v33, v118
	v_add_f32_e32 v113, v115, v32
	s_delay_alu instid0(VALU_DEP_2) | instskip(NEXT) | instid1(VALU_DEP_1)
	v_add_f32_e32 v33, v112, v33
	v_add_f32_e32 v33, v113, v33
	s_delay_alu instid0(VALU_DEP_1) | instskip(SKIP_1) | instid1(VALU_DEP_1)
	v_add_f32_e32 v116, v114, v33
	v_sub_f32_e32 v112, v113, v115
	v_sub_f32_e32 v113, v113, v112
	v_sub_f32_e32 v32, v32, v112
	s_delay_alu instid0(VALU_DEP_2) | instskip(NEXT) | instid1(VALU_DEP_1)
	v_dual_sub_f32 v112, v116, v114 :: v_dual_sub_f32 v113, v115, v113
	v_dual_sub_f32 v33, v33, v112 :: v_dual_add_f32 v32, v32, v113
	s_delay_alu instid0(VALU_DEP_1) | instskip(NEXT) | instid1(VALU_DEP_1)
	v_add_f32_e32 v32, v32, v33
	v_add_f32_e32 v32, v116, v32
	s_delay_alu instid0(VALU_DEP_1)
	v_cndmask_b32_e32 v112, v32, v35, vcc_lo
.LBB149_78:                             ;   in Loop: Header=BB149_12 Depth=1
	s_or_b32 exec_lo, exec_lo, s29
	s_waitcnt lgkmcnt(6)
	v_add_f32_e32 v113, s84, v30
	s_delay_alu instid0(VALU_DEP_1) | instskip(SKIP_1) | instid1(SALU_CYCLE_1)
	v_cmp_ge_f32_e32 vcc_lo, 0x41a00000, v113
	s_and_b32 s28, s89, vcc_lo
	s_and_saveexec_b32 s29, s28
	s_cbranch_execz .LBB149_80
; %bb.79:                               ;   in Loop: Header=BB149_12 Depth=1
	v_mul_f32_e32 v30, 0x3fb8aa3b, v113
	v_cmp_ngt_f32_e32 vcc_lo, 0xc2ce8ed0, v113
	s_delay_alu instid0(VALU_DEP_2) | instskip(SKIP_1) | instid1(VALU_DEP_1)
	v_rndne_f32_e32 v32, v30
	v_fma_f32 v33, 0x3fb8aa3b, v113, -v30
	v_dual_sub_f32 v30, v30, v32 :: v_dual_fmac_f32 v33, 0x32a5705f, v113
	v_cvt_i32_f32_e32 v32, v32
	s_delay_alu instid0(VALU_DEP_2) | instskip(NEXT) | instid1(VALU_DEP_1)
	v_add_f32_e32 v30, v30, v33
	v_exp_f32_e32 v30, v30
	s_waitcnt_depctr 0xfff
	v_ldexp_f32 v30, v30, v32
	s_delay_alu instid0(VALU_DEP_1) | instskip(SKIP_1) | instid1(VALU_DEP_2)
	v_cndmask_b32_e32 v30, 0, v30, vcc_lo
	v_cmp_nlt_f32_e32 vcc_lo, 0x42b17218, v113
	v_cndmask_b32_e32 v30, 0x7f800000, v30, vcc_lo
	s_delay_alu instid0(VALU_DEP_1) | instskip(NEXT) | instid1(VALU_DEP_1)
	v_add_f32_e32 v35, 1.0, v30
	v_cvt_f64_f32_e32 v[32:33], v35
	s_delay_alu instid0(VALU_DEP_1) | instskip(SKIP_1) | instid1(VALU_DEP_1)
	v_frexp_exp_i32_f64_e32 v32, v[32:33]
	v_frexp_mant_f32_e32 v33, v35
	v_cmp_gt_f32_e32 vcc_lo, 0x3f2aaaab, v33
	v_add_f32_e32 v33, -1.0, v35
	s_delay_alu instid0(VALU_DEP_1) | instskip(NEXT) | instid1(VALU_DEP_1)
	v_dual_sub_f32 v114, v33, v35 :: v_dual_sub_f32 v33, v30, v33
	v_add_f32_e32 v114, 1.0, v114
	s_delay_alu instid0(VALU_DEP_1) | instskip(SKIP_1) | instid1(VALU_DEP_1)
	v_add_f32_e32 v33, v33, v114
	v_subrev_co_ci_u32_e32 v32, vcc_lo, 0, v32, vcc_lo
	v_sub_nc_u32_e32 v113, 0, v32
	v_cvt_f32_i32_e32 v32, v32
	s_delay_alu instid0(VALU_DEP_2) | instskip(SKIP_1) | instid1(VALU_DEP_2)
	v_ldexp_f32 v35, v35, v113
	v_ldexp_f32 v33, v33, v113
	v_add_f32_e32 v115, 1.0, v35
	v_add_f32_e32 v113, -1.0, v35
	s_delay_alu instid0(VALU_DEP_2) | instskip(NEXT) | instid1(VALU_DEP_2)
	v_add_f32_e32 v114, -1.0, v115
	v_add_f32_e32 v116, 1.0, v113
	s_delay_alu instid0(VALU_DEP_2) | instskip(NEXT) | instid1(VALU_DEP_2)
	v_sub_f32_e32 v114, v35, v114
	v_sub_f32_e32 v35, v35, v116
	v_cmp_eq_f32_e32 vcc_lo, 0x7f800000, v30
	v_cmp_gt_f32_e64 s28, 0x33800000, v30
	s_delay_alu instid0(VALU_DEP_4) | instskip(NEXT) | instid1(VALU_DEP_4)
	v_add_f32_e32 v114, v33, v114
	v_add_f32_e32 v33, v33, v35
	s_delay_alu instid0(VALU_DEP_3) | instskip(NEXT) | instid1(VALU_DEP_1)
	s_or_b32 vcc_lo, s28, vcc_lo
	v_dual_add_f32 v117, v113, v33 :: v_dual_add_f32 v116, v115, v114
	s_delay_alu instid0(VALU_DEP_1) | instskip(NEXT) | instid1(VALU_DEP_2)
	v_sub_f32_e32 v113, v113, v117
	v_rcp_f32_e32 v35, v116
	v_sub_f32_e32 v115, v115, v116
	s_delay_alu instid0(VALU_DEP_1) | instskip(SKIP_2) | instid1(VALU_DEP_1)
	v_dual_add_f32 v33, v33, v113 :: v_dual_add_f32 v114, v114, v115
	s_waitcnt_depctr 0xfff
	v_mul_f32_e32 v118, v117, v35
	v_mul_f32_e32 v119, v116, v118
	s_delay_alu instid0(VALU_DEP_1) | instskip(NEXT) | instid1(VALU_DEP_1)
	v_fma_f32 v115, v118, v116, -v119
	v_fmac_f32_e32 v115, v118, v114
	s_delay_alu instid0(VALU_DEP_1) | instskip(NEXT) | instid1(VALU_DEP_1)
	v_add_f32_e32 v120, v119, v115
	v_sub_f32_e32 v121, v117, v120
	v_sub_f32_e32 v113, v120, v119
	s_delay_alu instid0(VALU_DEP_2) | instskip(NEXT) | instid1(VALU_DEP_2)
	v_sub_f32_e32 v117, v117, v121
	v_sub_f32_e32 v113, v113, v115
	s_delay_alu instid0(VALU_DEP_2) | instskip(NEXT) | instid1(VALU_DEP_1)
	v_sub_f32_e32 v117, v117, v120
	v_add_f32_e32 v33, v33, v117
	s_delay_alu instid0(VALU_DEP_1) | instskip(NEXT) | instid1(VALU_DEP_1)
	v_add_f32_e32 v33, v113, v33
	v_add_f32_e32 v113, v121, v33
	s_delay_alu instid0(VALU_DEP_1) | instskip(NEXT) | instid1(VALU_DEP_1)
	v_mul_f32_e32 v115, v35, v113
	v_dual_sub_f32 v120, v121, v113 :: v_dual_mul_f32 v117, v116, v115
	s_delay_alu instid0(VALU_DEP_1) | instskip(NEXT) | instid1(VALU_DEP_2)
	v_add_f32_e32 v33, v33, v120
	v_fma_f32 v116, v115, v116, -v117
	s_delay_alu instid0(VALU_DEP_1) | instskip(NEXT) | instid1(VALU_DEP_1)
	v_fmac_f32_e32 v116, v115, v114
	v_add_f32_e32 v114, v117, v116
	s_delay_alu instid0(VALU_DEP_1) | instskip(NEXT) | instid1(VALU_DEP_1)
	v_sub_f32_e32 v119, v113, v114
	v_sub_f32_e32 v113, v113, v119
	s_delay_alu instid0(VALU_DEP_1) | instskip(NEXT) | instid1(VALU_DEP_1)
	v_sub_f32_e32 v113, v113, v114
	v_add_f32_e32 v33, v33, v113
	v_add_f32_e32 v113, v118, v115
	v_sub_f32_e32 v117, v114, v117
	s_delay_alu instid0(VALU_DEP_1) | instskip(NEXT) | instid1(VALU_DEP_1)
	v_sub_f32_e32 v114, v117, v116
	v_dual_add_f32 v33, v114, v33 :: v_dual_sub_f32 v114, v113, v118
	s_delay_alu instid0(VALU_DEP_1) | instskip(NEXT) | instid1(VALU_DEP_2)
	v_add_f32_e32 v33, v119, v33
	v_sub_f32_e32 v114, v115, v114
	s_delay_alu instid0(VALU_DEP_2) | instskip(NEXT) | instid1(VALU_DEP_1)
	v_mul_f32_e32 v33, v35, v33
	v_add_f32_e32 v33, v114, v33
	s_delay_alu instid0(VALU_DEP_1) | instskip(NEXT) | instid1(VALU_DEP_1)
	v_add_f32_e32 v35, v113, v33
	v_mul_f32_e32 v114, v35, v35
	s_delay_alu instid0(VALU_DEP_1) | instskip(SKIP_1) | instid1(VALU_DEP_2)
	v_fmaak_f32 v115, s74, v114, 0x3ecc95a3
	v_mul_f32_e32 v116, v35, v114
	v_fmaak_f32 v114, v114, v115, 0x3f2aaada
	v_ldexp_f32 v115, v35, 1
	s_delay_alu instid0(VALU_DEP_2) | instskip(NEXT) | instid1(VALU_DEP_1)
	v_dual_sub_f32 v35, v35, v113 :: v_dual_mul_f32 v114, v116, v114
	v_dual_mul_f32 v116, 0x3f317218, v32 :: v_dual_sub_f32 v33, v33, v35
	s_delay_alu instid0(VALU_DEP_2) | instskip(NEXT) | instid1(VALU_DEP_2)
	v_add_f32_e32 v113, v115, v114
	v_ldexp_f32 v33, v33, 1
	s_delay_alu instid0(VALU_DEP_2) | instskip(NEXT) | instid1(VALU_DEP_4)
	v_sub_f32_e32 v35, v113, v115
	v_fma_f32 v115, 0x3f317218, v32, -v116
	s_delay_alu instid0(VALU_DEP_2) | instskip(NEXT) | instid1(VALU_DEP_1)
	v_sub_f32_e32 v35, v114, v35
	v_dual_fmac_f32 v115, 0xb102e308, v32 :: v_dual_add_f32 v32, v33, v35
	s_delay_alu instid0(VALU_DEP_1) | instskip(NEXT) | instid1(VALU_DEP_2)
	v_add_f32_e32 v33, v116, v115
	v_add_f32_e32 v35, v113, v32
	s_delay_alu instid0(VALU_DEP_2) | instskip(NEXT) | instid1(VALU_DEP_2)
	v_sub_f32_e32 v116, v33, v116
	v_dual_add_f32 v114, v33, v35 :: v_dual_sub_f32 v113, v35, v113
	s_delay_alu instid0(VALU_DEP_2) | instskip(NEXT) | instid1(VALU_DEP_2)
	v_sub_f32_e32 v115, v115, v116
	v_sub_f32_e32 v117, v114, v33
	s_delay_alu instid0(VALU_DEP_3) | instskip(NEXT) | instid1(VALU_DEP_2)
	v_sub_f32_e32 v32, v32, v113
	v_sub_f32_e32 v118, v114, v117
	v_sub_f32_e32 v35, v35, v117
	s_delay_alu instid0(VALU_DEP_3) | instskip(NEXT) | instid1(VALU_DEP_3)
	v_add_f32_e32 v113, v115, v32
	v_sub_f32_e32 v33, v33, v118
	s_delay_alu instid0(VALU_DEP_1) | instskip(NEXT) | instid1(VALU_DEP_3)
	v_add_f32_e32 v33, v35, v33
	v_sub_f32_e32 v35, v113, v115
	s_delay_alu instid0(VALU_DEP_2) | instskip(NEXT) | instid1(VALU_DEP_2)
	v_add_f32_e32 v33, v113, v33
	v_sub_f32_e32 v113, v113, v35
	v_sub_f32_e32 v32, v32, v35
	s_delay_alu instid0(VALU_DEP_3) | instskip(NEXT) | instid1(VALU_DEP_3)
	v_add_f32_e32 v116, v114, v33
	v_sub_f32_e32 v113, v115, v113
	s_delay_alu instid0(VALU_DEP_2) | instskip(NEXT) | instid1(VALU_DEP_1)
	v_sub_f32_e32 v35, v116, v114
	v_dual_add_f32 v32, v32, v113 :: v_dual_sub_f32 v33, v33, v35
	s_delay_alu instid0(VALU_DEP_1) | instskip(NEXT) | instid1(VALU_DEP_1)
	v_add_f32_e32 v32, v32, v33
	v_add_f32_e32 v32, v116, v32
	s_delay_alu instid0(VALU_DEP_1)
	v_cndmask_b32_e32 v113, v32, v30, vcc_lo
.LBB149_80:                             ;   in Loop: Header=BB149_12 Depth=1
	s_or_b32 exec_lo, exec_lo, s29
	v_add_f32_e32 v114, s84, v31
	s_delay_alu instid0(VALU_DEP_1) | instskip(SKIP_1) | instid1(SALU_CYCLE_1)
	v_cmp_ge_f32_e32 vcc_lo, 0x41a00000, v114
	s_and_b32 s28, s89, vcc_lo
	s_and_saveexec_b32 s29, s28
	s_cbranch_execz .LBB149_82
; %bb.81:                               ;   in Loop: Header=BB149_12 Depth=1
	v_mul_f32_e32 v30, 0x3fb8aa3b, v114
	v_cmp_ngt_f32_e32 vcc_lo, 0xc2ce8ed0, v114
	s_delay_alu instid0(VALU_DEP_2) | instskip(SKIP_1) | instid1(VALU_DEP_2)
	v_rndne_f32_e32 v31, v30
	v_fma_f32 v32, 0x3fb8aa3b, v114, -v30
	v_sub_f32_e32 v30, v30, v31
	s_delay_alu instid0(VALU_DEP_2) | instskip(SKIP_1) | instid1(VALU_DEP_2)
	v_fmac_f32_e32 v32, 0x32a5705f, v114
	v_cvt_i32_f32_e32 v31, v31
	v_add_f32_e32 v30, v30, v32
	s_delay_alu instid0(VALU_DEP_1) | instskip(SKIP_2) | instid1(VALU_DEP_1)
	v_exp_f32_e32 v30, v30
	s_waitcnt_depctr 0xfff
	v_ldexp_f32 v30, v30, v31
	v_cndmask_b32_e32 v30, 0, v30, vcc_lo
	v_cmp_nlt_f32_e32 vcc_lo, 0x42b17218, v114
	s_delay_alu instid0(VALU_DEP_2) | instskip(NEXT) | instid1(VALU_DEP_1)
	v_cndmask_b32_e32 v32, 0x7f800000, v30, vcc_lo
	v_add_f32_e32 v33, 1.0, v32
	s_delay_alu instid0(VALU_DEP_1) | instskip(NEXT) | instid1(VALU_DEP_1)
	v_cvt_f64_f32_e32 v[30:31], v33
	v_frexp_exp_i32_f64_e32 v30, v[30:31]
	v_frexp_mant_f32_e32 v31, v33
	s_delay_alu instid0(VALU_DEP_1) | instskip(SKIP_1) | instid1(VALU_DEP_1)
	v_cmp_gt_f32_e32 vcc_lo, 0x3f2aaaab, v31
	v_add_f32_e32 v31, -1.0, v33
	v_dual_sub_f32 v114, v31, v33 :: v_dual_sub_f32 v31, v32, v31
	s_delay_alu instid0(VALU_DEP_1) | instskip(SKIP_1) | instid1(VALU_DEP_1)
	v_add_f32_e32 v114, 1.0, v114
	v_subrev_co_ci_u32_e32 v30, vcc_lo, 0, v30, vcc_lo
	v_sub_nc_u32_e32 v35, 0, v30
	v_cvt_f32_i32_e32 v30, v30
	s_delay_alu instid0(VALU_DEP_2) | instskip(NEXT) | instid1(VALU_DEP_1)
	v_ldexp_f32 v33, v33, v35
	v_add_f32_e32 v115, 1.0, v33
	s_delay_alu instid0(VALU_DEP_1) | instskip(NEXT) | instid1(VALU_DEP_1)
	v_dual_add_f32 v31, v31, v114 :: v_dual_add_f32 v114, -1.0, v115
	v_ldexp_f32 v31, v31, v35
	s_delay_alu instid0(VALU_DEP_2) | instskip(NEXT) | instid1(VALU_DEP_1)
	v_dual_add_f32 v35, -1.0, v33 :: v_dual_sub_f32 v114, v33, v114
	v_add_f32_e32 v116, 1.0, v35
	s_delay_alu instid0(VALU_DEP_1) | instskip(SKIP_2) | instid1(VALU_DEP_3)
	v_dual_add_f32 v114, v31, v114 :: v_dual_sub_f32 v33, v33, v116
	v_cmp_eq_f32_e32 vcc_lo, 0x7f800000, v32
	v_cmp_gt_f32_e64 s28, 0x33800000, v32
	v_add_f32_e32 v31, v31, v33
	s_delay_alu instid0(VALU_DEP_2) | instskip(NEXT) | instid1(VALU_DEP_1)
	s_or_b32 vcc_lo, s28, vcc_lo
	v_add_f32_e32 v117, v35, v31
	v_add_f32_e32 v116, v115, v114
	s_delay_alu instid0(VALU_DEP_2) | instskip(NEXT) | instid1(VALU_DEP_2)
	v_sub_f32_e32 v35, v35, v117
	v_rcp_f32_e32 v33, v116
	v_sub_f32_e32 v115, v115, v116
	s_delay_alu instid0(VALU_DEP_2) | instskip(NEXT) | instid1(VALU_DEP_2)
	v_add_f32_e32 v31, v31, v35
	v_add_f32_e32 v114, v114, v115
	s_waitcnt_depctr 0xfff
	v_mul_f32_e32 v118, v117, v33
	s_delay_alu instid0(VALU_DEP_1) | instskip(NEXT) | instid1(VALU_DEP_1)
	v_mul_f32_e32 v119, v116, v118
	v_fma_f32 v115, v118, v116, -v119
	s_delay_alu instid0(VALU_DEP_1) | instskip(NEXT) | instid1(VALU_DEP_1)
	v_fmac_f32_e32 v115, v118, v114
	v_add_f32_e32 v120, v119, v115
	s_delay_alu instid0(VALU_DEP_1) | instskip(SKIP_1) | instid1(VALU_DEP_2)
	v_sub_f32_e32 v121, v117, v120
	v_sub_f32_e32 v35, v120, v119
	;; [unrolled: 1-line block ×3, first 2 shown]
	s_delay_alu instid0(VALU_DEP_2) | instskip(NEXT) | instid1(VALU_DEP_2)
	v_sub_f32_e32 v35, v35, v115
	v_sub_f32_e32 v117, v117, v120
	s_delay_alu instid0(VALU_DEP_1) | instskip(NEXT) | instid1(VALU_DEP_1)
	v_add_f32_e32 v31, v31, v117
	v_add_f32_e32 v31, v35, v31
	s_delay_alu instid0(VALU_DEP_1) | instskip(NEXT) | instid1(VALU_DEP_1)
	v_add_f32_e32 v35, v121, v31
	v_mul_f32_e32 v115, v33, v35
	v_sub_f32_e32 v120, v121, v35
	s_delay_alu instid0(VALU_DEP_2) | instskip(NEXT) | instid1(VALU_DEP_2)
	v_mul_f32_e32 v117, v116, v115
	v_add_f32_e32 v31, v31, v120
	s_delay_alu instid0(VALU_DEP_2) | instskip(NEXT) | instid1(VALU_DEP_1)
	v_fma_f32 v116, v115, v116, -v117
	v_fmac_f32_e32 v116, v115, v114
	s_delay_alu instid0(VALU_DEP_1) | instskip(NEXT) | instid1(VALU_DEP_1)
	v_add_f32_e32 v114, v117, v116
	v_sub_f32_e32 v119, v35, v114
	v_sub_f32_e32 v117, v114, v117
	s_delay_alu instid0(VALU_DEP_2) | instskip(NEXT) | instid1(VALU_DEP_1)
	v_sub_f32_e32 v35, v35, v119
	v_dual_sub_f32 v35, v35, v114 :: v_dual_sub_f32 v114, v117, v116
	s_delay_alu instid0(VALU_DEP_1) | instskip(SKIP_1) | instid1(VALU_DEP_1)
	v_add_f32_e32 v31, v31, v35
	v_add_f32_e32 v35, v118, v115
	v_dual_add_f32 v31, v114, v31 :: v_dual_sub_f32 v114, v35, v118
	s_delay_alu instid0(VALU_DEP_1) | instskip(NEXT) | instid1(VALU_DEP_1)
	v_add_f32_e32 v31, v119, v31
	v_dual_sub_f32 v114, v115, v114 :: v_dual_mul_f32 v31, v33, v31
	s_delay_alu instid0(VALU_DEP_1) | instskip(NEXT) | instid1(VALU_DEP_1)
	v_add_f32_e32 v31, v114, v31
	v_add_f32_e32 v33, v35, v31
	s_delay_alu instid0(VALU_DEP_1) | instskip(NEXT) | instid1(VALU_DEP_1)
	v_mul_f32_e32 v114, v33, v33
	v_fmaak_f32 v115, s74, v114, 0x3ecc95a3
	v_mul_f32_e32 v116, v33, v114
	s_delay_alu instid0(VALU_DEP_2) | instskip(SKIP_1) | instid1(VALU_DEP_2)
	v_fmaak_f32 v114, v114, v115, 0x3f2aaada
	v_ldexp_f32 v115, v33, 1
	v_mul_f32_e32 v114, v116, v114
	v_dual_mul_f32 v116, 0x3f317218, v30 :: v_dual_sub_f32 v33, v33, v35
	s_delay_alu instid0(VALU_DEP_2) | instskip(NEXT) | instid1(VALU_DEP_2)
	v_add_f32_e32 v35, v115, v114
	v_sub_f32_e32 v31, v31, v33
	s_delay_alu instid0(VALU_DEP_2) | instskip(NEXT) | instid1(VALU_DEP_4)
	v_sub_f32_e32 v33, v35, v115
	v_fma_f32 v115, 0x3f317218, v30, -v116
	s_delay_alu instid0(VALU_DEP_3) | instskip(NEXT) | instid1(VALU_DEP_3)
	v_ldexp_f32 v31, v31, 1
	v_sub_f32_e32 v33, v114, v33
	s_delay_alu instid0(VALU_DEP_1) | instskip(NEXT) | instid1(VALU_DEP_1)
	v_dual_fmac_f32 v115, 0xb102e308, v30 :: v_dual_add_f32 v30, v31, v33
	v_add_f32_e32 v31, v116, v115
	s_delay_alu instid0(VALU_DEP_2) | instskip(NEXT) | instid1(VALU_DEP_2)
	v_add_f32_e32 v33, v35, v30
	v_sub_f32_e32 v116, v31, v116
	s_delay_alu instid0(VALU_DEP_2) | instskip(NEXT) | instid1(VALU_DEP_2)
	v_dual_add_f32 v114, v31, v33 :: v_dual_sub_f32 v35, v33, v35
	v_sub_f32_e32 v115, v115, v116
	s_delay_alu instid0(VALU_DEP_2) | instskip(NEXT) | instid1(VALU_DEP_3)
	v_sub_f32_e32 v117, v114, v31
	v_sub_f32_e32 v30, v30, v35
	s_delay_alu instid0(VALU_DEP_2) | instskip(SKIP_1) | instid1(VALU_DEP_3)
	v_sub_f32_e32 v118, v114, v117
	v_sub_f32_e32 v33, v33, v117
	v_add_f32_e32 v35, v115, v30
	s_delay_alu instid0(VALU_DEP_3) | instskip(NEXT) | instid1(VALU_DEP_1)
	v_sub_f32_e32 v31, v31, v118
	v_add_f32_e32 v31, v33, v31
	s_delay_alu instid0(VALU_DEP_3) | instskip(NEXT) | instid1(VALU_DEP_2)
	v_sub_f32_e32 v33, v35, v115
	v_add_f32_e32 v31, v35, v31
	s_delay_alu instid0(VALU_DEP_2) | instskip(SKIP_1) | instid1(VALU_DEP_3)
	v_sub_f32_e32 v35, v35, v33
	v_sub_f32_e32 v30, v30, v33
	v_add_f32_e32 v116, v114, v31
	s_delay_alu instid0(VALU_DEP_3) | instskip(NEXT) | instid1(VALU_DEP_1)
	v_sub_f32_e32 v35, v115, v35
	v_dual_sub_f32 v33, v116, v114 :: v_dual_add_f32 v30, v30, v35
	s_delay_alu instid0(VALU_DEP_1) | instskip(NEXT) | instid1(VALU_DEP_1)
	v_sub_f32_e32 v31, v31, v33
	v_add_f32_e32 v30, v30, v31
	s_delay_alu instid0(VALU_DEP_1) | instskip(NEXT) | instid1(VALU_DEP_1)
	v_add_f32_e32 v30, v116, v30
	v_cndmask_b32_e32 v114, v30, v32, vcc_lo
.LBB149_82:                             ;   in Loop: Header=BB149_12 Depth=1
	s_or_b32 exec_lo, exec_lo, s29
	s_waitcnt lgkmcnt(5)
	v_add_f32_e32 v115, s84, v28
	s_delay_alu instid0(VALU_DEP_1) | instskip(SKIP_1) | instid1(SALU_CYCLE_1)
	v_cmp_ge_f32_e32 vcc_lo, 0x41a00000, v115
	s_and_b32 s28, s89, vcc_lo
	s_and_saveexec_b32 s29, s28
	s_cbranch_execz .LBB149_84
; %bb.83:                               ;   in Loop: Header=BB149_12 Depth=1
	v_mul_f32_e32 v28, 0x3fb8aa3b, v115
	v_cmp_ngt_f32_e32 vcc_lo, 0xc2ce8ed0, v115
	s_delay_alu instid0(VALU_DEP_2) | instskip(SKIP_1) | instid1(VALU_DEP_1)
	v_rndne_f32_e32 v30, v28
	v_fma_f32 v31, 0x3fb8aa3b, v115, -v28
	v_dual_sub_f32 v28, v28, v30 :: v_dual_fmac_f32 v31, 0x32a5705f, v115
	v_cvt_i32_f32_e32 v30, v30
	s_delay_alu instid0(VALU_DEP_2) | instskip(NEXT) | instid1(VALU_DEP_1)
	v_add_f32_e32 v28, v28, v31
	v_exp_f32_e32 v28, v28
	s_waitcnt_depctr 0xfff
	v_ldexp_f32 v28, v28, v30
	s_delay_alu instid0(VALU_DEP_1) | instskip(SKIP_1) | instid1(VALU_DEP_2)
	v_cndmask_b32_e32 v28, 0, v28, vcc_lo
	v_cmp_nlt_f32_e32 vcc_lo, 0x42b17218, v115
	v_cndmask_b32_e32 v28, 0x7f800000, v28, vcc_lo
	s_delay_alu instid0(VALU_DEP_1) | instskip(NEXT) | instid1(VALU_DEP_1)
	v_add_f32_e32 v32, 1.0, v28
	v_cvt_f64_f32_e32 v[30:31], v32
	s_delay_alu instid0(VALU_DEP_1) | instskip(SKIP_1) | instid1(VALU_DEP_1)
	v_frexp_exp_i32_f64_e32 v30, v[30:31]
	v_frexp_mant_f32_e32 v31, v32
	v_cmp_gt_f32_e32 vcc_lo, 0x3f2aaaab, v31
	v_add_f32_e32 v31, -1.0, v32
	s_delay_alu instid0(VALU_DEP_1) | instskip(SKIP_1) | instid1(VALU_DEP_2)
	v_sub_f32_e32 v35, v31, v32
	v_sub_f32_e32 v31, v28, v31
	v_add_f32_e32 v35, 1.0, v35
	s_delay_alu instid0(VALU_DEP_1) | instskip(SKIP_3) | instid1(VALU_DEP_2)
	v_add_f32_e32 v31, v31, v35
	v_cmp_gt_f32_e64 s28, 0x33800000, v28
	v_subrev_co_ci_u32_e32 v30, vcc_lo, 0, v30, vcc_lo
	v_cmp_eq_f32_e32 vcc_lo, 0x7f800000, v28
	v_sub_nc_u32_e32 v33, 0, v30
	v_cvt_f32_i32_e32 v30, v30
	s_or_b32 vcc_lo, s28, vcc_lo
	s_delay_alu instid0(VALU_DEP_2) | instskip(SKIP_1) | instid1(VALU_DEP_2)
	v_ldexp_f32 v32, v32, v33
	v_ldexp_f32 v31, v31, v33
	v_add_f32_e32 v33, -1.0, v32
	s_delay_alu instid0(VALU_DEP_1) | instskip(NEXT) | instid1(VALU_DEP_1)
	v_dual_add_f32 v115, 1.0, v32 :: v_dual_add_f32 v116, 1.0, v33
	v_add_f32_e32 v35, -1.0, v115
	s_delay_alu instid0(VALU_DEP_1) | instskip(NEXT) | instid1(VALU_DEP_1)
	v_sub_f32_e32 v35, v32, v35
	v_dual_sub_f32 v32, v32, v116 :: v_dual_add_f32 v35, v31, v35
	s_delay_alu instid0(VALU_DEP_1) | instskip(NEXT) | instid1(VALU_DEP_2)
	v_add_f32_e32 v31, v31, v32
	v_add_f32_e32 v116, v115, v35
	s_delay_alu instid0(VALU_DEP_2) | instskip(NEXT) | instid1(VALU_DEP_2)
	v_add_f32_e32 v117, v33, v31
	v_rcp_f32_e32 v32, v116
	v_sub_f32_e32 v115, v115, v116
	s_delay_alu instid0(VALU_DEP_2) | instskip(NEXT) | instid1(VALU_DEP_2)
	v_sub_f32_e32 v33, v33, v117
	v_add_f32_e32 v35, v35, v115
	s_waitcnt_depctr 0xfff
	v_dual_add_f32 v31, v31, v33 :: v_dual_mul_f32 v118, v117, v32
	s_delay_alu instid0(VALU_DEP_1) | instskip(NEXT) | instid1(VALU_DEP_1)
	v_mul_f32_e32 v119, v116, v118
	v_fma_f32 v115, v118, v116, -v119
	s_delay_alu instid0(VALU_DEP_1) | instskip(NEXT) | instid1(VALU_DEP_1)
	v_fmac_f32_e32 v115, v118, v35
	v_add_f32_e32 v120, v119, v115
	s_delay_alu instid0(VALU_DEP_1) | instskip(SKIP_1) | instid1(VALU_DEP_2)
	v_sub_f32_e32 v121, v117, v120
	v_sub_f32_e32 v33, v120, v119
	;; [unrolled: 1-line block ×3, first 2 shown]
	s_delay_alu instid0(VALU_DEP_2) | instskip(NEXT) | instid1(VALU_DEP_2)
	v_sub_f32_e32 v33, v33, v115
	v_sub_f32_e32 v117, v117, v120
	s_delay_alu instid0(VALU_DEP_1) | instskip(NEXT) | instid1(VALU_DEP_1)
	v_add_f32_e32 v31, v31, v117
	v_add_f32_e32 v31, v33, v31
	s_delay_alu instid0(VALU_DEP_1) | instskip(NEXT) | instid1(VALU_DEP_1)
	v_add_f32_e32 v33, v121, v31
	v_mul_f32_e32 v115, v32, v33
	s_delay_alu instid0(VALU_DEP_1) | instskip(NEXT) | instid1(VALU_DEP_1)
	v_dual_sub_f32 v120, v121, v33 :: v_dual_mul_f32 v117, v116, v115
	v_add_f32_e32 v31, v31, v120
	s_delay_alu instid0(VALU_DEP_2) | instskip(NEXT) | instid1(VALU_DEP_1)
	v_fma_f32 v116, v115, v116, -v117
	v_fmac_f32_e32 v116, v115, v35
	s_delay_alu instid0(VALU_DEP_1) | instskip(NEXT) | instid1(VALU_DEP_1)
	v_add_f32_e32 v35, v117, v116
	v_sub_f32_e32 v119, v33, v35
	v_sub_f32_e32 v117, v35, v117
	s_delay_alu instid0(VALU_DEP_2) | instskip(NEXT) | instid1(VALU_DEP_1)
	v_sub_f32_e32 v33, v33, v119
	v_sub_f32_e32 v33, v33, v35
	s_delay_alu instid0(VALU_DEP_3) | instskip(NEXT) | instid1(VALU_DEP_2)
	v_sub_f32_e32 v35, v117, v116
	v_add_f32_e32 v31, v31, v33
	v_add_f32_e32 v33, v118, v115
	s_delay_alu instid0(VALU_DEP_2) | instskip(NEXT) | instid1(VALU_DEP_2)
	v_add_f32_e32 v31, v35, v31
	v_sub_f32_e32 v35, v33, v118
	s_delay_alu instid0(VALU_DEP_2) | instskip(NEXT) | instid1(VALU_DEP_2)
	v_add_f32_e32 v31, v119, v31
	v_sub_f32_e32 v35, v115, v35
	s_delay_alu instid0(VALU_DEP_2) | instskip(NEXT) | instid1(VALU_DEP_1)
	v_mul_f32_e32 v31, v32, v31
	v_add_f32_e32 v31, v35, v31
	s_delay_alu instid0(VALU_DEP_1) | instskip(NEXT) | instid1(VALU_DEP_1)
	v_add_f32_e32 v32, v33, v31
	v_mul_f32_e32 v35, v32, v32
	s_delay_alu instid0(VALU_DEP_1) | instskip(SKIP_1) | instid1(VALU_DEP_2)
	v_fmaak_f32 v115, s74, v35, 0x3ecc95a3
	v_mul_f32_e32 v116, v32, v35
	v_fmaak_f32 v35, v35, v115, 0x3f2aaada
	v_ldexp_f32 v115, v32, 1
	v_sub_f32_e32 v32, v32, v33
	s_delay_alu instid0(VALU_DEP_3) | instskip(NEXT) | instid1(VALU_DEP_2)
	v_dual_mul_f32 v35, v116, v35 :: v_dual_mul_f32 v116, 0x3f317218, v30
	v_sub_f32_e32 v31, v31, v32
	s_delay_alu instid0(VALU_DEP_2) | instskip(NEXT) | instid1(VALU_DEP_2)
	v_add_f32_e32 v33, v115, v35
	v_ldexp_f32 v31, v31, 1
	s_delay_alu instid0(VALU_DEP_2) | instskip(SKIP_1) | instid1(VALU_DEP_1)
	v_sub_f32_e32 v32, v33, v115
	v_fma_f32 v115, 0x3f317218, v30, -v116
	v_dual_sub_f32 v32, v35, v32 :: v_dual_fmac_f32 v115, 0xb102e308, v30
	s_delay_alu instid0(VALU_DEP_1) | instskip(NEXT) | instid1(VALU_DEP_1)
	v_dual_add_f32 v30, v31, v32 :: v_dual_add_f32 v31, v116, v115
	v_add_f32_e32 v32, v33, v30
	s_delay_alu instid0(VALU_DEP_2) | instskip(NEXT) | instid1(VALU_DEP_2)
	v_sub_f32_e32 v116, v31, v116
	v_add_f32_e32 v35, v31, v32
	v_sub_f32_e32 v33, v32, v33
	s_delay_alu instid0(VALU_DEP_3) | instskip(NEXT) | instid1(VALU_DEP_2)
	v_sub_f32_e32 v115, v115, v116
	v_dual_sub_f32 v117, v35, v31 :: v_dual_sub_f32 v30, v30, v33
	s_delay_alu instid0(VALU_DEP_1) | instskip(NEXT) | instid1(VALU_DEP_2)
	v_sub_f32_e32 v118, v35, v117
	v_dual_sub_f32 v32, v32, v117 :: v_dual_add_f32 v33, v115, v30
	s_delay_alu instid0(VALU_DEP_2) | instskip(NEXT) | instid1(VALU_DEP_1)
	v_sub_f32_e32 v31, v31, v118
	v_add_f32_e32 v31, v32, v31
	s_delay_alu instid0(VALU_DEP_3) | instskip(NEXT) | instid1(VALU_DEP_2)
	v_sub_f32_e32 v32, v33, v115
	v_add_f32_e32 v31, v33, v31
	s_delay_alu instid0(VALU_DEP_2) | instskip(SKIP_1) | instid1(VALU_DEP_3)
	v_sub_f32_e32 v33, v33, v32
	v_sub_f32_e32 v30, v30, v32
	v_add_f32_e32 v116, v35, v31
	s_delay_alu instid0(VALU_DEP_1) | instskip(NEXT) | instid1(VALU_DEP_1)
	v_dual_sub_f32 v33, v115, v33 :: v_dual_sub_f32 v32, v116, v35
	v_dual_add_f32 v30, v30, v33 :: v_dual_sub_f32 v31, v31, v32
	s_delay_alu instid0(VALU_DEP_1) | instskip(NEXT) | instid1(VALU_DEP_1)
	v_add_f32_e32 v30, v30, v31
	v_add_f32_e32 v30, v116, v30
	s_delay_alu instid0(VALU_DEP_1)
	v_cndmask_b32_e32 v115, v30, v28, vcc_lo
.LBB149_84:                             ;   in Loop: Header=BB149_12 Depth=1
	s_or_b32 exec_lo, exec_lo, s29
	v_add_f32_e32 v116, s84, v29
	s_delay_alu instid0(VALU_DEP_1) | instskip(SKIP_1) | instid1(SALU_CYCLE_1)
	v_cmp_ge_f32_e32 vcc_lo, 0x41a00000, v116
	s_and_b32 s28, s89, vcc_lo
	s_and_saveexec_b32 s29, s28
	s_cbranch_execz .LBB149_86
; %bb.85:                               ;   in Loop: Header=BB149_12 Depth=1
	v_mul_f32_e32 v28, 0x3fb8aa3b, v116
	v_cmp_ngt_f32_e32 vcc_lo, 0xc2ce8ed0, v116
	s_delay_alu instid0(VALU_DEP_2) | instskip(SKIP_1) | instid1(VALU_DEP_2)
	v_rndne_f32_e32 v29, v28
	v_fma_f32 v30, 0x3fb8aa3b, v116, -v28
	v_sub_f32_e32 v28, v28, v29
	s_delay_alu instid0(VALU_DEP_2) | instskip(SKIP_1) | instid1(VALU_DEP_2)
	v_fmac_f32_e32 v30, 0x32a5705f, v116
	v_cvt_i32_f32_e32 v29, v29
	v_add_f32_e32 v28, v28, v30
	s_delay_alu instid0(VALU_DEP_1) | instskip(SKIP_2) | instid1(VALU_DEP_1)
	v_exp_f32_e32 v28, v28
	s_waitcnt_depctr 0xfff
	v_ldexp_f32 v28, v28, v29
	v_cndmask_b32_e32 v28, 0, v28, vcc_lo
	v_cmp_nlt_f32_e32 vcc_lo, 0x42b17218, v116
	s_delay_alu instid0(VALU_DEP_2) | instskip(NEXT) | instid1(VALU_DEP_1)
	v_cndmask_b32_e32 v30, 0x7f800000, v28, vcc_lo
	v_add_f32_e32 v31, 1.0, v30
	s_delay_alu instid0(VALU_DEP_1) | instskip(NEXT) | instid1(VALU_DEP_1)
	v_cvt_f64_f32_e32 v[28:29], v31
	v_frexp_exp_i32_f64_e32 v28, v[28:29]
	v_frexp_mant_f32_e32 v29, v31
	s_delay_alu instid0(VALU_DEP_1) | instskip(SKIP_1) | instid1(VALU_DEP_1)
	v_cmp_gt_f32_e32 vcc_lo, 0x3f2aaaab, v29
	v_add_f32_e32 v29, -1.0, v31
	v_sub_f32_e32 v33, v29, v31
	s_delay_alu instid0(VALU_DEP_1) | instskip(SKIP_1) | instid1(VALU_DEP_1)
	v_add_f32_e32 v33, 1.0, v33
	v_subrev_co_ci_u32_e32 v28, vcc_lo, 0, v28, vcc_lo
	v_sub_nc_u32_e32 v32, 0, v28
	v_cvt_f32_i32_e32 v28, v28
	s_delay_alu instid0(VALU_DEP_2) | instskip(NEXT) | instid1(VALU_DEP_1)
	v_ldexp_f32 v31, v31, v32
	v_add_f32_e32 v35, 1.0, v31
	v_sub_f32_e32 v29, v30, v29
	v_cmp_eq_f32_e32 vcc_lo, 0x7f800000, v30
	v_cmp_gt_f32_e64 s28, 0x33800000, v30
	s_delay_alu instid0(VALU_DEP_3) | instskip(NEXT) | instid1(VALU_DEP_2)
	v_add_f32_e32 v29, v29, v33
	s_or_b32 vcc_lo, s28, vcc_lo
	s_delay_alu instid0(VALU_DEP_1) | instskip(SKIP_1) | instid1(VALU_DEP_1)
	v_ldexp_f32 v29, v29, v32
	v_add_f32_e32 v32, -1.0, v31
	v_dual_add_f32 v33, -1.0, v35 :: v_dual_add_f32 v116, 1.0, v32
	s_delay_alu instid0(VALU_DEP_1) | instskip(NEXT) | instid1(VALU_DEP_2)
	v_sub_f32_e32 v33, v31, v33
	v_sub_f32_e32 v31, v31, v116
	s_delay_alu instid0(VALU_DEP_2) | instskip(NEXT) | instid1(VALU_DEP_1)
	v_add_f32_e32 v33, v29, v33
	v_dual_add_f32 v29, v29, v31 :: v_dual_add_f32 v116, v35, v33
	s_delay_alu instid0(VALU_DEP_1) | instskip(NEXT) | instid1(VALU_DEP_2)
	v_add_f32_e32 v117, v32, v29
	v_rcp_f32_e32 v31, v116
	s_delay_alu instid0(VALU_DEP_1) | instskip(SKIP_2) | instid1(VALU_DEP_1)
	v_sub_f32_e32 v32, v32, v117
	s_waitcnt_depctr 0xfff
	v_mul_f32_e32 v118, v117, v31
	v_mul_f32_e32 v119, v116, v118
	v_sub_f32_e32 v35, v35, v116
	s_delay_alu instid0(VALU_DEP_1) | instskip(NEXT) | instid1(VALU_DEP_3)
	v_add_f32_e32 v33, v33, v35
	v_fma_f32 v35, v118, v116, -v119
	v_add_f32_e32 v29, v29, v32
	s_delay_alu instid0(VALU_DEP_2) | instskip(NEXT) | instid1(VALU_DEP_1)
	v_fmac_f32_e32 v35, v118, v33
	v_add_f32_e32 v120, v119, v35
	s_delay_alu instid0(VALU_DEP_1) | instskip(NEXT) | instid1(VALU_DEP_1)
	v_dual_sub_f32 v32, v120, v119 :: v_dual_sub_f32 v121, v117, v120
	v_dual_sub_f32 v32, v32, v35 :: v_dual_sub_f32 v117, v117, v121
	s_delay_alu instid0(VALU_DEP_1) | instskip(NEXT) | instid1(VALU_DEP_1)
	v_sub_f32_e32 v117, v117, v120
	v_add_f32_e32 v29, v29, v117
	s_delay_alu instid0(VALU_DEP_1) | instskip(NEXT) | instid1(VALU_DEP_1)
	v_add_f32_e32 v29, v32, v29
	v_add_f32_e32 v32, v121, v29
	s_delay_alu instid0(VALU_DEP_1) | instskip(NEXT) | instid1(VALU_DEP_1)
	v_mul_f32_e32 v35, v31, v32
	v_dual_sub_f32 v120, v121, v32 :: v_dual_mul_f32 v117, v116, v35
	s_delay_alu instid0(VALU_DEP_1) | instskip(NEXT) | instid1(VALU_DEP_2)
	v_add_f32_e32 v29, v29, v120
	v_fma_f32 v116, v35, v116, -v117
	s_delay_alu instid0(VALU_DEP_1) | instskip(NEXT) | instid1(VALU_DEP_1)
	v_fmac_f32_e32 v116, v35, v33
	v_add_f32_e32 v33, v117, v116
	s_delay_alu instid0(VALU_DEP_1) | instskip(NEXT) | instid1(VALU_DEP_1)
	v_sub_f32_e32 v119, v32, v33
	v_dual_sub_f32 v117, v33, v117 :: v_dual_sub_f32 v32, v32, v119
	s_delay_alu instid0(VALU_DEP_1) | instskip(NEXT) | instid1(VALU_DEP_1)
	v_dual_sub_f32 v32, v32, v33 :: v_dual_sub_f32 v33, v117, v116
	v_dual_add_f32 v29, v29, v32 :: v_dual_add_f32 v32, v118, v35
	s_delay_alu instid0(VALU_DEP_1) | instskip(NEXT) | instid1(VALU_DEP_2)
	v_add_f32_e32 v29, v33, v29
	v_sub_f32_e32 v33, v32, v118
	s_delay_alu instid0(VALU_DEP_2) | instskip(NEXT) | instid1(VALU_DEP_2)
	v_add_f32_e32 v29, v119, v29
	v_sub_f32_e32 v33, v35, v33
	s_delay_alu instid0(VALU_DEP_2) | instskip(NEXT) | instid1(VALU_DEP_1)
	v_mul_f32_e32 v29, v31, v29
	v_add_f32_e32 v29, v33, v29
	s_delay_alu instid0(VALU_DEP_1) | instskip(NEXT) | instid1(VALU_DEP_1)
	v_add_f32_e32 v31, v32, v29
	v_mul_f32_e32 v33, v31, v31
	s_delay_alu instid0(VALU_DEP_1) | instskip(NEXT) | instid1(VALU_DEP_1)
	v_fmaak_f32 v35, s74, v33, 0x3ecc95a3
	v_dual_mul_f32 v116, v31, v33 :: v_dual_fmaak_f32 v33, v33, v35, 0x3f2aaada
	v_ldexp_f32 v35, v31, 1
	v_sub_f32_e32 v31, v31, v32
	s_delay_alu instid0(VALU_DEP_3) | instskip(NEXT) | instid1(VALU_DEP_1)
	v_dual_mul_f32 v33, v116, v33 :: v_dual_mul_f32 v116, 0x3f317218, v28
	v_dual_sub_f32 v29, v29, v31 :: v_dual_add_f32 v32, v35, v33
	s_delay_alu instid0(VALU_DEP_1) | instskip(NEXT) | instid1(VALU_DEP_2)
	v_ldexp_f32 v29, v29, 1
	v_sub_f32_e32 v31, v32, v35
	s_delay_alu instid0(VALU_DEP_4) | instskip(NEXT) | instid1(VALU_DEP_2)
	v_fma_f32 v35, 0x3f317218, v28, -v116
	v_sub_f32_e32 v31, v33, v31
	s_delay_alu instid0(VALU_DEP_1) | instskip(NEXT) | instid1(VALU_DEP_1)
	v_dual_fmac_f32 v35, 0xb102e308, v28 :: v_dual_add_f32 v28, v29, v31
	v_add_f32_e32 v29, v116, v35
	s_delay_alu instid0(VALU_DEP_2) | instskip(NEXT) | instid1(VALU_DEP_2)
	v_add_f32_e32 v31, v32, v28
	v_sub_f32_e32 v116, v29, v116
	s_delay_alu instid0(VALU_DEP_2) | instskip(NEXT) | instid1(VALU_DEP_2)
	v_dual_add_f32 v33, v29, v31 :: v_dual_sub_f32 v32, v31, v32
	v_sub_f32_e32 v35, v35, v116
	s_delay_alu instid0(VALU_DEP_2) | instskip(NEXT) | instid1(VALU_DEP_1)
	v_dual_sub_f32 v117, v33, v29 :: v_dual_sub_f32 v28, v28, v32
	v_sub_f32_e32 v118, v33, v117
	v_sub_f32_e32 v31, v31, v117
	s_delay_alu instid0(VALU_DEP_2) | instskip(NEXT) | instid1(VALU_DEP_1)
	v_dual_add_f32 v32, v35, v28 :: v_dual_sub_f32 v29, v29, v118
	v_add_f32_e32 v29, v31, v29
	s_delay_alu instid0(VALU_DEP_2) | instskip(NEXT) | instid1(VALU_DEP_2)
	v_sub_f32_e32 v31, v32, v35
	v_add_f32_e32 v29, v32, v29
	s_delay_alu instid0(VALU_DEP_2) | instskip(SKIP_1) | instid1(VALU_DEP_3)
	v_sub_f32_e32 v32, v32, v31
	v_sub_f32_e32 v28, v28, v31
	v_add_f32_e32 v116, v33, v29
	s_delay_alu instid0(VALU_DEP_1) | instskip(NEXT) | instid1(VALU_DEP_1)
	v_dual_sub_f32 v32, v35, v32 :: v_dual_sub_f32 v31, v116, v33
	v_dual_add_f32 v28, v28, v32 :: v_dual_sub_f32 v29, v29, v31
	s_delay_alu instid0(VALU_DEP_1) | instskip(NEXT) | instid1(VALU_DEP_1)
	v_add_f32_e32 v28, v28, v29
	v_add_f32_e32 v28, v116, v28
	s_delay_alu instid0(VALU_DEP_1)
	v_cndmask_b32_e32 v116, v28, v30, vcc_lo
.LBB149_86:                             ;   in Loop: Header=BB149_12 Depth=1
	s_or_b32 exec_lo, exec_lo, s29
	s_waitcnt lgkmcnt(4)
	v_add_f32_e32 v117, s84, v26
	s_delay_alu instid0(VALU_DEP_1) | instskip(SKIP_1) | instid1(SALU_CYCLE_1)
	v_cmp_ge_f32_e32 vcc_lo, 0x41a00000, v117
	s_and_b32 s28, s89, vcc_lo
	s_and_saveexec_b32 s29, s28
	s_cbranch_execz .LBB149_88
; %bb.87:                               ;   in Loop: Header=BB149_12 Depth=1
	v_mul_f32_e32 v26, 0x3fb8aa3b, v117
	v_cmp_ngt_f32_e32 vcc_lo, 0xc2ce8ed0, v117
	s_delay_alu instid0(VALU_DEP_2) | instskip(SKIP_1) | instid1(VALU_DEP_1)
	v_rndne_f32_e32 v28, v26
	v_fma_f32 v29, 0x3fb8aa3b, v117, -v26
	v_dual_sub_f32 v26, v26, v28 :: v_dual_fmac_f32 v29, 0x32a5705f, v117
	v_cvt_i32_f32_e32 v28, v28
	s_delay_alu instid0(VALU_DEP_2) | instskip(NEXT) | instid1(VALU_DEP_1)
	v_add_f32_e32 v26, v26, v29
	v_exp_f32_e32 v26, v26
	s_waitcnt_depctr 0xfff
	v_ldexp_f32 v26, v26, v28
	s_delay_alu instid0(VALU_DEP_1) | instskip(SKIP_1) | instid1(VALU_DEP_2)
	v_cndmask_b32_e32 v26, 0, v26, vcc_lo
	v_cmp_nlt_f32_e32 vcc_lo, 0x42b17218, v117
	v_cndmask_b32_e32 v26, 0x7f800000, v26, vcc_lo
	s_delay_alu instid0(VALU_DEP_1) | instskip(NEXT) | instid1(VALU_DEP_1)
	v_add_f32_e32 v30, 1.0, v26
	v_cvt_f64_f32_e32 v[28:29], v30
	s_delay_alu instid0(VALU_DEP_1) | instskip(SKIP_1) | instid1(VALU_DEP_1)
	v_frexp_exp_i32_f64_e32 v28, v[28:29]
	v_frexp_mant_f32_e32 v29, v30
	v_cmp_gt_f32_e32 vcc_lo, 0x3f2aaaab, v29
	v_add_f32_e32 v29, -1.0, v30
	s_delay_alu instid0(VALU_DEP_1) | instskip(SKIP_1) | instid1(VALU_DEP_1)
	v_dual_sub_f32 v32, v29, v30 :: v_dual_sub_f32 v29, v26, v29
	v_subrev_co_ci_u32_e32 v28, vcc_lo, 0, v28, vcc_lo
	v_sub_nc_u32_e32 v31, 0, v28
	v_cvt_f32_i32_e32 v28, v28
	s_delay_alu instid0(VALU_DEP_2) | instskip(NEXT) | instid1(VALU_DEP_1)
	v_ldexp_f32 v30, v30, v31
	v_dual_add_f32 v32, 1.0, v32 :: v_dual_add_f32 v33, 1.0, v30
	s_delay_alu instid0(VALU_DEP_1) | instskip(NEXT) | instid1(VALU_DEP_1)
	v_add_f32_e32 v29, v29, v32
	v_ldexp_f32 v29, v29, v31
	s_delay_alu instid0(VALU_DEP_3) | instskip(NEXT) | instid1(VALU_DEP_1)
	v_dual_add_f32 v31, -1.0, v30 :: v_dual_add_f32 v32, -1.0, v33
	v_dual_add_f32 v35, 1.0, v31 :: v_dual_sub_f32 v32, v30, v32
	v_cmp_eq_f32_e32 vcc_lo, 0x7f800000, v26
	v_cmp_gt_f32_e64 s28, 0x33800000, v26
	s_delay_alu instid0(VALU_DEP_3) | instskip(NEXT) | instid1(VALU_DEP_4)
	v_add_f32_e32 v32, v29, v32
	v_sub_f32_e32 v30, v30, v35
	s_delay_alu instid0(VALU_DEP_3) | instskip(NEXT) | instid1(VALU_DEP_2)
	s_or_b32 vcc_lo, s28, vcc_lo
	v_add_f32_e32 v35, v33, v32
	s_delay_alu instid0(VALU_DEP_2) | instskip(NEXT) | instid1(VALU_DEP_2)
	v_add_f32_e32 v29, v29, v30
	v_rcp_f32_e32 v30, v35
	s_delay_alu instid0(VALU_DEP_1) | instskip(SKIP_3) | instid1(VALU_DEP_1)
	v_add_f32_e32 v117, v31, v29
	v_sub_f32_e32 v33, v33, v35
	s_waitcnt_depctr 0xfff
	v_dual_sub_f32 v31, v31, v117 :: v_dual_mul_f32 v118, v117, v30
	v_add_f32_e32 v29, v29, v31
	s_delay_alu instid0(VALU_DEP_2) | instskip(NEXT) | instid1(VALU_DEP_1)
	v_dual_mul_f32 v119, v35, v118 :: v_dual_add_f32 v32, v32, v33
	v_fma_f32 v33, v118, v35, -v119
	s_delay_alu instid0(VALU_DEP_1) | instskip(NEXT) | instid1(VALU_DEP_1)
	v_fmac_f32_e32 v33, v118, v32
	v_add_f32_e32 v120, v119, v33
	s_delay_alu instid0(VALU_DEP_1) | instskip(SKIP_1) | instid1(VALU_DEP_2)
	v_sub_f32_e32 v121, v117, v120
	v_sub_f32_e32 v31, v120, v119
	;; [unrolled: 1-line block ×3, first 2 shown]
	s_delay_alu instid0(VALU_DEP_2) | instskip(NEXT) | instid1(VALU_DEP_2)
	v_sub_f32_e32 v31, v31, v33
	v_sub_f32_e32 v117, v117, v120
	s_delay_alu instid0(VALU_DEP_1) | instskip(NEXT) | instid1(VALU_DEP_1)
	v_add_f32_e32 v29, v29, v117
	v_add_f32_e32 v29, v31, v29
	s_delay_alu instid0(VALU_DEP_1) | instskip(NEXT) | instid1(VALU_DEP_1)
	v_add_f32_e32 v31, v121, v29
	v_mul_f32_e32 v33, v30, v31
	s_delay_alu instid0(VALU_DEP_1) | instskip(NEXT) | instid1(VALU_DEP_1)
	v_dual_sub_f32 v120, v121, v31 :: v_dual_mul_f32 v117, v35, v33
	v_add_f32_e32 v29, v29, v120
	s_delay_alu instid0(VALU_DEP_2) | instskip(NEXT) | instid1(VALU_DEP_1)
	v_fma_f32 v35, v33, v35, -v117
	v_fmac_f32_e32 v35, v33, v32
	s_delay_alu instid0(VALU_DEP_1) | instskip(NEXT) | instid1(VALU_DEP_1)
	v_add_f32_e32 v32, v117, v35
	v_sub_f32_e32 v119, v31, v32
	v_sub_f32_e32 v117, v32, v117
	s_delay_alu instid0(VALU_DEP_2) | instskip(NEXT) | instid1(VALU_DEP_1)
	v_sub_f32_e32 v31, v31, v119
	v_dual_sub_f32 v31, v31, v32 :: v_dual_sub_f32 v32, v117, v35
	s_delay_alu instid0(VALU_DEP_1) | instskip(SKIP_1) | instid1(VALU_DEP_1)
	v_add_f32_e32 v29, v29, v31
	v_add_f32_e32 v31, v118, v33
	v_dual_add_f32 v29, v32, v29 :: v_dual_sub_f32 v32, v31, v118
	s_delay_alu instid0(VALU_DEP_1) | instskip(NEXT) | instid1(VALU_DEP_1)
	v_dual_add_f32 v29, v119, v29 :: v_dual_sub_f32 v32, v33, v32
	v_mul_f32_e32 v29, v30, v29
	s_delay_alu instid0(VALU_DEP_1) | instskip(NEXT) | instid1(VALU_DEP_1)
	v_add_f32_e32 v29, v32, v29
	v_add_f32_e32 v30, v31, v29
	s_delay_alu instid0(VALU_DEP_1) | instskip(NEXT) | instid1(VALU_DEP_1)
	v_mul_f32_e32 v32, v30, v30
	v_fmaak_f32 v33, s74, v32, 0x3ecc95a3
	s_delay_alu instid0(VALU_DEP_1) | instskip(SKIP_2) | instid1(VALU_DEP_3)
	v_dual_mul_f32 v35, v30, v32 :: v_dual_fmaak_f32 v32, v32, v33, 0x3f2aaada
	v_ldexp_f32 v33, v30, 1
	v_sub_f32_e32 v30, v30, v31
	v_mul_f32_e32 v32, v35, v32
	v_mul_f32_e32 v35, 0x3f317218, v28
	s_delay_alu instid0(VALU_DEP_3) | instskip(NEXT) | instid1(VALU_DEP_3)
	v_sub_f32_e32 v29, v29, v30
	v_add_f32_e32 v31, v33, v32
	s_delay_alu instid0(VALU_DEP_2) | instskip(NEXT) | instid1(VALU_DEP_2)
	v_ldexp_f32 v29, v29, 1
	v_sub_f32_e32 v30, v31, v33
	v_fma_f32 v33, 0x3f317218, v28, -v35
	s_delay_alu instid0(VALU_DEP_1) | instskip(NEXT) | instid1(VALU_DEP_1)
	v_dual_sub_f32 v30, v32, v30 :: v_dual_fmac_f32 v33, 0xb102e308, v28
	v_dual_add_f32 v28, v29, v30 :: v_dual_add_f32 v29, v35, v33
	s_delay_alu instid0(VALU_DEP_1) | instskip(NEXT) | instid1(VALU_DEP_1)
	v_dual_add_f32 v30, v31, v28 :: v_dual_sub_f32 v35, v29, v35
	v_dual_add_f32 v32, v29, v30 :: v_dual_sub_f32 v31, v30, v31
	s_delay_alu instid0(VALU_DEP_2) | instskip(NEXT) | instid1(VALU_DEP_2)
	v_sub_f32_e32 v33, v33, v35
	v_sub_f32_e32 v117, v32, v29
	s_delay_alu instid0(VALU_DEP_3) | instskip(NEXT) | instid1(VALU_DEP_2)
	v_sub_f32_e32 v28, v28, v31
	v_sub_f32_e32 v118, v32, v117
	s_delay_alu instid0(VALU_DEP_2) | instskip(NEXT) | instid1(VALU_DEP_2)
	v_dual_sub_f32 v30, v30, v117 :: v_dual_add_f32 v31, v33, v28
	v_sub_f32_e32 v29, v29, v118
	s_delay_alu instid0(VALU_DEP_1) | instskip(NEXT) | instid1(VALU_DEP_3)
	v_add_f32_e32 v29, v30, v29
	v_sub_f32_e32 v30, v31, v33
	s_delay_alu instid0(VALU_DEP_2) | instskip(NEXT) | instid1(VALU_DEP_2)
	v_add_f32_e32 v29, v31, v29
	v_sub_f32_e32 v31, v31, v30
	v_sub_f32_e32 v28, v28, v30
	s_delay_alu instid0(VALU_DEP_3) | instskip(NEXT) | instid1(VALU_DEP_1)
	v_add_f32_e32 v35, v32, v29
	v_dual_sub_f32 v31, v33, v31 :: v_dual_sub_f32 v30, v35, v32
	s_delay_alu instid0(VALU_DEP_1) | instskip(NEXT) | instid1(VALU_DEP_1)
	v_dual_add_f32 v28, v28, v31 :: v_dual_sub_f32 v29, v29, v30
	v_add_f32_e32 v28, v28, v29
	s_delay_alu instid0(VALU_DEP_1) | instskip(NEXT) | instid1(VALU_DEP_1)
	v_add_f32_e32 v28, v35, v28
	v_cndmask_b32_e32 v117, v28, v26, vcc_lo
.LBB149_88:                             ;   in Loop: Header=BB149_12 Depth=1
	s_or_b32 exec_lo, exec_lo, s29
	v_add_f32_e32 v118, s84, v27
	s_delay_alu instid0(VALU_DEP_1) | instskip(SKIP_1) | instid1(SALU_CYCLE_1)
	v_cmp_ge_f32_e32 vcc_lo, 0x41a00000, v118
	s_and_b32 s28, s89, vcc_lo
	s_and_saveexec_b32 s29, s28
	s_cbranch_execz .LBB149_90
; %bb.89:                               ;   in Loop: Header=BB149_12 Depth=1
	v_mul_f32_e32 v26, 0x3fb8aa3b, v118
	v_cmp_ngt_f32_e32 vcc_lo, 0xc2ce8ed0, v118
	s_delay_alu instid0(VALU_DEP_2) | instskip(SKIP_1) | instid1(VALU_DEP_2)
	v_rndne_f32_e32 v27, v26
	v_fma_f32 v28, 0x3fb8aa3b, v118, -v26
	v_sub_f32_e32 v26, v26, v27
	s_delay_alu instid0(VALU_DEP_2) | instskip(SKIP_1) | instid1(VALU_DEP_2)
	v_fmac_f32_e32 v28, 0x32a5705f, v118
	v_cvt_i32_f32_e32 v27, v27
	v_add_f32_e32 v26, v26, v28
	s_delay_alu instid0(VALU_DEP_1) | instskip(SKIP_2) | instid1(VALU_DEP_1)
	v_exp_f32_e32 v26, v26
	s_waitcnt_depctr 0xfff
	v_ldexp_f32 v26, v26, v27
	v_cndmask_b32_e32 v26, 0, v26, vcc_lo
	v_cmp_nlt_f32_e32 vcc_lo, 0x42b17218, v118
	s_delay_alu instid0(VALU_DEP_2) | instskip(NEXT) | instid1(VALU_DEP_1)
	v_cndmask_b32_e32 v28, 0x7f800000, v26, vcc_lo
	v_add_f32_e32 v29, 1.0, v28
	s_delay_alu instid0(VALU_DEP_1) | instskip(NEXT) | instid1(VALU_DEP_1)
	v_cvt_f64_f32_e32 v[26:27], v29
	v_frexp_exp_i32_f64_e32 v26, v[26:27]
	v_frexp_mant_f32_e32 v27, v29
	s_delay_alu instid0(VALU_DEP_1) | instskip(SKIP_1) | instid1(VALU_DEP_1)
	v_cmp_gt_f32_e32 vcc_lo, 0x3f2aaaab, v27
	v_add_f32_e32 v27, -1.0, v29
	v_sub_f32_e32 v31, v27, v29
	v_sub_f32_e32 v27, v28, v27
	s_delay_alu instid0(VALU_DEP_2) | instskip(NEXT) | instid1(VALU_DEP_1)
	v_add_f32_e32 v31, 1.0, v31
	v_add_f32_e32 v27, v27, v31
	v_cmp_gt_f32_e64 s28, 0x33800000, v28
	v_subrev_co_ci_u32_e32 v26, vcc_lo, 0, v26, vcc_lo
	v_cmp_eq_f32_e32 vcc_lo, 0x7f800000, v28
	s_delay_alu instid0(VALU_DEP_2) | instskip(SKIP_2) | instid1(VALU_DEP_2)
	v_sub_nc_u32_e32 v30, 0, v26
	v_cvt_f32_i32_e32 v26, v26
	s_or_b32 vcc_lo, s28, vcc_lo
	v_ldexp_f32 v29, v29, v30
	v_ldexp_f32 v27, v27, v30
	s_delay_alu instid0(VALU_DEP_2) | instskip(NEXT) | instid1(VALU_DEP_1)
	v_add_f32_e32 v32, 1.0, v29
	v_dual_add_f32 v30, -1.0, v29 :: v_dual_add_f32 v31, -1.0, v32
	s_delay_alu instid0(VALU_DEP_1) | instskip(NEXT) | instid1(VALU_DEP_2)
	v_add_f32_e32 v33, 1.0, v30
	v_sub_f32_e32 v31, v29, v31
	s_delay_alu instid0(VALU_DEP_2) | instskip(NEXT) | instid1(VALU_DEP_2)
	v_sub_f32_e32 v29, v29, v33
	v_add_f32_e32 v31, v27, v31
	s_delay_alu instid0(VALU_DEP_2) | instskip(NEXT) | instid1(VALU_DEP_2)
	v_add_f32_e32 v27, v27, v29
	v_add_f32_e32 v33, v32, v31
	s_delay_alu instid0(VALU_DEP_1) | instskip(NEXT) | instid1(VALU_DEP_2)
	v_rcp_f32_e32 v29, v33
	v_dual_add_f32 v35, v30, v27 :: v_dual_sub_f32 v32, v32, v33
	s_delay_alu instid0(VALU_DEP_1) | instskip(SKIP_3) | instid1(VALU_DEP_2)
	v_sub_f32_e32 v30, v30, v35
	s_waitcnt_depctr 0xfff
	v_mul_f32_e32 v118, v35, v29
	v_add_f32_e32 v27, v27, v30
	v_mul_f32_e32 v119, v33, v118
	v_add_f32_e32 v31, v31, v32
	s_delay_alu instid0(VALU_DEP_2) | instskip(NEXT) | instid1(VALU_DEP_1)
	v_fma_f32 v32, v118, v33, -v119
	v_fmac_f32_e32 v32, v118, v31
	s_delay_alu instid0(VALU_DEP_1) | instskip(NEXT) | instid1(VALU_DEP_1)
	v_add_f32_e32 v120, v119, v32
	v_dual_sub_f32 v30, v120, v119 :: v_dual_sub_f32 v121, v35, v120
	s_delay_alu instid0(VALU_DEP_1) | instskip(NEXT) | instid1(VALU_DEP_1)
	v_dual_sub_f32 v30, v30, v32 :: v_dual_sub_f32 v35, v35, v121
	v_sub_f32_e32 v35, v35, v120
	s_delay_alu instid0(VALU_DEP_1) | instskip(NEXT) | instid1(VALU_DEP_1)
	v_add_f32_e32 v27, v27, v35
	v_add_f32_e32 v27, v30, v27
	s_delay_alu instid0(VALU_DEP_1) | instskip(NEXT) | instid1(VALU_DEP_1)
	v_add_f32_e32 v30, v121, v27
	v_mul_f32_e32 v32, v29, v30
	v_sub_f32_e32 v120, v121, v30
	s_delay_alu instid0(VALU_DEP_2) | instskip(NEXT) | instid1(VALU_DEP_2)
	v_mul_f32_e32 v35, v33, v32
	v_add_f32_e32 v27, v27, v120
	s_delay_alu instid0(VALU_DEP_2) | instskip(NEXT) | instid1(VALU_DEP_1)
	v_fma_f32 v33, v32, v33, -v35
	v_fmac_f32_e32 v33, v32, v31
	s_delay_alu instid0(VALU_DEP_1) | instskip(NEXT) | instid1(VALU_DEP_1)
	v_add_f32_e32 v31, v35, v33
	v_sub_f32_e32 v119, v30, v31
	v_sub_f32_e32 v35, v31, v35
	s_delay_alu instid0(VALU_DEP_2) | instskip(NEXT) | instid1(VALU_DEP_1)
	v_sub_f32_e32 v30, v30, v119
	v_dual_sub_f32 v30, v30, v31 :: v_dual_sub_f32 v31, v35, v33
	s_delay_alu instid0(VALU_DEP_1) | instskip(NEXT) | instid1(VALU_DEP_1)
	v_dual_add_f32 v27, v27, v30 :: v_dual_add_f32 v30, v118, v32
	v_add_f32_e32 v27, v31, v27
	s_delay_alu instid0(VALU_DEP_2) | instskip(NEXT) | instid1(VALU_DEP_2)
	v_sub_f32_e32 v31, v30, v118
	v_add_f32_e32 v27, v119, v27
	s_delay_alu instid0(VALU_DEP_2) | instskip(NEXT) | instid1(VALU_DEP_2)
	v_sub_f32_e32 v31, v32, v31
	v_mul_f32_e32 v27, v29, v27
	s_delay_alu instid0(VALU_DEP_1) | instskip(NEXT) | instid1(VALU_DEP_1)
	v_add_f32_e32 v27, v31, v27
	v_add_f32_e32 v29, v30, v27
	s_delay_alu instid0(VALU_DEP_1) | instskip(NEXT) | instid1(VALU_DEP_1)
	v_mul_f32_e32 v31, v29, v29
	v_fmaak_f32 v32, s74, v31, 0x3ecc95a3
	v_mul_f32_e32 v33, v29, v31
	s_delay_alu instid0(VALU_DEP_2) | instskip(SKIP_2) | instid1(VALU_DEP_3)
	v_fmaak_f32 v31, v31, v32, 0x3f2aaada
	v_ldexp_f32 v32, v29, 1
	v_sub_f32_e32 v29, v29, v30
	v_mul_f32_e32 v31, v33, v31
	v_mul_f32_e32 v33, 0x3f317218, v26
	s_delay_alu instid0(VALU_DEP_2) | instskip(NEXT) | instid1(VALU_DEP_1)
	v_dual_sub_f32 v27, v27, v29 :: v_dual_add_f32 v30, v32, v31
	v_ldexp_f32 v27, v27, 1
	s_delay_alu instid0(VALU_DEP_2) | instskip(NEXT) | instid1(VALU_DEP_4)
	v_sub_f32_e32 v29, v30, v32
	v_fma_f32 v32, 0x3f317218, v26, -v33
	s_delay_alu instid0(VALU_DEP_1) | instskip(NEXT) | instid1(VALU_DEP_1)
	v_dual_sub_f32 v29, v31, v29 :: v_dual_fmac_f32 v32, 0xb102e308, v26
	v_dual_add_f32 v26, v27, v29 :: v_dual_add_f32 v27, v33, v32
	s_delay_alu instid0(VALU_DEP_1) | instskip(NEXT) | instid1(VALU_DEP_2)
	v_add_f32_e32 v29, v30, v26
	v_sub_f32_e32 v33, v27, v33
	s_delay_alu instid0(VALU_DEP_2) | instskip(NEXT) | instid1(VALU_DEP_1)
	v_dual_add_f32 v31, v27, v29 :: v_dual_sub_f32 v30, v29, v30
	v_dual_sub_f32 v32, v32, v33 :: v_dual_sub_f32 v35, v31, v27
	s_delay_alu instid0(VALU_DEP_2) | instskip(NEXT) | instid1(VALU_DEP_2)
	v_sub_f32_e32 v26, v26, v30
	v_sub_f32_e32 v118, v31, v35
	s_delay_alu instid0(VALU_DEP_2) | instskip(NEXT) | instid1(VALU_DEP_2)
	v_dual_sub_f32 v29, v29, v35 :: v_dual_add_f32 v30, v32, v26
	v_sub_f32_e32 v27, v27, v118
	s_delay_alu instid0(VALU_DEP_1) | instskip(NEXT) | instid1(VALU_DEP_3)
	v_add_f32_e32 v27, v29, v27
	v_sub_f32_e32 v29, v30, v32
	s_delay_alu instid0(VALU_DEP_2) | instskip(NEXT) | instid1(VALU_DEP_2)
	v_add_f32_e32 v27, v30, v27
	v_sub_f32_e32 v30, v30, v29
	s_delay_alu instid0(VALU_DEP_2) | instskip(NEXT) | instid1(VALU_DEP_1)
	v_dual_sub_f32 v26, v26, v29 :: v_dual_add_f32 v33, v31, v27
	v_dual_sub_f32 v30, v32, v30 :: v_dual_sub_f32 v29, v33, v31
	s_delay_alu instid0(VALU_DEP_1) | instskip(NEXT) | instid1(VALU_DEP_1)
	v_dual_add_f32 v26, v26, v30 :: v_dual_sub_f32 v27, v27, v29
	v_add_f32_e32 v26, v26, v27
	s_delay_alu instid0(VALU_DEP_1) | instskip(NEXT) | instid1(VALU_DEP_1)
	v_add_f32_e32 v26, v33, v26
	v_cndmask_b32_e32 v118, v26, v28, vcc_lo
.LBB149_90:                             ;   in Loop: Header=BB149_12 Depth=1
	s_or_b32 exec_lo, exec_lo, s29
	s_waitcnt lgkmcnt(3)
	v_add_f32_e32 v119, s84, v24
	s_delay_alu instid0(VALU_DEP_1) | instskip(SKIP_1) | instid1(SALU_CYCLE_1)
	v_cmp_ge_f32_e32 vcc_lo, 0x41a00000, v119
	s_and_b32 s28, s89, vcc_lo
	s_and_saveexec_b32 s29, s28
	s_cbranch_execz .LBB149_92
; %bb.91:                               ;   in Loop: Header=BB149_12 Depth=1
	v_mul_f32_e32 v24, 0x3fb8aa3b, v119
	v_cmp_ngt_f32_e32 vcc_lo, 0xc2ce8ed0, v119
	s_delay_alu instid0(VALU_DEP_2) | instskip(SKIP_1) | instid1(VALU_DEP_1)
	v_rndne_f32_e32 v26, v24
	v_fma_f32 v27, 0x3fb8aa3b, v119, -v24
	v_dual_sub_f32 v24, v24, v26 :: v_dual_fmac_f32 v27, 0x32a5705f, v119
	v_cvt_i32_f32_e32 v26, v26
	s_delay_alu instid0(VALU_DEP_2) | instskip(NEXT) | instid1(VALU_DEP_1)
	v_add_f32_e32 v24, v24, v27
	v_exp_f32_e32 v24, v24
	s_waitcnt_depctr 0xfff
	v_ldexp_f32 v24, v24, v26
	s_delay_alu instid0(VALU_DEP_1) | instskip(SKIP_1) | instid1(VALU_DEP_2)
	v_cndmask_b32_e32 v24, 0, v24, vcc_lo
	v_cmp_nlt_f32_e32 vcc_lo, 0x42b17218, v119
	v_cndmask_b32_e32 v24, 0x7f800000, v24, vcc_lo
	s_delay_alu instid0(VALU_DEP_1) | instskip(NEXT) | instid1(VALU_DEP_1)
	v_add_f32_e32 v28, 1.0, v24
	v_cvt_f64_f32_e32 v[26:27], v28
	s_delay_alu instid0(VALU_DEP_1) | instskip(SKIP_1) | instid1(VALU_DEP_1)
	v_frexp_exp_i32_f64_e32 v26, v[26:27]
	v_frexp_mant_f32_e32 v27, v28
	v_cmp_gt_f32_e32 vcc_lo, 0x3f2aaaab, v27
	v_add_f32_e32 v27, -1.0, v28
	s_delay_alu instid0(VALU_DEP_1) | instskip(SKIP_1) | instid1(VALU_DEP_1)
	v_dual_sub_f32 v30, v27, v28 :: v_dual_sub_f32 v27, v24, v27
	v_subrev_co_ci_u32_e32 v26, vcc_lo, 0, v26, vcc_lo
	v_sub_nc_u32_e32 v29, 0, v26
	v_cvt_f32_i32_e32 v26, v26
	s_delay_alu instid0(VALU_DEP_2) | instskip(NEXT) | instid1(VALU_DEP_1)
	v_ldexp_f32 v28, v28, v29
	v_dual_add_f32 v30, 1.0, v30 :: v_dual_add_f32 v31, 1.0, v28
	s_delay_alu instid0(VALU_DEP_1) | instskip(NEXT) | instid1(VALU_DEP_1)
	v_add_f32_e32 v27, v27, v30
	v_ldexp_f32 v27, v27, v29
	s_delay_alu instid0(VALU_DEP_3) | instskip(NEXT) | instid1(VALU_DEP_1)
	v_dual_add_f32 v29, -1.0, v28 :: v_dual_add_f32 v30, -1.0, v31
	v_add_f32_e32 v32, 1.0, v29
	s_delay_alu instid0(VALU_DEP_2) | instskip(NEXT) | instid1(VALU_DEP_2)
	v_sub_f32_e32 v30, v28, v30
	v_sub_f32_e32 v28, v28, v32
	s_delay_alu instid0(VALU_DEP_2) | instskip(NEXT) | instid1(VALU_DEP_2)
	v_add_f32_e32 v30, v27, v30
	v_add_f32_e32 v27, v27, v28
	s_delay_alu instid0(VALU_DEP_1) | instskip(SKIP_2) | instid1(VALU_DEP_3)
	v_dual_add_f32 v33, v29, v27 :: v_dual_add_f32 v32, v31, v30
	v_cmp_eq_f32_e32 vcc_lo, 0x7f800000, v24
	v_cmp_gt_f32_e64 s28, 0x33800000, v24
	v_sub_f32_e32 v29, v29, v33
	s_delay_alu instid0(VALU_DEP_4) | instskip(SKIP_1) | instid1(VALU_DEP_3)
	v_rcp_f32_e32 v28, v32
	v_sub_f32_e32 v31, v31, v32
	s_or_b32 vcc_lo, s28, vcc_lo
	s_delay_alu instid0(VALU_DEP_1) | instskip(SKIP_2) | instid1(VALU_DEP_1)
	v_dual_add_f32 v27, v27, v29 :: v_dual_add_f32 v30, v30, v31
	s_waitcnt_depctr 0xfff
	v_mul_f32_e32 v35, v33, v28
	v_mul_f32_e32 v119, v32, v35
	s_delay_alu instid0(VALU_DEP_1) | instskip(NEXT) | instid1(VALU_DEP_1)
	v_fma_f32 v31, v35, v32, -v119
	v_fmac_f32_e32 v31, v35, v30
	s_delay_alu instid0(VALU_DEP_1) | instskip(NEXT) | instid1(VALU_DEP_1)
	v_add_f32_e32 v120, v119, v31
	v_sub_f32_e32 v121, v33, v120
	v_sub_f32_e32 v29, v120, v119
	s_delay_alu instid0(VALU_DEP_2) | instskip(NEXT) | instid1(VALU_DEP_2)
	v_sub_f32_e32 v33, v33, v121
	v_sub_f32_e32 v29, v29, v31
	s_delay_alu instid0(VALU_DEP_2) | instskip(NEXT) | instid1(VALU_DEP_1)
	v_sub_f32_e32 v33, v33, v120
	v_add_f32_e32 v27, v27, v33
	s_delay_alu instid0(VALU_DEP_1) | instskip(NEXT) | instid1(VALU_DEP_1)
	v_add_f32_e32 v27, v29, v27
	v_add_f32_e32 v29, v121, v27
	s_delay_alu instid0(VALU_DEP_1) | instskip(NEXT) | instid1(VALU_DEP_1)
	v_mul_f32_e32 v31, v28, v29
	v_dual_sub_f32 v120, v121, v29 :: v_dual_mul_f32 v33, v32, v31
	s_delay_alu instid0(VALU_DEP_1) | instskip(NEXT) | instid1(VALU_DEP_2)
	v_add_f32_e32 v27, v27, v120
	v_fma_f32 v32, v31, v32, -v33
	s_delay_alu instid0(VALU_DEP_1) | instskip(NEXT) | instid1(VALU_DEP_1)
	v_fmac_f32_e32 v32, v31, v30
	v_add_f32_e32 v30, v33, v32
	s_delay_alu instid0(VALU_DEP_1) | instskip(NEXT) | instid1(VALU_DEP_1)
	v_sub_f32_e32 v119, v29, v30
	v_sub_f32_e32 v29, v29, v119
	s_delay_alu instid0(VALU_DEP_1) | instskip(NEXT) | instid1(VALU_DEP_1)
	v_sub_f32_e32 v29, v29, v30
	v_add_f32_e32 v27, v27, v29
	v_add_f32_e32 v29, v35, v31
	v_sub_f32_e32 v33, v30, v33
	s_delay_alu instid0(VALU_DEP_1) | instskip(NEXT) | instid1(VALU_DEP_1)
	v_sub_f32_e32 v30, v33, v32
	v_add_f32_e32 v27, v30, v27
	s_delay_alu instid0(VALU_DEP_4) | instskip(NEXT) | instid1(VALU_DEP_2)
	v_sub_f32_e32 v30, v29, v35
	v_add_f32_e32 v27, v119, v27
	s_delay_alu instid0(VALU_DEP_1) | instskip(NEXT) | instid1(VALU_DEP_1)
	v_dual_sub_f32 v30, v31, v30 :: v_dual_mul_f32 v27, v28, v27
	v_add_f32_e32 v27, v30, v27
	s_delay_alu instid0(VALU_DEP_1) | instskip(NEXT) | instid1(VALU_DEP_1)
	v_add_f32_e32 v28, v29, v27
	v_mul_f32_e32 v30, v28, v28
	s_delay_alu instid0(VALU_DEP_1) | instskip(SKIP_1) | instid1(VALU_DEP_2)
	v_fmaak_f32 v31, s74, v30, 0x3ecc95a3
	v_mul_f32_e32 v32, v28, v30
	v_fmaak_f32 v30, v30, v31, 0x3f2aaada
	v_ldexp_f32 v31, v28, 1
	v_sub_f32_e32 v28, v28, v29
	s_delay_alu instid0(VALU_DEP_3) | instskip(NEXT) | instid1(VALU_DEP_2)
	v_mul_f32_e32 v30, v32, v30
	v_dual_mul_f32 v32, 0x3f317218, v26 :: v_dual_sub_f32 v27, v27, v28
	s_delay_alu instid0(VALU_DEP_2) | instskip(NEXT) | instid1(VALU_DEP_2)
	v_add_f32_e32 v29, v31, v30
	v_ldexp_f32 v27, v27, 1
	s_delay_alu instid0(VALU_DEP_2) | instskip(NEXT) | instid1(VALU_DEP_4)
	v_sub_f32_e32 v28, v29, v31
	v_fma_f32 v31, 0x3f317218, v26, -v32
	s_delay_alu instid0(VALU_DEP_1) | instskip(NEXT) | instid1(VALU_DEP_1)
	v_dual_sub_f32 v28, v30, v28 :: v_dual_fmac_f32 v31, 0xb102e308, v26
	v_add_f32_e32 v26, v27, v28
	s_delay_alu instid0(VALU_DEP_1) | instskip(NEXT) | instid1(VALU_DEP_1)
	v_add_f32_e32 v28, v29, v26
	v_sub_f32_e32 v29, v28, v29
	s_delay_alu instid0(VALU_DEP_1) | instskip(NEXT) | instid1(VALU_DEP_1)
	v_dual_sub_f32 v26, v26, v29 :: v_dual_add_f32 v27, v32, v31
	v_add_f32_e32 v30, v27, v28
	s_delay_alu instid0(VALU_DEP_1) | instskip(NEXT) | instid1(VALU_DEP_1)
	v_dual_sub_f32 v32, v27, v32 :: v_dual_sub_f32 v33, v30, v27
	v_dual_sub_f32 v31, v31, v32 :: v_dual_sub_f32 v28, v28, v33
	s_delay_alu instid0(VALU_DEP_1) | instskip(SKIP_1) | instid1(VALU_DEP_1)
	v_add_f32_e32 v29, v31, v26
	v_sub_f32_e32 v35, v30, v33
	v_sub_f32_e32 v27, v27, v35
	s_delay_alu instid0(VALU_DEP_1) | instskip(NEXT) | instid1(VALU_DEP_4)
	v_add_f32_e32 v27, v28, v27
	v_sub_f32_e32 v28, v29, v31
	s_delay_alu instid0(VALU_DEP_2) | instskip(NEXT) | instid1(VALU_DEP_2)
	v_add_f32_e32 v27, v29, v27
	v_sub_f32_e32 v29, v29, v28
	v_sub_f32_e32 v26, v26, v28
	s_delay_alu instid0(VALU_DEP_2) | instskip(NEXT) | instid1(VALU_DEP_1)
	v_dual_add_f32 v32, v30, v27 :: v_dual_sub_f32 v29, v31, v29
	v_sub_f32_e32 v28, v32, v30
	s_delay_alu instid0(VALU_DEP_1) | instskip(NEXT) | instid1(VALU_DEP_1)
	v_dual_add_f32 v26, v26, v29 :: v_dual_sub_f32 v27, v27, v28
	v_add_f32_e32 v26, v26, v27
	s_delay_alu instid0(VALU_DEP_1) | instskip(NEXT) | instid1(VALU_DEP_1)
	v_add_f32_e32 v26, v32, v26
	v_cndmask_b32_e32 v119, v26, v24, vcc_lo
.LBB149_92:                             ;   in Loop: Header=BB149_12 Depth=1
	s_or_b32 exec_lo, exec_lo, s29
	v_add_f32_e32 v128, s84, v25
	s_delay_alu instid0(VALU_DEP_1) | instskip(SKIP_1) | instid1(SALU_CYCLE_1)
	v_cmp_ge_f32_e32 vcc_lo, 0x41a00000, v128
	s_and_b32 s28, s89, vcc_lo
	s_and_saveexec_b32 s29, s28
	s_cbranch_execz .LBB149_94
; %bb.93:                               ;   in Loop: Header=BB149_12 Depth=1
	v_mul_f32_e32 v24, 0x3fb8aa3b, v128
	v_cmp_ngt_f32_e32 vcc_lo, 0xc2ce8ed0, v128
	s_delay_alu instid0(VALU_DEP_2) | instskip(SKIP_1) | instid1(VALU_DEP_2)
	v_rndne_f32_e32 v25, v24
	v_fma_f32 v26, 0x3fb8aa3b, v128, -v24
	v_sub_f32_e32 v24, v24, v25
	s_delay_alu instid0(VALU_DEP_2) | instskip(SKIP_1) | instid1(VALU_DEP_2)
	v_fmac_f32_e32 v26, 0x32a5705f, v128
	v_cvt_i32_f32_e32 v25, v25
	v_add_f32_e32 v24, v24, v26
	s_delay_alu instid0(VALU_DEP_1) | instskip(SKIP_2) | instid1(VALU_DEP_1)
	v_exp_f32_e32 v24, v24
	s_waitcnt_depctr 0xfff
	v_ldexp_f32 v24, v24, v25
	v_cndmask_b32_e32 v24, 0, v24, vcc_lo
	v_cmp_nlt_f32_e32 vcc_lo, 0x42b17218, v128
	s_delay_alu instid0(VALU_DEP_2) | instskip(NEXT) | instid1(VALU_DEP_1)
	v_cndmask_b32_e32 v26, 0x7f800000, v24, vcc_lo
	v_add_f32_e32 v27, 1.0, v26
	s_delay_alu instid0(VALU_DEP_1) | instskip(NEXT) | instid1(VALU_DEP_1)
	v_cvt_f64_f32_e32 v[24:25], v27
	v_frexp_exp_i32_f64_e32 v24, v[24:25]
	v_frexp_mant_f32_e32 v25, v27
	s_delay_alu instid0(VALU_DEP_1) | instskip(SKIP_1) | instid1(VALU_DEP_1)
	v_cmp_gt_f32_e32 vcc_lo, 0x3f2aaaab, v25
	v_add_f32_e32 v25, -1.0, v27
	v_sub_f32_e32 v29, v25, v27
	v_sub_f32_e32 v25, v26, v25
	s_delay_alu instid0(VALU_DEP_2) | instskip(NEXT) | instid1(VALU_DEP_1)
	v_add_f32_e32 v29, 1.0, v29
	v_add_f32_e32 v25, v25, v29
	v_cmp_gt_f32_e64 s28, 0x33800000, v26
	v_subrev_co_ci_u32_e32 v24, vcc_lo, 0, v24, vcc_lo
	v_cmp_eq_f32_e32 vcc_lo, 0x7f800000, v26
	s_delay_alu instid0(VALU_DEP_2) | instskip(SKIP_2) | instid1(VALU_DEP_2)
	v_sub_nc_u32_e32 v28, 0, v24
	v_cvt_f32_i32_e32 v24, v24
	s_or_b32 vcc_lo, s28, vcc_lo
	v_ldexp_f32 v27, v27, v28
	v_ldexp_f32 v25, v25, v28
	s_delay_alu instid0(VALU_DEP_2) | instskip(NEXT) | instid1(VALU_DEP_1)
	v_add_f32_e32 v30, 1.0, v27
	v_dual_add_f32 v28, -1.0, v27 :: v_dual_add_f32 v29, -1.0, v30
	s_delay_alu instid0(VALU_DEP_1) | instskip(NEXT) | instid1(VALU_DEP_2)
	v_add_f32_e32 v31, 1.0, v28
	v_sub_f32_e32 v29, v27, v29
	s_delay_alu instid0(VALU_DEP_2) | instskip(NEXT) | instid1(VALU_DEP_2)
	v_sub_f32_e32 v27, v27, v31
	v_add_f32_e32 v29, v25, v29
	s_delay_alu instid0(VALU_DEP_2) | instskip(NEXT) | instid1(VALU_DEP_2)
	v_add_f32_e32 v25, v25, v27
	v_add_f32_e32 v31, v30, v29
	s_delay_alu instid0(VALU_DEP_2) | instskip(NEXT) | instid1(VALU_DEP_2)
	v_add_f32_e32 v32, v28, v25
	v_rcp_f32_e32 v27, v31
	v_sub_f32_e32 v30, v30, v31
	s_delay_alu instid0(VALU_DEP_1) | instskip(SKIP_2) | instid1(VALU_DEP_1)
	v_dual_sub_f32 v28, v28, v32 :: v_dual_add_f32 v29, v29, v30
	s_waitcnt_depctr 0xfff
	v_mul_f32_e32 v33, v32, v27
	v_mul_f32_e32 v35, v31, v33
	s_delay_alu instid0(VALU_DEP_1) | instskip(NEXT) | instid1(VALU_DEP_1)
	v_fma_f32 v30, v33, v31, -v35
	v_fmac_f32_e32 v30, v33, v29
	s_delay_alu instid0(VALU_DEP_1) | instskip(NEXT) | instid1(VALU_DEP_1)
	v_add_f32_e32 v120, v35, v30
	v_sub_f32_e32 v121, v32, v120
	s_delay_alu instid0(VALU_DEP_1) | instskip(NEXT) | instid1(VALU_DEP_1)
	v_sub_f32_e32 v32, v32, v121
	v_sub_f32_e32 v32, v32, v120
	v_dual_add_f32 v25, v25, v28 :: v_dual_sub_f32 v28, v120, v35
	s_delay_alu instid0(VALU_DEP_1) | instskip(NEXT) | instid1(VALU_DEP_1)
	v_dual_add_f32 v25, v25, v32 :: v_dual_sub_f32 v28, v28, v30
	v_add_f32_e32 v25, v28, v25
	s_delay_alu instid0(VALU_DEP_1) | instskip(NEXT) | instid1(VALU_DEP_1)
	v_add_f32_e32 v28, v121, v25
	v_mul_f32_e32 v30, v27, v28
	s_delay_alu instid0(VALU_DEP_1) | instskip(SKIP_1) | instid1(VALU_DEP_2)
	v_mul_f32_e32 v32, v31, v30
	v_sub_f32_e32 v120, v121, v28
	v_fma_f32 v31, v30, v31, -v32
	s_delay_alu instid0(VALU_DEP_2) | instskip(NEXT) | instid1(VALU_DEP_2)
	v_add_f32_e32 v25, v25, v120
	v_fmac_f32_e32 v31, v30, v29
	s_delay_alu instid0(VALU_DEP_1) | instskip(NEXT) | instid1(VALU_DEP_1)
	v_add_f32_e32 v29, v32, v31
	v_sub_f32_e32 v35, v28, v29
	s_delay_alu instid0(VALU_DEP_1) | instskip(NEXT) | instid1(VALU_DEP_1)
	v_sub_f32_e32 v28, v28, v35
	v_sub_f32_e32 v28, v28, v29
	s_delay_alu instid0(VALU_DEP_1) | instskip(SKIP_2) | instid1(VALU_DEP_1)
	v_add_f32_e32 v25, v25, v28
	v_add_f32_e32 v28, v33, v30
	v_sub_f32_e32 v32, v29, v32
	v_sub_f32_e32 v29, v32, v31
	s_delay_alu instid0(VALU_DEP_1) | instskip(NEXT) | instid1(VALU_DEP_4)
	v_add_f32_e32 v25, v29, v25
	v_sub_f32_e32 v29, v28, v33
	s_delay_alu instid0(VALU_DEP_2) | instskip(NEXT) | instid1(VALU_DEP_2)
	v_add_f32_e32 v25, v35, v25
	v_sub_f32_e32 v29, v30, v29
	s_delay_alu instid0(VALU_DEP_2) | instskip(NEXT) | instid1(VALU_DEP_1)
	v_mul_f32_e32 v25, v27, v25
	v_add_f32_e32 v25, v29, v25
	s_delay_alu instid0(VALU_DEP_1) | instskip(NEXT) | instid1(VALU_DEP_1)
	v_add_f32_e32 v27, v28, v25
	v_mul_f32_e32 v29, v27, v27
	s_delay_alu instid0(VALU_DEP_1) | instskip(SKIP_1) | instid1(VALU_DEP_2)
	v_fmaak_f32 v30, s74, v29, 0x3ecc95a3
	v_mul_f32_e32 v31, v27, v29
	v_fmaak_f32 v29, v29, v30, 0x3f2aaada
	v_ldexp_f32 v30, v27, 1
	s_delay_alu instid0(VALU_DEP_2) | instskip(SKIP_1) | instid1(VALU_DEP_2)
	v_mul_f32_e32 v29, v31, v29
	v_sub_f32_e32 v27, v27, v28
	v_dual_mul_f32 v31, 0x3f317218, v24 :: v_dual_add_f32 v28, v30, v29
	s_delay_alu instid0(VALU_DEP_2) | instskip(NEXT) | instid1(VALU_DEP_2)
	v_sub_f32_e32 v25, v25, v27
	v_sub_f32_e32 v27, v28, v30
	s_delay_alu instid0(VALU_DEP_3) | instskip(NEXT) | instid1(VALU_DEP_3)
	v_fma_f32 v30, 0x3f317218, v24, -v31
	v_ldexp_f32 v25, v25, 1
	s_delay_alu instid0(VALU_DEP_2) | instskip(NEXT) | instid1(VALU_DEP_1)
	v_dual_sub_f32 v27, v29, v27 :: v_dual_fmac_f32 v30, 0xb102e308, v24
	v_dual_add_f32 v24, v25, v27 :: v_dual_add_f32 v25, v31, v30
	s_delay_alu instid0(VALU_DEP_1) | instskip(NEXT) | instid1(VALU_DEP_1)
	v_add_f32_e32 v27, v28, v24
	v_dual_add_f32 v29, v25, v27 :: v_dual_sub_f32 v28, v27, v28
	s_delay_alu instid0(VALU_DEP_1) | instskip(NEXT) | instid1(VALU_DEP_2)
	v_sub_f32_e32 v32, v29, v25
	v_dual_sub_f32 v31, v25, v31 :: v_dual_sub_f32 v24, v24, v28
	s_delay_alu instid0(VALU_DEP_1) | instskip(SKIP_1) | instid1(VALU_DEP_2)
	v_dual_sub_f32 v33, v29, v32 :: v_dual_sub_f32 v30, v30, v31
	v_sub_f32_e32 v27, v27, v32
	v_dual_sub_f32 v25, v25, v33 :: v_dual_add_f32 v28, v30, v24
	s_delay_alu instid0(VALU_DEP_1) | instskip(NEXT) | instid1(VALU_DEP_2)
	v_add_f32_e32 v25, v27, v25
	v_sub_f32_e32 v27, v28, v30
	s_delay_alu instid0(VALU_DEP_2) | instskip(NEXT) | instid1(VALU_DEP_2)
	v_add_f32_e32 v25, v28, v25
	v_sub_f32_e32 v28, v28, v27
	s_delay_alu instid0(VALU_DEP_2) | instskip(NEXT) | instid1(VALU_DEP_1)
	v_dual_sub_f32 v24, v24, v27 :: v_dual_add_f32 v31, v29, v25
	v_dual_sub_f32 v28, v30, v28 :: v_dual_sub_f32 v27, v31, v29
	s_delay_alu instid0(VALU_DEP_1) | instskip(NEXT) | instid1(VALU_DEP_1)
	v_dual_add_f32 v24, v24, v28 :: v_dual_sub_f32 v25, v25, v27
	v_add_f32_e32 v24, v24, v25
	s_delay_alu instid0(VALU_DEP_1) | instskip(NEXT) | instid1(VALU_DEP_1)
	v_add_f32_e32 v24, v31, v24
	v_cndmask_b32_e32 v128, v24, v26, vcc_lo
.LBB149_94:                             ;   in Loop: Header=BB149_12 Depth=1
	s_or_b32 exec_lo, exec_lo, s29
	s_waitcnt lgkmcnt(2)
	v_add_f32_e32 v131, s84, v22
	s_delay_alu instid0(VALU_DEP_1) | instskip(SKIP_1) | instid1(SALU_CYCLE_1)
	v_cmp_ge_f32_e32 vcc_lo, 0x41a00000, v131
	s_and_b32 s28, s89, vcc_lo
	s_and_saveexec_b32 s29, s28
	s_cbranch_execz .LBB149_96
; %bb.95:                               ;   in Loop: Header=BB149_12 Depth=1
	v_mul_f32_e32 v22, 0x3fb8aa3b, v131
	v_cmp_ngt_f32_e32 vcc_lo, 0xc2ce8ed0, v131
	s_delay_alu instid0(VALU_DEP_2) | instskip(SKIP_1) | instid1(VALU_DEP_1)
	v_rndne_f32_e32 v24, v22
	v_fma_f32 v25, 0x3fb8aa3b, v131, -v22
	v_dual_sub_f32 v22, v22, v24 :: v_dual_fmac_f32 v25, 0x32a5705f, v131
	v_cvt_i32_f32_e32 v24, v24
	s_delay_alu instid0(VALU_DEP_2) | instskip(NEXT) | instid1(VALU_DEP_1)
	v_add_f32_e32 v22, v22, v25
	v_exp_f32_e32 v22, v22
	s_waitcnt_depctr 0xfff
	v_ldexp_f32 v22, v22, v24
	s_delay_alu instid0(VALU_DEP_1) | instskip(SKIP_1) | instid1(VALU_DEP_2)
	v_cndmask_b32_e32 v22, 0, v22, vcc_lo
	v_cmp_nlt_f32_e32 vcc_lo, 0x42b17218, v131
	v_cndmask_b32_e32 v22, 0x7f800000, v22, vcc_lo
	s_delay_alu instid0(VALU_DEP_1) | instskip(NEXT) | instid1(VALU_DEP_1)
	v_add_f32_e32 v26, 1.0, v22
	v_cvt_f64_f32_e32 v[24:25], v26
	s_delay_alu instid0(VALU_DEP_1) | instskip(SKIP_1) | instid1(VALU_DEP_1)
	v_frexp_exp_i32_f64_e32 v24, v[24:25]
	v_frexp_mant_f32_e32 v25, v26
	v_cmp_gt_f32_e32 vcc_lo, 0x3f2aaaab, v25
	v_add_f32_e32 v25, -1.0, v26
	s_delay_alu instid0(VALU_DEP_1) | instskip(SKIP_1) | instid1(VALU_DEP_1)
	v_dual_sub_f32 v28, v25, v26 :: v_dual_sub_f32 v25, v22, v25
	v_subrev_co_ci_u32_e32 v24, vcc_lo, 0, v24, vcc_lo
	v_sub_nc_u32_e32 v27, 0, v24
	v_cvt_f32_i32_e32 v24, v24
	s_delay_alu instid0(VALU_DEP_2) | instskip(NEXT) | instid1(VALU_DEP_1)
	v_ldexp_f32 v26, v26, v27
	v_dual_add_f32 v28, 1.0, v28 :: v_dual_add_f32 v29, 1.0, v26
	s_delay_alu instid0(VALU_DEP_1) | instskip(NEXT) | instid1(VALU_DEP_1)
	v_add_f32_e32 v25, v25, v28
	v_ldexp_f32 v25, v25, v27
	s_delay_alu instid0(VALU_DEP_3) | instskip(NEXT) | instid1(VALU_DEP_1)
	v_dual_add_f32 v27, -1.0, v26 :: v_dual_add_f32 v28, -1.0, v29
	v_add_f32_e32 v30, 1.0, v27
	s_delay_alu instid0(VALU_DEP_2) | instskip(NEXT) | instid1(VALU_DEP_2)
	v_sub_f32_e32 v28, v26, v28
	v_sub_f32_e32 v26, v26, v30
	s_delay_alu instid0(VALU_DEP_2) | instskip(NEXT) | instid1(VALU_DEP_2)
	v_add_f32_e32 v28, v25, v28
	v_add_f32_e32 v25, v25, v26
	s_delay_alu instid0(VALU_DEP_1) | instskip(SKIP_2) | instid1(VALU_DEP_3)
	v_add_f32_e32 v31, v27, v25
	v_cmp_eq_f32_e32 vcc_lo, 0x7f800000, v22
	v_cmp_gt_f32_e64 s28, 0x33800000, v22
	v_dual_sub_f32 v27, v27, v31 :: v_dual_add_f32 v30, v29, v28
	s_delay_alu instid0(VALU_DEP_2) | instskip(NEXT) | instid1(VALU_DEP_1)
	s_or_b32 vcc_lo, s28, vcc_lo
	v_add_f32_e32 v25, v25, v27
	s_delay_alu instid0(VALU_DEP_2) | instskip(SKIP_1) | instid1(VALU_DEP_1)
	v_rcp_f32_e32 v26, v30
	v_sub_f32_e32 v29, v29, v30
	v_add_f32_e32 v28, v28, v29
	s_waitcnt_depctr 0xfff
	v_mul_f32_e32 v32, v31, v26
	s_delay_alu instid0(VALU_DEP_1) | instskip(NEXT) | instid1(VALU_DEP_1)
	v_mul_f32_e32 v33, v30, v32
	v_fma_f32 v29, v32, v30, -v33
	s_delay_alu instid0(VALU_DEP_1) | instskip(NEXT) | instid1(VALU_DEP_1)
	v_fmac_f32_e32 v29, v32, v28
	v_add_f32_e32 v35, v33, v29
	s_delay_alu instid0(VALU_DEP_1) | instskip(SKIP_1) | instid1(VALU_DEP_2)
	v_sub_f32_e32 v27, v35, v33
	v_sub_f32_e32 v120, v31, v35
	;; [unrolled: 1-line block ×3, first 2 shown]
	s_delay_alu instid0(VALU_DEP_2) | instskip(NEXT) | instid1(VALU_DEP_1)
	v_sub_f32_e32 v31, v31, v120
	v_sub_f32_e32 v31, v31, v35
	s_delay_alu instid0(VALU_DEP_1) | instskip(NEXT) | instid1(VALU_DEP_1)
	v_add_f32_e32 v25, v25, v31
	v_add_f32_e32 v25, v27, v25
	s_delay_alu instid0(VALU_DEP_1) | instskip(NEXT) | instid1(VALU_DEP_1)
	v_add_f32_e32 v27, v120, v25
	v_mul_f32_e32 v29, v26, v27
	s_delay_alu instid0(VALU_DEP_1) | instskip(SKIP_1) | instid1(VALU_DEP_2)
	v_mul_f32_e32 v31, v30, v29
	v_sub_f32_e32 v35, v120, v27
	v_fma_f32 v30, v29, v30, -v31
	s_delay_alu instid0(VALU_DEP_2) | instskip(NEXT) | instid1(VALU_DEP_2)
	v_add_f32_e32 v25, v25, v35
	v_fmac_f32_e32 v30, v29, v28
	s_delay_alu instid0(VALU_DEP_1) | instskip(NEXT) | instid1(VALU_DEP_1)
	v_add_f32_e32 v28, v31, v30
	v_sub_f32_e32 v33, v27, v28
	v_sub_f32_e32 v31, v28, v31
	s_delay_alu instid0(VALU_DEP_2) | instskip(NEXT) | instid1(VALU_DEP_1)
	v_sub_f32_e32 v27, v27, v33
	v_sub_f32_e32 v27, v27, v28
	s_delay_alu instid0(VALU_DEP_1) | instskip(SKIP_1) | instid1(VALU_DEP_1)
	v_dual_sub_f32 v28, v31, v30 :: v_dual_add_f32 v25, v25, v27
	v_add_f32_e32 v27, v32, v29
	v_dual_add_f32 v25, v28, v25 :: v_dual_sub_f32 v28, v27, v32
	s_delay_alu instid0(VALU_DEP_1) | instskip(NEXT) | instid1(VALU_DEP_1)
	v_add_f32_e32 v25, v33, v25
	v_dual_sub_f32 v28, v29, v28 :: v_dual_mul_f32 v25, v26, v25
	s_delay_alu instid0(VALU_DEP_1) | instskip(NEXT) | instid1(VALU_DEP_1)
	v_add_f32_e32 v25, v28, v25
	v_add_f32_e32 v26, v27, v25
	s_delay_alu instid0(VALU_DEP_1) | instskip(NEXT) | instid1(VALU_DEP_1)
	v_mul_f32_e32 v28, v26, v26
	v_fmaak_f32 v29, s74, v28, 0x3ecc95a3
	v_mul_f32_e32 v30, v26, v28
	s_delay_alu instid0(VALU_DEP_2) | instskip(SKIP_2) | instid1(VALU_DEP_3)
	v_fmaak_f32 v28, v28, v29, 0x3f2aaada
	v_ldexp_f32 v29, v26, 1
	v_sub_f32_e32 v26, v26, v27
	v_mul_f32_e32 v28, v30, v28
	s_delay_alu instid0(VALU_DEP_2) | instskip(NEXT) | instid1(VALU_DEP_2)
	v_dual_mul_f32 v30, 0x3f317218, v24 :: v_dual_sub_f32 v25, v25, v26
	v_add_f32_e32 v27, v29, v28
	s_delay_alu instid0(VALU_DEP_2) | instskip(NEXT) | instid1(VALU_DEP_2)
	v_ldexp_f32 v25, v25, 1
	v_sub_f32_e32 v26, v27, v29
	s_delay_alu instid0(VALU_DEP_4) | instskip(NEXT) | instid1(VALU_DEP_1)
	v_fma_f32 v29, 0x3f317218, v24, -v30
	v_dual_sub_f32 v26, v28, v26 :: v_dual_fmac_f32 v29, 0xb102e308, v24
	s_delay_alu instid0(VALU_DEP_1) | instskip(NEXT) | instid1(VALU_DEP_1)
	v_add_f32_e32 v24, v25, v26
	v_add_f32_e32 v26, v27, v24
	s_delay_alu instid0(VALU_DEP_1) | instskip(NEXT) | instid1(VALU_DEP_1)
	v_sub_f32_e32 v27, v26, v27
	v_dual_sub_f32 v24, v24, v27 :: v_dual_add_f32 v25, v30, v29
	s_delay_alu instid0(VALU_DEP_1) | instskip(NEXT) | instid1(VALU_DEP_1)
	v_add_f32_e32 v28, v25, v26
	v_dual_sub_f32 v30, v25, v30 :: v_dual_sub_f32 v31, v28, v25
	s_delay_alu instid0(VALU_DEP_1) | instskip(NEXT) | instid1(VALU_DEP_1)
	v_dual_sub_f32 v29, v29, v30 :: v_dual_sub_f32 v32, v28, v31
	v_dual_sub_f32 v26, v26, v31 :: v_dual_add_f32 v27, v29, v24
	s_delay_alu instid0(VALU_DEP_2) | instskip(NEXT) | instid1(VALU_DEP_1)
	v_sub_f32_e32 v25, v25, v32
	v_add_f32_e32 v25, v26, v25
	s_delay_alu instid0(VALU_DEP_3) | instskip(NEXT) | instid1(VALU_DEP_2)
	v_sub_f32_e32 v26, v27, v29
	v_add_f32_e32 v25, v27, v25
	s_delay_alu instid0(VALU_DEP_2) | instskip(SKIP_1) | instid1(VALU_DEP_2)
	v_sub_f32_e32 v27, v27, v26
	v_sub_f32_e32 v24, v24, v26
	v_dual_add_f32 v30, v28, v25 :: v_dual_sub_f32 v27, v29, v27
	s_delay_alu instid0(VALU_DEP_1) | instskip(NEXT) | instid1(VALU_DEP_1)
	v_sub_f32_e32 v26, v30, v28
	v_dual_add_f32 v24, v24, v27 :: v_dual_sub_f32 v25, v25, v26
	s_delay_alu instid0(VALU_DEP_1) | instskip(NEXT) | instid1(VALU_DEP_1)
	v_add_f32_e32 v24, v24, v25
	v_add_f32_e32 v24, v30, v24
	s_delay_alu instid0(VALU_DEP_1)
	v_cndmask_b32_e32 v131, v24, v22, vcc_lo
.LBB149_96:                             ;   in Loop: Header=BB149_12 Depth=1
	s_or_b32 exec_lo, exec_lo, s29
	v_add_f32_e32 v137, s84, v23
	s_delay_alu instid0(VALU_DEP_1) | instskip(SKIP_1) | instid1(SALU_CYCLE_1)
	v_cmp_ge_f32_e32 vcc_lo, 0x41a00000, v137
	s_and_b32 s28, s89, vcc_lo
	s_and_saveexec_b32 s29, s28
	s_cbranch_execz .LBB149_98
; %bb.97:                               ;   in Loop: Header=BB149_12 Depth=1
	v_mul_f32_e32 v22, 0x3fb8aa3b, v137
	v_cmp_ngt_f32_e32 vcc_lo, 0xc2ce8ed0, v137
	s_delay_alu instid0(VALU_DEP_2) | instskip(SKIP_1) | instid1(VALU_DEP_2)
	v_rndne_f32_e32 v23, v22
	v_fma_f32 v24, 0x3fb8aa3b, v137, -v22
	v_sub_f32_e32 v22, v22, v23
	s_delay_alu instid0(VALU_DEP_2) | instskip(SKIP_1) | instid1(VALU_DEP_2)
	v_fmac_f32_e32 v24, 0x32a5705f, v137
	v_cvt_i32_f32_e32 v23, v23
	v_add_f32_e32 v22, v22, v24
	s_delay_alu instid0(VALU_DEP_1) | instskip(SKIP_2) | instid1(VALU_DEP_1)
	v_exp_f32_e32 v22, v22
	s_waitcnt_depctr 0xfff
	v_ldexp_f32 v22, v22, v23
	v_cndmask_b32_e32 v22, 0, v22, vcc_lo
	v_cmp_nlt_f32_e32 vcc_lo, 0x42b17218, v137
	s_delay_alu instid0(VALU_DEP_2) | instskip(NEXT) | instid1(VALU_DEP_1)
	v_cndmask_b32_e32 v24, 0x7f800000, v22, vcc_lo
	v_add_f32_e32 v25, 1.0, v24
	s_delay_alu instid0(VALU_DEP_1) | instskip(NEXT) | instid1(VALU_DEP_1)
	v_cvt_f64_f32_e32 v[22:23], v25
	v_frexp_exp_i32_f64_e32 v22, v[22:23]
	v_frexp_mant_f32_e32 v23, v25
	s_delay_alu instid0(VALU_DEP_1) | instskip(SKIP_1) | instid1(VALU_DEP_1)
	v_cmp_gt_f32_e32 vcc_lo, 0x3f2aaaab, v23
	v_add_f32_e32 v23, -1.0, v25
	v_sub_f32_e32 v27, v23, v25
	v_sub_f32_e32 v23, v24, v23
	s_delay_alu instid0(VALU_DEP_2) | instskip(NEXT) | instid1(VALU_DEP_1)
	v_add_f32_e32 v27, 1.0, v27
	v_add_f32_e32 v23, v23, v27
	v_cmp_gt_f32_e64 s28, 0x33800000, v24
	v_subrev_co_ci_u32_e32 v22, vcc_lo, 0, v22, vcc_lo
	v_cmp_eq_f32_e32 vcc_lo, 0x7f800000, v24
	s_delay_alu instid0(VALU_DEP_2) | instskip(SKIP_2) | instid1(VALU_DEP_2)
	v_sub_nc_u32_e32 v26, 0, v22
	v_cvt_f32_i32_e32 v22, v22
	s_or_b32 vcc_lo, s28, vcc_lo
	v_ldexp_f32 v25, v25, v26
	v_ldexp_f32 v23, v23, v26
	s_delay_alu instid0(VALU_DEP_2) | instskip(NEXT) | instid1(VALU_DEP_1)
	v_add_f32_e32 v28, 1.0, v25
	v_dual_add_f32 v26, -1.0, v25 :: v_dual_add_f32 v27, -1.0, v28
	s_delay_alu instid0(VALU_DEP_1) | instskip(NEXT) | instid1(VALU_DEP_2)
	v_add_f32_e32 v29, 1.0, v26
	v_sub_f32_e32 v27, v25, v27
	s_delay_alu instid0(VALU_DEP_2) | instskip(NEXT) | instid1(VALU_DEP_2)
	v_sub_f32_e32 v25, v25, v29
	v_add_f32_e32 v27, v23, v27
	s_delay_alu instid0(VALU_DEP_2) | instskip(NEXT) | instid1(VALU_DEP_1)
	v_add_f32_e32 v23, v23, v25
	v_add_f32_e32 v30, v26, v23
	s_delay_alu instid0(VALU_DEP_1) | instskip(NEXT) | instid1(VALU_DEP_1)
	v_dual_add_f32 v29, v28, v27 :: v_dual_sub_f32 v26, v26, v30
	v_rcp_f32_e32 v25, v29
	v_sub_f32_e32 v28, v28, v29
	s_delay_alu instid0(VALU_DEP_1) | instskip(SKIP_2) | instid1(VALU_DEP_1)
	v_add_f32_e32 v27, v27, v28
	s_waitcnt_depctr 0xfff
	v_mul_f32_e32 v31, v30, v25
	v_mul_f32_e32 v32, v29, v31
	s_delay_alu instid0(VALU_DEP_1) | instskip(NEXT) | instid1(VALU_DEP_1)
	v_fma_f32 v28, v31, v29, -v32
	v_fmac_f32_e32 v28, v31, v27
	s_delay_alu instid0(VALU_DEP_1) | instskip(NEXT) | instid1(VALU_DEP_1)
	v_add_f32_e32 v33, v32, v28
	v_sub_f32_e32 v35, v30, v33
	s_delay_alu instid0(VALU_DEP_1) | instskip(SKIP_1) | instid1(VALU_DEP_2)
	v_dual_sub_f32 v30, v30, v35 :: v_dual_add_f32 v23, v23, v26
	v_sub_f32_e32 v26, v33, v32
	v_sub_f32_e32 v30, v30, v33
	s_delay_alu instid0(VALU_DEP_1) | instskip(NEXT) | instid1(VALU_DEP_1)
	v_dual_sub_f32 v26, v26, v28 :: v_dual_add_f32 v23, v23, v30
	v_add_f32_e32 v23, v26, v23
	s_delay_alu instid0(VALU_DEP_1) | instskip(NEXT) | instid1(VALU_DEP_1)
	v_add_f32_e32 v26, v35, v23
	v_mul_f32_e32 v28, v25, v26
	s_delay_alu instid0(VALU_DEP_1) | instskip(NEXT) | instid1(VALU_DEP_1)
	v_dual_sub_f32 v33, v35, v26 :: v_dual_mul_f32 v30, v29, v28
	v_fma_f32 v29, v28, v29, -v30
	s_delay_alu instid0(VALU_DEP_1) | instskip(NEXT) | instid1(VALU_DEP_1)
	v_fmac_f32_e32 v29, v28, v27
	v_add_f32_e32 v27, v30, v29
	s_delay_alu instid0(VALU_DEP_1) | instskip(NEXT) | instid1(VALU_DEP_1)
	v_sub_f32_e32 v32, v26, v27
	v_dual_sub_f32 v26, v26, v32 :: v_dual_add_f32 v23, v23, v33
	s_delay_alu instid0(VALU_DEP_1) | instskip(NEXT) | instid1(VALU_DEP_1)
	v_sub_f32_e32 v26, v26, v27
	v_add_f32_e32 v23, v23, v26
	v_add_f32_e32 v26, v31, v28
	v_sub_f32_e32 v30, v27, v30
	s_delay_alu instid0(VALU_DEP_1) | instskip(NEXT) | instid1(VALU_DEP_1)
	v_sub_f32_e32 v27, v30, v29
	v_add_f32_e32 v23, v27, v23
	s_delay_alu instid0(VALU_DEP_4) | instskip(NEXT) | instid1(VALU_DEP_2)
	v_sub_f32_e32 v27, v26, v31
	v_add_f32_e32 v23, v32, v23
	s_delay_alu instid0(VALU_DEP_2) | instskip(NEXT) | instid1(VALU_DEP_2)
	v_sub_f32_e32 v27, v28, v27
	v_mul_f32_e32 v23, v25, v23
	s_delay_alu instid0(VALU_DEP_1) | instskip(NEXT) | instid1(VALU_DEP_1)
	v_add_f32_e32 v23, v27, v23
	v_add_f32_e32 v25, v26, v23
	s_delay_alu instid0(VALU_DEP_1) | instskip(NEXT) | instid1(VALU_DEP_1)
	v_mul_f32_e32 v27, v25, v25
	v_fmaak_f32 v28, s74, v27, 0x3ecc95a3
	v_mul_f32_e32 v29, v25, v27
	s_delay_alu instid0(VALU_DEP_2) | instskip(SKIP_1) | instid1(VALU_DEP_2)
	v_fmaak_f32 v27, v27, v28, 0x3f2aaada
	v_ldexp_f32 v28, v25, 1
	v_mul_f32_e32 v27, v29, v27
	v_sub_f32_e32 v25, v25, v26
	s_delay_alu instid0(VALU_DEP_2) | instskip(NEXT) | instid1(VALU_DEP_2)
	v_dual_mul_f32 v29, 0x3f317218, v22 :: v_dual_add_f32 v26, v28, v27
	v_sub_f32_e32 v23, v23, v25
	s_delay_alu instid0(VALU_DEP_2) | instskip(NEXT) | instid1(VALU_DEP_3)
	v_sub_f32_e32 v25, v26, v28
	v_fma_f32 v28, 0x3f317218, v22, -v29
	s_delay_alu instid0(VALU_DEP_3) | instskip(NEXT) | instid1(VALU_DEP_2)
	v_ldexp_f32 v23, v23, 1
	v_dual_sub_f32 v25, v27, v25 :: v_dual_fmac_f32 v28, 0xb102e308, v22
	s_delay_alu instid0(VALU_DEP_1) | instskip(NEXT) | instid1(VALU_DEP_1)
	v_dual_add_f32 v22, v23, v25 :: v_dual_add_f32 v23, v29, v28
	v_add_f32_e32 v25, v26, v22
	s_delay_alu instid0(VALU_DEP_1) | instskip(NEXT) | instid1(VALU_DEP_1)
	v_dual_add_f32 v27, v23, v25 :: v_dual_sub_f32 v26, v25, v26
	v_sub_f32_e32 v30, v27, v23
	s_delay_alu instid0(VALU_DEP_2) | instskip(NEXT) | instid1(VALU_DEP_1)
	v_dual_sub_f32 v29, v23, v29 :: v_dual_sub_f32 v22, v22, v26
	v_dual_sub_f32 v31, v27, v30 :: v_dual_sub_f32 v28, v28, v29
	v_sub_f32_e32 v25, v25, v30
	s_delay_alu instid0(VALU_DEP_2) | instskip(NEXT) | instid1(VALU_DEP_1)
	v_dual_sub_f32 v23, v23, v31 :: v_dual_add_f32 v26, v28, v22
	v_add_f32_e32 v23, v25, v23
	s_delay_alu instid0(VALU_DEP_2) | instskip(NEXT) | instid1(VALU_DEP_2)
	v_sub_f32_e32 v25, v26, v28
	v_add_f32_e32 v23, v26, v23
	s_delay_alu instid0(VALU_DEP_2) | instskip(NEXT) | instid1(VALU_DEP_2)
	v_sub_f32_e32 v26, v26, v25
	v_dual_sub_f32 v22, v22, v25 :: v_dual_add_f32 v29, v27, v23
	s_delay_alu instid0(VALU_DEP_1) | instskip(NEXT) | instid1(VALU_DEP_1)
	v_dual_sub_f32 v26, v28, v26 :: v_dual_sub_f32 v25, v29, v27
	v_dual_add_f32 v22, v22, v26 :: v_dual_sub_f32 v23, v23, v25
	s_delay_alu instid0(VALU_DEP_1) | instskip(NEXT) | instid1(VALU_DEP_1)
	v_add_f32_e32 v22, v22, v23
	v_add_f32_e32 v22, v29, v22
	s_delay_alu instid0(VALU_DEP_1)
	v_cndmask_b32_e32 v137, v22, v24, vcc_lo
.LBB149_98:                             ;   in Loop: Header=BB149_12 Depth=1
	s_or_b32 exec_lo, exec_lo, s29
	s_waitcnt lgkmcnt(1)
	v_add_f32_e32 v139, s84, v20
	s_delay_alu instid0(VALU_DEP_1) | instskip(SKIP_1) | instid1(SALU_CYCLE_1)
	v_cmp_ge_f32_e32 vcc_lo, 0x41a00000, v139
	s_and_b32 s28, s89, vcc_lo
	s_and_saveexec_b32 s29, s28
	s_cbranch_execz .LBB149_100
; %bb.99:                               ;   in Loop: Header=BB149_12 Depth=1
	v_mul_f32_e32 v20, 0x3fb8aa3b, v139
	v_cmp_ngt_f32_e32 vcc_lo, 0xc2ce8ed0, v139
	s_delay_alu instid0(VALU_DEP_2) | instskip(SKIP_1) | instid1(VALU_DEP_1)
	v_rndne_f32_e32 v22, v20
	v_fma_f32 v23, 0x3fb8aa3b, v139, -v20
	v_dual_sub_f32 v20, v20, v22 :: v_dual_fmac_f32 v23, 0x32a5705f, v139
	v_cvt_i32_f32_e32 v22, v22
	s_delay_alu instid0(VALU_DEP_2) | instskip(NEXT) | instid1(VALU_DEP_1)
	v_add_f32_e32 v20, v20, v23
	v_exp_f32_e32 v20, v20
	s_waitcnt_depctr 0xfff
	v_ldexp_f32 v20, v20, v22
	s_delay_alu instid0(VALU_DEP_1) | instskip(SKIP_1) | instid1(VALU_DEP_2)
	v_cndmask_b32_e32 v20, 0, v20, vcc_lo
	v_cmp_nlt_f32_e32 vcc_lo, 0x42b17218, v139
	v_cndmask_b32_e32 v20, 0x7f800000, v20, vcc_lo
	s_delay_alu instid0(VALU_DEP_1) | instskip(NEXT) | instid1(VALU_DEP_1)
	v_add_f32_e32 v24, 1.0, v20
	v_cvt_f64_f32_e32 v[22:23], v24
	s_delay_alu instid0(VALU_DEP_1) | instskip(SKIP_1) | instid1(VALU_DEP_1)
	v_frexp_exp_i32_f64_e32 v22, v[22:23]
	v_frexp_mant_f32_e32 v23, v24
	v_cmp_gt_f32_e32 vcc_lo, 0x3f2aaaab, v23
	v_add_f32_e32 v23, -1.0, v24
	s_delay_alu instid0(VALU_DEP_1) | instskip(SKIP_1) | instid1(VALU_DEP_1)
	v_dual_sub_f32 v26, v23, v24 :: v_dual_sub_f32 v23, v20, v23
	v_subrev_co_ci_u32_e32 v22, vcc_lo, 0, v22, vcc_lo
	v_sub_nc_u32_e32 v25, 0, v22
	v_cvt_f32_i32_e32 v22, v22
	s_delay_alu instid0(VALU_DEP_2) | instskip(NEXT) | instid1(VALU_DEP_1)
	v_ldexp_f32 v24, v24, v25
	v_dual_add_f32 v26, 1.0, v26 :: v_dual_add_f32 v27, 1.0, v24
	s_delay_alu instid0(VALU_DEP_1) | instskip(NEXT) | instid1(VALU_DEP_1)
	v_add_f32_e32 v23, v23, v26
	v_ldexp_f32 v23, v23, v25
	s_delay_alu instid0(VALU_DEP_3) | instskip(NEXT) | instid1(VALU_DEP_1)
	v_dual_add_f32 v25, -1.0, v24 :: v_dual_add_f32 v26, -1.0, v27
	v_add_f32_e32 v28, 1.0, v25
	s_delay_alu instid0(VALU_DEP_2) | instskip(NEXT) | instid1(VALU_DEP_2)
	v_sub_f32_e32 v26, v24, v26
	v_sub_f32_e32 v24, v24, v28
	s_delay_alu instid0(VALU_DEP_2) | instskip(NEXT) | instid1(VALU_DEP_2)
	v_add_f32_e32 v26, v23, v26
	v_add_f32_e32 v23, v23, v24
	s_delay_alu instid0(VALU_DEP_1) | instskip(SKIP_2) | instid1(VALU_DEP_3)
	v_dual_add_f32 v29, v25, v23 :: v_dual_add_f32 v28, v27, v26
	v_cmp_eq_f32_e32 vcc_lo, 0x7f800000, v20
	v_cmp_gt_f32_e64 s28, 0x33800000, v20
	v_sub_f32_e32 v25, v25, v29
	s_delay_alu instid0(VALU_DEP_4) | instskip(SKIP_1) | instid1(VALU_DEP_3)
	v_rcp_f32_e32 v24, v28
	v_sub_f32_e32 v27, v27, v28
	s_or_b32 vcc_lo, s28, vcc_lo
	s_delay_alu instid0(VALU_DEP_1) | instskip(SKIP_2) | instid1(VALU_DEP_1)
	v_dual_add_f32 v23, v23, v25 :: v_dual_add_f32 v26, v26, v27
	s_waitcnt_depctr 0xfff
	v_mul_f32_e32 v30, v29, v24
	v_mul_f32_e32 v31, v28, v30
	s_delay_alu instid0(VALU_DEP_1) | instskip(NEXT) | instid1(VALU_DEP_1)
	v_fma_f32 v27, v30, v28, -v31
	v_fmac_f32_e32 v27, v30, v26
	s_delay_alu instid0(VALU_DEP_1) | instskip(NEXT) | instid1(VALU_DEP_1)
	v_add_f32_e32 v32, v31, v27
	v_sub_f32_e32 v33, v29, v32
	s_delay_alu instid0(VALU_DEP_1) | instskip(NEXT) | instid1(VALU_DEP_1)
	v_sub_f32_e32 v29, v29, v33
	v_sub_f32_e32 v29, v29, v32
	;; [unrolled: 1-line block ×3, first 2 shown]
	s_delay_alu instid0(VALU_DEP_2) | instskip(NEXT) | instid1(VALU_DEP_2)
	v_add_f32_e32 v23, v23, v29
	v_sub_f32_e32 v25, v25, v27
	s_delay_alu instid0(VALU_DEP_1) | instskip(NEXT) | instid1(VALU_DEP_1)
	v_add_f32_e32 v23, v25, v23
	v_add_f32_e32 v25, v33, v23
	s_delay_alu instid0(VALU_DEP_1) | instskip(NEXT) | instid1(VALU_DEP_1)
	v_mul_f32_e32 v27, v24, v25
	v_dual_sub_f32 v32, v33, v25 :: v_dual_mul_f32 v29, v28, v27
	s_delay_alu instid0(VALU_DEP_1) | instskip(NEXT) | instid1(VALU_DEP_2)
	v_add_f32_e32 v23, v23, v32
	v_fma_f32 v28, v27, v28, -v29
	s_delay_alu instid0(VALU_DEP_1) | instskip(NEXT) | instid1(VALU_DEP_1)
	v_fmac_f32_e32 v28, v27, v26
	v_add_f32_e32 v26, v29, v28
	s_delay_alu instid0(VALU_DEP_1) | instskip(NEXT) | instid1(VALU_DEP_1)
	v_sub_f32_e32 v31, v25, v26
	v_sub_f32_e32 v25, v25, v31
	s_delay_alu instid0(VALU_DEP_1) | instskip(NEXT) | instid1(VALU_DEP_1)
	v_sub_f32_e32 v25, v25, v26
	v_add_f32_e32 v23, v23, v25
	v_add_f32_e32 v25, v30, v27
	v_sub_f32_e32 v29, v26, v29
	s_delay_alu instid0(VALU_DEP_1) | instskip(NEXT) | instid1(VALU_DEP_1)
	v_sub_f32_e32 v26, v29, v28
	v_dual_add_f32 v23, v26, v23 :: v_dual_sub_f32 v26, v25, v30
	s_delay_alu instid0(VALU_DEP_1) | instskip(NEXT) | instid1(VALU_DEP_1)
	v_add_f32_e32 v23, v31, v23
	v_dual_sub_f32 v26, v27, v26 :: v_dual_mul_f32 v23, v24, v23
	s_delay_alu instid0(VALU_DEP_1) | instskip(NEXT) | instid1(VALU_DEP_1)
	v_add_f32_e32 v23, v26, v23
	v_add_f32_e32 v24, v25, v23
	s_delay_alu instid0(VALU_DEP_1) | instskip(NEXT) | instid1(VALU_DEP_1)
	v_mul_f32_e32 v26, v24, v24
	v_fmaak_f32 v27, s74, v26, 0x3ecc95a3
	v_mul_f32_e32 v28, v24, v26
	s_delay_alu instid0(VALU_DEP_2) | instskip(SKIP_2) | instid1(VALU_DEP_3)
	v_fmaak_f32 v26, v26, v27, 0x3f2aaada
	v_ldexp_f32 v27, v24, 1
	v_sub_f32_e32 v24, v24, v25
	v_mul_f32_e32 v26, v28, v26
	v_mul_f32_e32 v28, 0x3f317218, v22
	s_delay_alu instid0(VALU_DEP_2) | instskip(NEXT) | instid1(VALU_DEP_1)
	v_add_f32_e32 v25, v27, v26
	v_dual_sub_f32 v23, v23, v24 :: v_dual_sub_f32 v24, v25, v27
	s_delay_alu instid0(VALU_DEP_3) | instskip(NEXT) | instid1(VALU_DEP_2)
	v_fma_f32 v27, 0x3f317218, v22, -v28
	v_ldexp_f32 v23, v23, 1
	s_delay_alu instid0(VALU_DEP_2) | instskip(NEXT) | instid1(VALU_DEP_1)
	v_dual_sub_f32 v24, v26, v24 :: v_dual_fmac_f32 v27, 0xb102e308, v22
	v_dual_add_f32 v22, v23, v24 :: v_dual_add_f32 v23, v28, v27
	s_delay_alu instid0(VALU_DEP_1) | instskip(NEXT) | instid1(VALU_DEP_1)
	v_add_f32_e32 v24, v25, v22
	v_add_f32_e32 v26, v23, v24
	s_delay_alu instid0(VALU_DEP_1) | instskip(NEXT) | instid1(VALU_DEP_1)
	v_sub_f32_e32 v29, v26, v23
	v_sub_f32_e32 v30, v26, v29
	;; [unrolled: 1-line block ×4, first 2 shown]
	s_delay_alu instid0(VALU_DEP_2) | instskip(SKIP_1) | instid1(VALU_DEP_1)
	v_sub_f32_e32 v22, v22, v25
	v_sub_f32_e32 v28, v23, v28
	;; [unrolled: 1-line block ×3, first 2 shown]
	s_delay_alu instid0(VALU_DEP_1) | instskip(SKIP_1) | instid1(VALU_DEP_1)
	v_add_f32_e32 v25, v27, v22
	v_sub_f32_e32 v23, v23, v30
	v_add_f32_e32 v23, v24, v23
	s_delay_alu instid0(VALU_DEP_3) | instskip(NEXT) | instid1(VALU_DEP_1)
	v_sub_f32_e32 v24, v25, v27
	v_dual_sub_f32 v22, v22, v24 :: v_dual_add_f32 v23, v25, v23
	s_delay_alu instid0(VALU_DEP_1) | instskip(NEXT) | instid1(VALU_DEP_1)
	v_dual_sub_f32 v25, v25, v24 :: v_dual_add_f32 v28, v26, v23
	v_dual_sub_f32 v25, v27, v25 :: v_dual_sub_f32 v24, v28, v26
	s_delay_alu instid0(VALU_DEP_1) | instskip(NEXT) | instid1(VALU_DEP_1)
	v_dual_add_f32 v22, v22, v25 :: v_dual_sub_f32 v23, v23, v24
	v_add_f32_e32 v22, v22, v23
	s_delay_alu instid0(VALU_DEP_1) | instskip(NEXT) | instid1(VALU_DEP_1)
	v_add_f32_e32 v22, v28, v22
	v_cndmask_b32_e32 v139, v22, v20, vcc_lo
.LBB149_100:                            ;   in Loop: Header=BB149_12 Depth=1
	s_or_b32 exec_lo, exec_lo, s29
	v_add_f32_e32 v140, s84, v21
	s_delay_alu instid0(VALU_DEP_1) | instskip(SKIP_1) | instid1(SALU_CYCLE_1)
	v_cmp_ge_f32_e32 vcc_lo, 0x41a00000, v140
	s_and_b32 s28, s89, vcc_lo
	s_and_saveexec_b32 s29, s28
	s_cbranch_execz .LBB149_102
; %bb.101:                              ;   in Loop: Header=BB149_12 Depth=1
	v_mul_f32_e32 v20, 0x3fb8aa3b, v140
	v_cmp_ngt_f32_e32 vcc_lo, 0xc2ce8ed0, v140
	s_delay_alu instid0(VALU_DEP_2) | instskip(SKIP_1) | instid1(VALU_DEP_2)
	v_rndne_f32_e32 v21, v20
	v_fma_f32 v22, 0x3fb8aa3b, v140, -v20
	v_sub_f32_e32 v20, v20, v21
	s_delay_alu instid0(VALU_DEP_2) | instskip(SKIP_1) | instid1(VALU_DEP_2)
	v_fmac_f32_e32 v22, 0x32a5705f, v140
	v_cvt_i32_f32_e32 v21, v21
	v_add_f32_e32 v20, v20, v22
	s_delay_alu instid0(VALU_DEP_1) | instskip(SKIP_2) | instid1(VALU_DEP_1)
	v_exp_f32_e32 v20, v20
	s_waitcnt_depctr 0xfff
	v_ldexp_f32 v20, v20, v21
	v_cndmask_b32_e32 v20, 0, v20, vcc_lo
	v_cmp_nlt_f32_e32 vcc_lo, 0x42b17218, v140
	s_delay_alu instid0(VALU_DEP_2) | instskip(NEXT) | instid1(VALU_DEP_1)
	v_cndmask_b32_e32 v22, 0x7f800000, v20, vcc_lo
	v_add_f32_e32 v23, 1.0, v22
	s_delay_alu instid0(VALU_DEP_1) | instskip(NEXT) | instid1(VALU_DEP_1)
	v_cvt_f64_f32_e32 v[20:21], v23
	v_frexp_exp_i32_f64_e32 v20, v[20:21]
	v_frexp_mant_f32_e32 v21, v23
	s_delay_alu instid0(VALU_DEP_1) | instskip(SKIP_1) | instid1(VALU_DEP_1)
	v_cmp_gt_f32_e32 vcc_lo, 0x3f2aaaab, v21
	v_add_f32_e32 v21, -1.0, v23
	v_sub_f32_e32 v25, v21, v23
	v_sub_f32_e32 v21, v22, v21
	s_delay_alu instid0(VALU_DEP_2) | instskip(NEXT) | instid1(VALU_DEP_1)
	v_add_f32_e32 v25, 1.0, v25
	v_add_f32_e32 v21, v21, v25
	v_cmp_gt_f32_e64 s28, 0x33800000, v22
	v_subrev_co_ci_u32_e32 v20, vcc_lo, 0, v20, vcc_lo
	v_cmp_eq_f32_e32 vcc_lo, 0x7f800000, v22
	s_delay_alu instid0(VALU_DEP_2) | instskip(SKIP_2) | instid1(VALU_DEP_2)
	v_sub_nc_u32_e32 v24, 0, v20
	v_cvt_f32_i32_e32 v20, v20
	s_or_b32 vcc_lo, s28, vcc_lo
	v_ldexp_f32 v23, v23, v24
	v_ldexp_f32 v21, v21, v24
	s_delay_alu instid0(VALU_DEP_2) | instskip(NEXT) | instid1(VALU_DEP_1)
	v_add_f32_e32 v26, 1.0, v23
	v_dual_add_f32 v24, -1.0, v23 :: v_dual_add_f32 v25, -1.0, v26
	s_delay_alu instid0(VALU_DEP_1) | instskip(NEXT) | instid1(VALU_DEP_2)
	v_add_f32_e32 v27, 1.0, v24
	v_sub_f32_e32 v25, v23, v25
	s_delay_alu instid0(VALU_DEP_2) | instskip(NEXT) | instid1(VALU_DEP_2)
	v_sub_f32_e32 v23, v23, v27
	v_add_f32_e32 v25, v21, v25
	s_delay_alu instid0(VALU_DEP_2) | instskip(NEXT) | instid1(VALU_DEP_1)
	v_add_f32_e32 v21, v21, v23
	v_add_f32_e32 v28, v24, v21
	s_delay_alu instid0(VALU_DEP_1) | instskip(NEXT) | instid1(VALU_DEP_1)
	v_dual_add_f32 v27, v26, v25 :: v_dual_sub_f32 v24, v24, v28
	v_rcp_f32_e32 v23, v27
	v_sub_f32_e32 v26, v26, v27
	s_delay_alu instid0(VALU_DEP_1) | instskip(SKIP_2) | instid1(VALU_DEP_1)
	v_add_f32_e32 v25, v25, v26
	s_waitcnt_depctr 0xfff
	v_mul_f32_e32 v29, v28, v23
	v_mul_f32_e32 v30, v27, v29
	s_delay_alu instid0(VALU_DEP_1) | instskip(NEXT) | instid1(VALU_DEP_1)
	v_fma_f32 v26, v29, v27, -v30
	v_fmac_f32_e32 v26, v29, v25
	s_delay_alu instid0(VALU_DEP_1) | instskip(NEXT) | instid1(VALU_DEP_1)
	v_add_f32_e32 v31, v30, v26
	v_sub_f32_e32 v32, v28, v31
	s_delay_alu instid0(VALU_DEP_1) | instskip(SKIP_1) | instid1(VALU_DEP_2)
	v_sub_f32_e32 v28, v28, v32
	v_dual_add_f32 v21, v21, v24 :: v_dual_sub_f32 v24, v31, v30
	v_sub_f32_e32 v28, v28, v31
	s_delay_alu instid0(VALU_DEP_1) | instskip(NEXT) | instid1(VALU_DEP_1)
	v_dual_sub_f32 v24, v24, v26 :: v_dual_add_f32 v21, v21, v28
	v_add_f32_e32 v21, v24, v21
	s_delay_alu instid0(VALU_DEP_1) | instskip(NEXT) | instid1(VALU_DEP_1)
	v_add_f32_e32 v24, v32, v21
	v_mul_f32_e32 v26, v23, v24
	s_delay_alu instid0(VALU_DEP_1) | instskip(NEXT) | instid1(VALU_DEP_1)
	v_dual_sub_f32 v31, v32, v24 :: v_dual_mul_f32 v28, v27, v26
	v_add_f32_e32 v21, v21, v31
	s_delay_alu instid0(VALU_DEP_2) | instskip(NEXT) | instid1(VALU_DEP_1)
	v_fma_f32 v27, v26, v27, -v28
	v_fmac_f32_e32 v27, v26, v25
	s_delay_alu instid0(VALU_DEP_1) | instskip(NEXT) | instid1(VALU_DEP_1)
	v_add_f32_e32 v25, v28, v27
	v_sub_f32_e32 v30, v24, v25
	s_delay_alu instid0(VALU_DEP_1) | instskip(NEXT) | instid1(VALU_DEP_1)
	v_sub_f32_e32 v24, v24, v30
	v_sub_f32_e32 v24, v24, v25
	s_delay_alu instid0(VALU_DEP_1) | instskip(SKIP_2) | instid1(VALU_DEP_1)
	v_add_f32_e32 v21, v21, v24
	v_add_f32_e32 v24, v29, v26
	v_sub_f32_e32 v28, v25, v28
	v_sub_f32_e32 v25, v28, v27
	s_delay_alu instid0(VALU_DEP_1) | instskip(NEXT) | instid1(VALU_DEP_4)
	v_add_f32_e32 v21, v25, v21
	v_sub_f32_e32 v25, v24, v29
	s_delay_alu instid0(VALU_DEP_2) | instskip(NEXT) | instid1(VALU_DEP_2)
	v_add_f32_e32 v21, v30, v21
	v_sub_f32_e32 v25, v26, v25
	s_delay_alu instid0(VALU_DEP_2) | instskip(NEXT) | instid1(VALU_DEP_1)
	v_mul_f32_e32 v21, v23, v21
	v_add_f32_e32 v21, v25, v21
	s_delay_alu instid0(VALU_DEP_1) | instskip(NEXT) | instid1(VALU_DEP_1)
	v_add_f32_e32 v23, v24, v21
	v_mul_f32_e32 v25, v23, v23
	s_delay_alu instid0(VALU_DEP_1) | instskip(SKIP_1) | instid1(VALU_DEP_2)
	v_fmaak_f32 v26, s74, v25, 0x3ecc95a3
	v_mul_f32_e32 v27, v23, v25
	v_fmaak_f32 v25, v25, v26, 0x3f2aaada
	v_ldexp_f32 v26, v23, 1
	s_delay_alu instid0(VALU_DEP_2) | instskip(SKIP_1) | instid1(VALU_DEP_2)
	v_mul_f32_e32 v25, v27, v25
	v_sub_f32_e32 v23, v23, v24
	v_dual_mul_f32 v27, 0x3f317218, v20 :: v_dual_add_f32 v24, v26, v25
	s_delay_alu instid0(VALU_DEP_2) | instskip(NEXT) | instid1(VALU_DEP_2)
	v_sub_f32_e32 v21, v21, v23
	v_sub_f32_e32 v23, v24, v26
	s_delay_alu instid0(VALU_DEP_3) | instskip(NEXT) | instid1(VALU_DEP_3)
	v_fma_f32 v26, 0x3f317218, v20, -v27
	v_ldexp_f32 v21, v21, 1
	s_delay_alu instid0(VALU_DEP_2) | instskip(NEXT) | instid1(VALU_DEP_1)
	v_dual_sub_f32 v23, v25, v23 :: v_dual_fmac_f32 v26, 0xb102e308, v20
	v_dual_add_f32 v20, v21, v23 :: v_dual_add_f32 v21, v27, v26
	s_delay_alu instid0(VALU_DEP_1) | instskip(NEXT) | instid1(VALU_DEP_1)
	v_add_f32_e32 v23, v24, v20
	v_dual_add_f32 v25, v21, v23 :: v_dual_sub_f32 v24, v23, v24
	s_delay_alu instid0(VALU_DEP_1) | instskip(NEXT) | instid1(VALU_DEP_2)
	v_sub_f32_e32 v28, v25, v21
	v_dual_sub_f32 v27, v21, v27 :: v_dual_sub_f32 v20, v20, v24
	s_delay_alu instid0(VALU_DEP_1) | instskip(SKIP_1) | instid1(VALU_DEP_2)
	v_dual_sub_f32 v29, v25, v28 :: v_dual_sub_f32 v26, v26, v27
	v_sub_f32_e32 v23, v23, v28
	v_dual_sub_f32 v21, v21, v29 :: v_dual_add_f32 v24, v26, v20
	s_delay_alu instid0(VALU_DEP_1) | instskip(NEXT) | instid1(VALU_DEP_2)
	v_add_f32_e32 v21, v23, v21
	v_sub_f32_e32 v23, v24, v26
	s_delay_alu instid0(VALU_DEP_2) | instskip(NEXT) | instid1(VALU_DEP_2)
	v_add_f32_e32 v21, v24, v21
	v_sub_f32_e32 v24, v24, v23
	s_delay_alu instid0(VALU_DEP_2) | instskip(NEXT) | instid1(VALU_DEP_1)
	v_dual_sub_f32 v20, v20, v23 :: v_dual_add_f32 v27, v25, v21
	v_dual_sub_f32 v24, v26, v24 :: v_dual_sub_f32 v23, v27, v25
	s_delay_alu instid0(VALU_DEP_1) | instskip(NEXT) | instid1(VALU_DEP_1)
	v_dual_add_f32 v20, v20, v24 :: v_dual_sub_f32 v21, v21, v23
	v_add_f32_e32 v20, v20, v21
	s_delay_alu instid0(VALU_DEP_1) | instskip(NEXT) | instid1(VALU_DEP_1)
	v_add_f32_e32 v20, v27, v20
	v_cndmask_b32_e32 v140, v20, v22, vcc_lo
.LBB149_102:                            ;   in Loop: Header=BB149_12 Depth=1
	s_or_b32 exec_lo, exec_lo, s29
	s_waitcnt lgkmcnt(0)
	v_add_f32_e32 v141, s84, v18
	s_delay_alu instid0(VALU_DEP_1) | instskip(SKIP_1) | instid1(SALU_CYCLE_1)
	v_cmp_ge_f32_e32 vcc_lo, 0x41a00000, v141
	s_and_b32 s28, s89, vcc_lo
	s_and_saveexec_b32 s29, s28
	s_cbranch_execz .LBB149_104
; %bb.103:                              ;   in Loop: Header=BB149_12 Depth=1
	v_mul_f32_e32 v18, 0x3fb8aa3b, v141
	v_cmp_ngt_f32_e32 vcc_lo, 0xc2ce8ed0, v141
	s_delay_alu instid0(VALU_DEP_2) | instskip(SKIP_1) | instid1(VALU_DEP_1)
	v_rndne_f32_e32 v20, v18
	v_fma_f32 v21, 0x3fb8aa3b, v141, -v18
	v_dual_sub_f32 v18, v18, v20 :: v_dual_fmac_f32 v21, 0x32a5705f, v141
	v_cvt_i32_f32_e32 v20, v20
	s_delay_alu instid0(VALU_DEP_2) | instskip(NEXT) | instid1(VALU_DEP_1)
	v_add_f32_e32 v18, v18, v21
	v_exp_f32_e32 v18, v18
	s_waitcnt_depctr 0xfff
	v_ldexp_f32 v18, v18, v20
	s_delay_alu instid0(VALU_DEP_1) | instskip(SKIP_1) | instid1(VALU_DEP_2)
	v_cndmask_b32_e32 v18, 0, v18, vcc_lo
	v_cmp_nlt_f32_e32 vcc_lo, 0x42b17218, v141
	v_cndmask_b32_e32 v18, 0x7f800000, v18, vcc_lo
	s_delay_alu instid0(VALU_DEP_1) | instskip(NEXT) | instid1(VALU_DEP_1)
	v_add_f32_e32 v22, 1.0, v18
	v_cvt_f64_f32_e32 v[20:21], v22
	s_delay_alu instid0(VALU_DEP_1) | instskip(SKIP_1) | instid1(VALU_DEP_1)
	v_frexp_exp_i32_f64_e32 v20, v[20:21]
	v_frexp_mant_f32_e32 v21, v22
	v_cmp_gt_f32_e32 vcc_lo, 0x3f2aaaab, v21
	v_add_f32_e32 v21, -1.0, v22
	s_delay_alu instid0(VALU_DEP_1) | instskip(SKIP_1) | instid1(VALU_DEP_1)
	v_dual_sub_f32 v24, v21, v22 :: v_dual_sub_f32 v21, v18, v21
	v_subrev_co_ci_u32_e32 v20, vcc_lo, 0, v20, vcc_lo
	v_sub_nc_u32_e32 v23, 0, v20
	v_cvt_f32_i32_e32 v20, v20
	s_delay_alu instid0(VALU_DEP_2) | instskip(NEXT) | instid1(VALU_DEP_1)
	v_ldexp_f32 v22, v22, v23
	v_dual_add_f32 v24, 1.0, v24 :: v_dual_add_f32 v25, 1.0, v22
	s_delay_alu instid0(VALU_DEP_1) | instskip(NEXT) | instid1(VALU_DEP_1)
	v_add_f32_e32 v21, v21, v24
	v_ldexp_f32 v21, v21, v23
	s_delay_alu instid0(VALU_DEP_3) | instskip(NEXT) | instid1(VALU_DEP_1)
	v_dual_add_f32 v23, -1.0, v22 :: v_dual_add_f32 v24, -1.0, v25
	v_add_f32_e32 v26, 1.0, v23
	s_delay_alu instid0(VALU_DEP_2) | instskip(NEXT) | instid1(VALU_DEP_2)
	v_sub_f32_e32 v24, v22, v24
	v_sub_f32_e32 v22, v22, v26
	s_delay_alu instid0(VALU_DEP_2) | instskip(NEXT) | instid1(VALU_DEP_2)
	v_add_f32_e32 v24, v21, v24
	v_add_f32_e32 v21, v21, v22
	s_delay_alu instid0(VALU_DEP_1) | instskip(SKIP_2) | instid1(VALU_DEP_3)
	v_dual_add_f32 v27, v23, v21 :: v_dual_add_f32 v26, v25, v24
	v_cmp_eq_f32_e32 vcc_lo, 0x7f800000, v18
	v_cmp_gt_f32_e64 s28, 0x33800000, v18
	v_sub_f32_e32 v23, v23, v27
	s_delay_alu instid0(VALU_DEP_4) | instskip(SKIP_1) | instid1(VALU_DEP_3)
	v_rcp_f32_e32 v22, v26
	v_sub_f32_e32 v25, v25, v26
	s_or_b32 vcc_lo, s28, vcc_lo
	s_delay_alu instid0(VALU_DEP_1) | instskip(SKIP_2) | instid1(VALU_DEP_1)
	v_dual_add_f32 v21, v21, v23 :: v_dual_add_f32 v24, v24, v25
	s_waitcnt_depctr 0xfff
	v_mul_f32_e32 v28, v27, v22
	v_mul_f32_e32 v29, v26, v28
	s_delay_alu instid0(VALU_DEP_1) | instskip(NEXT) | instid1(VALU_DEP_1)
	v_fma_f32 v25, v28, v26, -v29
	v_fmac_f32_e32 v25, v28, v24
	s_delay_alu instid0(VALU_DEP_1) | instskip(NEXT) | instid1(VALU_DEP_1)
	v_add_f32_e32 v30, v29, v25
	v_sub_f32_e32 v31, v27, v30
	s_delay_alu instid0(VALU_DEP_1) | instskip(NEXT) | instid1(VALU_DEP_1)
	v_sub_f32_e32 v27, v27, v31
	v_sub_f32_e32 v27, v27, v30
	;; [unrolled: 1-line block ×3, first 2 shown]
	s_delay_alu instid0(VALU_DEP_2) | instskip(NEXT) | instid1(VALU_DEP_2)
	v_add_f32_e32 v21, v21, v27
	v_sub_f32_e32 v23, v23, v25
	s_delay_alu instid0(VALU_DEP_1) | instskip(NEXT) | instid1(VALU_DEP_1)
	v_add_f32_e32 v21, v23, v21
	v_add_f32_e32 v23, v31, v21
	s_delay_alu instid0(VALU_DEP_1) | instskip(NEXT) | instid1(VALU_DEP_1)
	v_mul_f32_e32 v25, v22, v23
	v_dual_sub_f32 v30, v31, v23 :: v_dual_mul_f32 v27, v26, v25
	s_delay_alu instid0(VALU_DEP_1) | instskip(NEXT) | instid1(VALU_DEP_2)
	v_add_f32_e32 v21, v21, v30
	v_fma_f32 v26, v25, v26, -v27
	s_delay_alu instid0(VALU_DEP_1) | instskip(NEXT) | instid1(VALU_DEP_1)
	v_fmac_f32_e32 v26, v25, v24
	v_add_f32_e32 v24, v27, v26
	s_delay_alu instid0(VALU_DEP_1) | instskip(NEXT) | instid1(VALU_DEP_1)
	v_sub_f32_e32 v29, v23, v24
	v_sub_f32_e32 v23, v23, v29
	s_delay_alu instid0(VALU_DEP_1) | instskip(NEXT) | instid1(VALU_DEP_1)
	v_sub_f32_e32 v23, v23, v24
	v_add_f32_e32 v21, v21, v23
	v_add_f32_e32 v23, v28, v25
	v_sub_f32_e32 v27, v24, v27
	s_delay_alu instid0(VALU_DEP_1) | instskip(NEXT) | instid1(VALU_DEP_1)
	v_sub_f32_e32 v24, v27, v26
	v_dual_add_f32 v21, v24, v21 :: v_dual_sub_f32 v24, v23, v28
	s_delay_alu instid0(VALU_DEP_1) | instskip(NEXT) | instid1(VALU_DEP_1)
	v_add_f32_e32 v21, v29, v21
	v_dual_sub_f32 v24, v25, v24 :: v_dual_mul_f32 v21, v22, v21
	s_delay_alu instid0(VALU_DEP_1) | instskip(NEXT) | instid1(VALU_DEP_1)
	v_add_f32_e32 v21, v24, v21
	v_add_f32_e32 v22, v23, v21
	s_delay_alu instid0(VALU_DEP_1) | instskip(NEXT) | instid1(VALU_DEP_1)
	v_mul_f32_e32 v24, v22, v22
	v_fmaak_f32 v25, s74, v24, 0x3ecc95a3
	v_mul_f32_e32 v26, v22, v24
	s_delay_alu instid0(VALU_DEP_2) | instskip(SKIP_2) | instid1(VALU_DEP_3)
	v_fmaak_f32 v24, v24, v25, 0x3f2aaada
	v_ldexp_f32 v25, v22, 1
	v_sub_f32_e32 v22, v22, v23
	v_mul_f32_e32 v24, v26, v24
	v_mul_f32_e32 v26, 0x3f317218, v20
	s_delay_alu instid0(VALU_DEP_2) | instskip(NEXT) | instid1(VALU_DEP_1)
	v_add_f32_e32 v23, v25, v24
	v_dual_sub_f32 v21, v21, v22 :: v_dual_sub_f32 v22, v23, v25
	s_delay_alu instid0(VALU_DEP_3) | instskip(NEXT) | instid1(VALU_DEP_2)
	v_fma_f32 v25, 0x3f317218, v20, -v26
	v_ldexp_f32 v21, v21, 1
	s_delay_alu instid0(VALU_DEP_2) | instskip(NEXT) | instid1(VALU_DEP_1)
	v_dual_sub_f32 v22, v24, v22 :: v_dual_fmac_f32 v25, 0xb102e308, v20
	v_dual_add_f32 v20, v21, v22 :: v_dual_add_f32 v21, v26, v25
	s_delay_alu instid0(VALU_DEP_1) | instskip(NEXT) | instid1(VALU_DEP_1)
	v_add_f32_e32 v22, v23, v20
	v_add_f32_e32 v24, v21, v22
	s_delay_alu instid0(VALU_DEP_1) | instskip(NEXT) | instid1(VALU_DEP_1)
	v_sub_f32_e32 v27, v24, v21
	v_sub_f32_e32 v28, v24, v27
	;; [unrolled: 1-line block ×4, first 2 shown]
	s_delay_alu instid0(VALU_DEP_2) | instskip(SKIP_1) | instid1(VALU_DEP_1)
	v_sub_f32_e32 v20, v20, v23
	v_sub_f32_e32 v26, v21, v26
	;; [unrolled: 1-line block ×3, first 2 shown]
	s_delay_alu instid0(VALU_DEP_1) | instskip(SKIP_1) | instid1(VALU_DEP_1)
	v_add_f32_e32 v23, v25, v20
	v_sub_f32_e32 v21, v21, v28
	v_add_f32_e32 v21, v22, v21
	s_delay_alu instid0(VALU_DEP_3) | instskip(NEXT) | instid1(VALU_DEP_1)
	v_sub_f32_e32 v22, v23, v25
	v_dual_sub_f32 v20, v20, v22 :: v_dual_add_f32 v21, v23, v21
	s_delay_alu instid0(VALU_DEP_1) | instskip(NEXT) | instid1(VALU_DEP_1)
	v_dual_sub_f32 v23, v23, v22 :: v_dual_add_f32 v26, v24, v21
	v_dual_sub_f32 v23, v25, v23 :: v_dual_sub_f32 v22, v26, v24
	s_delay_alu instid0(VALU_DEP_1) | instskip(NEXT) | instid1(VALU_DEP_1)
	v_dual_add_f32 v20, v20, v23 :: v_dual_sub_f32 v21, v21, v22
	v_add_f32_e32 v20, v20, v21
	s_delay_alu instid0(VALU_DEP_1) | instskip(NEXT) | instid1(VALU_DEP_1)
	v_add_f32_e32 v20, v26, v20
	v_cndmask_b32_e32 v141, v20, v18, vcc_lo
.LBB149_104:                            ;   in Loop: Header=BB149_12 Depth=1
	s_or_b32 exec_lo, exec_lo, s29
	v_add_f32_e32 v142, s84, v19
	s_delay_alu instid0(VALU_DEP_1) | instskip(SKIP_1) | instid1(SALU_CYCLE_1)
	v_cmp_ge_f32_e32 vcc_lo, 0x41a00000, v142
	s_and_b32 s28, s89, vcc_lo
	s_and_saveexec_b32 s29, s28
	s_cbranch_execz .LBB149_106
; %bb.105:                              ;   in Loop: Header=BB149_12 Depth=1
	v_mul_f32_e32 v18, 0x3fb8aa3b, v142
	v_cmp_ngt_f32_e32 vcc_lo, 0xc2ce8ed0, v142
	s_delay_alu instid0(VALU_DEP_2) | instskip(SKIP_1) | instid1(VALU_DEP_2)
	v_rndne_f32_e32 v19, v18
	v_fma_f32 v20, 0x3fb8aa3b, v142, -v18
	v_sub_f32_e32 v18, v18, v19
	s_delay_alu instid0(VALU_DEP_2) | instskip(SKIP_1) | instid1(VALU_DEP_2)
	v_fmac_f32_e32 v20, 0x32a5705f, v142
	v_cvt_i32_f32_e32 v19, v19
	v_add_f32_e32 v18, v18, v20
	s_delay_alu instid0(VALU_DEP_1) | instskip(SKIP_2) | instid1(VALU_DEP_1)
	v_exp_f32_e32 v18, v18
	s_waitcnt_depctr 0xfff
	v_ldexp_f32 v18, v18, v19
	v_cndmask_b32_e32 v18, 0, v18, vcc_lo
	v_cmp_nlt_f32_e32 vcc_lo, 0x42b17218, v142
	s_delay_alu instid0(VALU_DEP_2) | instskip(NEXT) | instid1(VALU_DEP_1)
	v_cndmask_b32_e32 v20, 0x7f800000, v18, vcc_lo
	v_add_f32_e32 v21, 1.0, v20
	s_delay_alu instid0(VALU_DEP_1) | instskip(NEXT) | instid1(VALU_DEP_1)
	v_cvt_f64_f32_e32 v[18:19], v21
	v_frexp_exp_i32_f64_e32 v18, v[18:19]
	v_frexp_mant_f32_e32 v19, v21
	s_delay_alu instid0(VALU_DEP_1) | instskip(SKIP_1) | instid1(VALU_DEP_1)
	v_cmp_gt_f32_e32 vcc_lo, 0x3f2aaaab, v19
	v_add_f32_e32 v19, -1.0, v21
	v_sub_f32_e32 v23, v19, v21
	v_sub_f32_e32 v19, v20, v19
	s_delay_alu instid0(VALU_DEP_2) | instskip(NEXT) | instid1(VALU_DEP_1)
	v_add_f32_e32 v23, 1.0, v23
	v_add_f32_e32 v19, v19, v23
	v_cmp_gt_f32_e64 s28, 0x33800000, v20
	v_subrev_co_ci_u32_e32 v18, vcc_lo, 0, v18, vcc_lo
	v_cmp_eq_f32_e32 vcc_lo, 0x7f800000, v20
	s_delay_alu instid0(VALU_DEP_2) | instskip(SKIP_2) | instid1(VALU_DEP_2)
	v_sub_nc_u32_e32 v22, 0, v18
	v_cvt_f32_i32_e32 v18, v18
	s_or_b32 vcc_lo, s28, vcc_lo
	v_ldexp_f32 v21, v21, v22
	v_ldexp_f32 v19, v19, v22
	s_delay_alu instid0(VALU_DEP_2) | instskip(NEXT) | instid1(VALU_DEP_1)
	v_add_f32_e32 v24, 1.0, v21
	v_dual_add_f32 v22, -1.0, v21 :: v_dual_add_f32 v23, -1.0, v24
	s_delay_alu instid0(VALU_DEP_1) | instskip(NEXT) | instid1(VALU_DEP_2)
	v_add_f32_e32 v25, 1.0, v22
	v_sub_f32_e32 v23, v21, v23
	s_delay_alu instid0(VALU_DEP_2) | instskip(NEXT) | instid1(VALU_DEP_2)
	v_sub_f32_e32 v21, v21, v25
	v_add_f32_e32 v23, v19, v23
	s_delay_alu instid0(VALU_DEP_2) | instskip(NEXT) | instid1(VALU_DEP_1)
	v_add_f32_e32 v19, v19, v21
	v_add_f32_e32 v26, v22, v19
	s_delay_alu instid0(VALU_DEP_1) | instskip(NEXT) | instid1(VALU_DEP_1)
	v_dual_add_f32 v25, v24, v23 :: v_dual_sub_f32 v22, v22, v26
	v_rcp_f32_e32 v21, v25
	v_sub_f32_e32 v24, v24, v25
	s_delay_alu instid0(VALU_DEP_1) | instskip(SKIP_2) | instid1(VALU_DEP_1)
	v_add_f32_e32 v23, v23, v24
	s_waitcnt_depctr 0xfff
	v_mul_f32_e32 v27, v26, v21
	v_mul_f32_e32 v28, v25, v27
	s_delay_alu instid0(VALU_DEP_1) | instskip(NEXT) | instid1(VALU_DEP_1)
	v_fma_f32 v24, v27, v25, -v28
	v_fmac_f32_e32 v24, v27, v23
	s_delay_alu instid0(VALU_DEP_1) | instskip(NEXT) | instid1(VALU_DEP_1)
	v_add_f32_e32 v29, v28, v24
	v_sub_f32_e32 v30, v26, v29
	s_delay_alu instid0(VALU_DEP_1) | instskip(SKIP_1) | instid1(VALU_DEP_2)
	v_sub_f32_e32 v26, v26, v30
	v_dual_add_f32 v19, v19, v22 :: v_dual_sub_f32 v22, v29, v28
	v_sub_f32_e32 v26, v26, v29
	s_delay_alu instid0(VALU_DEP_1) | instskip(NEXT) | instid1(VALU_DEP_1)
	v_dual_sub_f32 v22, v22, v24 :: v_dual_add_f32 v19, v19, v26
	v_add_f32_e32 v19, v22, v19
	s_delay_alu instid0(VALU_DEP_1) | instskip(NEXT) | instid1(VALU_DEP_1)
	v_add_f32_e32 v22, v30, v19
	v_mul_f32_e32 v24, v21, v22
	s_delay_alu instid0(VALU_DEP_1) | instskip(NEXT) | instid1(VALU_DEP_1)
	v_dual_sub_f32 v29, v30, v22 :: v_dual_mul_f32 v26, v25, v24
	v_add_f32_e32 v19, v19, v29
	s_delay_alu instid0(VALU_DEP_2) | instskip(NEXT) | instid1(VALU_DEP_1)
	v_fma_f32 v25, v24, v25, -v26
	v_fmac_f32_e32 v25, v24, v23
	s_delay_alu instid0(VALU_DEP_1) | instskip(NEXT) | instid1(VALU_DEP_1)
	v_add_f32_e32 v23, v26, v25
	v_sub_f32_e32 v28, v22, v23
	s_delay_alu instid0(VALU_DEP_1) | instskip(NEXT) | instid1(VALU_DEP_1)
	v_sub_f32_e32 v22, v22, v28
	v_sub_f32_e32 v22, v22, v23
	s_delay_alu instid0(VALU_DEP_1) | instskip(SKIP_2) | instid1(VALU_DEP_1)
	v_add_f32_e32 v19, v19, v22
	v_add_f32_e32 v22, v27, v24
	v_sub_f32_e32 v26, v23, v26
	v_sub_f32_e32 v23, v26, v25
	s_delay_alu instid0(VALU_DEP_1) | instskip(NEXT) | instid1(VALU_DEP_4)
	v_add_f32_e32 v19, v23, v19
	v_sub_f32_e32 v23, v22, v27
	s_delay_alu instid0(VALU_DEP_2) | instskip(NEXT) | instid1(VALU_DEP_2)
	v_add_f32_e32 v19, v28, v19
	v_sub_f32_e32 v23, v24, v23
	s_delay_alu instid0(VALU_DEP_2) | instskip(NEXT) | instid1(VALU_DEP_1)
	v_mul_f32_e32 v19, v21, v19
	v_add_f32_e32 v19, v23, v19
	s_delay_alu instid0(VALU_DEP_1) | instskip(NEXT) | instid1(VALU_DEP_1)
	v_add_f32_e32 v21, v22, v19
	v_mul_f32_e32 v23, v21, v21
	s_delay_alu instid0(VALU_DEP_1) | instskip(SKIP_1) | instid1(VALU_DEP_2)
	v_fmaak_f32 v24, s74, v23, 0x3ecc95a3
	v_mul_f32_e32 v25, v21, v23
	v_fmaak_f32 v23, v23, v24, 0x3f2aaada
	v_ldexp_f32 v24, v21, 1
	s_delay_alu instid0(VALU_DEP_2) | instskip(SKIP_1) | instid1(VALU_DEP_2)
	v_mul_f32_e32 v23, v25, v23
	v_sub_f32_e32 v21, v21, v22
	v_dual_mul_f32 v25, 0x3f317218, v18 :: v_dual_add_f32 v22, v24, v23
	s_delay_alu instid0(VALU_DEP_2) | instskip(NEXT) | instid1(VALU_DEP_2)
	v_sub_f32_e32 v19, v19, v21
	v_sub_f32_e32 v21, v22, v24
	s_delay_alu instid0(VALU_DEP_3) | instskip(NEXT) | instid1(VALU_DEP_3)
	v_fma_f32 v24, 0x3f317218, v18, -v25
	v_ldexp_f32 v19, v19, 1
	s_delay_alu instid0(VALU_DEP_2) | instskip(NEXT) | instid1(VALU_DEP_1)
	v_dual_sub_f32 v21, v23, v21 :: v_dual_fmac_f32 v24, 0xb102e308, v18
	v_dual_add_f32 v18, v19, v21 :: v_dual_add_f32 v19, v25, v24
	s_delay_alu instid0(VALU_DEP_1) | instskip(NEXT) | instid1(VALU_DEP_1)
	v_add_f32_e32 v21, v22, v18
	v_dual_add_f32 v23, v19, v21 :: v_dual_sub_f32 v22, v21, v22
	s_delay_alu instid0(VALU_DEP_1) | instskip(NEXT) | instid1(VALU_DEP_2)
	v_sub_f32_e32 v26, v23, v19
	v_dual_sub_f32 v25, v19, v25 :: v_dual_sub_f32 v18, v18, v22
	s_delay_alu instid0(VALU_DEP_1) | instskip(SKIP_1) | instid1(VALU_DEP_2)
	v_dual_sub_f32 v27, v23, v26 :: v_dual_sub_f32 v24, v24, v25
	v_sub_f32_e32 v21, v21, v26
	v_dual_sub_f32 v19, v19, v27 :: v_dual_add_f32 v22, v24, v18
	s_delay_alu instid0(VALU_DEP_1) | instskip(NEXT) | instid1(VALU_DEP_2)
	v_add_f32_e32 v19, v21, v19
	v_sub_f32_e32 v21, v22, v24
	s_delay_alu instid0(VALU_DEP_2) | instskip(NEXT) | instid1(VALU_DEP_2)
	v_add_f32_e32 v19, v22, v19
	v_sub_f32_e32 v22, v22, v21
	s_delay_alu instid0(VALU_DEP_2) | instskip(NEXT) | instid1(VALU_DEP_1)
	v_dual_sub_f32 v18, v18, v21 :: v_dual_add_f32 v25, v23, v19
	v_dual_sub_f32 v22, v24, v22 :: v_dual_sub_f32 v21, v25, v23
	s_delay_alu instid0(VALU_DEP_1) | instskip(NEXT) | instid1(VALU_DEP_1)
	v_dual_add_f32 v18, v18, v22 :: v_dual_sub_f32 v19, v19, v21
	v_add_f32_e32 v18, v18, v19
	s_delay_alu instid0(VALU_DEP_1) | instskip(NEXT) | instid1(VALU_DEP_1)
	v_add_f32_e32 v18, v25, v18
	v_cndmask_b32_e32 v142, v18, v20, vcc_lo
.LBB149_106:                            ;   in Loop: Header=BB149_12 Depth=1
	s_or_b32 exec_lo, exec_lo, s29
	v_dual_mul_f32 v120, s85, v16 :: v_dual_mul_f32 v121, s85, v15
	v_dual_mul_f32 v122, s85, v14 :: v_dual_mul_f32 v123, s85, v13
	;; [unrolled: 1-line block ×7, first 2 shown]
	v_mul_f32_e32 v138, s85, v2
	v_mul_f32_e32 v124, s85, v17
	s_and_b32 vcc_lo, exec_lo, s90
	s_barrier
	buffer_gl0_inv
	s_cbranch_vccz .LBB149_202
; %bb.107:                              ;   in Loop: Header=BB149_12 Depth=1
	v_dual_mul_f32 v143, v17, v142 :: v_dual_mul_f32 v148, v16, v141
	v_add_co_u32 v17, s28, s79, v34
	s_delay_alu instid0(VALU_DEP_1) | instskip(SKIP_1) | instid1(VALU_DEP_1)
	v_add_co_ci_u32_e64 v18, null, s81, 0, s28
	v_add_co_u32 v19, s28, s82, v34
	v_add_co_ci_u32_e64 v20, null, s83, 0, s28
	s_delay_alu instid0(VALU_DEP_4) | instskip(NEXT) | instid1(VALU_DEP_4)
	v_add_co_u32 v144, vcc_lo, v17, v110
	v_add_co_ci_u32_e32 v145, vcc_lo, 0, v18, vcc_lo
	s_delay_alu instid0(VALU_DEP_4) | instskip(NEXT) | instid1(VALU_DEP_4)
	v_add_co_u32 v146, vcc_lo, v19, v110
	v_add_co_ci_u32_e32 v147, vcc_lo, 0, v20, vcc_lo
	v_cmp_gt_u32_e32 vcc_lo, s40, v36
	s_cmp_lg_u32 s93, 0
	v_cmp_gt_u32_e64 s30, s40, v96
	s_cselect_b32 s55, -1, 0
	s_cmp_eq_u32 s93, s92
	v_cmp_gt_u32_e64 s31, s40, v97
	s_cselect_b32 s62, -1, 0
	s_or_b32 s28, s91, vcc_lo
	v_cmp_gt_u32_e32 vcc_lo, s40, v95
	v_cmp_gt_u32_e64 s33, s40, v98
	v_cmp_gt_u32_e64 s34, s40, v99
	;; [unrolled: 1-line block ×4, first 2 shown]
	s_or_b32 s29, s91, vcc_lo
	v_cmp_gt_u32_e32 vcc_lo, s40, v100
	v_cmp_gt_u32_e64 s38, s40, v103
	v_cmp_gt_u32_e64 s39, s40, v104
	;; [unrolled: 1-line block ×4, first 2 shown]
	s_or_b32 s35, s91, vcc_lo
	v_cmp_gt_u32_e32 vcc_lo, s40, v105
	v_cmp_gt_u32_e64 s43, s40, v108
	v_cmp_gt_u32_e64 s44, s40, v109
	v_dual_mul_f32 v149, v15, v140 :: v_dual_mul_f32 v150, v14, v139
	v_dual_mul_f32 v151, v13, v137 :: v_dual_mul_f32 v152, v12, v131
	;; [unrolled: 1-line block ×7, first 2 shown]
	s_mov_b32 s52, 0
	s_or_b32 s30, s91, s30
	s_or_b32 s31, s91, s31
	;; [unrolled: 1-line block ×8, first 2 shown]
	s_or_b32 s40, s91, vcc_lo
	s_or_b32 s41, s91, s41
	s_or_b32 s42, s91, s42
	;; [unrolled: 1-line block ×4, first 2 shown]
	s_mov_b32 s56, s52
	s_mov_b32 s58, s52
	;; [unrolled: 1-line block ×5, first 2 shown]
	s_branch .LBB149_109
.LBB149_108:                            ;   in Loop: Header=BB149_109 Depth=2
	s_or_b32 exec_lo, exec_lo, s45
	v_cndmask_b32_e64 v18, v184, v23, s11
	v_cndmask_b32_e64 v19, v183, v22, s11
	s_add_i32 s63, s63, -1
	s_add_i32 s64, s64, 8
	s_add_i32 s60, s60, s69
	v_fma_f32 v18, v18, v165, v35
	v_mul_f32_e32 v19, v19, v165
	s_add_i32 s58, s58, s68
	s_add_i32 s56, s56, s80
	;; [unrolled: 1-line block ×3, first 2 shown]
	v_cndmask_b32_e64 v18, v18, v35, s10
	v_cndmask_b32_e64 v19, v19, v165, s10
	s_cmp_eq_u32 s63, 0
	s_waitcnt lgkmcnt(0)
	s_delay_alu instid0(VALU_DEP_1) | instskip(NEXT) | instid1(VALU_DEP_1)
	v_fmac_f32_e32 v18, v20, v19
	v_fmac_f32_e32 v32, v18, v164
	s_delay_alu instid0(VALU_DEP_1) | instskip(NEXT) | instid1(VALU_DEP_1)
	v_fmac_f32_e32 v34, v32, v163
	v_dual_fmac_f32 v136, v17, v32 :: v_dual_fmac_f32 v33, v34, v166
	s_delay_alu instid0(VALU_DEP_1) | instskip(NEXT) | instid1(VALU_DEP_1)
	v_fmac_f32_e32 v30, v33, v167
	v_fmac_f32_e32 v31, v30, v168
	s_delay_alu instid0(VALU_DEP_1) | instskip(NEXT) | instid1(VALU_DEP_1)
	v_dual_fmac_f32 v135, v14, v34 :: v_dual_fmac_f32 v28, v31, v169
	v_fmac_f32_e32 v29, v28, v170
	v_fmac_f32_e32 v133, v12, v30
	s_delay_alu instid0(VALU_DEP_2) | instskip(SKIP_1) | instid1(VALU_DEP_1)
	v_dual_fmac_f32 v138, v16, v18 :: v_dual_fmac_f32 v129, v11, v29
	v_fmac_f32_e32 v26, v29, v171
	v_dual_fmac_f32 v134, v15, v33 :: v_dual_fmac_f32 v127, v8, v26
	v_fmac_f32_e32 v27, v26, v172
	v_fmac_f32_e32 v130, v10, v28
	s_delay_alu instid0(VALU_DEP_2) | instskip(NEXT) | instid1(VALU_DEP_1)
	v_fmac_f32_e32 v24, v27, v173
	v_dual_fmac_f32 v132, v13, v31 :: v_dual_fmac_f32 v125, v6, v24
	v_fmac_f32_e32 v25, v24, v179
	s_delay_alu instid0(VALU_DEP_1) | instskip(NEXT) | instid1(VALU_DEP_1)
	v_dual_fmac_f32 v174, v25, v175 :: v_dual_fmac_f32 v123, v7, v25
	v_fmac_f32_e32 v176, v174, v178
	s_delay_alu instid0(VALU_DEP_1) | instskip(SKIP_1) | instid1(VALU_DEP_1)
	v_dual_fmac_f32 v126, v9, v27 :: v_dual_fmac_f32 v121, v3, v176
	v_dual_fmac_f32 v177, v176, v181 :: v_dual_fmac_f32 v122, v2, v174
	v_fmac_f32_e32 v180, v177, v182
	v_fmac_f32_e32 v120, v4, v177
	s_delay_alu instid0(VALU_DEP_2)
	v_fmac_f32_e32 v124, v5, v180
	s_cbranch_scc1 .LBB149_202
.LBB149_109:                            ;   Parent Loop BB149_12 Depth=1
                                        ; =>  This Inner Loop Header: Depth=2
	s_lshl_b64 s[46:47], s[52:53], 2
	s_mov_b32 s57, s53
	s_add_u32 s46, s76, s46
	s_addc_u32 s47, s78, s47
	v_dual_mov_b32 v4, 0 :: v_dual_mov_b32 v5, 0
	global_load_b32 v163, v1, s[46:47]
	s_lshl_b64 s[46:47], s[56:57], 2
	s_delay_alu instid0(SALU_CYCLE_1)
	v_add_co_u32 v2, vcc_lo, v144, s46
	v_add_co_ci_u32_e32 v3, vcc_lo, s47, v145, vcc_lo
	s_and_saveexec_b32 s45, s12
	s_cbranch_execz .LBB149_111
; %bb.110:                              ;   in Loop: Header=BB149_109 Depth=2
	global_load_b32 v5, v[2:3], off
.LBB149_111:                            ;   in Loop: Header=BB149_109 Depth=2
	s_or_b32 exec_lo, exec_lo, s45
	s_and_saveexec_b32 s45, s13
	s_cbranch_execz .LBB149_113
; %bb.112:                              ;   in Loop: Header=BB149_109 Depth=2
	global_load_b32 v4, v[2:3], off offset:128
.LBB149_113:                            ;   in Loop: Header=BB149_109 Depth=2
	s_or_b32 exec_lo, exec_lo, s45
	v_dual_mov_b32 v6, 0 :: v_dual_mov_b32 v7, 0
	s_and_saveexec_b32 s45, s14
	s_cbranch_execz .LBB149_115
; %bb.114:                              ;   in Loop: Header=BB149_109 Depth=2
	global_load_b32 v7, v[2:3], off offset:256
.LBB149_115:                            ;   in Loop: Header=BB149_109 Depth=2
	s_or_b32 exec_lo, exec_lo, s45
	s_and_saveexec_b32 s45, s15
	s_cbranch_execz .LBB149_117
; %bb.116:                              ;   in Loop: Header=BB149_109 Depth=2
	global_load_b32 v6, v[2:3], off offset:384
.LBB149_117:                            ;   in Loop: Header=BB149_109 Depth=2
	s_or_b32 exec_lo, exec_lo, s45
	v_dual_mov_b32 v8, 0 :: v_dual_mov_b32 v9, 0
	s_and_saveexec_b32 s45, s16
	s_cbranch_execz .LBB149_119
; %bb.118:                              ;   in Loop: Header=BB149_109 Depth=2
	global_load_b32 v9, v[2:3], off offset:512
.LBB149_119:                            ;   in Loop: Header=BB149_109 Depth=2
	;; [unrolled: 13-line block ×7, first 2 shown]
	s_or_b32 exec_lo, exec_lo, s45
	s_and_saveexec_b32 s45, s27
	s_cbranch_execz .LBB149_141
; %bb.140:                              ;   in Loop: Header=BB149_109 Depth=2
	global_load_b32 v18, v[2:3], off offset:1920
.LBB149_141:                            ;   in Loop: Header=BB149_109 Depth=2
	s_or_b32 exec_lo, exec_lo, s45
	s_waitcnt vmcnt(0)
	ds_store_b32 v54, v5
	ds_store_b32 v55, v4 offset:128
	ds_store_b32 v56, v7 offset:256
	;; [unrolled: 1-line block ×15, first 2 shown]
	; wave barrier
	ds_load_2addr_b32 v[34:35], v70 offset1:1
	ds_load_2addr_b32 v[32:33], v70 offset0:2 offset1:3
	ds_load_2addr_b32 v[30:31], v70 offset0:4 offset1:5
	;; [unrolled: 1-line block ×7, first 2 shown]
	s_mov_b32 s59, s53
	v_dual_mov_b32 v4, 0 :: v_dual_mov_b32 v5, 0
	s_lshl_b64 s[46:47], s[58:59], 2
	s_delay_alu instid0(SALU_CYCLE_1)
	v_add_co_u32 v2, vcc_lo, v146, s46
	v_add_co_ci_u32_e32 v3, vcc_lo, s47, v147, vcc_lo
	s_and_saveexec_b32 s45, s12
	s_cbranch_execz .LBB149_143
; %bb.142:                              ;   in Loop: Header=BB149_109 Depth=2
	global_load_b32 v5, v[2:3], off
.LBB149_143:                            ;   in Loop: Header=BB149_109 Depth=2
	s_or_b32 exec_lo, exec_lo, s45
	s_and_saveexec_b32 s45, s13
	s_cbranch_execz .LBB149_145
; %bb.144:                              ;   in Loop: Header=BB149_109 Depth=2
	global_load_b32 v4, v[2:3], off offset:128
.LBB149_145:                            ;   in Loop: Header=BB149_109 Depth=2
	s_or_b32 exec_lo, exec_lo, s45
	v_dual_mov_b32 v6, 0 :: v_dual_mov_b32 v7, 0
	s_and_saveexec_b32 s45, s14
	s_cbranch_execz .LBB149_147
; %bb.146:                              ;   in Loop: Header=BB149_109 Depth=2
	global_load_b32 v7, v[2:3], off offset:256
.LBB149_147:                            ;   in Loop: Header=BB149_109 Depth=2
	s_or_b32 exec_lo, exec_lo, s45
	s_and_saveexec_b32 s45, s15
	s_cbranch_execz .LBB149_149
; %bb.148:                              ;   in Loop: Header=BB149_109 Depth=2
	global_load_b32 v6, v[2:3], off offset:384
.LBB149_149:                            ;   in Loop: Header=BB149_109 Depth=2
	s_or_b32 exec_lo, exec_lo, s45
	v_dual_mov_b32 v8, 0 :: v_dual_mov_b32 v9, 0
	s_and_saveexec_b32 s45, s16
	s_cbranch_execz .LBB149_151
; %bb.150:                              ;   in Loop: Header=BB149_109 Depth=2
	global_load_b32 v9, v[2:3], off offset:512
.LBB149_151:                            ;   in Loop: Header=BB149_109 Depth=2
	;; [unrolled: 13-line block ×7, first 2 shown]
	s_or_b32 exec_lo, exec_lo, s45
	s_and_saveexec_b32 s45, s27
	s_cbranch_execz .LBB149_173
; %bb.172:                              ;   in Loop: Header=BB149_109 Depth=2
	global_load_b32 v18, v[2:3], off offset:1920
.LBB149_173:                            ;   in Loop: Header=BB149_109 Depth=2
	s_or_b32 exec_lo, exec_lo, s45
	s_waitcnt vmcnt(0)
	ds_store_b32 v54, v5 offset:4224
	ds_store_b32 v71, v4 offset:128
	;; [unrolled: 1-line block ×16, first 2 shown]
	v_add_nc_u32_e32 v4, 0x1080, v70
	; wave barrier
	ds_load_2addr_b32 v[14:15], v86 offset0:2 offset1:3
	ds_load_2addr_b32 v[12:13], v86 offset0:4 offset1:5
	;; [unrolled: 1-line block ×6, first 2 shown]
	ds_load_2addr_b32 v[16:17], v4 offset1:1
	ds_load_2addr_b32 v[4:5], v86 offset0:14 offset1:15
	s_and_not1_b32 vcc_lo, exec_lo, s55
	s_cbranch_vccnz .LBB149_175
; %bb.174:                              ;   in Loop: Header=BB149_109 Depth=2
	v_mov_b32_e32 v18, s64
	ds_load_b64 v[18:19], v18
	s_cbranch_execz .LBB149_176
	s_branch .LBB149_179
.LBB149_175:                            ;   in Loop: Header=BB149_109 Depth=2
                                        ; implicit-def: $vgpr18
.LBB149_176:                            ;   in Loop: Header=BB149_109 Depth=2
	s_waitcnt lgkmcnt(0)
	v_mov_b32_e32 v19, 0
	s_and_not1_b32 vcc_lo, exec_lo, s49
	s_cbranch_vccnz .LBB149_178
; %bb.177:                              ;   in Loop: Header=BB149_109 Depth=2
	s_mov_b32 s61, s53
	s_delay_alu instid0(SALU_CYCLE_1) | instskip(NEXT) | instid1(SALU_CYCLE_1)
	s_lshl_b64 s[46:47], s[60:61], 2
	s_add_u32 s46, s86, s46
	s_addc_u32 s47, s87, s47
	global_load_b32 v19, v1, s[46:47]
.LBB149_178:                            ;   in Loop: Header=BB149_109 Depth=2
	v_mov_b32_e32 v18, 1.0
.LBB149_179:                            ;   in Loop: Header=BB149_109 Depth=2
	s_waitcnt lgkmcnt(31)
	v_dual_mul_f32 v177, 0x3fb8aa3b, v163 :: v_dual_mul_f32 v34, v34, v162
	s_waitcnt lgkmcnt(30)
	v_dual_mul_f32 v163, v35, v161 :: v_dual_mul_f32 v164, v32, v160
	;; [unrolled: 2-line block ×3, first 2 shown]
	v_mul_f32_e32 v165, v177, v112
	v_mul_f32_e32 v166, v177, v113
	v_dual_mul_f32 v167, v177, v114 :: v_dual_mul_f32 v28, v28, v156
	v_cndmask_b32_e64 v35, 0, v34, s28
	s_delay_alu instid0(VALU_DEP_4) | instskip(NEXT) | instid1(VALU_DEP_4)
	v_cmp_gt_f32_e64 s45, 0xc2fc0000, v165
	v_cmp_gt_f32_e64 s46, 0xc2fc0000, v166
	s_delay_alu instid0(VALU_DEP_4)
	v_cmp_gt_f32_e64 s47, 0xc2fc0000, v167
	v_cndmask_b32_e64 v34, 0, v164, s30
	v_cndmask_b32_e64 v28, 0, v28, s35
	;; [unrolled: 1-line block ×5, first 2 shown]
	v_cndmask_b32_e64 v169, 1.0, 0x1f800000, s45
	s_delay_alu instid0(VALU_DEP_4) | instskip(NEXT) | instid1(VALU_DEP_4)
	v_dual_mul_f32 v31, v31, v157 :: v_dual_fmac_f32 v166, v177, v112
	v_fmac_f32_e32 v168, v177, v113
	s_delay_alu instid0(VALU_DEP_4) | instskip(SKIP_1) | instid1(VALU_DEP_4)
	v_fmac_f32_e32 v164, v177, v114
	v_cndmask_b32_e64 v170, 1.0, 0x1f800000, s46
	v_cndmask_b32_e64 v31, 0, v31, s34
	v_exp_f32_e32 v166, v166
	v_exp_f32_e32 v168, v168
	v_mul_f32_e32 v167, v177, v116
	v_exp_f32_e32 v172, v164
	v_cndmask_b32_e64 v25, 0, v25, s40
	v_dual_mul_f32 v27, v27, v153 :: v_dual_mul_f32 v30, v30, v158
	v_mul_f32_e32 v24, v24, v152
	v_mul_f32_e32 v26, v26, v154
	;; [unrolled: 1-line block ×3, first 2 shown]
	s_delay_alu instid0(TRANS32_DEP_3) | instskip(NEXT) | instid1(TRANS32_DEP_2)
	v_mul_f32_e32 v164, v166, v169
	v_mul_f32_e32 v166, v168, v170
	v_cndmask_b32_e64 v168, 1.0, 0x1f800000, s47
	v_mul_f32_e32 v32, v177, v111
	v_mul_f32_e32 v170, v177, v118
	v_cndmask_b32_e64 v164, 1.0, v164, s29
	v_cndmask_b32_e64 v30, 0, v30, s33
	v_cndmask_b32_e64 v26, 0, v26, s37
	v_cmp_gt_f32_e32 vcc_lo, 0xc2fc0000, v32
	v_cndmask_b32_e64 v32, 0, v163, s29
	v_mul_f32_e32 v163, v177, v115
	v_cmp_gt_f32_e64 s46, 0xc2fc0000, v170
	v_cndmask_b32_e64 v27, 0, v27, s38
	v_cndmask_b32_e64 v165, 0, 0x42800000, vcc_lo
	v_fma_f32 v179, v164, v35, v32
	v_cmp_gt_f32_e64 s48, 0xc2fc0000, v163
	v_cndmask_b32_e64 v163, 1.0, 0x1f800000, vcc_lo
	v_cmp_gt_f32_e32 vcc_lo, 0xc2fc0000, v167
	v_mul_f32_e32 v167, v172, v168
	v_cndmask_b32_e64 v24, 0, v24, s39
	v_cndmask_b32_e64 v171, 0, 0x42800000, s48
	v_mul_f32_e32 v23, v23, v149
	v_cndmask_b32_e64 v170, 1.0, 0x1f800000, vcc_lo
	v_fmac_f32_e32 v165, v177, v111
	v_cndmask_b32_e64 v169, 0, 0x42800000, vcc_lo
	v_fmac_f32_e32 v171, v177, v115
	s_delay_alu instid0(VALU_DEP_3) | instskip(NEXT) | instid1(VALU_DEP_2)
	v_exp_f32_e32 v165, v165
	v_fmac_f32_e32 v169, v177, v116
	s_delay_alu instid0(VALU_DEP_2) | instskip(SKIP_2) | instid1(VALU_DEP_1)
	v_exp_f32_e32 v168, v171
	s_waitcnt_depctr 0xfff
	v_mul_f32_e32 v163, v165, v163
	v_cndmask_b32_e64 v165, 1.0, v163, s28
	v_cndmask_b32_e64 v163, 1.0, v166, s30
	v_mul_f32_e32 v166, v177, v117
	s_delay_alu instid0(VALU_DEP_1) | instskip(SKIP_3) | instid1(VALU_DEP_4)
	v_cmp_gt_f32_e64 s45, 0xc2fc0000, v166
	v_cndmask_b32_e64 v166, 1.0, v167, s31
	v_cndmask_b32_e64 v167, 1.0, 0x1f800000, s48
	v_mul_f32_e32 v172, v177, v119
	v_cndmask_b32_e64 v171, 0, 0x42800000, s45
	s_delay_alu instid0(VALU_DEP_3) | instskip(SKIP_2) | instid1(VALU_DEP_3)
	v_mul_f32_e32 v167, v168, v167
	v_exp_f32_e32 v168, v169
	v_cndmask_b32_e64 v169, 0, 0x42800000, s46
	v_fmac_f32_e32 v171, v177, v117
	v_cmp_gt_f32_e32 vcc_lo, 0xc2fc0000, v172
	v_cndmask_b32_e64 v167, 1.0, v167, s33
	v_mul_f32_e32 v172, v177, v128
	v_fmac_f32_e32 v169, v177, v118
	v_exp_f32_e32 v171, v171
	s_delay_alu instid0(TRANS32_DEP_2) | instskip(SKIP_1) | instid1(VALU_DEP_3)
	v_mul_f32_e32 v168, v168, v170
	v_cndmask_b32_e64 v170, 1.0, 0x1f800000, s45
	v_exp_f32_e32 v173, v169
	v_cmp_gt_f32_e64 s45, 0xc2fc0000, v172
	v_mul_f32_e32 v172, v177, v137
	v_cndmask_b32_e64 v168, 1.0, v168, s34
	s_delay_alu instid0(TRANS32_DEP_2) | instskip(SKIP_3) | instid1(VALU_DEP_4)
	v_dual_mul_f32 v174, v177, v131 :: v_dual_mul_f32 v169, v171, v170
	v_cndmask_b32_e64 v171, 0, 0x42800000, vcc_lo
	v_cndmask_b32_e64 v170, 1.0, 0x1f800000, s46
	v_cmp_gt_f32_e64 s47, 0xc2fc0000, v172
	v_cmp_gt_f32_e64 s46, 0xc2fc0000, v174
	v_cndmask_b32_e64 v172, 1.0, 0x1f800000, vcc_lo
	v_fmac_f32_e32 v171, v177, v119
	v_mul_f32_e32 v170, v173, v170
	v_cndmask_b32_e64 v173, 0, 0x42800000, s45
	v_cndmask_b32_e64 v174, 0, 0x42800000, s46
	;; [unrolled: 1-line block ×3, first 2 shown]
	v_exp_f32_e32 v171, v171
	v_cndmask_b32_e64 v170, 1.0, v170, s36
	v_fmac_f32_e32 v173, v177, v128
	v_fmac_f32_e32 v174, v177, v131
	v_cndmask_b32_e64 v176, 1.0, 0x1f800000, s46
	v_cndmask_b32_e64 v178, 1.0, 0x1f800000, s47
	;; [unrolled: 1-line block ×3, first 2 shown]
	v_exp_f32_e32 v173, v173
	s_delay_alu instid0(TRANS32_DEP_2) | instskip(SKIP_3) | instid1(VALU_DEP_3)
	v_mul_f32_e32 v171, v171, v172
	v_exp_f32_e32 v172, v174
	v_cndmask_b32_e64 v174, 1.0, 0x1f800000, s45
	v_mul_f32_e32 v33, v33, v159
	v_cndmask_b32_e64 v171, 1.0, v171, s37
	v_fmac_f32_e32 v175, v177, v137
	s_delay_alu instid0(TRANS32_DEP_2) | instid1(VALU_DEP_4)
	v_mul_f32_e32 v173, v173, v174
	v_mul_f32_e32 v174, v177, v139
	s_delay_alu instid0(VALU_DEP_3) | instskip(NEXT) | instid1(TRANS32_DEP_2)
	v_exp_f32_e32 v175, v175
	v_mul_f32_e32 v176, v172, v176
	s_delay_alu instid0(VALU_DEP_2) | instskip(SKIP_2) | instid1(VALU_DEP_4)
	v_cmp_gt_f32_e32 vcc_lo, 0xc2fc0000, v174
	v_cndmask_b32_e64 v172, 1.0, v173, s38
	v_cndmask_b32_e64 v33, 0, v33, s31
	v_cndmask_b32_e64 v173, 1.0, v176, s39
	v_cndmask_b32_e64 v176, 0, 0x42800000, vcc_lo
	s_delay_alu instid0(TRANS32_DEP_1) | instskip(SKIP_1) | instid1(VALU_DEP_3)
	v_dual_mul_f32 v174, v175, v178 :: v_dual_mul_f32 v175, v177, v140
	v_mul_f32_e32 v178, v164, v165
	v_fmac_f32_e32 v176, v177, v139
	s_delay_alu instid0(VALU_DEP_3) | instskip(NEXT) | instid1(VALU_DEP_3)
	v_cmp_gt_f32_e64 s45, 0xc2fc0000, v175
	v_mul_f32_e32 v175, v178, v163
	v_fma_f32 v178, v179, v163, v34
	s_delay_alu instid0(VALU_DEP_4)
	v_exp_f32_e32 v176, v176
	v_cndmask_b32_e64 v179, 1.0, v174, s40
	v_cndmask_b32_e64 v180, 0, 0x42800000, s45
	v_mul_f32_e32 v175, v175, v166
	v_fma_f32 v178, v178, v166, v33
	v_cndmask_b32_e64 v174, 1.0, 0x1f800000, vcc_lo
	v_mul_f32_e32 v29, v29, v155
	s_delay_alu instid0(VALU_DEP_4) | instskip(NEXT) | instid1(VALU_DEP_4)
	v_dual_fmac_f32 v180, v177, v140 :: v_dual_mul_f32 v175, v175, v167
	v_fma_f32 v178, v178, v167, v30
	s_delay_alu instid0(TRANS32_DEP_1) | instid1(VALU_DEP_4)
	v_mul_f32_e32 v176, v176, v174
	v_cndmask_b32_e64 v174, 0, v22, s41
	s_delay_alu instid0(VALU_DEP_4)
	v_exp_f32_e32 v180, v180
	v_mul_f32_e32 v181, v175, v168
	v_fma_f32 v178, v178, v168, v31
	v_mul_f32_e32 v22, v177, v141
	v_cndmask_b32_e64 v182, 1.0, 0x1f800000, s45
	v_cndmask_b32_e64 v175, 1.0, v176, s41
	v_mul_f32_e32 v176, v181, v169
	v_cndmask_b32_e64 v29, 0, v29, s36
	v_fma_f32 v178, v178, v169, v28
	v_cmp_gt_f32_e32 vcc_lo, 0xc2fc0000, v22
	v_mul_f32_e32 v22, v180, v182
	v_mul_f32_e32 v180, v177, v142
	;; [unrolled: 1-line block ×3, first 2 shown]
	v_fma_f32 v178, v178, v170, v29
	v_cndmask_b32_e64 v181, 0, 0x42800000, vcc_lo
	s_delay_alu instid0(VALU_DEP_4) | instskip(NEXT) | instid1(VALU_DEP_4)
	v_cmp_gt_f32_e64 s45, 0xc2fc0000, v180
	v_mul_f32_e32 v180, v176, v171
	s_delay_alu instid0(VALU_DEP_4) | instskip(SKIP_1) | instid1(VALU_DEP_4)
	v_fma_f32 v178, v178, v171, v26
	v_cndmask_b32_e64 v176, 0, v23, s42
	v_cndmask_b32_e64 v23, 0, 0x42800000, s45
	s_delay_alu instid0(VALU_DEP_4) | instskip(NEXT) | instid1(VALU_DEP_4)
	v_mul_f32_e32 v180, v180, v172
	v_fma_f32 v182, v178, v172, v27
	v_cndmask_b32_e64 v178, 1.0, v22, s42
	s_delay_alu instid0(VALU_DEP_3) | instskip(SKIP_2) | instid1(VALU_DEP_3)
	v_mul_f32_e32 v22, v180, v173
	v_fmac_f32_e32 v181, v177, v141
	v_cndmask_b32_e64 v180, 1.0, 0x1f800000, vcc_lo
	v_mul_f32_e32 v22, v22, v179
	s_delay_alu instid0(VALU_DEP_3) | instskip(SKIP_2) | instid1(VALU_DEP_3)
	v_exp_f32_e32 v181, v181
	v_fmac_f32_e32 v23, v177, v142
	v_fma_f32 v177, v182, v173, v24
	v_mul_f32_e32 v22, v22, v175
	s_delay_alu instid0(VALU_DEP_3) | instskip(NEXT) | instid1(VALU_DEP_2)
	v_exp_f32_e32 v23, v23
	v_fma_f32 v182, v177, v179, v25
	v_cndmask_b32_e64 v177, 0, v20, s43
	v_cndmask_b32_e64 v20, 1.0, 0x1f800000, s45
	s_delay_alu instid0(TRANS32_DEP_2) | instskip(SKIP_3) | instid1(VALU_DEP_4)
	v_mul_f32_e32 v180, v181, v180
	v_mul_f32_e32 v21, v21, v143
	v_fma_f32 v182, v182, v175, v174
	v_mul_f32_e32 v22, v22, v178
	v_cndmask_b32_e64 v181, 1.0, v180, s43
	s_delay_alu instid0(TRANS32_DEP_1) | instskip(NEXT) | instid1(VALU_DEP_4)
	v_mul_f32_e32 v20, v23, v20
	v_fma_f32 v23, v182, v178, v176
	v_cndmask_b32_e64 v180, 0, v21, s44
	s_delay_alu instid0(VALU_DEP_3) | instskip(SKIP_1) | instid1(VALU_DEP_4)
	v_cndmask_b32_e64 v182, 1.0, v20, s44
	v_mul_f32_e32 v20, v22, v181
	v_fma_f32 v21, v23, v181, v177
	s_delay_alu instid0(VALU_DEP_2) | instskip(NEXT) | instid1(VALU_DEP_2)
	v_mul_f32_e32 v20, v20, v182
	v_fma_f32 v21, v21, v182, v180
	s_delay_alu instid0(VALU_DEP_2) | instskip(NEXT) | instid1(VALU_DEP_2)
	v_mov_b32_dpp v23, v20 row_shr:1 row_mask:0xf bank_mask:0xf
	v_mov_b32_dpp v22, v21 row_shr:1 row_mask:0xf bank_mask:0xf
	s_and_saveexec_b32 s45, s0
; %bb.180:                              ;   in Loop: Header=BB149_109 Depth=2
	s_delay_alu instid0(VALU_DEP_2) | instskip(NEXT) | instid1(VALU_DEP_1)
	v_mul_f32_e32 v23, v20, v23
	v_dual_fmac_f32 v21, v20, v22 :: v_dual_mov_b32 v20, v23
; %bb.181:                              ;   in Loop: Header=BB149_109 Depth=2
	s_or_b32 exec_lo, exec_lo, s45
	s_delay_alu instid0(VALU_DEP_1) | instskip(NEXT) | instid1(VALU_DEP_2)
	v_mov_b32_dpp v22, v20 row_shr:2 row_mask:0xf bank_mask:0xf
	v_mov_b32_dpp v23, v21 row_shr:2 row_mask:0xf bank_mask:0xf
	s_and_saveexec_b32 s45, s1
; %bb.182:                              ;   in Loop: Header=BB149_109 Depth=2
	s_delay_alu instid0(VALU_DEP_1) | instskip(NEXT) | instid1(VALU_DEP_3)
	v_fmac_f32_e32 v21, v20, v23
	v_mul_f32_e32 v20, v20, v22
; %bb.183:                              ;   in Loop: Header=BB149_109 Depth=2
	s_or_b32 exec_lo, exec_lo, s45
	s_delay_alu instid0(VALU_DEP_1) | instskip(NEXT) | instid1(VALU_DEP_3)
	v_mov_b32_dpp v22, v20 row_shr:4 row_mask:0xf bank_mask:0xf
	v_mov_b32_dpp v23, v21 row_shr:4 row_mask:0xf bank_mask:0xf
	s_and_saveexec_b32 s45, s2
; %bb.184:                              ;   in Loop: Header=BB149_109 Depth=2
	s_delay_alu instid0(VALU_DEP_1) | instskip(NEXT) | instid1(VALU_DEP_3)
	v_fmac_f32_e32 v21, v20, v23
	v_mul_f32_e32 v20, v20, v22
; %bb.185:                              ;   in Loop: Header=BB149_109 Depth=2
	s_or_b32 exec_lo, exec_lo, s45
	s_delay_alu instid0(VALU_DEP_1) | instskip(NEXT) | instid1(VALU_DEP_3)
	v_mov_b32_dpp v22, v20 row_shr:8 row_mask:0xf bank_mask:0xf
	v_mov_b32_dpp v23, v21 row_shr:8 row_mask:0xf bank_mask:0xf
	s_and_saveexec_b32 s45, s3
; %bb.186:                              ;   in Loop: Header=BB149_109 Depth=2
	s_delay_alu instid0(VALU_DEP_1) | instskip(NEXT) | instid1(VALU_DEP_3)
	v_fmac_f32_e32 v21, v20, v23
	v_mul_f32_e32 v20, v20, v22
; %bb.187:                              ;   in Loop: Header=BB149_109 Depth=2
	s_or_b32 exec_lo, exec_lo, s45
	ds_swizzle_b32 v23, v20 offset:swizzle(BROADCAST,32,15)
	ds_swizzle_b32 v22, v21 offset:swizzle(BROADCAST,32,15)
	s_and_saveexec_b32 s45, s4
	s_cbranch_execz .LBB149_189
; %bb.188:                              ;   in Loop: Header=BB149_109 Depth=2
	s_waitcnt lgkmcnt(1)
	v_mul_f32_e32 v23, v20, v23
	s_waitcnt lgkmcnt(0)
	s_delay_alu instid0(VALU_DEP_1)
	v_dual_fmac_f32 v21, v20, v22 :: v_dual_mov_b32 v20, v23
.LBB149_189:                            ;   in Loop: Header=BB149_109 Depth=2
	s_or_b32 exec_lo, exec_lo, s45
	s_and_saveexec_b32 s45, s5
	s_cbranch_execz .LBB149_191
; %bb.190:                              ;   in Loop: Header=BB149_109 Depth=2
	ds_store_b64 v87, v[20:21] offset:8448
.LBB149_191:                            ;   in Loop: Header=BB149_109 Depth=2
	s_or_b32 exec_lo, exec_lo, s45
	s_waitcnt vmcnt(0) lgkmcnt(0)
	s_waitcnt_vscnt null, 0x0
	s_barrier
	buffer_gl0_inv
	s_and_saveexec_b32 s45, s6
	s_cbranch_execz .LBB149_193
; %bb.192:                              ;   in Loop: Header=BB149_109 Depth=2
	ds_load_b64 v[22:23], v88 offset:8448
	s_waitcnt lgkmcnt(0)
	v_mov_b32_dpp v183, v22 row_shr:1 row_mask:0xf bank_mask:0xf
	v_mov_b32_dpp v184, v23 row_shr:1 row_mask:0xf bank_mask:0xf
	s_delay_alu instid0(VALU_DEP_2) | instskip(NEXT) | instid1(VALU_DEP_2)
	v_mul_f32_e32 v183, v22, v183
	v_fma_f32 v184, v22, v184, v23
	s_delay_alu instid0(VALU_DEP_2) | instskip(NEXT) | instid1(VALU_DEP_2)
	v_cndmask_b32_e64 v22, v183, v22, s7
	v_cndmask_b32_e64 v23, v184, v23, s7
	ds_store_b64 v88, v[22:23] offset:8448
.LBB149_193:                            ;   in Loop: Header=BB149_109 Depth=2
	s_or_b32 exec_lo, exec_lo, s45
	s_waitcnt lgkmcnt(0)
	s_barrier
	buffer_gl0_inv
                                        ; implicit-def: $vgpr23
	s_and_saveexec_b32 s45, s9
	s_cbranch_execz .LBB149_195
; %bb.194:                              ;   in Loop: Header=BB149_109 Depth=2
	ds_load_b64 v[22:23], v87 offset:8440
	s_waitcnt lgkmcnt(0)
	v_mul_f32_e32 v183, v20, v22
	s_delay_alu instid0(VALU_DEP_1)
	v_dual_fmac_f32 v21, v20, v23 :: v_dual_mov_b32 v20, v183
.LBB149_195:                            ;   in Loop: Header=BB149_109 Depth=2
	s_or_b32 exec_lo, exec_lo, s45
	ds_bpermute_b32 v183, v89, v20
	ds_bpermute_b32 v184, v89, v21
	s_and_saveexec_b32 s45, s8
	s_cbranch_execz .LBB149_199
; %bb.196:                              ;   in Loop: Header=BB149_109 Depth=2
	ds_load_b64 v[20:21], v1 offset:8456
	s_and_saveexec_b32 s46, s10
	s_cbranch_execz .LBB149_198
; %bb.197:                              ;   in Loop: Header=BB149_109 Depth=2
	ds_store_b64 v1, v[18:19] offset:8456
.LBB149_198:                            ;   in Loop: Header=BB149_109 Depth=2
	s_or_b32 exec_lo, exec_lo, s46
	s_waitcnt lgkmcnt(0)
	v_fmac_f32_e32 v21, v19, v20
	s_delay_alu instid0(VALU_DEP_1)
	v_dual_mul_f32 v18, v18, v20 :: v_dual_mov_b32 v19, v21
.LBB149_199:                            ;   in Loop: Header=BB149_109 Depth=2
	s_or_b32 exec_lo, exec_lo, s45
	s_waitcnt lgkmcnt(0)
	s_barrier
	buffer_gl0_inv
	ds_load_b32 v20, v1 offset:8460
	s_and_saveexec_b32 s45, s10
	s_cbranch_execz .LBB149_108
; %bb.200:                              ;   in Loop: Header=BB149_109 Depth=2
	v_mov_b32_e32 v21, s64
	s_and_not1_b32 vcc_lo, exec_lo, s62
	ds_store_b64 v21, v[18:19]
	s_cbranch_vccnz .LBB149_108
; %bb.201:                              ;   in Loop: Header=BB149_109 Depth=2
	s_mov_b32 s61, s53
	s_delay_alu instid0(SALU_CYCLE_1) | instskip(NEXT) | instid1(SALU_CYCLE_1)
	s_lshl_b64 s[46:47], s[60:61], 2
	s_add_u32 s46, s86, s46
	s_addc_u32 s47, s87, s47
	global_store_b32 v1, v19, s[46:47]
	s_branch .LBB149_108
.LBB149_202:                            ;   in Loop: Header=BB149_12 Depth=1
	s_waitcnt_vscnt null, 0x0
	s_barrier
	buffer_gl0_inv
	ds_store_2addr_b32 v70, v138, v136 offset1:1
	ds_store_2addr_b32 v70, v135, v134 offset0:2 offset1:3
	ds_store_2addr_b32 v70, v133, v132 offset0:4 offset1:5
	;; [unrolled: 1-line block ×7, first 2 shown]
	; wave barrier
	ds_load_b32 v18, v55 offset:128
	ds_load_b32 v17, v56 offset:256
	;; [unrolled: 1-line block ×15, first 2 shown]
	s_mov_b32 s55, s53
	s_delay_alu instid0(SALU_CYCLE_1) | instskip(NEXT) | instid1(SALU_CYCLE_1)
	s_lshl_b64 s[34:35], s[54:55], 2
	v_add_co_u32 v2, vcc_lo, v0, s34
	v_add_co_ci_u32_e32 v3, vcc_lo, s35, v90, vcc_lo
	s_and_saveexec_b32 s28, s12
	s_cbranch_execnz .LBB149_254
; %bb.203:                              ;   in Loop: Header=BB149_12 Depth=1
	s_or_b32 exec_lo, exec_lo, s28
	s_and_saveexec_b32 s28, s13
	s_cbranch_execnz .LBB149_255
.LBB149_204:                            ;   in Loop: Header=BB149_12 Depth=1
	s_or_b32 exec_lo, exec_lo, s28
	s_and_saveexec_b32 s28, s14
	s_cbranch_execnz .LBB149_256
.LBB149_205:                            ;   in Loop: Header=BB149_12 Depth=1
	s_or_b32 exec_lo, exec_lo, s28
	s_and_saveexec_b32 s28, s15
	s_cbranch_execnz .LBB149_257
.LBB149_206:                            ;   in Loop: Header=BB149_12 Depth=1
	s_or_b32 exec_lo, exec_lo, s28
	s_and_saveexec_b32 s28, s16
	s_cbranch_execnz .LBB149_258
.LBB149_207:                            ;   in Loop: Header=BB149_12 Depth=1
	s_or_b32 exec_lo, exec_lo, s28
	s_and_saveexec_b32 s28, s17
	s_cbranch_execnz .LBB149_259
.LBB149_208:                            ;   in Loop: Header=BB149_12 Depth=1
	s_or_b32 exec_lo, exec_lo, s28
	s_and_saveexec_b32 s28, s18
	s_cbranch_execnz .LBB149_260
.LBB149_209:                            ;   in Loop: Header=BB149_12 Depth=1
	s_or_b32 exec_lo, exec_lo, s28
	s_and_saveexec_b32 s28, s19
	s_cbranch_execnz .LBB149_261
.LBB149_210:                            ;   in Loop: Header=BB149_12 Depth=1
	s_or_b32 exec_lo, exec_lo, s28
	s_and_saveexec_b32 s28, s20
	s_cbranch_execnz .LBB149_262
.LBB149_211:                            ;   in Loop: Header=BB149_12 Depth=1
	s_or_b32 exec_lo, exec_lo, s28
	s_and_saveexec_b32 s28, s21
	s_cbranch_execnz .LBB149_263
.LBB149_212:                            ;   in Loop: Header=BB149_12 Depth=1
	s_or_b32 exec_lo, exec_lo, s28
	s_and_saveexec_b32 s28, s22
	s_cbranch_execnz .LBB149_264
.LBB149_213:                            ;   in Loop: Header=BB149_12 Depth=1
	s_or_b32 exec_lo, exec_lo, s28
	s_and_saveexec_b32 s28, s23
	s_cbranch_execnz .LBB149_265
.LBB149_214:                            ;   in Loop: Header=BB149_12 Depth=1
	s_or_b32 exec_lo, exec_lo, s28
	s_and_saveexec_b32 s28, s24
	s_cbranch_execnz .LBB149_266
.LBB149_215:                            ;   in Loop: Header=BB149_12 Depth=1
	s_or_b32 exec_lo, exec_lo, s28
	s_and_saveexec_b32 s28, s25
	s_cbranch_execnz .LBB149_267
.LBB149_216:                            ;   in Loop: Header=BB149_12 Depth=1
	s_or_b32 exec_lo, exec_lo, s28
	s_and_saveexec_b32 s28, s26
	s_cbranch_execnz .LBB149_268
.LBB149_217:                            ;   in Loop: Header=BB149_12 Depth=1
	s_or_b32 exec_lo, exec_lo, s28
	s_and_saveexec_b32 s28, s27
	s_cbranch_execz .LBB149_219
.LBB149_218:                            ;   in Loop: Header=BB149_12 Depth=1
	s_waitcnt lgkmcnt(0)
	global_store_b32 v[2:3], v4, off offset:1920
.LBB149_219:                            ;   in Loop: Header=BB149_12 Depth=1
	s_or_b32 exec_lo, exec_lo, s28
	s_mov_b32 s52, s53
	s_mov_b32 s54, s53
	;; [unrolled: 1-line block ×15, first 2 shown]
	s_waitcnt lgkmcnt(14)
	v_add_co_u32 v18, vcc_lo, v91, s34
	s_waitcnt lgkmcnt(0)
	v_dual_mov_b32 v2, s52 :: v_dual_mov_b32 v3, s53
	v_add_co_ci_u32_e32 v19, vcc_lo, s35, v92, vcc_lo
	v_dual_mov_b32 v4, s54 :: v_dual_mov_b32 v5, s55
	v_dual_mov_b32 v6, s56 :: v_dual_mov_b32 v7, s57
	;; [unrolled: 1-line block ×7, first 2 shown]
	v_mov_b32_e32 v20, 0
	s_waitcnt_vscnt null, 0x0
	s_barrier
	buffer_gl0_inv
	s_and_saveexec_b32 s28, s12
	s_cbranch_execnz .LBB149_269
; %bb.220:                              ;   in Loop: Header=BB149_12 Depth=1
	s_or_b32 exec_lo, exec_lo, s28
	s_and_saveexec_b32 s28, s13
	s_cbranch_execnz .LBB149_270
.LBB149_221:                            ;   in Loop: Header=BB149_12 Depth=1
	s_or_b32 exec_lo, exec_lo, s28
	s_and_saveexec_b32 s28, s14
	s_cbranch_execnz .LBB149_271
.LBB149_222:                            ;   in Loop: Header=BB149_12 Depth=1
	s_or_b32 exec_lo, exec_lo, s28
	s_and_saveexec_b32 s28, s15
	s_cbranch_execnz .LBB149_272
.LBB149_223:                            ;   in Loop: Header=BB149_12 Depth=1
	s_or_b32 exec_lo, exec_lo, s28
	s_and_saveexec_b32 s28, s16
	s_cbranch_execnz .LBB149_273
.LBB149_224:                            ;   in Loop: Header=BB149_12 Depth=1
	s_or_b32 exec_lo, exec_lo, s28
	s_and_saveexec_b32 s28, s17
	s_cbranch_execnz .LBB149_274
.LBB149_225:                            ;   in Loop: Header=BB149_12 Depth=1
	s_or_b32 exec_lo, exec_lo, s28
	s_and_saveexec_b32 s28, s18
	s_cbranch_execnz .LBB149_275
.LBB149_226:                            ;   in Loop: Header=BB149_12 Depth=1
	s_or_b32 exec_lo, exec_lo, s28
	s_and_saveexec_b32 s28, s19
	s_cbranch_execnz .LBB149_276
.LBB149_227:                            ;   in Loop: Header=BB149_12 Depth=1
	s_or_b32 exec_lo, exec_lo, s28
	s_and_saveexec_b32 s28, s20
	s_cbranch_execnz .LBB149_277
.LBB149_228:                            ;   in Loop: Header=BB149_12 Depth=1
	s_or_b32 exec_lo, exec_lo, s28
	s_and_saveexec_b32 s28, s21
	s_cbranch_execnz .LBB149_278
.LBB149_229:                            ;   in Loop: Header=BB149_12 Depth=1
	s_or_b32 exec_lo, exec_lo, s28
	s_and_saveexec_b32 s28, s22
	s_cbranch_execnz .LBB149_279
.LBB149_230:                            ;   in Loop: Header=BB149_12 Depth=1
	s_or_b32 exec_lo, exec_lo, s28
	s_and_saveexec_b32 s28, s23
	s_cbranch_execnz .LBB149_280
.LBB149_231:                            ;   in Loop: Header=BB149_12 Depth=1
	s_or_b32 exec_lo, exec_lo, s28
	s_and_saveexec_b32 s28, s24
	s_cbranch_execnz .LBB149_281
.LBB149_232:                            ;   in Loop: Header=BB149_12 Depth=1
	s_or_b32 exec_lo, exec_lo, s28
	s_and_saveexec_b32 s28, s25
	s_cbranch_execnz .LBB149_282
.LBB149_233:                            ;   in Loop: Header=BB149_12 Depth=1
	s_or_b32 exec_lo, exec_lo, s28
	s_and_saveexec_b32 s28, s26
	s_cbranch_execnz .LBB149_283
.LBB149_234:                            ;   in Loop: Header=BB149_12 Depth=1
	s_or_b32 exec_lo, exec_lo, s28
	s_and_saveexec_b32 s28, s27
	s_cbranch_execz .LBB149_236
.LBB149_235:                            ;   in Loop: Header=BB149_12 Depth=1
	global_load_b32 v17, v[18:19], off offset:1920
.LBB149_236:                            ;   in Loop: Header=BB149_12 Depth=1
	s_or_b32 exec_lo, exec_lo, s28
	s_waitcnt vmcnt(0)
	ds_store_b32 v54, v20
	ds_store_b32 v55, v3 offset:128
	ds_store_b32 v56, v4 offset:256
	;; [unrolled: 1-line block ×15, first 2 shown]
	; wave barrier
	ds_load_2addr_b32 v[12:13], v70 offset1:1
	ds_load_2addr_b32 v[14:15], v70 offset0:2 offset1:3
	ds_load_2addr_b32 v[16:17], v70 offset0:4 offset1:5
	;; [unrolled: 1-line block ×3, first 2 shown]
	s_waitcnt lgkmcnt(3)
	v_dual_mul_f32 v2, 0xbfb8aa3b, v12 :: v_dual_mul_f32 v19, 0xbfb8aa3b, v13
	s_waitcnt lgkmcnt(2)
	v_dual_mul_f32 v23, 0xbfb8aa3b, v14 :: v_dual_mul_f32 v24, 0xbfb8aa3b, v15
	v_cmp_nlt_f32_e32 vcc_lo, 0x42ce8ed0, v12
	s_delay_alu instid0(VALU_DEP_3) | instskip(SKIP_4) | instid1(VALU_DEP_4)
	v_rndne_f32_e32 v18, v2
	v_fma_f32 v3, 0xbfb8aa3b, v12, -v2
	v_rndne_f32_e32 v20, v19
	v_fma_f32 v21, 0xbfb8aa3b, v13, -v19
	v_fma_f32 v26, 0xbfb8aa3b, v14, -v23
	v_dual_sub_f32 v2, v2, v18 :: v_dual_fmac_f32 v3, 0xb2a5705f, v12
	s_delay_alu instid0(VALU_DEP_4)
	v_sub_f32_e32 v19, v19, v20
	v_cvt_i32_f32_e32 v18, v18
	v_rndne_f32_e32 v27, v24
	s_waitcnt lgkmcnt(1)
	v_dual_mul_f32 v25, 0xbfb8aa3b, v16 :: v_dual_add_f32 v22, v2, v3
	v_cvt_i32_f32_e32 v20, v20
	v_fma_f32 v28, 0xbfb8aa3b, v15, -v24
	v_sub_f32_e32 v24, v24, v27
	v_cvt_i32_f32_e32 v27, v27
	v_exp_f32_e32 v22, v22
	v_cmp_ngt_f32_e64 s28, 0xc2b17218, v14
	v_cmp_ngt_f32_e64 s29, 0xc2b17218, v15
	ds_load_2addr_b32 v[8:9], v70 offset0:8 offset1:9
	ds_load_2addr_b32 v[6:7], v70 offset0:10 offset1:11
	;; [unrolled: 1-line block ×4, first 2 shown]
	s_waitcnt lgkmcnt(0)
	s_barrier
	buffer_gl0_inv
	v_fmac_f32_e32 v26, 0xb2a5705f, v14
	v_ldexp_f32 v18, v22, v18
	v_fmac_f32_e32 v21, 0xb2a5705f, v13
	v_rndne_f32_e32 v22, v25
	v_fmac_f32_e32 v28, 0xb2a5705f, v15
	s_delay_alu instid0(VALU_DEP_3) | instskip(SKIP_2) | instid1(VALU_DEP_3)
	v_dual_cndmask_b32 v18, 0, v18 :: v_dual_add_f32 v19, v19, v21
	v_rndne_f32_e32 v21, v23
	v_cmp_ngt_f32_e32 vcc_lo, 0xc2b17218, v12
	v_exp_f32_e32 v19, v19
	s_delay_alu instid0(VALU_DEP_2)
	v_dual_sub_f32 v23, v23, v21 :: v_dual_cndmask_b32 v18, 0x7f800000, v18
	v_cmp_nlt_f32_e32 vcc_lo, 0x42ce8ed0, v13
	v_cvt_i32_f32_e32 v21, v21
	s_waitcnt_depctr 0xfff
	v_ldexp_f32 v19, v19, v20
	v_add_f32_e32 v20, v23, v26
	v_fma_f32 v26, 0xbfb8aa3b, v16, -v25
	v_sub_f32_e32 v25, v25, v22
	v_dual_add_f32 v18, 1.0, v18 :: v_dual_add_f32 v23, v24, v28
	v_cndmask_b32_e32 v19, 0, v19, vcc_lo
	v_exp_f32_e32 v20, v20
	v_cmp_ngt_f32_e32 vcc_lo, 0xc2b17218, v13
	s_delay_alu instid0(VALU_DEP_3) | instskip(SKIP_3) | instid1(VALU_DEP_3)
	v_div_scale_f32 v24, null, v18, v18, v12
	v_exp_f32_e32 v23, v23
	v_cvt_i32_f32_e32 v22, v22
	v_fmac_f32_e32 v26, 0xb2a5705f, v16
	v_rcp_f32_e32 v28, v24
	s_delay_alu instid0(TRANS32_DEP_3) | instskip(NEXT) | instid1(VALU_DEP_2)
	v_ldexp_f32 v20, v20, v21
	v_add_f32_e32 v25, v25, v26
	s_waitcnt_depctr 0xfff
	v_ldexp_f32 v21, v23, v27
	v_exp_f32_e32 v25, v25
	v_fma_f32 v27, -v24, v28, 1.0
	v_cndmask_b32_e32 v19, 0x7f800000, v19, vcc_lo
	v_cmp_nlt_f32_e32 vcc_lo, 0x42ce8ed0, v14
	s_delay_alu instid0(VALU_DEP_2) | instskip(SKIP_3) | instid1(VALU_DEP_1)
	v_dual_fmac_f32 v28, v27, v28 :: v_dual_add_f32 v19, 1.0, v19
	s_waitcnt_depctr 0xfff
	v_ldexp_f32 v22, v25, v22
	v_div_scale_f32 v29, null, v19, v19, v13
	v_rcp_f32_e32 v23, v29
	s_waitcnt_depctr 0xfff
	v_fma_f32 v27, -v29, v23, 1.0
	v_cndmask_b32_e32 v20, 0, v20, vcc_lo
	v_div_scale_f32 v30, vcc_lo, v12, v18, v12
	s_delay_alu instid0(VALU_DEP_3) | instskip(NEXT) | instid1(VALU_DEP_3)
	v_fmac_f32_e32 v23, v27, v23
	v_cndmask_b32_e64 v20, 0x7f800000, v20, s28
	v_cmp_nlt_f32_e64 s28, 0x42ce8ed0, v15
	s_delay_alu instid0(VALU_DEP_2) | instskip(NEXT) | instid1(VALU_DEP_2)
	v_add_f32_e32 v20, 1.0, v20
	v_cndmask_b32_e64 v21, 0, v21, s28
	v_div_scale_f32 v32, s28, v13, v19, v13
	v_mul_f32_e32 v31, v30, v28
	s_delay_alu instid0(VALU_DEP_4) | instskip(NEXT) | instid1(VALU_DEP_3)
	v_div_scale_f32 v33, null, v20, v20, v14
	v_mul_f32_e32 v34, v32, v23
	v_cndmask_b32_e64 v21, 0x7f800000, v21, s29
	s_delay_alu instid0(VALU_DEP_4) | instskip(NEXT) | instid1(VALU_DEP_4)
	v_fma_f32 v27, -v24, v31, v30
	v_rcp_f32_e32 v26, v33
	s_delay_alu instid0(VALU_DEP_1) | instskip(SKIP_2) | instid1(VALU_DEP_3)
	v_fmac_f32_e32 v31, v27, v28
	v_fma_f32 v27, -v29, v34, v32
	v_add_f32_e32 v21, 1.0, v21
	v_fma_f32 v24, -v24, v31, v30
	s_delay_alu instid0(VALU_DEP_3) | instskip(SKIP_1) | instid1(VALU_DEP_3)
	v_fmac_f32_e32 v34, v27, v23
	v_mul_f32_e32 v30, 0xbfb8aa3b, v17
	v_div_fmas_f32 v24, v24, v28, v31
	s_delay_alu instid0(TRANS32_DEP_1) | instskip(NEXT) | instid1(VALU_DEP_3)
	v_fma_f32 v28, -v33, v26, 1.0
	v_rndne_f32_e32 v25, v30
	v_cmp_nlt_f32_e32 vcc_lo, 0x42ce8ed0, v16
	v_div_scale_f32 v31, s29, v14, v20, v14
	v_div_fixup_f32 v12, v24, v18, v12
	v_div_scale_f32 v18, null, v21, v21, v15
	v_fma_f32 v24, -v29, v34, v32
	s_delay_alu instid0(VALU_DEP_2) | instskip(SKIP_3) | instid1(VALU_DEP_2)
	v_rcp_f32_e32 v29, v18
	v_fmac_f32_e32 v26, v28, v26
	v_fma_f32 v28, 0xbfb8aa3b, v17, -v30
	v_sub_f32_e32 v30, v30, v25
	v_fmac_f32_e32 v28, 0xb2a5705f, v17
	s_delay_alu instid0(VALU_DEP_1) | instskip(SKIP_2) | instid1(VALU_DEP_1)
	v_add_f32_e32 v28, v30, v28
	s_waitcnt_depctr 0xfff
	v_fma_f32 v30, -v18, v29, 1.0
	v_dual_fmac_f32 v29, v30, v29 :: v_dual_cndmask_b32 v22, 0, v22
	s_mov_b32 vcc_lo, s28
	v_mul_f32_e32 v27, v31, v26
	v_div_fmas_f32 v23, v24, v23, v34
	v_cmp_ngt_f32_e32 vcc_lo, 0xc2b17218, v16
	s_delay_alu instid0(VALU_DEP_3) | instskip(NEXT) | instid1(VALU_DEP_3)
	v_fma_f32 v24, -v33, v27, v31
	v_div_fixup_f32 v13, v23, v19, v13
	v_exp_f32_e32 v19, v28
	v_cvt_i32_f32_e32 v23, v25
	v_div_scale_f32 v28, s28, v15, v21, v15
	v_fmac_f32_e32 v27, v24, v26
	v_dual_mul_f32 v24, 0xbfb8aa3b, v10 :: v_dual_mul_f32 v13, v13, v136
	s_delay_alu instid0(VALU_DEP_2)
	v_fma_f32 v31, -v33, v27, v31
	s_waitcnt_depctr 0xfff
	v_ldexp_f32 v19, v19, v23
	v_rndne_f32_e32 v23, v24
	v_fma_f32 v30, 0xbfb8aa3b, v10, -v24
	v_dual_mul_f32 v33, v28, v29 :: v_dual_cndmask_b32 v22, 0x7f800000, v22
	v_cmp_nlt_f32_e32 vcc_lo, 0x42ce8ed0, v17
	s_delay_alu instid0(VALU_DEP_4) | instskip(NEXT) | instid1(VALU_DEP_4)
	v_sub_f32_e32 v24, v24, v23
	v_fmac_f32_e32 v30, 0xb2a5705f, v10
	v_mul_f32_e32 v12, v12, v138
	v_cvt_i32_f32_e32 v23, v23
	v_cndmask_b32_e32 v19, 0, v19, vcc_lo
	v_cmp_ngt_f32_e32 vcc_lo, 0xc2b17218, v17
	v_add_f32_e32 v24, v24, v30
	v_fma_f32 v30, -v18, v33, v28
	s_delay_alu instid0(VALU_DEP_4) | instskip(NEXT) | instid1(VALU_DEP_3)
	v_dual_add_f32 v22, 1.0, v22 :: v_dual_cndmask_b32 v19, 0x7f800000, v19
	v_exp_f32_e32 v24, v24
	s_delay_alu instid0(VALU_DEP_2) | instskip(SKIP_1) | instid1(VALU_DEP_2)
	v_fmac_f32_e32 v33, v30, v29
	s_mov_b32 vcc_lo, s29
	v_div_scale_f32 v25, null, v22, v22, v16
	v_div_fmas_f32 v26, v31, v26, v27
	v_cmp_nlt_f32_e32 vcc_lo, 0x42ce8ed0, v10
	v_add_f32_e32 v19, 1.0, v19
	v_fma_f32 v18, -v18, v33, v28
	v_rcp_f32_e32 v32, v25
	s_delay_alu instid0(TRANS32_DEP_2) | instskip(SKIP_2) | instid1(VALU_DEP_3)
	v_ldexp_f32 v23, v24, v23
	v_div_fixup_f32 v14, v26, v20, v14
	v_div_scale_f32 v31, null, v19, v19, v17
	v_cndmask_b32_e32 v20, 0, v23, vcc_lo
	v_cmp_ngt_f32_e32 vcc_lo, 0xc2b17218, v10
	s_delay_alu instid0(VALU_DEP_3) | instskip(NEXT) | instid1(TRANS32_DEP_2)
	v_rcp_f32_e32 v34, v31
	v_fma_f32 v27, -v25, v32, 1.0
	s_delay_alu instid0(VALU_DEP_3)
	v_cndmask_b32_e32 v20, 0x7f800000, v20, vcc_lo
	s_mov_b32 vcc_lo, s28
	v_div_fmas_f32 v18, v18, v29, v33
	s_waitcnt_depctr 0xfff
	v_fma_f32 v26, -v31, v34, 1.0
	v_div_fixup_f32 v15, v18, v21, v15
	s_delay_alu instid0(VALU_DEP_2) | instskip(SKIP_1) | instid1(VALU_DEP_3)
	v_fmac_f32_e32 v34, v26, v34
	v_div_scale_f32 v26, s28, v17, v19, v17
	v_dual_mul_f32 v15, v15, v134 :: v_dual_add_f32 v20, 1.0, v20
	v_fmac_f32_e32 v32, v27, v32
	v_div_scale_f32 v27, s29, v16, v22, v16
	s_delay_alu instid0(VALU_DEP_1) | instskip(NEXT) | instid1(VALU_DEP_3)
	s_mov_b32 vcc_lo, s29
	v_div_scale_f32 v30, null, v20, v20, v10
	s_delay_alu instid0(VALU_DEP_2) | instskip(NEXT) | instid1(VALU_DEP_2)
	v_mul_f32_e32 v24, v27, v32
	v_rcp_f32_e32 v33, v30
	s_delay_alu instid0(VALU_DEP_1) | instskip(SKIP_3) | instid1(VALU_DEP_2)
	v_fma_f32 v23, -v25, v24, v27
	s_waitcnt_depctr 0xfff
	v_fma_f32 v21, -v30, v33, 1.0
	v_dual_fmac_f32 v24, v23, v32 :: v_dual_mul_f32 v23, 0xbfb8aa3b, v11
	v_fmac_f32_e32 v33, v21, v33
	s_delay_alu instid0(VALU_DEP_2) | instskip(NEXT) | instid1(VALU_DEP_3)
	v_fma_f32 v25, -v25, v24, v27
	v_rndne_f32_e32 v28, v23
	v_fma_f32 v29, 0xbfb8aa3b, v11, -v23
	v_mul_f32_e32 v27, v26, v34
	v_div_scale_f32 v21, s29, v10, v20, v10
	s_delay_alu instid0(VALU_DEP_4) | instskip(NEXT) | instid1(VALU_DEP_4)
	v_sub_f32_e32 v23, v23, v28
	v_fmac_f32_e32 v29, 0xb2a5705f, v11
	v_div_fmas_f32 v24, v25, v32, v24
	v_fma_f32 v25, -v31, v27, v26
	s_mov_b32 vcc_lo, s28
	v_cmp_nlt_f32_e64 s28, 0x42ce8ed0, v9
	v_add_f32_e32 v23, v23, v29
	v_div_fixup_f32 v16, v24, v22, v16
	v_fmac_f32_e32 v27, v25, v34
	v_cvt_i32_f32_e32 v22, v28
	v_mul_f32_e32 v24, 0xbfb8aa3b, v8
	v_exp_f32_e32 v18, v23
	s_delay_alu instid0(VALU_DEP_3) | instskip(NEXT) | instid1(VALU_DEP_2)
	v_fma_f32 v23, -v31, v27, v26
	v_fma_f32 v25, 0xbfb8aa3b, v8, -v24
	s_delay_alu instid0(VALU_DEP_1)
	v_dual_mul_f32 v16, v16, v133 :: v_dual_fmac_f32 v25, 0xb2a5705f, v8
	s_waitcnt_depctr 0xfff
	v_ldexp_f32 v18, v18, v22
	v_div_fmas_f32 v22, v23, v34, v27
	v_mul_f32_e32 v23, v21, v33
	v_cmp_nlt_f32_e32 vcc_lo, 0x42ce8ed0, v11
	s_delay_alu instid0(VALU_DEP_3) | instskip(NEXT) | instid1(VALU_DEP_3)
	v_div_fixup_f32 v17, v22, v19, v17
	v_fma_f32 v19, -v30, v23, v21
	v_rndne_f32_e32 v22, v24
	s_delay_alu instid0(VALU_DEP_3) | instskip(NEXT) | instid1(VALU_DEP_3)
	v_dual_mul_f32 v14, v14, v135 :: v_dual_mul_f32 v17, v17, v132
	v_fmac_f32_e32 v23, v19, v33
	s_delay_alu instid0(VALU_DEP_3) | instskip(SKIP_2) | instid1(VALU_DEP_4)
	v_dual_sub_f32 v19, v24, v22 :: v_dual_mul_f32 v24, 0xbfb8aa3b, v9
	v_cndmask_b32_e32 v18, 0, v18, vcc_lo
	v_cmp_ngt_f32_e32 vcc_lo, 0xc2b17218, v11
	v_fma_f32 v21, -v30, v23, v21
	s_delay_alu instid0(VALU_DEP_4) | instskip(SKIP_3) | instid1(VALU_DEP_4)
	v_add_f32_e32 v19, v19, v25
	v_rndne_f32_e32 v25, v24
	v_fma_f32 v27, 0xbfb8aa3b, v9, -v24
	v_cvt_i32_f32_e32 v22, v22
	v_exp_f32_e32 v19, v19
	s_delay_alu instid0(VALU_DEP_3) | instskip(NEXT) | instid1(VALU_DEP_3)
	v_sub_f32_e32 v24, v24, v25
	v_fmac_f32_e32 v27, 0xb2a5705f, v9
	v_cndmask_b32_e32 v18, 0x7f800000, v18, vcc_lo
	s_mov_b32 vcc_lo, s29
	v_div_fmas_f32 v21, v21, v33, v23
	v_cmp_nlt_f32_e32 vcc_lo, 0x42ce8ed0, v8
	s_waitcnt_depctr 0xfff
	v_ldexp_f32 v19, v19, v22
	v_div_fixup_f32 v10, v21, v20, v10
	s_delay_alu instid0(VALU_DEP_2) | instskip(SKIP_1) | instid1(VALU_DEP_2)
	v_cndmask_b32_e32 v19, 0, v19, vcc_lo
	v_cmp_ngt_f32_e32 vcc_lo, 0xc2b17218, v8
	v_cndmask_b32_e32 v19, 0x7f800000, v19, vcc_lo
	s_delay_alu instid0(VALU_DEP_1) | instskip(NEXT) | instid1(VALU_DEP_1)
	v_dual_mul_f32 v28, 0xbfb8aa3b, v6 :: v_dual_add_f32 v19, 1.0, v19
	v_fma_f32 v31, 0xbfb8aa3b, v6, -v28
	v_rndne_f32_e32 v30, v28
	s_delay_alu instid0(VALU_DEP_2) | instskip(SKIP_1) | instid1(VALU_DEP_3)
	v_fmac_f32_e32 v31, 0xb2a5705f, v6
	v_dual_add_f32 v23, v24, v27 :: v_dual_add_f32 v18, 1.0, v18
	v_sub_f32_e32 v24, v28, v30
	s_delay_alu instid0(VALU_DEP_2) | instskip(NEXT) | instid1(VALU_DEP_2)
	v_exp_f32_e32 v20, v23
	v_div_scale_f32 v26, null, v18, v18, v11
	s_delay_alu instid0(VALU_DEP_2) | instskip(SKIP_1) | instid1(VALU_DEP_3)
	v_add_f32_e32 v22, v24, v31
	v_cvt_i32_f32_e32 v23, v25
	v_rcp_f32_e32 v29, v26
	s_waitcnt_depctr 0xfff
	v_ldexp_f32 v20, v20, v23
	s_delay_alu instid0(VALU_DEP_1) | instskip(SKIP_2) | instid1(VALU_DEP_2)
	v_cndmask_b32_e64 v20, 0, v20, s28
	v_fma_f32 v21, -v26, v29, 1.0
	v_cmp_ngt_f32_e64 s28, 0xc2b17218, v9
	v_fmac_f32_e32 v29, v21, v29
	v_exp_f32_e32 v21, v22
	v_cvt_i32_f32_e32 v22, v30
	v_div_scale_f32 v23, vcc_lo, v11, v18, v11
	v_cndmask_b32_e64 v20, 0x7f800000, v20, s28
	v_cmp_nlt_f32_e64 s28, 0x42ce8ed0, v6
	s_delay_alu instid0(VALU_DEP_3) | instskip(SKIP_4) | instid1(VALU_DEP_3)
	v_mul_f32_e32 v24, v23, v29
	s_waitcnt_depctr 0xfff
	v_ldexp_f32 v21, v21, v22
	v_div_scale_f32 v22, null, v19, v19, v8
	v_fma_f32 v27, -v26, v24, v23
	v_cndmask_b32_e64 v21, 0, v21, s28
	s_delay_alu instid0(VALU_DEP_3) | instskip(SKIP_1) | instid1(VALU_DEP_3)
	v_rcp_f32_e32 v25, v22
	v_cmp_ngt_f32_e64 s28, 0xc2b17218, v6
	v_fmac_f32_e32 v24, v27, v29
	s_delay_alu instid0(VALU_DEP_2) | instskip(NEXT) | instid1(VALU_DEP_2)
	v_cndmask_b32_e64 v21, 0x7f800000, v21, s28
	v_fma_f32 v23, -v26, v24, v23
	s_waitcnt_depctr 0xfff
	v_fma_f32 v27, -v22, v25, 1.0
	v_dual_add_f32 v20, 1.0, v20 :: v_dual_add_f32 v21, 1.0, v21
	v_div_fmas_f32 v23, v23, v29, v24
	v_cmp_nlt_f32_e32 vcc_lo, 0x42ce8ed0, v7
	s_delay_alu instid0(VALU_DEP_4) | instskip(NEXT) | instid1(VALU_DEP_4)
	v_fmac_f32_e32 v25, v27, v25
	v_div_scale_f32 v28, null, v20, v20, v9
	v_div_scale_f32 v31, null, v21, v21, v6
	v_div_fixup_f32 v11, v23, v18, v11
	s_delay_alu instid0(VALU_DEP_3) | instskip(SKIP_1) | instid1(VALU_DEP_3)
	v_rcp_f32_e32 v30, v28
	v_div_scale_f32 v27, s28, v8, v19, v8
	v_rcp_f32_e32 v33, v31
	s_delay_alu instid0(VALU_DEP_2) | instskip(NEXT) | instid1(VALU_DEP_2)
	v_mul_f32_e32 v11, v11, v129
	v_mul_f32_e32 v26, v27, v25
	s_waitcnt_depctr 0xfff
	v_fma_f32 v111, -v28, v30, 1.0
	v_fma_f32 v24, -v22, v26, v27
	v_fma_f32 v112, -v31, v33, 1.0
	s_delay_alu instid0(VALU_DEP_3) | instskip(SKIP_1) | instid1(VALU_DEP_3)
	v_fmac_f32_e32 v30, v111, v30
	v_div_scale_f32 v111, s29, v9, v20, v9
	v_dual_fmac_f32 v33, v112, v33 :: v_dual_mul_f32 v32, 0xbfb8aa3b, v7
	s_delay_alu instid0(VALU_DEP_2) | instskip(NEXT) | instid1(VALU_DEP_2)
	v_dual_fmac_f32 v26, v24, v25 :: v_dual_mul_f32 v29, v111, v30
	v_rndne_f32_e32 v34, v32
	v_fma_f32 v35, 0xbfb8aa3b, v7, -v32
	v_mul_f32_e32 v10, v10, v130
	s_delay_alu instid0(VALU_DEP_4) | instskip(SKIP_1) | instid1(VALU_DEP_4)
	v_fma_f32 v23, -v28, v29, v111
	v_fma_f32 v22, -v22, v26, v27
	v_dual_sub_f32 v32, v32, v34 :: v_dual_fmac_f32 v35, 0xb2a5705f, v7
	v_cvt_i32_f32_e32 v18, v34
	s_delay_alu instid0(VALU_DEP_2) | instskip(SKIP_1) | instid1(VALU_DEP_2)
	v_dual_fmac_f32 v29, v23, v30 :: v_dual_add_f32 v32, v32, v35
	v_div_scale_f32 v35, s30, v6, v21, v6
	v_exp_f32_e32 v32, v32
	s_delay_alu instid0(VALU_DEP_1) | instskip(NEXT) | instid1(VALU_DEP_1)
	v_mul_f32_e32 v24, v35, v33
	v_fma_f32 v23, -v31, v24, v35
	s_waitcnt_depctr 0xfff
	v_ldexp_f32 v18, v32, v18
	v_dual_fmac_f32 v24, v23, v33 :: v_dual_mul_f32 v23, 0xbfb8aa3b, v4
	s_delay_alu instid0(VALU_DEP_2) | instskip(SKIP_1) | instid1(VALU_DEP_2)
	v_cndmask_b32_e32 v18, 0, v18, vcc_lo
	s_mov_b32 vcc_lo, s28
	v_rndne_f32_e32 v27, v23
	v_div_fmas_f32 v22, v22, v25, v26
	v_cmp_ngt_f32_e32 vcc_lo, 0xc2b17218, v7
	v_fma_f32 v25, -v28, v29, v111
	v_fma_f32 v26, -v31, v24, v35
	v_fma_f32 v28, 0xbfb8aa3b, v4, -v23
	v_dual_sub_f32 v23, v23, v27 :: v_dual_cndmask_b32 v18, 0x7f800000, v18
	s_mov_b32 vcc_lo, s29
	v_div_fixup_f32 v8, v22, v19, v8
	v_div_fmas_f32 v25, v25, v30, v29
	s_mov_b32 vcc_lo, s30
	v_fmac_f32_e32 v28, 0xb2a5705f, v4
	v_div_fmas_f32 v24, v26, v33, v24
	v_cvt_i32_f32_e32 v27, v27
	v_div_fixup_f32 v9, v25, v20, v9
	v_cmp_nlt_f32_e32 vcc_lo, 0x42ce8ed0, v4
	s_delay_alu instid0(VALU_DEP_4) | instskip(SKIP_1) | instid1(VALU_DEP_4)
	v_div_fixup_f32 v6, v24, v21, v6
	v_dual_mul_f32 v21, 0xbfb8aa3b, v5 :: v_dual_mul_f32 v24, 0xbfb8aa3b, v2
	v_mul_f32_e32 v9, v9, v126
	s_delay_alu instid0(VALU_DEP_2) | instskip(NEXT) | instid1(VALU_DEP_3)
	v_rndne_f32_e32 v22, v21
	v_fma_f32 v29, 0xbfb8aa3b, v2, -v24
	v_add_f32_e32 v20, v23, v28
	v_fma_f32 v23, 0xbfb8aa3b, v5, -v21
	v_rndne_f32_e32 v28, v24
	v_sub_f32_e32 v21, v21, v22
	v_fmac_f32_e32 v29, 0xb2a5705f, v2
	v_exp_f32_e32 v20, v20
	v_fmac_f32_e32 v23, 0xb2a5705f, v5
	v_cvt_i32_f32_e32 v22, v22
	s_delay_alu instid0(VALU_DEP_2)
	v_add_f32_e32 v21, v21, v23
	v_dual_sub_f32 v23, v24, v28 :: v_dual_add_f32 v18, 1.0, v18
	s_waitcnt_depctr 0xfff
	v_ldexp_f32 v20, v20, v27
	v_exp_f32_e32 v21, v21
	v_add_f32_e32 v23, v23, v29
	v_div_scale_f32 v26, null, v18, v18, v7
	s_delay_alu instid0(VALU_DEP_2) | instskip(NEXT) | instid1(VALU_DEP_1)
	v_exp_f32_e32 v23, v23
	v_rcp_f32_e32 v19, v26
	s_delay_alu instid0(TRANS32_DEP_3) | instskip(SKIP_4) | instid1(VALU_DEP_3)
	v_ldexp_f32 v21, v21, v22
	s_waitcnt_depctr 0xfff
	v_fma_f32 v25, -v26, v19, 1.0
	v_cndmask_b32_e32 v20, 0, v20, vcc_lo
	v_cmp_ngt_f32_e32 vcc_lo, 0xc2b17218, v4
	v_fmac_f32_e32 v19, v25, v19
	v_cvt_i32_f32_e32 v25, v28
	s_delay_alu instid0(VALU_DEP_4) | instskip(SKIP_2) | instid1(VALU_DEP_4)
	v_cndmask_b32_e32 v20, 0x7f800000, v20, vcc_lo
	v_cmp_nlt_f32_e32 vcc_lo, 0x42ce8ed0, v5
	v_mul_f32_e32 v30, 0xbfb8aa3b, v3
	v_ldexp_f32 v23, v23, v25
	v_cndmask_b32_e32 v21, 0, v21, vcc_lo
	s_delay_alu instid0(VALU_DEP_3)
	v_rndne_f32_e32 v24, v30
	v_fma_f32 v27, 0xbfb8aa3b, v3, -v30
	v_mul_f32_e32 v8, v8, v127
	v_mul_f32_e32 v6, v6, v125
	v_cmp_nlt_f32_e32 vcc_lo, 0x42ce8ed0, v2
	v_sub_f32_e32 v29, v30, v24
	v_fmac_f32_e32 v27, 0xb2a5705f, v3
	v_cvt_i32_f32_e32 v24, v24
	s_delay_alu instid0(VALU_DEP_2) | instskip(NEXT) | instid1(VALU_DEP_1)
	v_add_f32_e32 v27, v29, v27
	v_exp_f32_e32 v22, v27
	s_waitcnt_depctr 0xfff
	v_ldexp_f32 v22, v22, v24
	v_cndmask_b32_e32 v23, 0, v23, vcc_lo
	v_cmp_ngt_f32_e32 vcc_lo, 0xc2b17218, v5
	v_cndmask_b32_e32 v21, 0x7f800000, v21, vcc_lo
	v_cmp_ngt_f32_e32 vcc_lo, 0xc2b17218, v2
	s_delay_alu instid0(VALU_DEP_2) | instskip(SKIP_2) | instid1(VALU_DEP_3)
	v_dual_add_f32 v21, 1.0, v21 :: v_dual_add_f32 v20, 1.0, v20
	v_cndmask_b32_e32 v23, 0x7f800000, v23, vcc_lo
	v_cmp_nlt_f32_e32 vcc_lo, 0x42ce8ed0, v3
	v_div_scale_f32 v25, null, v21, v21, v5
	s_delay_alu instid0(VALU_DEP_4) | instskip(SKIP_3) | instid1(VALU_DEP_4)
	v_div_scale_f32 v27, null, v20, v20, v4
	v_cndmask_b32_e32 v22, 0, v22, vcc_lo
	v_cmp_ngt_f32_e32 vcc_lo, 0xc2b17218, v3
	v_add_f32_e32 v23, 1.0, v23
	v_rcp_f32_e32 v24, v27
	v_rcp_f32_e32 v30, v25
	v_cndmask_b32_e32 v22, 0x7f800000, v22, vcc_lo
	s_delay_alu instid0(VALU_DEP_2) | instskip(SKIP_1) | instid1(VALU_DEP_3)
	v_div_scale_f32 v28, null, v23, v23, v2
	v_div_scale_f32 v29, vcc_lo, v7, v18, v7
	v_add_f32_e32 v22, 1.0, v22
	s_delay_alu instid0(VALU_DEP_3) | instskip(NEXT) | instid1(TRANS32_DEP_3)
	v_rcp_f32_e32 v32, v28
	v_fma_f32 v31, -v27, v24, 1.0
	s_delay_alu instid0(VALU_DEP_3) | instskip(NEXT) | instid1(TRANS32_DEP_2)
	v_mul_f32_e32 v33, v29, v19
	v_fma_f32 v35, -v25, v30, 1.0
	v_div_scale_f32 v34, null, v22, v22, v3
	s_delay_alu instid0(VALU_DEP_4) | instskip(SKIP_1) | instid1(VALU_DEP_3)
	v_fmac_f32_e32 v24, v31, v24
	v_div_scale_f32 v31, s28, v4, v20, v4
	v_rcp_f32_e32 v111, v34
	v_fma_f32 v112, -v26, v33, v29
	s_delay_alu instid0(TRANS32_DEP_2) | instskip(NEXT) | instid1(VALU_DEP_2)
	v_fma_f32 v113, -v28, v32, 1.0
	v_dual_mul_f32 v114, v31, v24 :: v_dual_fmac_f32 v33, v112, v19
	s_delay_alu instid0(VALU_DEP_1)
	v_fma_f32 v112, -v27, v114, v31
	s_waitcnt_depctr 0xfff
	v_fma_f32 v115, -v34, v111, 1.0
	v_fmac_f32_e32 v32, v113, v32
	v_div_scale_f32 v113, s30, v2, v23, v2
	v_fma_f32 v26, -v26, v33, v29
	s_delay_alu instid0(VALU_DEP_4) | instskip(NEXT) | instid1(VALU_DEP_3)
	v_fmac_f32_e32 v111, v115, v111
	v_dual_fmac_f32 v30, v35, v30 :: v_dual_mul_f32 v117, v113, v32
	v_div_scale_f32 v35, s29, v5, v21, v5
	s_delay_alu instid0(VALU_DEP_4) | instskip(SKIP_2) | instid1(VALU_DEP_2)
	v_div_fmas_f32 v19, v26, v19, v33
	s_mov_b32 vcc_lo, s28
	v_div_scale_f32 v115, s31, v3, v22, v3
	v_div_fixup_f32 v7, v19, v18, v7
	v_fmac_f32_e32 v114, v112, v24
	v_fma_f32 v112, -v28, v117, v113
	v_mul_f32_e32 v116, v35, v30
	s_delay_alu instid0(VALU_DEP_4) | instskip(NEXT) | instid1(VALU_DEP_4)
	v_mul_f32_e32 v7, v7, v123
	v_fma_f32 v26, -v27, v114, v31
	s_delay_alu instid0(VALU_DEP_4) | instskip(NEXT) | instid1(VALU_DEP_4)
	v_fmac_f32_e32 v117, v112, v32
	v_fma_f32 v29, -v25, v116, v35
	s_delay_alu instid0(VALU_DEP_3) | instskip(SKIP_1) | instid1(VALU_DEP_2)
	v_div_fmas_f32 v24, v26, v24, v114
	s_mov_b32 vcc_lo, s29
	v_fmac_f32_e32 v116, v29, v30
	v_fma_f32 v26, -v28, v117, v113
	s_delay_alu instid0(VALU_DEP_3) | instskip(NEXT) | instid1(VALU_DEP_3)
	v_div_fixup_f32 v4, v24, v20, v4
	v_fma_f32 v25, -v25, v116, v35
	s_delay_alu instid0(VALU_DEP_2) | instskip(NEXT) | instid1(VALU_DEP_2)
	v_mul_f32_e32 v4, v4, v122
	v_div_fmas_f32 v25, v25, v30, v116
	s_mov_b32 vcc_lo, s30
	v_div_fmas_f32 v26, v26, v32, v117
	s_mov_b32 vcc_lo, s31
	s_delay_alu instid0(VALU_DEP_2) | instskip(SKIP_1) | instid1(VALU_DEP_3)
	v_div_fixup_f32 v5, v25, v21, v5
	v_mul_f32_e32 v118, v115, v111
	v_div_fixup_f32 v2, v26, v23, v2
	s_delay_alu instid0(VALU_DEP_3) | instskip(NEXT) | instid1(VALU_DEP_3)
	v_mul_f32_e32 v5, v5, v121
	v_fma_f32 v27, -v34, v118, v115
	s_delay_alu instid0(VALU_DEP_3) | instskip(NEXT) | instid1(VALU_DEP_2)
	v_mul_f32_e32 v2, v2, v120
	v_fmac_f32_e32 v118, v27, v111
	s_delay_alu instid0(VALU_DEP_1) | instskip(NEXT) | instid1(VALU_DEP_1)
	v_fma_f32 v27, -v34, v118, v115
	v_div_fmas_f32 v27, v27, v111, v118
	s_delay_alu instid0(VALU_DEP_1) | instskip(NEXT) | instid1(VALU_DEP_1)
	v_div_fixup_f32 v3, v27, v22, v3
	v_mul_f32_e32 v3, v3, v124
	ds_store_2addr_b32 v70, v12, v13 offset1:1
	ds_store_2addr_b32 v70, v14, v15 offset0:2 offset1:3
	ds_store_2addr_b32 v70, v16, v17 offset0:4 offset1:5
	;; [unrolled: 1-line block ×7, first 2 shown]
	; wave barrier
	ds_load_b32 v18, v55 offset:128
	ds_load_b32 v17, v56 offset:256
	;; [unrolled: 1-line block ×15, first 2 shown]
	v_add_co_u32 v2, vcc_lo, v93, s34
	v_add_co_ci_u32_e32 v3, vcc_lo, s35, v94, vcc_lo
	s_and_saveexec_b32 s28, s12
	s_cbranch_execnz .LBB149_284
; %bb.237:                              ;   in Loop: Header=BB149_12 Depth=1
	s_or_b32 exec_lo, exec_lo, s28
	s_and_saveexec_b32 s12, s13
	s_cbranch_execnz .LBB149_285
.LBB149_238:                            ;   in Loop: Header=BB149_12 Depth=1
	s_or_b32 exec_lo, exec_lo, s12
	s_and_saveexec_b32 s12, s14
	s_cbranch_execnz .LBB149_286
.LBB149_239:                            ;   in Loop: Header=BB149_12 Depth=1
	s_or_b32 exec_lo, exec_lo, s12
	s_and_saveexec_b32 s12, s15
	s_cbranch_execnz .LBB149_287
.LBB149_240:                            ;   in Loop: Header=BB149_12 Depth=1
	s_or_b32 exec_lo, exec_lo, s12
	s_and_saveexec_b32 s12, s16
	s_cbranch_execnz .LBB149_288
.LBB149_241:                            ;   in Loop: Header=BB149_12 Depth=1
	s_or_b32 exec_lo, exec_lo, s12
	s_and_saveexec_b32 s12, s17
	s_cbranch_execnz .LBB149_289
.LBB149_242:                            ;   in Loop: Header=BB149_12 Depth=1
	s_or_b32 exec_lo, exec_lo, s12
	s_and_saveexec_b32 s12, s18
	s_cbranch_execnz .LBB149_290
.LBB149_243:                            ;   in Loop: Header=BB149_12 Depth=1
	s_or_b32 exec_lo, exec_lo, s12
	s_and_saveexec_b32 s12, s19
	s_cbranch_execnz .LBB149_291
.LBB149_244:                            ;   in Loop: Header=BB149_12 Depth=1
	s_or_b32 exec_lo, exec_lo, s12
	s_and_saveexec_b32 s12, s20
	s_cbranch_execnz .LBB149_292
.LBB149_245:                            ;   in Loop: Header=BB149_12 Depth=1
	s_or_b32 exec_lo, exec_lo, s12
	s_and_saveexec_b32 s12, s21
	s_cbranch_execnz .LBB149_293
.LBB149_246:                            ;   in Loop: Header=BB149_12 Depth=1
	s_or_b32 exec_lo, exec_lo, s12
	s_and_saveexec_b32 s12, s22
	s_cbranch_execnz .LBB149_294
.LBB149_247:                            ;   in Loop: Header=BB149_12 Depth=1
	s_or_b32 exec_lo, exec_lo, s12
	s_and_saveexec_b32 s12, s23
	s_cbranch_execnz .LBB149_295
.LBB149_248:                            ;   in Loop: Header=BB149_12 Depth=1
	s_or_b32 exec_lo, exec_lo, s12
	s_and_saveexec_b32 s12, s24
	s_cbranch_execnz .LBB149_296
.LBB149_249:                            ;   in Loop: Header=BB149_12 Depth=1
	s_or_b32 exec_lo, exec_lo, s12
	s_and_saveexec_b32 s12, s25
	s_cbranch_execnz .LBB149_297
.LBB149_250:                            ;   in Loop: Header=BB149_12 Depth=1
	s_or_b32 exec_lo, exec_lo, s12
	s_and_saveexec_b32 s12, s26
	s_cbranch_execnz .LBB149_298
.LBB149_251:                            ;   in Loop: Header=BB149_12 Depth=1
	s_or_b32 exec_lo, exec_lo, s12
	s_and_saveexec_b32 s12, s27
	s_cbranch_execz .LBB149_11
	s_branch .LBB149_299
.LBB149_252:                            ;   in Loop: Header=BB149_12 Depth=1
	global_load_b32 v35, v[18:19], off offset:1664
	s_or_b32 exec_lo, exec_lo, s28
	s_and_saveexec_b32 s28, s26
	s_cbranch_execz .LBB149_72
.LBB149_253:                            ;   in Loop: Header=BB149_12 Depth=1
	global_load_b32 v33, v[18:19], off offset:1792
	s_or_b32 exec_lo, exec_lo, s28
	v_mov_b32_e32 v111, 0
	s_and_saveexec_b32 s28, s27
	s_cbranch_execnz .LBB149_73
	s_branch .LBB149_74
.LBB149_254:                            ;   in Loop: Header=BB149_12 Depth=1
	ds_load_b32 v19, v54
	s_waitcnt lgkmcnt(0)
	global_store_b32 v[2:3], v19, off
	s_or_b32 exec_lo, exec_lo, s28
	s_and_saveexec_b32 s28, s13
	s_cbranch_execz .LBB149_204
.LBB149_255:                            ;   in Loop: Header=BB149_12 Depth=1
	s_waitcnt lgkmcnt(14)
	global_store_b32 v[2:3], v18, off offset:128
	s_or_b32 exec_lo, exec_lo, s28
	s_and_saveexec_b32 s28, s14
	s_cbranch_execz .LBB149_205
.LBB149_256:                            ;   in Loop: Header=BB149_12 Depth=1
	s_waitcnt lgkmcnt(13)
	global_store_b32 v[2:3], v17, off offset:256
	s_or_b32 exec_lo, exec_lo, s28
	s_and_saveexec_b32 s28, s15
	s_cbranch_execz .LBB149_206
.LBB149_257:                            ;   in Loop: Header=BB149_12 Depth=1
	s_waitcnt lgkmcnt(12)
	global_store_b32 v[2:3], v16, off offset:384
	s_or_b32 exec_lo, exec_lo, s28
	s_and_saveexec_b32 s28, s16
	s_cbranch_execz .LBB149_207
.LBB149_258:                            ;   in Loop: Header=BB149_12 Depth=1
	s_waitcnt lgkmcnt(11)
	global_store_b32 v[2:3], v15, off offset:512
	s_or_b32 exec_lo, exec_lo, s28
	s_and_saveexec_b32 s28, s17
	s_cbranch_execz .LBB149_208
.LBB149_259:                            ;   in Loop: Header=BB149_12 Depth=1
	s_waitcnt lgkmcnt(10)
	global_store_b32 v[2:3], v14, off offset:640
	s_or_b32 exec_lo, exec_lo, s28
	s_and_saveexec_b32 s28, s18
	s_cbranch_execz .LBB149_209
.LBB149_260:                            ;   in Loop: Header=BB149_12 Depth=1
	s_waitcnt lgkmcnt(9)
	global_store_b32 v[2:3], v13, off offset:768
	s_or_b32 exec_lo, exec_lo, s28
	s_and_saveexec_b32 s28, s19
	s_cbranch_execz .LBB149_210
.LBB149_261:                            ;   in Loop: Header=BB149_12 Depth=1
	s_waitcnt lgkmcnt(8)
	global_store_b32 v[2:3], v12, off offset:896
	s_or_b32 exec_lo, exec_lo, s28
	s_and_saveexec_b32 s28, s20
	s_cbranch_execz .LBB149_211
.LBB149_262:                            ;   in Loop: Header=BB149_12 Depth=1
	s_waitcnt lgkmcnt(7)
	global_store_b32 v[2:3], v11, off offset:1024
	s_or_b32 exec_lo, exec_lo, s28
	s_and_saveexec_b32 s28, s21
	s_cbranch_execz .LBB149_212
.LBB149_263:                            ;   in Loop: Header=BB149_12 Depth=1
	s_waitcnt lgkmcnt(6)
	global_store_b32 v[2:3], v10, off offset:1152
	s_or_b32 exec_lo, exec_lo, s28
	s_and_saveexec_b32 s28, s22
	s_cbranch_execz .LBB149_213
.LBB149_264:                            ;   in Loop: Header=BB149_12 Depth=1
	s_waitcnt lgkmcnt(5)
	global_store_b32 v[2:3], v9, off offset:1280
	s_or_b32 exec_lo, exec_lo, s28
	s_and_saveexec_b32 s28, s23
	s_cbranch_execz .LBB149_214
.LBB149_265:                            ;   in Loop: Header=BB149_12 Depth=1
	s_waitcnt lgkmcnt(4)
	global_store_b32 v[2:3], v8, off offset:1408
	s_or_b32 exec_lo, exec_lo, s28
	s_and_saveexec_b32 s28, s24
	s_cbranch_execz .LBB149_215
.LBB149_266:                            ;   in Loop: Header=BB149_12 Depth=1
	s_waitcnt lgkmcnt(3)
	global_store_b32 v[2:3], v7, off offset:1536
	s_or_b32 exec_lo, exec_lo, s28
	s_and_saveexec_b32 s28, s25
	s_cbranch_execz .LBB149_216
.LBB149_267:                            ;   in Loop: Header=BB149_12 Depth=1
	s_waitcnt lgkmcnt(2)
	global_store_b32 v[2:3], v6, off offset:1664
	s_or_b32 exec_lo, exec_lo, s28
	s_and_saveexec_b32 s28, s26
	s_cbranch_execz .LBB149_217
.LBB149_268:                            ;   in Loop: Header=BB149_12 Depth=1
	s_waitcnt lgkmcnt(1)
	global_store_b32 v[2:3], v5, off offset:1792
	s_or_b32 exec_lo, exec_lo, s28
	s_and_saveexec_b32 s28, s27
	s_cbranch_execnz .LBB149_218
	s_branch .LBB149_219
.LBB149_269:                            ;   in Loop: Header=BB149_12 Depth=1
	global_load_b32 v20, v[18:19], off
	v_mov_b32_e32 v15, v1
	v_mov_b32_e32 v2, v1
	;; [unrolled: 1-line block ×15, first 2 shown]
	s_delay_alu instid0(VALU_DEP_2)
	v_dual_mov_b32 v16, v14 :: v_dual_mov_b32 v15, v13
	v_mov_b32_e32 v14, v12
	v_mov_b32_e32 v13, v11
	;; [unrolled: 1-line block ×13, first 2 shown]
	s_or_b32 exec_lo, exec_lo, s28
	s_and_saveexec_b32 s28, s13
	s_cbranch_execz .LBB149_221
.LBB149_270:                            ;   in Loop: Header=BB149_12 Depth=1
	global_load_b32 v3, v[18:19], off offset:128
	s_or_b32 exec_lo, exec_lo, s28
	s_and_saveexec_b32 s28, s14
	s_cbranch_execz .LBB149_222
.LBB149_271:                            ;   in Loop: Header=BB149_12 Depth=1
	global_load_b32 v4, v[18:19], off offset:256
	s_or_b32 exec_lo, exec_lo, s28
	s_and_saveexec_b32 s28, s15
	s_cbranch_execz .LBB149_223
.LBB149_272:                            ;   in Loop: Header=BB149_12 Depth=1
	global_load_b32 v5, v[18:19], off offset:384
	s_or_b32 exec_lo, exec_lo, s28
	s_and_saveexec_b32 s28, s16
	s_cbranch_execz .LBB149_224
.LBB149_273:                            ;   in Loop: Header=BB149_12 Depth=1
	global_load_b32 v6, v[18:19], off offset:512
	s_or_b32 exec_lo, exec_lo, s28
	s_and_saveexec_b32 s28, s17
	s_cbranch_execz .LBB149_225
.LBB149_274:                            ;   in Loop: Header=BB149_12 Depth=1
	global_load_b32 v7, v[18:19], off offset:640
	s_or_b32 exec_lo, exec_lo, s28
	s_and_saveexec_b32 s28, s18
	s_cbranch_execz .LBB149_226
.LBB149_275:                            ;   in Loop: Header=BB149_12 Depth=1
	global_load_b32 v8, v[18:19], off offset:768
	s_or_b32 exec_lo, exec_lo, s28
	s_and_saveexec_b32 s28, s19
	s_cbranch_execz .LBB149_227
.LBB149_276:                            ;   in Loop: Header=BB149_12 Depth=1
	global_load_b32 v9, v[18:19], off offset:896
	s_or_b32 exec_lo, exec_lo, s28
	s_and_saveexec_b32 s28, s20
	s_cbranch_execz .LBB149_228
.LBB149_277:                            ;   in Loop: Header=BB149_12 Depth=1
	global_load_b32 v10, v[18:19], off offset:1024
	s_or_b32 exec_lo, exec_lo, s28
	s_and_saveexec_b32 s28, s21
	s_cbranch_execz .LBB149_229
.LBB149_278:                            ;   in Loop: Header=BB149_12 Depth=1
	global_load_b32 v11, v[18:19], off offset:1152
	s_or_b32 exec_lo, exec_lo, s28
	s_and_saveexec_b32 s28, s22
	s_cbranch_execz .LBB149_230
.LBB149_279:                            ;   in Loop: Header=BB149_12 Depth=1
	global_load_b32 v12, v[18:19], off offset:1280
	s_or_b32 exec_lo, exec_lo, s28
	s_and_saveexec_b32 s28, s23
	s_cbranch_execz .LBB149_231
.LBB149_280:                            ;   in Loop: Header=BB149_12 Depth=1
	global_load_b32 v13, v[18:19], off offset:1408
	s_or_b32 exec_lo, exec_lo, s28
	s_and_saveexec_b32 s28, s24
	s_cbranch_execz .LBB149_232
.LBB149_281:                            ;   in Loop: Header=BB149_12 Depth=1
	global_load_b32 v14, v[18:19], off offset:1536
	s_or_b32 exec_lo, exec_lo, s28
	s_and_saveexec_b32 s28, s25
	s_cbranch_execz .LBB149_233
.LBB149_282:                            ;   in Loop: Header=BB149_12 Depth=1
	global_load_b32 v15, v[18:19], off offset:1664
	s_or_b32 exec_lo, exec_lo, s28
	s_and_saveexec_b32 s28, s26
	s_cbranch_execz .LBB149_234
.LBB149_283:                            ;   in Loop: Header=BB149_12 Depth=1
	global_load_b32 v16, v[18:19], off offset:1792
	s_or_b32 exec_lo, exec_lo, s28
	s_and_saveexec_b32 s28, s27
	s_cbranch_execnz .LBB149_235
	s_branch .LBB149_236
.LBB149_284:                            ;   in Loop: Header=BB149_12 Depth=1
	ds_load_b32 v19, v54
	s_waitcnt lgkmcnt(0)
	global_store_b32 v[2:3], v19, off
	s_or_b32 exec_lo, exec_lo, s28
	s_and_saveexec_b32 s12, s13
	s_cbranch_execz .LBB149_238
.LBB149_285:                            ;   in Loop: Header=BB149_12 Depth=1
	s_waitcnt lgkmcnt(14)
	global_store_b32 v[2:3], v18, off offset:128
	s_or_b32 exec_lo, exec_lo, s12
	s_and_saveexec_b32 s12, s14
	s_cbranch_execz .LBB149_239
.LBB149_286:                            ;   in Loop: Header=BB149_12 Depth=1
	s_waitcnt lgkmcnt(13)
	global_store_b32 v[2:3], v17, off offset:256
	s_or_b32 exec_lo, exec_lo, s12
	s_and_saveexec_b32 s12, s15
	s_cbranch_execz .LBB149_240
.LBB149_287:                            ;   in Loop: Header=BB149_12 Depth=1
	s_waitcnt lgkmcnt(12)
	global_store_b32 v[2:3], v16, off offset:384
	s_or_b32 exec_lo, exec_lo, s12
	s_and_saveexec_b32 s12, s16
	s_cbranch_execz .LBB149_241
.LBB149_288:                            ;   in Loop: Header=BB149_12 Depth=1
	s_waitcnt lgkmcnt(11)
	global_store_b32 v[2:3], v15, off offset:512
	s_or_b32 exec_lo, exec_lo, s12
	s_and_saveexec_b32 s12, s17
	s_cbranch_execz .LBB149_242
.LBB149_289:                            ;   in Loop: Header=BB149_12 Depth=1
	s_waitcnt lgkmcnt(10)
	global_store_b32 v[2:3], v14, off offset:640
	s_or_b32 exec_lo, exec_lo, s12
	s_and_saveexec_b32 s12, s18
	s_cbranch_execz .LBB149_243
.LBB149_290:                            ;   in Loop: Header=BB149_12 Depth=1
	s_waitcnt lgkmcnt(9)
	global_store_b32 v[2:3], v13, off offset:768
	s_or_b32 exec_lo, exec_lo, s12
	s_and_saveexec_b32 s12, s19
	s_cbranch_execz .LBB149_244
.LBB149_291:                            ;   in Loop: Header=BB149_12 Depth=1
	s_waitcnt lgkmcnt(8)
	global_store_b32 v[2:3], v12, off offset:896
	s_or_b32 exec_lo, exec_lo, s12
	s_and_saveexec_b32 s12, s20
	s_cbranch_execz .LBB149_245
.LBB149_292:                            ;   in Loop: Header=BB149_12 Depth=1
	s_waitcnt lgkmcnt(7)
	global_store_b32 v[2:3], v11, off offset:1024
	s_or_b32 exec_lo, exec_lo, s12
	s_and_saveexec_b32 s12, s21
	s_cbranch_execz .LBB149_246
.LBB149_293:                            ;   in Loop: Header=BB149_12 Depth=1
	s_waitcnt lgkmcnt(6)
	global_store_b32 v[2:3], v10, off offset:1152
	s_or_b32 exec_lo, exec_lo, s12
	s_and_saveexec_b32 s12, s22
	s_cbranch_execz .LBB149_247
.LBB149_294:                            ;   in Loop: Header=BB149_12 Depth=1
	s_waitcnt lgkmcnt(5)
	global_store_b32 v[2:3], v9, off offset:1280
	s_or_b32 exec_lo, exec_lo, s12
	s_and_saveexec_b32 s12, s23
	s_cbranch_execz .LBB149_248
.LBB149_295:                            ;   in Loop: Header=BB149_12 Depth=1
	s_waitcnt lgkmcnt(4)
	global_store_b32 v[2:3], v8, off offset:1408
	s_or_b32 exec_lo, exec_lo, s12
	s_and_saveexec_b32 s12, s24
	s_cbranch_execz .LBB149_249
.LBB149_296:                            ;   in Loop: Header=BB149_12 Depth=1
	s_waitcnt lgkmcnt(3)
	global_store_b32 v[2:3], v7, off offset:1536
	s_or_b32 exec_lo, exec_lo, s12
	s_and_saveexec_b32 s12, s25
	s_cbranch_execz .LBB149_250
.LBB149_297:                            ;   in Loop: Header=BB149_12 Depth=1
	s_waitcnt lgkmcnt(2)
	global_store_b32 v[2:3], v6, off offset:1664
	s_or_b32 exec_lo, exec_lo, s12
	s_and_saveexec_b32 s12, s26
	s_cbranch_execz .LBB149_251
.LBB149_298:                            ;   in Loop: Header=BB149_12 Depth=1
	s_waitcnt lgkmcnt(1)
	global_store_b32 v[2:3], v5, off offset:1792
	s_or_b32 exec_lo, exec_lo, s12
	s_and_saveexec_b32 s12, s27
	s_cbranch_execz .LBB149_11
.LBB149_299:                            ;   in Loop: Header=BB149_12 Depth=1
	s_waitcnt lgkmcnt(0)
	global_store_b32 v[2:3], v4, off offset:1920
	s_branch .LBB149_11
.LBB149_300:
	s_nop 0
	s_sendmsg sendmsg(MSG_DEALLOC_VGPRS)
	s_endpgm
	.section	.rodata,"a",@progbits
	.p2align	6, 0x0
	.amdhsa_kernel _Z25selective_scan_fwd_kernelI32Selective_Scan_fwd_kernel_traitsILi64ELi16ELi1ELb0ELb1ELb1ELb1ELb0EfffEEv13SSMParamsBase
		.amdhsa_group_segment_fixed_size 0
		.amdhsa_private_segment_fixed_size 0
		.amdhsa_kernarg_size 248
		.amdhsa_user_sgpr_count 14
		.amdhsa_user_sgpr_dispatch_ptr 0
		.amdhsa_user_sgpr_queue_ptr 0
		.amdhsa_user_sgpr_kernarg_segment_ptr 1
		.amdhsa_user_sgpr_dispatch_id 0
		.amdhsa_user_sgpr_private_segment_size 0
		.amdhsa_wavefront_size32 1
		.amdhsa_uses_dynamic_stack 0
		.amdhsa_enable_private_segment 0
		.amdhsa_system_sgpr_workgroup_id_x 1
		.amdhsa_system_sgpr_workgroup_id_y 1
		.amdhsa_system_sgpr_workgroup_id_z 0
		.amdhsa_system_sgpr_workgroup_info 0
		.amdhsa_system_vgpr_workitem_id 0
		.amdhsa_next_free_vgpr 185
		.amdhsa_next_free_sgpr 94
		.amdhsa_reserve_vcc 1
		.amdhsa_float_round_mode_32 0
		.amdhsa_float_round_mode_16_64 0
		.amdhsa_float_denorm_mode_32 3
		.amdhsa_float_denorm_mode_16_64 3
		.amdhsa_dx10_clamp 1
		.amdhsa_ieee_mode 1
		.amdhsa_fp16_overflow 0
		.amdhsa_workgroup_processor_mode 1
		.amdhsa_memory_ordered 1
		.amdhsa_forward_progress 0
		.amdhsa_shared_vgpr_count 0
		.amdhsa_exception_fp_ieee_invalid_op 0
		.amdhsa_exception_fp_denorm_src 0
		.amdhsa_exception_fp_ieee_div_zero 0
		.amdhsa_exception_fp_ieee_overflow 0
		.amdhsa_exception_fp_ieee_underflow 0
		.amdhsa_exception_fp_ieee_inexact 0
		.amdhsa_exception_int_div_zero 0
	.end_amdhsa_kernel
	.section	.text._Z25selective_scan_fwd_kernelI32Selective_Scan_fwd_kernel_traitsILi64ELi16ELi1ELb0ELb1ELb1ELb1ELb0EfffEEv13SSMParamsBase,"axG",@progbits,_Z25selective_scan_fwd_kernelI32Selective_Scan_fwd_kernel_traitsILi64ELi16ELi1ELb0ELb1ELb1ELb1ELb0EfffEEv13SSMParamsBase,comdat
.Lfunc_end149:
	.size	_Z25selective_scan_fwd_kernelI32Selective_Scan_fwd_kernel_traitsILi64ELi16ELi1ELb0ELb1ELb1ELb1ELb0EfffEEv13SSMParamsBase, .Lfunc_end149-_Z25selective_scan_fwd_kernelI32Selective_Scan_fwd_kernel_traitsILi64ELi16ELi1ELb0ELb1ELb1ELb1ELb0EfffEEv13SSMParamsBase
                                        ; -- End function
	.section	.AMDGPU.csdata,"",@progbits
; Kernel info:
; codeLenInByte = 25556
; NumSgprs: 96
; NumVgprs: 185
; ScratchSize: 0
; MemoryBound: 0
; FloatMode: 240
; IeeeMode: 1
; LDSByteSize: 0 bytes/workgroup (compile time only)
; SGPRBlocks: 11
; VGPRBlocks: 23
; NumSGPRsForWavesPerEU: 96
; NumVGPRsForWavesPerEU: 185
; Occupancy: 8
; WaveLimiterHint : 0
; COMPUTE_PGM_RSRC2:SCRATCH_EN: 0
; COMPUTE_PGM_RSRC2:USER_SGPR: 14
; COMPUTE_PGM_RSRC2:TRAP_HANDLER: 0
; COMPUTE_PGM_RSRC2:TGID_X_EN: 1
; COMPUTE_PGM_RSRC2:TGID_Y_EN: 1
; COMPUTE_PGM_RSRC2:TGID_Z_EN: 0
; COMPUTE_PGM_RSRC2:TIDIG_COMP_CNT: 0
	.section	.text._Z25selective_scan_fwd_kernelI32Selective_Scan_fwd_kernel_traitsILi64ELi16ELi1ELb0ELb1ELb1ELb0ELb1EfffEEv13SSMParamsBase,"axG",@progbits,_Z25selective_scan_fwd_kernelI32Selective_Scan_fwd_kernel_traitsILi64ELi16ELi1ELb0ELb1ELb1ELb0ELb1EfffEEv13SSMParamsBase,comdat
	.protected	_Z25selective_scan_fwd_kernelI32Selective_Scan_fwd_kernel_traitsILi64ELi16ELi1ELb0ELb1ELb1ELb0ELb1EfffEEv13SSMParamsBase ; -- Begin function _Z25selective_scan_fwd_kernelI32Selective_Scan_fwd_kernel_traitsILi64ELi16ELi1ELb0ELb1ELb1ELb0ELb1EfffEEv13SSMParamsBase
	.globl	_Z25selective_scan_fwd_kernelI32Selective_Scan_fwd_kernel_traitsILi64ELi16ELi1ELb0ELb1ELb1ELb0ELb1EfffEEv13SSMParamsBase
	.p2align	8
	.type	_Z25selective_scan_fwd_kernelI32Selective_Scan_fwd_kernel_traitsILi64ELi16ELi1ELb0ELb1ELb1ELb0ELb1EfffEEv13SSMParamsBase,@function
_Z25selective_scan_fwd_kernelI32Selective_Scan_fwd_kernel_traitsILi64ELi16ELi1ELb0ELb1ELb1ELb0ELb1EfffEEv13SSMParamsBase: ; @_Z25selective_scan_fwd_kernelI32Selective_Scan_fwd_kernel_traitsILi64ELi16ELi1ELb0ELb1ELb1ELb0ELb1EfffEEv13SSMParamsBase
; %bb.0:
	s_clause 0x2
	s_load_b32 s34, s[0:1], 0x18
	s_load_b128 s[4:7], s[0:1], 0xe0
	s_load_b64 s[10:11], s[0:1], 0xf0
	s_mov_b32 s12, s15
	s_ashr_i32 s15, s14, 31
	s_mov_b32 s66, 0
	s_lshl_b64 s[8:9], s[14:15], 2
	s_waitcnt lgkmcnt(0)
	s_abs_i32 s33, s34
	s_add_u32 s2, s4, s8
	v_cvt_f32_u32_e32 v1, s33
	s_addc_u32 s3, s5, s9
	s_cmp_eq_u64 s[10:11], 0
	s_delay_alu instid0(VALU_DEP_1) | instskip(SKIP_2) | instid1(VALU_DEP_1)
	v_rcp_iflag_f32_e32 v1, v1
	s_waitcnt_depctr 0xfff
	v_mul_f32_e32 v1, 0x4f7ffffe, v1
	v_cvt_u32_f32_e32 v1, v1
	s_delay_alu instid0(VALU_DEP_1)
	v_readfirstlane_b32 s35, v1
	s_cbranch_scc1 .LBB150_2
; %bb.1:
	v_mov_b32_e32 v1, 0
	s_add_u32 s4, s10, s14
	s_addc_u32 s5, s11, s15
	global_load_u8 v1, v1, s[4:5]
	s_waitcnt vmcnt(0)
	v_and_b32_e32 v1, 1, v1
	s_delay_alu instid0(VALU_DEP_1)
	v_cmp_eq_u32_e64 s66, 1, v1
.LBB150_2:
	s_load_b64 s[4:5], s[0:1], 0x20
	s_cmp_eq_u64 s[6:7], 0
	s_cbranch_scc1 .LBB150_4
; %bb.3:
	s_add_u32 s6, s6, s8
	s_addc_u32 s7, s7, s9
	s_load_b32 s14, s[6:7], 0x0
	s_waitcnt lgkmcnt(0)
	s_ashr_i32 s15, s14, 31
.LBB150_4:
	s_waitcnt lgkmcnt(0)
	s_cmp_eq_u64 s[4:5], s[14:15]
	s_cbranch_scc1 .LBB150_236
; %bb.5:
	s_load_b512 s[16:31], s[0:1], 0x88
	s_load_b64 s[10:11], s[2:3], 0x0
	s_mov_b32 s67, 0
	s_mov_b32 s68, 0
	s_waitcnt lgkmcnt(0)
	s_cmp_eq_u64 s[22:23], 0
	s_cbranch_scc1 .LBB150_7
; %bb.6:
	s_ashr_i32 s13, s12, 31
	s_delay_alu instid0(SALU_CYCLE_1) | instskip(NEXT) | instid1(SALU_CYCLE_1)
	s_lshl_b64 s[2:3], s[12:13], 2
	s_add_u32 s2, s22, s2
	s_addc_u32 s3, s23, s3
	s_load_b32 s68, s[2:3], 0x0
.LBB150_7:
	s_cmp_eq_u64 s[28:29], 0
	s_cbranch_scc1 .LBB150_9
; %bb.8:
	s_ashr_i32 s13, s12, 31
	s_delay_alu instid0(SALU_CYCLE_1) | instskip(NEXT) | instid1(SALU_CYCLE_1)
	s_lshl_b64 s[2:3], s[12:13], 2
	s_add_u32 s2, s28, s2
	s_addc_u32 s3, s29, s3
	s_load_b32 s67, s[2:3], 0x0
.LBB150_9:
	s_sub_i32 s69, s11, s10
	s_delay_alu instid0(SALU_CYCLE_1)
	s_cmp_lt_i32 s69, 1
	s_cbranch_scc1 .LBB150_236
; %bb.10:
	s_sub_i32 s2, 0, s33
	s_abs_i32 s5, s12
	s_mul_i32 s4, s2, s35
	s_clause 0x1
	s_load_b64 s[2:3], s[0:1], 0x5c
	s_load_b128 s[56:59], s[0:1], 0x4c
	s_mul_hi_u32 s4, s35, s4
	s_ashr_i32 s7, s34, 31
	s_add_i32 s35, s35, s4
	s_ashr_i32 s4, s12, 31
	s_mul_hi_u32 s6, s5, s35
	s_xor_b32 s7, s4, s7
	s_mul_i32 s8, s6, s33
	s_load_b256 s[48:55], s[0:1], 0x2c
	s_sub_i32 s4, s5, s8
	s_add_i32 s5, s6, 1
	s_sub_i32 s8, s4, s33
	s_cmp_ge_u32 s4, s33
	s_mov_b32 s65, 0
	s_cselect_b32 s5, s5, s6
	s_cselect_b32 s4, s8, s4
	s_add_i32 s6, s5, 1
	s_cmp_ge_u32 s4, s33
	s_load_b128 s[60:63], s[0:1], 0x7c
	s_cselect_b32 s4, s6, s5
	s_waitcnt lgkmcnt(0)
	s_mul_i32 s64, s10, s58
	s_xor_b32 s6, s4, s7
	s_lshl_b64 s[4:5], s[64:65], 2
	s_sub_i32 s6, s6, s7
	s_mul_i32 s64, s59, s12
	s_add_u32 s7, s24, s4
	s_addc_u32 s8, s25, s5
	s_lshl_b64 s[4:5], s[64:65], 2
	s_mul_i32 s64, s10, s2
	s_add_u32 s70, s7, s4
	s_addc_u32 s71, s8, s5
	s_lshl_b64 s[4:5], s[64:65], 2
	;; [unrolled: 4-line block ×3, first 2 shown]
	s_mul_i32 s64, s48, s12
	s_add_u32 s72, s4, s2
	s_addc_u32 s48, s5, s3
	s_load_b64 s[4:5], s[0:1], 0xc8
	s_lshl_b64 s[2:3], s[64:65], 2
	v_dual_mov_b32 v37, 0 :: v_dual_lshlrev_b32 v34, 4, v0
	s_mul_i32 s64, s10, s50
	s_add_u32 s73, s16, s2
	s_addc_u32 s63, s17, s3
	s_lshl_b64 s[2:3], s[64:65], 2
	s_mul_i32 s64, s6, s53
	s_clause 0x2
	s_load_b64 s[16:17], s[0:1], 0x6c
	s_load_b32 s78, s[0:1], 0xc
	s_load_b32 s0, s[0:1], 0x28
	s_add_u32 s7, s18, s2
	v_mbcnt_lo_u32_b32 v35, -1, 0
	v_and_b32_e32 v1, 0x200, v34
	s_addc_u32 s8, s19, s3
	s_lshl_b64 s[2:3], s[64:65], 2
	s_mul_i32 s64, s10, s54
	s_add_u32 s53, s7, s2
	s_addc_u32 s74, s8, s3
	s_lshl_b64 s[2:3], s[64:65], 2
	s_mul_i32 s64, s6, s57
	v_or_b32_e32 v36, v35, v1
	s_add_u32 s7, s20, s2
	s_addc_u32 s6, s21, s3
	s_lshl_b64 s[2:3], s[64:65], 2
	s_mul_i32 s64, s14, s60
	s_add_u32 s57, s7, s2
	s_addc_u32 s75, s6, s3
	s_lshl_b64 s[2:3], s[64:65], 2
	v_or_b32_e32 v38, 32, v36
	v_lshrrev_b32_e32 v2, 5, v1
	v_and_b32_e32 v14, 32, v0
	s_mul_i32 s64, s61, s12
	s_waitcnt lgkmcnt(0)
	s_add_u32 s4, s4, s2
	s_addc_u32 s5, s5, s3
	s_lshl_b64 s[2:3], s[64:65], 2
	v_or_b32_e32 v39, 64, v36
	s_add_u32 s76, s4, s2
	v_or_b32_e32 v40, 0x60, v36
	v_or_b32_e32 v41, 0x80, v36
	;; [unrolled: 1-line block ×11, first 2 shown]
	v_add_nc_u32_e32 v2, v2, v36
	v_lshrrev_b32_e32 v3, 5, v38
	v_or_b32_e32 v51, 0x1c0, v36
	v_or_b32_e32 v52, 0x1e0, v36
	;; [unrolled: 1-line block ×3, first 2 shown]
	s_addc_u32 s77, s5, s3
	s_add_i32 s2, s69, 0x7ff
	v_lshrrev_b32_e32 v4, 5, v39
	s_lshr_b32 s79, s2, 11
	s_bitcmp1_b32 s0, 0
	v_lshl_add_u32 v53, v2, 2, 0
	v_add_lshl_u32 v2, v3, v36, 2
	v_lshrrev_b32_e32 v3, 5, v40
	v_lshrrev_b32_e32 v5, 5, v41
	v_lshrrev_b32_e32 v6, 5, v42
	v_lshrrev_b32_e32 v7, 5, v43
	v_lshrrev_b32_e32 v8, 5, v44
	v_lshrrev_b32_e32 v9, 5, v45
	v_lshrrev_b32_e32 v10, 5, v46
	v_lshrrev_b32_e32 v11, 5, v47
	v_lshrrev_b32_e32 v12, 5, v48
	v_lshrrev_b32_e32 v13, 5, v49
	v_lshrrev_b32_e32 v15, 5, v50
	v_lshrrev_b32_e32 v16, 5, v51
	v_lshrrev_b32_e32 v18, 5, v52
	v_lshlrev_b32_e32 v19, 4, v17
	v_bfe_u32 v17, v17, 1, 27
	s_cselect_b32 s80, -1, 0
	s_cmp_gt_i32 s78, 0
	v_add_lshl_u32 v4, v4, v36, 2
	s_cselect_b32 s81, -1, 0
	s_add_i32 s0, 0, 0x1080
	v_add_nc_u32_e32 v54, 0, v2
	v_add_lshl_u32 v3, v3, v36, 2
	v_add_lshl_u32 v5, v5, v36, 2
	v_add_lshl_u32 v6, v6, v36, 2
	v_add_lshl_u32 v7, v7, v36, 2
	v_add_lshl_u32 v8, v8, v36, 2
	v_add_lshl_u32 v9, v9, v36, 2
	v_add_lshl_u32 v10, v10, v36, 2
	v_add_lshl_u32 v11, v11, v36, 2
	v_add_lshl_u32 v12, v12, v36, 2
	v_add_lshl_u32 v13, v13, v36, 2
	v_add_lshl_u32 v15, v15, v36, 2
	v_add_lshl_u32 v16, v16, v36, 2
	v_add_lshl_u32 v18, v18, v36, 2
	v_add_lshl_u32 v17, v17, v19, 2
	v_add_nc_u32_e32 v70, s0, v2
	v_and_b32_e32 v2, 15, v35
	s_and_b32 s1, s69, 0x3ff
	v_add_nc_u32_e32 v71, s0, v4
	v_add_nc_u32_e32 v72, s0, v3
	;; [unrolled: 1-line block ×14, first 2 shown]
	s_cmp_eq_u32 s1, 0
	v_add_nc_u32_e32 v85, s0, v17
	v_cmp_ne_u32_e64 s0, 0, v2
	v_cmp_lt_u32_e64 s1, 1, v2
	v_cmp_lt_u32_e64 s2, 3, v2
	;; [unrolled: 1-line block ×3, first 2 shown]
	v_add_nc_u32_e32 v2, -1, v35
	v_add_nc_u32_e32 v56, 0, v3
	v_lshrrev_b32_e32 v3, 2, v0
	v_add_nc_u32_e32 v57, 0, v5
	v_or_b32_e32 v5, 31, v14
	v_cmp_gt_i32_e32 vcc_lo, 0, v2
	s_mul_i32 s64, s10, s16
	v_and_b32_e32 v3, 8, v3
	s_cselect_b32 s82, -1, 0
	s_lshl_b64 s[14:15], s[64:65], 2
	v_cndmask_b32_e32 v2, v2, v35, vcc_lo
	s_add_i32 s83, s79, -1
	s_mul_i32 s64, s17, s12
	v_cmp_eq_u32_e64 s5, v5, v0
	v_cmp_gt_u32_e64 s6, 2, v0
	v_lshl_add_u32 v87, v0, 3, 0
	v_cmp_gt_u32_e64 s8, 32, v0
	v_cmp_lt_u32_e64 s9, 31, v0
	v_cmp_eq_u32_e64 s10, 0, v0
	s_add_u32 s11, s30, s14
	v_lshlrev_b32_e32 v0, 2, v35
	s_addc_u32 s14, s31, s15
	s_lshl_b64 s[12:13], s[64:65], 2
	v_add_nc_u32_e32 v86, 0, v3
	v_and_b32_e32 v3, 1, v35
	s_add_u32 s11, s11, s12
	v_lshlrev_b32_e32 v88, 2, v2
	s_addc_u32 s12, s14, s13
	v_lshlrev_b32_e32 v2, 2, v1
	v_add_co_u32 v0, s11, s11, v0
	v_add_nc_u32_e32 v55, 0, v4
	v_and_b32_e32 v4, 16, v35
	v_cmp_eq_u32_e64 s7, 0, v3
	v_add_co_ci_u32_e64 v3, null, s12, 0, s11
	v_add_co_u32 v89, vcc_lo, v0, v2
	v_add_nc_u32_e32 v58, 0, v6
	v_add_nc_u32_e32 v59, 0, v7
	;; [unrolled: 1-line block ×12, first 2 shown]
	v_cmp_ne_u32_e64 s4, 0, v4
	v_cmp_eq_u32_e64 s11, 0, v35
	v_add_co_ci_u32_e32 v90, vcc_lo, 0, v3, vcc_lo
	v_or_b32_e32 v91, 1, v34
	v_or_b32_e32 v92, 2, v34
	;; [unrolled: 1-line block ×15, first 2 shown]
	v_lshlrev_b32_e32 v106, 2, v1
	s_mov_b32 s84, 0x3e9b6dac
	s_add_i32 s85, 0, 0x2110
	s_mov_b32 s86, 0
	s_branch .LBB150_12
.LBB150_11:                             ;   in Loop: Header=BB150_12 Depth=1
	s_or_b32 exec_lo, exec_lo, s12
	s_add_u32 s72, s72, 0x1000
	s_addc_u32 s48, s48, 0
	s_add_u32 s70, s70, 0x1000
	s_addc_u32 s71, s71, 0
	;; [unrolled: 2-line block ×4, first 2 shown]
	s_add_i32 s86, s86, 1
	s_delay_alu instid0(SALU_CYCLE_1)
	s_cmp_eq_u32 s86, s79
	s_cbranch_scc1 .LBB150_236
.LBB150_12:                             ; =>This Loop Header: Depth=1
                                        ;     Child Loop BB150_109 Depth 2
	v_lshlrev_b32_e32 v32, 2, v35
	s_lshl_b32 s50, s86, 10
	s_waitcnt lgkmcnt(0)
	v_mov_b32_e32 v2, 0
	s_sub_i32 s40, s69, s50
	v_add_co_u32 v0, s12, s70, v32
	s_delay_alu instid0(VALU_DEP_1) | instskip(SKIP_1) | instid1(VALU_DEP_3)
	v_add_co_ci_u32_e64 v1, null, s71, 0, s12
	v_cmp_gt_u32_e64 s12, s40, v36
	v_add_co_u32 v0, vcc_lo, v0, v106
	s_delay_alu instid0(VALU_DEP_3)
	v_add_co_ci_u32_e32 v1, vcc_lo, 0, v1, vcc_lo
	s_waitcnt_vscnt null, 0x0
	s_barrier
	buffer_gl0_inv
	s_and_saveexec_b32 s13, s12
	s_cbranch_execz .LBB150_14
; %bb.13:                               ;   in Loop: Header=BB150_12 Depth=1
	global_load_b32 v2, v[0:1], off
.LBB150_14:                             ;   in Loop: Header=BB150_12 Depth=1
	s_or_b32 exec_lo, exec_lo, s13
	v_cmp_gt_u32_e64 s13, s40, v38
	v_dual_mov_b32 v3, 0 :: v_dual_mov_b32 v4, 0
	s_delay_alu instid0(VALU_DEP_2)
	s_and_saveexec_b32 s14, s13
	s_cbranch_execz .LBB150_16
; %bb.15:                               ;   in Loop: Header=BB150_12 Depth=1
	global_load_b32 v4, v[0:1], off offset:128
.LBB150_16:                             ;   in Loop: Header=BB150_12 Depth=1
	s_or_b32 exec_lo, exec_lo, s14
	v_cmp_gt_u32_e64 s14, s40, v39
	s_delay_alu instid0(VALU_DEP_1)
	s_and_saveexec_b32 s15, s14
	s_cbranch_execz .LBB150_18
; %bb.17:                               ;   in Loop: Header=BB150_12 Depth=1
	global_load_b32 v3, v[0:1], off offset:256
.LBB150_18:                             ;   in Loop: Header=BB150_12 Depth=1
	s_or_b32 exec_lo, exec_lo, s15
	v_cmp_gt_u32_e64 s15, s40, v40
	v_dual_mov_b32 v5, 0 :: v_dual_mov_b32 v6, 0
	s_delay_alu instid0(VALU_DEP_2)
	s_and_saveexec_b32 s16, s15
	s_cbranch_execz .LBB150_20
; %bb.19:                               ;   in Loop: Header=BB150_12 Depth=1
	global_load_b32 v6, v[0:1], off offset:384
.LBB150_20:                             ;   in Loop: Header=BB150_12 Depth=1
	s_or_b32 exec_lo, exec_lo, s16
	v_cmp_gt_u32_e64 s16, s40, v41
	s_delay_alu instid0(VALU_DEP_1)
	s_and_saveexec_b32 s17, s16
	s_cbranch_execz .LBB150_22
; %bb.21:                               ;   in Loop: Header=BB150_12 Depth=1
	global_load_b32 v5, v[0:1], off offset:512
.LBB150_22:                             ;   in Loop: Header=BB150_12 Depth=1
	;; [unrolled: 17-line block ×7, first 2 shown]
	s_or_b32 exec_lo, exec_lo, s27
	v_cmp_gt_u32_e64 s27, s40, v52
	v_dual_mov_b32 v18, 0 :: v_dual_mov_b32 v17, 0
	s_delay_alu instid0(VALU_DEP_2)
	s_and_saveexec_b32 s28, s27
	s_cbranch_execz .LBB150_44
; %bb.43:                               ;   in Loop: Header=BB150_12 Depth=1
	global_load_b32 v17, v[0:1], off offset:1920
.LBB150_44:                             ;   in Loop: Header=BB150_12 Depth=1
	s_or_b32 exec_lo, exec_lo, s28
	s_waitcnt vmcnt(0)
	ds_store_b32 v53, v2
	ds_store_b32 v54, v4 offset:128
	ds_store_b32 v55, v3 offset:256
	ds_store_b32 v56, v6 offset:384
	ds_store_b32 v57, v5 offset:512
	ds_store_b32 v58, v8 offset:640
	ds_store_b32 v59, v7 offset:768
	ds_store_b32 v60, v10 offset:896
	ds_store_b32 v61, v9 offset:1024
	ds_store_b32 v62, v12 offset:1152
	ds_store_b32 v63, v11 offset:1280
	ds_store_b32 v64, v14 offset:1408
	ds_store_b32 v65, v13 offset:1536
	ds_store_b32 v66, v16 offset:1664
	ds_store_b32 v67, v15 offset:1792
	ds_store_b32 v68, v17 offset:1920
	; wave barrier
	ds_load_2addr_b32 v[0:1], v69 offset1:1
	ds_load_2addr_b32 v[2:3], v69 offset0:2 offset1:3
	ds_load_2addr_b32 v[4:5], v69 offset0:4 offset1:5
	;; [unrolled: 1-line block ×7, first 2 shown]
	v_add_co_u32 v16, s28, s72, v32
	s_delay_alu instid0(VALU_DEP_1) | instskip(SKIP_1) | instid1(VALU_DEP_2)
	v_add_co_ci_u32_e64 v17, null, s48, 0, s28
	s_waitcnt lgkmcnt(0)
	v_add_co_u32 v16, vcc_lo, v16, v106
	s_delay_alu instid0(VALU_DEP_2)
	v_add_co_ci_u32_e32 v17, vcc_lo, 0, v17, vcc_lo
	s_barrier
	buffer_gl0_inv
	s_and_saveexec_b32 s28, s12
	s_cbranch_execz .LBB150_46
; %bb.45:                               ;   in Loop: Header=BB150_12 Depth=1
	global_load_b32 v18, v[16:17], off
.LBB150_46:                             ;   in Loop: Header=BB150_12 Depth=1
	s_or_b32 exec_lo, exec_lo, s28
	v_dual_mov_b32 v19, 0 :: v_dual_mov_b32 v20, 0
	s_and_saveexec_b32 s28, s13
	s_cbranch_execz .LBB150_48
; %bb.47:                               ;   in Loop: Header=BB150_12 Depth=1
	global_load_b32 v20, v[16:17], off offset:128
.LBB150_48:                             ;   in Loop: Header=BB150_12 Depth=1
	s_or_b32 exec_lo, exec_lo, s28
	s_and_saveexec_b32 s28, s14
	s_cbranch_execz .LBB150_50
; %bb.49:                               ;   in Loop: Header=BB150_12 Depth=1
	global_load_b32 v19, v[16:17], off offset:256
.LBB150_50:                             ;   in Loop: Header=BB150_12 Depth=1
	s_or_b32 exec_lo, exec_lo, s28
	v_dual_mov_b32 v21, 0 :: v_dual_mov_b32 v22, 0
	s_and_saveexec_b32 s28, s15
	s_cbranch_execz .LBB150_52
; %bb.51:                               ;   in Loop: Header=BB150_12 Depth=1
	global_load_b32 v22, v[16:17], off offset:384
.LBB150_52:                             ;   in Loop: Header=BB150_12 Depth=1
	s_or_b32 exec_lo, exec_lo, s28
	s_and_saveexec_b32 s28, s16
	s_cbranch_execz .LBB150_54
; %bb.53:                               ;   in Loop: Header=BB150_12 Depth=1
	global_load_b32 v21, v[16:17], off offset:512
.LBB150_54:                             ;   in Loop: Header=BB150_12 Depth=1
	;; [unrolled: 13-line block ×6, first 2 shown]
	s_or_b32 exec_lo, exec_lo, s28
	v_mov_b32_e32 v31, 0
	v_mov_b32_e32 v33, 0
	s_and_saveexec_b32 s28, s25
	s_cbranch_execnz .LBB150_218
; %bb.71:                               ;   in Loop: Header=BB150_12 Depth=1
	s_or_b32 exec_lo, exec_lo, s28
	s_and_saveexec_b32 s28, s26
	s_cbranch_execnz .LBB150_219
.LBB150_72:                             ;   in Loop: Header=BB150_12 Depth=1
	s_or_b32 exec_lo, exec_lo, s28
	v_mov_b32_e32 v107, 0
	s_and_saveexec_b32 s28, s27
	s_cbranch_execz .LBB150_74
.LBB150_73:                             ;   in Loop: Header=BB150_12 Depth=1
	global_load_b32 v107, v[16:17], off offset:1920
.LBB150_74:                             ;   in Loop: Header=BB150_12 Depth=1
	s_or_b32 exec_lo, exec_lo, s28
	s_waitcnt vmcnt(0)
	ds_store_b32 v53, v18
	ds_store_b32 v54, v20 offset:128
	ds_store_b32 v55, v19 offset:256
	;; [unrolled: 1-line block ×15, first 2 shown]
	; wave barrier
	ds_load_2addr_b32 v[30:31], v69 offset1:1
	ds_load_2addr_b32 v[28:29], v69 offset0:2 offset1:3
	ds_load_2addr_b32 v[26:27], v69 offset0:4 offset1:5
	;; [unrolled: 1-line block ×7, first 2 shown]
	s_waitcnt lgkmcnt(7)
	v_add_f32_e32 v107, s67, v30
	s_delay_alu instid0(VALU_DEP_1) | instskip(SKIP_1) | instid1(SALU_CYCLE_1)
	v_cmp_ge_f32_e32 vcc_lo, 0x41a00000, v107
	s_and_b32 s28, s80, vcc_lo
	s_and_saveexec_b32 s29, s28
	s_cbranch_execz .LBB150_76
; %bb.75:                               ;   in Loop: Header=BB150_12 Depth=1
	v_mul_f32_e32 v30, 0x3fb8aa3b, v107
	v_cmp_ngt_f32_e32 vcc_lo, 0xc2ce8ed0, v107
	s_delay_alu instid0(VALU_DEP_2) | instskip(SKIP_1) | instid1(VALU_DEP_2)
	v_rndne_f32_e32 v33, v30
	v_fma_f32 v108, 0x3fb8aa3b, v107, -v30
	v_sub_f32_e32 v30, v30, v33
	s_delay_alu instid0(VALU_DEP_2) | instskip(SKIP_1) | instid1(VALU_DEP_2)
	v_fmac_f32_e32 v108, 0x32a5705f, v107
	v_cvt_i32_f32_e32 v33, v33
	v_add_f32_e32 v30, v30, v108
	s_delay_alu instid0(VALU_DEP_1) | instskip(SKIP_2) | instid1(VALU_DEP_1)
	v_exp_f32_e32 v30, v30
	s_waitcnt_depctr 0xfff
	v_ldexp_f32 v30, v30, v33
	v_cndmask_b32_e32 v30, 0, v30, vcc_lo
	v_cmp_nlt_f32_e32 vcc_lo, 0x42b17218, v107
	s_delay_alu instid0(VALU_DEP_2) | instskip(NEXT) | instid1(VALU_DEP_1)
	v_cndmask_b32_e32 v30, 0x7f800000, v30, vcc_lo
	v_add_f32_e32 v33, 1.0, v30
	s_delay_alu instid0(VALU_DEP_1) | instskip(NEXT) | instid1(VALU_DEP_1)
	v_cvt_f64_f32_e32 v[107:108], v33
	v_frexp_exp_i32_f64_e32 v107, v[107:108]
	v_frexp_mant_f32_e32 v108, v33
	s_delay_alu instid0(VALU_DEP_1) | instskip(SKIP_1) | instid1(VALU_DEP_1)
	v_cmp_gt_f32_e32 vcc_lo, 0x3f2aaaab, v108
	v_add_f32_e32 v108, -1.0, v33
	v_sub_f32_e32 v110, v108, v33
	v_sub_f32_e32 v108, v30, v108
	s_delay_alu instid0(VALU_DEP_2) | instskip(NEXT) | instid1(VALU_DEP_1)
	v_add_f32_e32 v110, 1.0, v110
	v_add_f32_e32 v108, v108, v110
	v_subrev_co_ci_u32_e32 v107, vcc_lo, 0, v107, vcc_lo
	s_delay_alu instid0(VALU_DEP_1) | instskip(SKIP_1) | instid1(VALU_DEP_2)
	v_sub_nc_u32_e32 v109, 0, v107
	v_cvt_f32_i32_e32 v107, v107
	v_ldexp_f32 v33, v33, v109
	v_ldexp_f32 v108, v108, v109
	s_delay_alu instid0(VALU_DEP_2) | instskip(NEXT) | instid1(VALU_DEP_1)
	v_add_f32_e32 v111, 1.0, v33
	v_dual_add_f32 v109, -1.0, v33 :: v_dual_add_f32 v110, -1.0, v111
	s_delay_alu instid0(VALU_DEP_1) | instskip(NEXT) | instid1(VALU_DEP_2)
	v_add_f32_e32 v112, 1.0, v109
	v_sub_f32_e32 v110, v33, v110
	s_delay_alu instid0(VALU_DEP_1) | instskip(NEXT) | instid1(VALU_DEP_1)
	v_dual_sub_f32 v33, v33, v112 :: v_dual_add_f32 v110, v108, v110
	v_dual_add_f32 v33, v108, v33 :: v_dual_add_f32 v112, v111, v110
	s_delay_alu instid0(VALU_DEP_1) | instskip(SKIP_2) | instid1(VALU_DEP_4)
	v_add_f32_e32 v113, v109, v33
	v_cmp_eq_f32_e32 vcc_lo, 0x7f800000, v30
	v_cmp_gt_f32_e64 s28, 0x33800000, v30
	v_rcp_f32_e32 v108, v112
	v_sub_f32_e32 v111, v111, v112
	v_sub_f32_e32 v109, v109, v113
	s_delay_alu instid0(VALU_DEP_3) | instskip(NEXT) | instid1(VALU_DEP_1)
	s_or_b32 vcc_lo, s28, vcc_lo
	v_dual_add_f32 v33, v33, v109 :: v_dual_add_f32 v110, v110, v111
	s_waitcnt_depctr 0xfff
	v_mul_f32_e32 v114, v113, v108
	s_delay_alu instid0(VALU_DEP_1) | instskip(NEXT) | instid1(VALU_DEP_1)
	v_mul_f32_e32 v115, v112, v114
	v_fma_f32 v111, v114, v112, -v115
	s_delay_alu instid0(VALU_DEP_1) | instskip(NEXT) | instid1(VALU_DEP_1)
	v_fmac_f32_e32 v111, v114, v110
	v_add_f32_e32 v116, v115, v111
	s_delay_alu instid0(VALU_DEP_1) | instskip(SKIP_1) | instid1(VALU_DEP_2)
	v_sub_f32_e32 v117, v113, v116
	v_sub_f32_e32 v109, v116, v115
	;; [unrolled: 1-line block ×3, first 2 shown]
	s_delay_alu instid0(VALU_DEP_2) | instskip(NEXT) | instid1(VALU_DEP_2)
	v_sub_f32_e32 v109, v109, v111
	v_sub_f32_e32 v113, v113, v116
	s_delay_alu instid0(VALU_DEP_1) | instskip(NEXT) | instid1(VALU_DEP_1)
	v_add_f32_e32 v33, v33, v113
	v_add_f32_e32 v33, v109, v33
	s_delay_alu instid0(VALU_DEP_1) | instskip(NEXT) | instid1(VALU_DEP_1)
	v_add_f32_e32 v109, v117, v33
	v_mul_f32_e32 v111, v108, v109
	s_delay_alu instid0(VALU_DEP_1) | instskip(NEXT) | instid1(VALU_DEP_1)
	v_mul_f32_e32 v113, v112, v111
	v_fma_f32 v112, v111, v112, -v113
	s_delay_alu instid0(VALU_DEP_1) | instskip(SKIP_1) | instid1(VALU_DEP_2)
	v_fmac_f32_e32 v112, v111, v110
	v_sub_f32_e32 v116, v117, v109
	v_add_f32_e32 v110, v113, v112
	s_delay_alu instid0(VALU_DEP_2) | instskip(NEXT) | instid1(VALU_DEP_2)
	v_add_f32_e32 v33, v33, v116
	v_sub_f32_e32 v115, v109, v110
	s_delay_alu instid0(VALU_DEP_1) | instskip(NEXT) | instid1(VALU_DEP_1)
	v_sub_f32_e32 v109, v109, v115
	v_sub_f32_e32 v109, v109, v110
	s_delay_alu instid0(VALU_DEP_1) | instskip(SKIP_2) | instid1(VALU_DEP_1)
	v_add_f32_e32 v33, v33, v109
	v_add_f32_e32 v109, v114, v111
	v_sub_f32_e32 v113, v110, v113
	v_sub_f32_e32 v110, v113, v112
	s_delay_alu instid0(VALU_DEP_1) | instskip(NEXT) | instid1(VALU_DEP_1)
	v_dual_add_f32 v33, v110, v33 :: v_dual_sub_f32 v110, v109, v114
	v_add_f32_e32 v33, v115, v33
	s_delay_alu instid0(VALU_DEP_1) | instskip(NEXT) | instid1(VALU_DEP_1)
	v_dual_sub_f32 v110, v111, v110 :: v_dual_mul_f32 v33, v108, v33
	v_add_f32_e32 v33, v110, v33
	s_delay_alu instid0(VALU_DEP_1) | instskip(NEXT) | instid1(VALU_DEP_1)
	v_add_f32_e32 v108, v109, v33
	v_mul_f32_e32 v110, v108, v108
	s_delay_alu instid0(VALU_DEP_1) | instskip(SKIP_1) | instid1(VALU_DEP_2)
	v_fmaak_f32 v111, s84, v110, 0x3ecc95a3
	v_mul_f32_e32 v112, v108, v110
	v_fmaak_f32 v110, v110, v111, 0x3f2aaada
	v_ldexp_f32 v111, v108, 1
	s_delay_alu instid0(VALU_DEP_2) | instskip(SKIP_1) | instid1(VALU_DEP_2)
	v_mul_f32_e32 v110, v112, v110
	v_sub_f32_e32 v108, v108, v109
	v_dual_mul_f32 v112, 0x3f317218, v107 :: v_dual_add_f32 v109, v111, v110
	s_delay_alu instid0(VALU_DEP_2) | instskip(NEXT) | instid1(VALU_DEP_2)
	v_sub_f32_e32 v33, v33, v108
	v_sub_f32_e32 v108, v109, v111
	s_delay_alu instid0(VALU_DEP_3) | instskip(NEXT) | instid1(VALU_DEP_3)
	v_fma_f32 v111, 0x3f317218, v107, -v112
	v_ldexp_f32 v33, v33, 1
	s_delay_alu instid0(VALU_DEP_2) | instskip(NEXT) | instid1(VALU_DEP_1)
	v_dual_sub_f32 v108, v110, v108 :: v_dual_fmac_f32 v111, 0xb102e308, v107
	v_add_f32_e32 v33, v33, v108
	s_delay_alu instid0(VALU_DEP_1) | instskip(NEXT) | instid1(VALU_DEP_1)
	v_dual_add_f32 v107, v112, v111 :: v_dual_add_f32 v108, v109, v33
	v_sub_f32_e32 v112, v107, v112
	s_delay_alu instid0(VALU_DEP_2) | instskip(NEXT) | instid1(VALU_DEP_2)
	v_dual_add_f32 v110, v107, v108 :: v_dual_sub_f32 v109, v108, v109
	v_sub_f32_e32 v111, v111, v112
	s_delay_alu instid0(VALU_DEP_2) | instskip(NEXT) | instid1(VALU_DEP_1)
	v_sub_f32_e32 v113, v110, v107
	v_sub_f32_e32 v114, v110, v113
	;; [unrolled: 1-line block ×4, first 2 shown]
	s_delay_alu instid0(VALU_DEP_1) | instskip(NEXT) | instid1(VALU_DEP_4)
	v_add_f32_e32 v109, v111, v33
	v_sub_f32_e32 v107, v107, v114
	s_delay_alu instid0(VALU_DEP_1) | instskip(NEXT) | instid1(VALU_DEP_3)
	v_add_f32_e32 v107, v108, v107
	v_sub_f32_e32 v108, v109, v111
	s_delay_alu instid0(VALU_DEP_2) | instskip(NEXT) | instid1(VALU_DEP_2)
	v_add_f32_e32 v107, v109, v107
	v_sub_f32_e32 v109, v109, v108
	s_delay_alu instid0(VALU_DEP_2) | instskip(NEXT) | instid1(VALU_DEP_1)
	v_dual_sub_f32 v33, v33, v108 :: v_dual_add_f32 v112, v110, v107
	v_dual_sub_f32 v108, v112, v110 :: v_dual_sub_f32 v109, v111, v109
	s_delay_alu instid0(VALU_DEP_1) | instskip(NEXT) | instid1(VALU_DEP_2)
	v_sub_f32_e32 v107, v107, v108
	v_add_f32_e32 v33, v33, v109
	s_delay_alu instid0(VALU_DEP_1) | instskip(NEXT) | instid1(VALU_DEP_1)
	v_add_f32_e32 v33, v33, v107
	v_add_f32_e32 v33, v112, v33
	s_delay_alu instid0(VALU_DEP_1)
	v_cndmask_b32_e32 v107, v33, v30, vcc_lo
.LBB150_76:                             ;   in Loop: Header=BB150_12 Depth=1
	s_or_b32 exec_lo, exec_lo, s29
	v_add_f32_e32 v108, s67, v31
	s_delay_alu instid0(VALU_DEP_1) | instskip(SKIP_1) | instid1(SALU_CYCLE_1)
	v_cmp_ge_f32_e32 vcc_lo, 0x41a00000, v108
	s_and_b32 s28, s80, vcc_lo
	s_and_saveexec_b32 s29, s28
	s_cbranch_execz .LBB150_78
; %bb.77:                               ;   in Loop: Header=BB150_12 Depth=1
	v_mul_f32_e32 v30, 0x3fb8aa3b, v108
	v_cmp_ngt_f32_e32 vcc_lo, 0xc2ce8ed0, v108
	s_delay_alu instid0(VALU_DEP_2) | instskip(SKIP_1) | instid1(VALU_DEP_1)
	v_rndne_f32_e32 v31, v30
	v_fma_f32 v33, 0x3fb8aa3b, v108, -v30
	v_dual_sub_f32 v30, v30, v31 :: v_dual_fmac_f32 v33, 0x32a5705f, v108
	v_cvt_i32_f32_e32 v31, v31
	s_delay_alu instid0(VALU_DEP_2) | instskip(NEXT) | instid1(VALU_DEP_1)
	v_add_f32_e32 v30, v30, v33
	v_exp_f32_e32 v30, v30
	s_waitcnt_depctr 0xfff
	v_ldexp_f32 v30, v30, v31
	s_delay_alu instid0(VALU_DEP_1) | instskip(SKIP_1) | instid1(VALU_DEP_2)
	v_cndmask_b32_e32 v30, 0, v30, vcc_lo
	v_cmp_nlt_f32_e32 vcc_lo, 0x42b17218, v108
	v_cndmask_b32_e32 v33, 0x7f800000, v30, vcc_lo
	s_delay_alu instid0(VALU_DEP_1) | instskip(NEXT) | instid1(VALU_DEP_1)
	v_add_f32_e32 v108, 1.0, v33
	v_cvt_f64_f32_e32 v[30:31], v108
	s_delay_alu instid0(VALU_DEP_1) | instskip(SKIP_1) | instid1(VALU_DEP_1)
	v_frexp_exp_i32_f64_e32 v30, v[30:31]
	v_frexp_mant_f32_e32 v31, v108
	v_cmp_gt_f32_e32 vcc_lo, 0x3f2aaaab, v31
	v_add_f32_e32 v31, -1.0, v108
	s_delay_alu instid0(VALU_DEP_1) | instskip(SKIP_1) | instid1(VALU_DEP_2)
	v_dual_sub_f32 v110, v31, v108 :: v_dual_sub_f32 v31, v33, v31
	v_cmp_gt_f32_e64 s28, 0x33800000, v33
	v_add_f32_e32 v110, 1.0, v110
	s_delay_alu instid0(VALU_DEP_1) | instskip(SKIP_2) | instid1(VALU_DEP_2)
	v_add_f32_e32 v31, v31, v110
	v_subrev_co_ci_u32_e32 v30, vcc_lo, 0, v30, vcc_lo
	v_cmp_eq_f32_e32 vcc_lo, 0x7f800000, v33
	v_sub_nc_u32_e32 v109, 0, v30
	v_cvt_f32_i32_e32 v30, v30
	s_or_b32 vcc_lo, s28, vcc_lo
	s_delay_alu instid0(VALU_DEP_2) | instskip(SKIP_1) | instid1(VALU_DEP_2)
	v_ldexp_f32 v108, v108, v109
	v_ldexp_f32 v31, v31, v109
	v_add_f32_e32 v109, -1.0, v108
	s_delay_alu instid0(VALU_DEP_1) | instskip(NEXT) | instid1(VALU_DEP_1)
	v_dual_add_f32 v111, 1.0, v108 :: v_dual_add_f32 v112, 1.0, v109
	v_add_f32_e32 v110, -1.0, v111
	s_delay_alu instid0(VALU_DEP_1) | instskip(NEXT) | instid1(VALU_DEP_3)
	v_sub_f32_e32 v110, v108, v110
	v_sub_f32_e32 v108, v108, v112
	s_delay_alu instid0(VALU_DEP_2) | instskip(NEXT) | instid1(VALU_DEP_2)
	v_add_f32_e32 v110, v31, v110
	v_add_f32_e32 v31, v31, v108
	s_delay_alu instid0(VALU_DEP_1) | instskip(NEXT) | instid1(VALU_DEP_1)
	v_dual_add_f32 v113, v109, v31 :: v_dual_add_f32 v112, v111, v110
	v_sub_f32_e32 v109, v109, v113
	s_delay_alu instid0(VALU_DEP_2) | instskip(SKIP_1) | instid1(VALU_DEP_1)
	v_rcp_f32_e32 v108, v112
	v_sub_f32_e32 v111, v111, v112
	v_dual_add_f32 v31, v31, v109 :: v_dual_add_f32 v110, v110, v111
	s_waitcnt_depctr 0xfff
	v_mul_f32_e32 v114, v113, v108
	s_delay_alu instid0(VALU_DEP_1) | instskip(NEXT) | instid1(VALU_DEP_1)
	v_mul_f32_e32 v115, v112, v114
	v_fma_f32 v111, v114, v112, -v115
	s_delay_alu instid0(VALU_DEP_1) | instskip(NEXT) | instid1(VALU_DEP_1)
	v_fmac_f32_e32 v111, v114, v110
	v_add_f32_e32 v116, v115, v111
	s_delay_alu instid0(VALU_DEP_1) | instskip(SKIP_1) | instid1(VALU_DEP_2)
	v_sub_f32_e32 v117, v113, v116
	v_sub_f32_e32 v109, v116, v115
	;; [unrolled: 1-line block ×3, first 2 shown]
	s_delay_alu instid0(VALU_DEP_2) | instskip(NEXT) | instid1(VALU_DEP_2)
	v_sub_f32_e32 v109, v109, v111
	v_sub_f32_e32 v113, v113, v116
	s_delay_alu instid0(VALU_DEP_1) | instskip(NEXT) | instid1(VALU_DEP_1)
	v_add_f32_e32 v31, v31, v113
	v_add_f32_e32 v31, v109, v31
	s_delay_alu instid0(VALU_DEP_1) | instskip(NEXT) | instid1(VALU_DEP_1)
	v_add_f32_e32 v109, v117, v31
	v_mul_f32_e32 v111, v108, v109
	s_delay_alu instid0(VALU_DEP_1) | instskip(NEXT) | instid1(VALU_DEP_1)
	v_dual_sub_f32 v116, v117, v109 :: v_dual_mul_f32 v113, v112, v111
	v_add_f32_e32 v31, v31, v116
	s_delay_alu instid0(VALU_DEP_2) | instskip(NEXT) | instid1(VALU_DEP_1)
	v_fma_f32 v112, v111, v112, -v113
	v_fmac_f32_e32 v112, v111, v110
	s_delay_alu instid0(VALU_DEP_1) | instskip(NEXT) | instid1(VALU_DEP_1)
	v_add_f32_e32 v110, v113, v112
	v_sub_f32_e32 v115, v109, v110
	s_delay_alu instid0(VALU_DEP_1) | instskip(NEXT) | instid1(VALU_DEP_1)
	v_sub_f32_e32 v109, v109, v115
	v_sub_f32_e32 v109, v109, v110
	s_delay_alu instid0(VALU_DEP_1) | instskip(SKIP_2) | instid1(VALU_DEP_1)
	v_add_f32_e32 v31, v31, v109
	v_add_f32_e32 v109, v114, v111
	v_sub_f32_e32 v113, v110, v113
	v_sub_f32_e32 v110, v113, v112
	s_delay_alu instid0(VALU_DEP_1) | instskip(NEXT) | instid1(VALU_DEP_1)
	v_dual_add_f32 v31, v110, v31 :: v_dual_sub_f32 v110, v109, v114
	v_add_f32_e32 v31, v115, v31
	s_delay_alu instid0(VALU_DEP_1) | instskip(NEXT) | instid1(VALU_DEP_1)
	v_dual_sub_f32 v110, v111, v110 :: v_dual_mul_f32 v31, v108, v31
	v_add_f32_e32 v31, v110, v31
	s_delay_alu instid0(VALU_DEP_1) | instskip(NEXT) | instid1(VALU_DEP_1)
	v_add_f32_e32 v108, v109, v31
	v_mul_f32_e32 v110, v108, v108
	s_delay_alu instid0(VALU_DEP_1) | instskip(SKIP_1) | instid1(VALU_DEP_2)
	v_fmaak_f32 v111, s84, v110, 0x3ecc95a3
	v_mul_f32_e32 v112, v108, v110
	v_fmaak_f32 v110, v110, v111, 0x3f2aaada
	v_ldexp_f32 v111, v108, 1
	v_sub_f32_e32 v108, v108, v109
	s_delay_alu instid0(VALU_DEP_3) | instskip(NEXT) | instid1(VALU_DEP_2)
	v_mul_f32_e32 v110, v112, v110
	v_dual_mul_f32 v112, 0x3f317218, v30 :: v_dual_sub_f32 v31, v31, v108
	s_delay_alu instid0(VALU_DEP_2) | instskip(NEXT) | instid1(VALU_DEP_2)
	v_add_f32_e32 v109, v111, v110
	v_ldexp_f32 v31, v31, 1
	s_delay_alu instid0(VALU_DEP_2) | instskip(NEXT) | instid1(VALU_DEP_4)
	v_sub_f32_e32 v108, v109, v111
	v_fma_f32 v111, 0x3f317218, v30, -v112
	s_delay_alu instid0(VALU_DEP_1) | instskip(NEXT) | instid1(VALU_DEP_1)
	v_dual_sub_f32 v108, v110, v108 :: v_dual_fmac_f32 v111, 0xb102e308, v30
	v_add_f32_e32 v30, v31, v108
	s_delay_alu instid0(VALU_DEP_1) | instskip(NEXT) | instid1(VALU_DEP_1)
	v_add_f32_e32 v108, v109, v30
	v_sub_f32_e32 v109, v108, v109
	s_delay_alu instid0(VALU_DEP_1) | instskip(NEXT) | instid1(VALU_DEP_1)
	v_dual_sub_f32 v30, v30, v109 :: v_dual_add_f32 v31, v112, v111
	v_add_f32_e32 v110, v31, v108
	s_delay_alu instid0(VALU_DEP_1) | instskip(NEXT) | instid1(VALU_DEP_1)
	v_dual_sub_f32 v112, v31, v112 :: v_dual_sub_f32 v113, v110, v31
	v_dual_sub_f32 v111, v111, v112 :: v_dual_sub_f32 v114, v110, v113
	s_delay_alu instid0(VALU_DEP_1) | instskip(NEXT) | instid1(VALU_DEP_2)
	v_dual_sub_f32 v108, v108, v113 :: v_dual_add_f32 v109, v111, v30
	v_sub_f32_e32 v31, v31, v114
	s_delay_alu instid0(VALU_DEP_1) | instskip(NEXT) | instid1(VALU_DEP_3)
	v_add_f32_e32 v31, v108, v31
	v_sub_f32_e32 v108, v109, v111
	s_delay_alu instid0(VALU_DEP_2) | instskip(NEXT) | instid1(VALU_DEP_2)
	v_add_f32_e32 v31, v109, v31
	v_sub_f32_e32 v109, v109, v108
	v_sub_f32_e32 v30, v30, v108
	s_delay_alu instid0(VALU_DEP_2) | instskip(NEXT) | instid1(VALU_DEP_1)
	v_dual_add_f32 v112, v110, v31 :: v_dual_sub_f32 v109, v111, v109
	v_sub_f32_e32 v108, v112, v110
	s_delay_alu instid0(VALU_DEP_1) | instskip(NEXT) | instid1(VALU_DEP_1)
	v_dual_add_f32 v30, v30, v109 :: v_dual_sub_f32 v31, v31, v108
	v_add_f32_e32 v30, v30, v31
	s_delay_alu instid0(VALU_DEP_1) | instskip(NEXT) | instid1(VALU_DEP_1)
	v_add_f32_e32 v30, v112, v30
	v_cndmask_b32_e32 v108, v30, v33, vcc_lo
.LBB150_78:                             ;   in Loop: Header=BB150_12 Depth=1
	s_or_b32 exec_lo, exec_lo, s29
	s_waitcnt lgkmcnt(6)
	v_add_f32_e32 v109, s67, v28
	s_delay_alu instid0(VALU_DEP_1) | instskip(SKIP_1) | instid1(SALU_CYCLE_1)
	v_cmp_ge_f32_e32 vcc_lo, 0x41a00000, v109
	s_and_b32 s28, s80, vcc_lo
	s_and_saveexec_b32 s29, s28
	s_cbranch_execz .LBB150_80
; %bb.79:                               ;   in Loop: Header=BB150_12 Depth=1
	v_mul_f32_e32 v28, 0x3fb8aa3b, v109
	v_cmp_ngt_f32_e32 vcc_lo, 0xc2ce8ed0, v109
	s_delay_alu instid0(VALU_DEP_2) | instskip(SKIP_1) | instid1(VALU_DEP_1)
	v_rndne_f32_e32 v30, v28
	v_fma_f32 v31, 0x3fb8aa3b, v109, -v28
	v_dual_sub_f32 v28, v28, v30 :: v_dual_fmac_f32 v31, 0x32a5705f, v109
	v_cvt_i32_f32_e32 v30, v30
	s_delay_alu instid0(VALU_DEP_2) | instskip(NEXT) | instid1(VALU_DEP_1)
	v_add_f32_e32 v28, v28, v31
	v_exp_f32_e32 v28, v28
	s_waitcnt_depctr 0xfff
	v_ldexp_f32 v28, v28, v30
	s_delay_alu instid0(VALU_DEP_1) | instskip(SKIP_1) | instid1(VALU_DEP_2)
	v_cndmask_b32_e32 v28, 0, v28, vcc_lo
	v_cmp_nlt_f32_e32 vcc_lo, 0x42b17218, v109
	v_cndmask_b32_e32 v28, 0x7f800000, v28, vcc_lo
	s_delay_alu instid0(VALU_DEP_1) | instskip(NEXT) | instid1(VALU_DEP_1)
	v_add_f32_e32 v33, 1.0, v28
	v_cvt_f64_f32_e32 v[30:31], v33
	s_delay_alu instid0(VALU_DEP_1) | instskip(SKIP_1) | instid1(VALU_DEP_1)
	v_frexp_exp_i32_f64_e32 v30, v[30:31]
	v_frexp_mant_f32_e32 v31, v33
	v_cmp_gt_f32_e32 vcc_lo, 0x3f2aaaab, v31
	v_add_f32_e32 v31, -1.0, v33
	s_delay_alu instid0(VALU_DEP_1) | instskip(NEXT) | instid1(VALU_DEP_1)
	v_dual_sub_f32 v110, v31, v33 :: v_dual_sub_f32 v31, v28, v31
	v_add_f32_e32 v110, 1.0, v110
	s_delay_alu instid0(VALU_DEP_1) | instskip(SKIP_1) | instid1(VALU_DEP_1)
	v_add_f32_e32 v31, v31, v110
	v_subrev_co_ci_u32_e32 v30, vcc_lo, 0, v30, vcc_lo
	v_sub_nc_u32_e32 v109, 0, v30
	v_cvt_f32_i32_e32 v30, v30
	s_delay_alu instid0(VALU_DEP_2) | instskip(SKIP_1) | instid1(VALU_DEP_2)
	v_ldexp_f32 v33, v33, v109
	v_ldexp_f32 v31, v31, v109
	v_add_f32_e32 v111, 1.0, v33
	v_add_f32_e32 v109, -1.0, v33
	v_cmp_eq_f32_e32 vcc_lo, 0x7f800000, v28
	v_cmp_gt_f32_e64 s28, 0x33800000, v28
	s_delay_alu instid0(VALU_DEP_3) | instskip(SKIP_1) | instid1(VALU_DEP_3)
	v_add_f32_e32 v112, 1.0, v109
	v_add_f32_e32 v110, -1.0, v111
	s_or_b32 vcc_lo, s28, vcc_lo
	s_delay_alu instid0(VALU_DEP_1) | instskip(NEXT) | instid1(VALU_DEP_1)
	v_sub_f32_e32 v110, v33, v110
	v_dual_sub_f32 v33, v33, v112 :: v_dual_add_f32 v110, v31, v110
	s_delay_alu instid0(VALU_DEP_1) | instskip(NEXT) | instid1(VALU_DEP_1)
	v_add_f32_e32 v31, v31, v33
	v_dual_add_f32 v113, v109, v31 :: v_dual_add_f32 v112, v111, v110
	s_delay_alu instid0(VALU_DEP_1) | instskip(NEXT) | instid1(VALU_DEP_2)
	v_sub_f32_e32 v109, v109, v113
	v_rcp_f32_e32 v33, v112
	v_sub_f32_e32 v111, v111, v112
	s_delay_alu instid0(VALU_DEP_1) | instskip(SKIP_2) | instid1(VALU_DEP_1)
	v_dual_add_f32 v31, v31, v109 :: v_dual_add_f32 v110, v110, v111
	s_waitcnt_depctr 0xfff
	v_mul_f32_e32 v114, v113, v33
	v_mul_f32_e32 v115, v112, v114
	s_delay_alu instid0(VALU_DEP_1) | instskip(NEXT) | instid1(VALU_DEP_1)
	v_fma_f32 v111, v114, v112, -v115
	v_fmac_f32_e32 v111, v114, v110
	s_delay_alu instid0(VALU_DEP_1) | instskip(NEXT) | instid1(VALU_DEP_1)
	v_add_f32_e32 v116, v115, v111
	v_sub_f32_e32 v117, v113, v116
	s_delay_alu instid0(VALU_DEP_1) | instskip(SKIP_1) | instid1(VALU_DEP_2)
	v_sub_f32_e32 v113, v113, v117
	v_sub_f32_e32 v109, v116, v115
	;; [unrolled: 1-line block ×3, first 2 shown]
	s_delay_alu instid0(VALU_DEP_2) | instskip(NEXT) | instid1(VALU_DEP_2)
	v_sub_f32_e32 v109, v109, v111
	v_add_f32_e32 v31, v31, v113
	s_delay_alu instid0(VALU_DEP_1) | instskip(NEXT) | instid1(VALU_DEP_1)
	v_add_f32_e32 v31, v109, v31
	v_add_f32_e32 v109, v117, v31
	s_delay_alu instid0(VALU_DEP_1) | instskip(NEXT) | instid1(VALU_DEP_1)
	v_mul_f32_e32 v111, v33, v109
	v_dual_sub_f32 v116, v117, v109 :: v_dual_mul_f32 v113, v112, v111
	s_delay_alu instid0(VALU_DEP_1) | instskip(NEXT) | instid1(VALU_DEP_2)
	v_add_f32_e32 v31, v31, v116
	v_fma_f32 v112, v111, v112, -v113
	s_delay_alu instid0(VALU_DEP_1) | instskip(NEXT) | instid1(VALU_DEP_1)
	v_fmac_f32_e32 v112, v111, v110
	v_add_f32_e32 v110, v113, v112
	s_delay_alu instid0(VALU_DEP_1) | instskip(SKIP_1) | instid1(VALU_DEP_2)
	v_sub_f32_e32 v115, v109, v110
	v_sub_f32_e32 v113, v110, v113
	;; [unrolled: 1-line block ×3, first 2 shown]
	s_delay_alu instid0(VALU_DEP_1) | instskip(NEXT) | instid1(VALU_DEP_1)
	v_sub_f32_e32 v109, v109, v110
	v_dual_sub_f32 v110, v113, v112 :: v_dual_add_f32 v31, v31, v109
	v_add_f32_e32 v109, v114, v111
	s_delay_alu instid0(VALU_DEP_1) | instskip(NEXT) | instid1(VALU_DEP_1)
	v_dual_add_f32 v31, v110, v31 :: v_dual_sub_f32 v110, v109, v114
	v_add_f32_e32 v31, v115, v31
	s_delay_alu instid0(VALU_DEP_1) | instskip(NEXT) | instid1(VALU_DEP_1)
	v_dual_sub_f32 v110, v111, v110 :: v_dual_mul_f32 v31, v33, v31
	v_add_f32_e32 v31, v110, v31
	s_delay_alu instid0(VALU_DEP_1) | instskip(NEXT) | instid1(VALU_DEP_1)
	v_add_f32_e32 v33, v109, v31
	v_mul_f32_e32 v110, v33, v33
	s_delay_alu instid0(VALU_DEP_1) | instskip(SKIP_1) | instid1(VALU_DEP_2)
	v_fmaak_f32 v111, s84, v110, 0x3ecc95a3
	v_mul_f32_e32 v112, v33, v110
	v_fmaak_f32 v110, v110, v111, 0x3f2aaada
	v_ldexp_f32 v111, v33, 1
	s_delay_alu instid0(VALU_DEP_2) | instskip(NEXT) | instid1(VALU_DEP_1)
	v_dual_sub_f32 v33, v33, v109 :: v_dual_mul_f32 v110, v112, v110
	v_dual_mul_f32 v112, 0x3f317218, v30 :: v_dual_sub_f32 v31, v31, v33
	s_delay_alu instid0(VALU_DEP_2) | instskip(NEXT) | instid1(VALU_DEP_2)
	v_add_f32_e32 v109, v111, v110
	v_ldexp_f32 v31, v31, 1
	s_delay_alu instid0(VALU_DEP_2) | instskip(NEXT) | instid1(VALU_DEP_4)
	v_sub_f32_e32 v33, v109, v111
	v_fma_f32 v111, 0x3f317218, v30, -v112
	s_delay_alu instid0(VALU_DEP_2) | instskip(NEXT) | instid1(VALU_DEP_1)
	v_sub_f32_e32 v33, v110, v33
	v_dual_fmac_f32 v111, 0xb102e308, v30 :: v_dual_add_f32 v30, v31, v33
	s_delay_alu instid0(VALU_DEP_1) | instskip(NEXT) | instid1(VALU_DEP_1)
	v_add_f32_e32 v31, v112, v111
	v_dual_add_f32 v33, v109, v30 :: v_dual_sub_f32 v112, v31, v112
	s_delay_alu instid0(VALU_DEP_1) | instskip(SKIP_1) | instid1(VALU_DEP_3)
	v_add_f32_e32 v110, v31, v33
	v_sub_f32_e32 v109, v33, v109
	v_sub_f32_e32 v111, v111, v112
	s_delay_alu instid0(VALU_DEP_3) | instskip(NEXT) | instid1(VALU_DEP_3)
	v_sub_f32_e32 v113, v110, v31
	v_sub_f32_e32 v30, v30, v109
	s_delay_alu instid0(VALU_DEP_2) | instskip(SKIP_1) | instid1(VALU_DEP_3)
	v_sub_f32_e32 v114, v110, v113
	v_sub_f32_e32 v33, v33, v113
	v_add_f32_e32 v109, v111, v30
	s_delay_alu instid0(VALU_DEP_3) | instskip(NEXT) | instid1(VALU_DEP_1)
	v_sub_f32_e32 v31, v31, v114
	v_add_f32_e32 v31, v33, v31
	s_delay_alu instid0(VALU_DEP_3) | instskip(NEXT) | instid1(VALU_DEP_2)
	v_sub_f32_e32 v33, v109, v111
	v_add_f32_e32 v31, v109, v31
	s_delay_alu instid0(VALU_DEP_2) | instskip(SKIP_1) | instid1(VALU_DEP_2)
	v_sub_f32_e32 v109, v109, v33
	v_sub_f32_e32 v30, v30, v33
	v_dual_add_f32 v112, v110, v31 :: v_dual_sub_f32 v109, v111, v109
	s_delay_alu instid0(VALU_DEP_1) | instskip(NEXT) | instid1(VALU_DEP_1)
	v_dual_sub_f32 v33, v112, v110 :: v_dual_add_f32 v30, v30, v109
	v_sub_f32_e32 v31, v31, v33
	s_delay_alu instid0(VALU_DEP_1) | instskip(NEXT) | instid1(VALU_DEP_1)
	v_add_f32_e32 v30, v30, v31
	v_add_f32_e32 v30, v112, v30
	s_delay_alu instid0(VALU_DEP_1)
	v_cndmask_b32_e32 v109, v30, v28, vcc_lo
.LBB150_80:                             ;   in Loop: Header=BB150_12 Depth=1
	s_or_b32 exec_lo, exec_lo, s29
	v_add_f32_e32 v110, s67, v29
	s_delay_alu instid0(VALU_DEP_1) | instskip(SKIP_1) | instid1(SALU_CYCLE_1)
	v_cmp_ge_f32_e32 vcc_lo, 0x41a00000, v110
	s_and_b32 s28, s80, vcc_lo
	s_and_saveexec_b32 s29, s28
	s_cbranch_execz .LBB150_82
; %bb.81:                               ;   in Loop: Header=BB150_12 Depth=1
	v_mul_f32_e32 v28, 0x3fb8aa3b, v110
	v_cmp_ngt_f32_e32 vcc_lo, 0xc2ce8ed0, v110
	s_delay_alu instid0(VALU_DEP_2) | instskip(SKIP_1) | instid1(VALU_DEP_2)
	v_rndne_f32_e32 v29, v28
	v_fma_f32 v30, 0x3fb8aa3b, v110, -v28
	v_sub_f32_e32 v28, v28, v29
	s_delay_alu instid0(VALU_DEP_2) | instskip(SKIP_1) | instid1(VALU_DEP_2)
	v_fmac_f32_e32 v30, 0x32a5705f, v110
	v_cvt_i32_f32_e32 v29, v29
	v_add_f32_e32 v28, v28, v30
	s_delay_alu instid0(VALU_DEP_1) | instskip(SKIP_2) | instid1(VALU_DEP_1)
	v_exp_f32_e32 v28, v28
	s_waitcnt_depctr 0xfff
	v_ldexp_f32 v28, v28, v29
	v_cndmask_b32_e32 v28, 0, v28, vcc_lo
	v_cmp_nlt_f32_e32 vcc_lo, 0x42b17218, v110
	s_delay_alu instid0(VALU_DEP_2) | instskip(NEXT) | instid1(VALU_DEP_1)
	v_cndmask_b32_e32 v30, 0x7f800000, v28, vcc_lo
	v_add_f32_e32 v31, 1.0, v30
	s_delay_alu instid0(VALU_DEP_1) | instskip(NEXT) | instid1(VALU_DEP_1)
	v_cvt_f64_f32_e32 v[28:29], v31
	v_frexp_exp_i32_f64_e32 v28, v[28:29]
	v_frexp_mant_f32_e32 v29, v31
	s_delay_alu instid0(VALU_DEP_1) | instskip(SKIP_1) | instid1(VALU_DEP_1)
	v_cmp_gt_f32_e32 vcc_lo, 0x3f2aaaab, v29
	v_add_f32_e32 v29, -1.0, v31
	v_dual_sub_f32 v110, v29, v31 :: v_dual_sub_f32 v29, v30, v29
	s_delay_alu instid0(VALU_DEP_1) | instskip(NEXT) | instid1(VALU_DEP_1)
	v_add_f32_e32 v110, 1.0, v110
	v_add_f32_e32 v29, v29, v110
	v_subrev_co_ci_u32_e32 v28, vcc_lo, 0, v28, vcc_lo
	s_delay_alu instid0(VALU_DEP_1) | instskip(SKIP_1) | instid1(VALU_DEP_2)
	v_sub_nc_u32_e32 v33, 0, v28
	v_cvt_f32_i32_e32 v28, v28
	v_ldexp_f32 v31, v31, v33
	v_ldexp_f32 v29, v29, v33
	s_delay_alu instid0(VALU_DEP_2) | instskip(SKIP_3) | instid1(VALU_DEP_4)
	v_add_f32_e32 v111, 1.0, v31
	v_add_f32_e32 v33, -1.0, v31
	v_cmp_eq_f32_e32 vcc_lo, 0x7f800000, v30
	v_cmp_gt_f32_e64 s28, 0x33800000, v30
	v_add_f32_e32 v110, -1.0, v111
	s_delay_alu instid0(VALU_DEP_4) | instskip(NEXT) | instid1(VALU_DEP_3)
	v_add_f32_e32 v112, 1.0, v33
	s_or_b32 vcc_lo, s28, vcc_lo
	s_delay_alu instid0(VALU_DEP_2) | instskip(NEXT) | instid1(VALU_DEP_1)
	v_sub_f32_e32 v110, v31, v110
	v_dual_sub_f32 v31, v31, v112 :: v_dual_add_f32 v110, v29, v110
	s_delay_alu instid0(VALU_DEP_1) | instskip(NEXT) | instid1(VALU_DEP_1)
	v_add_f32_e32 v29, v29, v31
	v_dual_add_f32 v113, v33, v29 :: v_dual_add_f32 v112, v111, v110
	s_delay_alu instid0(VALU_DEP_1) | instskip(NEXT) | instid1(VALU_DEP_2)
	v_sub_f32_e32 v33, v33, v113
	v_rcp_f32_e32 v31, v112
	v_sub_f32_e32 v111, v111, v112
	s_delay_alu instid0(VALU_DEP_1) | instskip(SKIP_2) | instid1(VALU_DEP_1)
	v_dual_add_f32 v110, v110, v111 :: v_dual_add_f32 v29, v29, v33
	s_waitcnt_depctr 0xfff
	v_mul_f32_e32 v114, v113, v31
	v_mul_f32_e32 v115, v112, v114
	s_delay_alu instid0(VALU_DEP_1) | instskip(NEXT) | instid1(VALU_DEP_1)
	v_fma_f32 v111, v114, v112, -v115
	v_fmac_f32_e32 v111, v114, v110
	s_delay_alu instid0(VALU_DEP_1) | instskip(NEXT) | instid1(VALU_DEP_1)
	v_add_f32_e32 v116, v115, v111
	v_sub_f32_e32 v117, v113, v116
	s_delay_alu instid0(VALU_DEP_1) | instskip(SKIP_1) | instid1(VALU_DEP_2)
	v_sub_f32_e32 v113, v113, v117
	v_sub_f32_e32 v33, v116, v115
	;; [unrolled: 1-line block ×3, first 2 shown]
	s_delay_alu instid0(VALU_DEP_2) | instskip(NEXT) | instid1(VALU_DEP_2)
	v_sub_f32_e32 v33, v33, v111
	v_add_f32_e32 v29, v29, v113
	s_delay_alu instid0(VALU_DEP_1) | instskip(NEXT) | instid1(VALU_DEP_1)
	v_add_f32_e32 v29, v33, v29
	v_add_f32_e32 v33, v117, v29
	s_delay_alu instid0(VALU_DEP_1) | instskip(NEXT) | instid1(VALU_DEP_1)
	v_mul_f32_e32 v111, v31, v33
	v_dual_sub_f32 v116, v117, v33 :: v_dual_mul_f32 v113, v112, v111
	s_delay_alu instid0(VALU_DEP_1) | instskip(NEXT) | instid1(VALU_DEP_2)
	v_add_f32_e32 v29, v29, v116
	v_fma_f32 v112, v111, v112, -v113
	s_delay_alu instid0(VALU_DEP_1) | instskip(NEXT) | instid1(VALU_DEP_1)
	v_fmac_f32_e32 v112, v111, v110
	v_add_f32_e32 v110, v113, v112
	s_delay_alu instid0(VALU_DEP_1) | instskip(NEXT) | instid1(VALU_DEP_1)
	v_sub_f32_e32 v115, v33, v110
	v_sub_f32_e32 v33, v33, v115
	s_delay_alu instid0(VALU_DEP_1) | instskip(NEXT) | instid1(VALU_DEP_1)
	v_sub_f32_e32 v33, v33, v110
	v_add_f32_e32 v29, v29, v33
	v_add_f32_e32 v33, v114, v111
	v_sub_f32_e32 v113, v110, v113
	s_delay_alu instid0(VALU_DEP_1) | instskip(NEXT) | instid1(VALU_DEP_1)
	v_sub_f32_e32 v110, v113, v112
	v_dual_add_f32 v29, v110, v29 :: v_dual_sub_f32 v110, v33, v114
	s_delay_alu instid0(VALU_DEP_1) | instskip(NEXT) | instid1(VALU_DEP_2)
	v_add_f32_e32 v29, v115, v29
	v_sub_f32_e32 v110, v111, v110
	s_delay_alu instid0(VALU_DEP_2) | instskip(NEXT) | instid1(VALU_DEP_1)
	v_mul_f32_e32 v29, v31, v29
	v_add_f32_e32 v29, v110, v29
	s_delay_alu instid0(VALU_DEP_1) | instskip(NEXT) | instid1(VALU_DEP_1)
	v_add_f32_e32 v31, v33, v29
	v_mul_f32_e32 v110, v31, v31
	s_delay_alu instid0(VALU_DEP_1) | instskip(SKIP_1) | instid1(VALU_DEP_2)
	v_fmaak_f32 v111, s84, v110, 0x3ecc95a3
	v_mul_f32_e32 v112, v31, v110
	v_fmaak_f32 v110, v110, v111, 0x3f2aaada
	v_ldexp_f32 v111, v31, 1
	s_delay_alu instid0(VALU_DEP_2) | instskip(NEXT) | instid1(VALU_DEP_1)
	v_dual_sub_f32 v31, v31, v33 :: v_dual_mul_f32 v110, v112, v110
	v_dual_mul_f32 v112, 0x3f317218, v28 :: v_dual_sub_f32 v29, v29, v31
	s_delay_alu instid0(VALU_DEP_2) | instskip(NEXT) | instid1(VALU_DEP_2)
	v_add_f32_e32 v33, v111, v110
	v_ldexp_f32 v29, v29, 1
	s_delay_alu instid0(VALU_DEP_2) | instskip(NEXT) | instid1(VALU_DEP_4)
	v_sub_f32_e32 v31, v33, v111
	v_fma_f32 v111, 0x3f317218, v28, -v112
	s_delay_alu instid0(VALU_DEP_2) | instskip(NEXT) | instid1(VALU_DEP_1)
	v_sub_f32_e32 v31, v110, v31
	v_dual_fmac_f32 v111, 0xb102e308, v28 :: v_dual_add_f32 v28, v29, v31
	s_delay_alu instid0(VALU_DEP_1) | instskip(NEXT) | instid1(VALU_DEP_2)
	v_add_f32_e32 v29, v112, v111
	v_add_f32_e32 v31, v33, v28
	s_delay_alu instid0(VALU_DEP_2) | instskip(NEXT) | instid1(VALU_DEP_2)
	v_sub_f32_e32 v112, v29, v112
	v_dual_add_f32 v110, v29, v31 :: v_dual_sub_f32 v33, v31, v33
	s_delay_alu instid0(VALU_DEP_2) | instskip(NEXT) | instid1(VALU_DEP_2)
	v_sub_f32_e32 v111, v111, v112
	v_sub_f32_e32 v113, v110, v29
	s_delay_alu instid0(VALU_DEP_3) | instskip(NEXT) | instid1(VALU_DEP_2)
	v_sub_f32_e32 v28, v28, v33
	v_sub_f32_e32 v114, v110, v113
	;; [unrolled: 1-line block ×3, first 2 shown]
	s_delay_alu instid0(VALU_DEP_3) | instskip(NEXT) | instid1(VALU_DEP_3)
	v_add_f32_e32 v33, v111, v28
	v_sub_f32_e32 v29, v29, v114
	s_delay_alu instid0(VALU_DEP_1) | instskip(NEXT) | instid1(VALU_DEP_3)
	v_add_f32_e32 v29, v31, v29
	v_sub_f32_e32 v31, v33, v111
	s_delay_alu instid0(VALU_DEP_2) | instskip(NEXT) | instid1(VALU_DEP_2)
	v_add_f32_e32 v29, v33, v29
	v_sub_f32_e32 v33, v33, v31
	v_sub_f32_e32 v28, v28, v31
	s_delay_alu instid0(VALU_DEP_3) | instskip(NEXT) | instid1(VALU_DEP_3)
	v_add_f32_e32 v112, v110, v29
	v_sub_f32_e32 v33, v111, v33
	s_delay_alu instid0(VALU_DEP_2) | instskip(NEXT) | instid1(VALU_DEP_1)
	v_sub_f32_e32 v31, v112, v110
	v_dual_add_f32 v28, v28, v33 :: v_dual_sub_f32 v29, v29, v31
	s_delay_alu instid0(VALU_DEP_1) | instskip(NEXT) | instid1(VALU_DEP_1)
	v_add_f32_e32 v28, v28, v29
	v_add_f32_e32 v28, v112, v28
	s_delay_alu instid0(VALU_DEP_1)
	v_cndmask_b32_e32 v110, v28, v30, vcc_lo
.LBB150_82:                             ;   in Loop: Header=BB150_12 Depth=1
	s_or_b32 exec_lo, exec_lo, s29
	s_waitcnt lgkmcnt(5)
	v_add_f32_e32 v111, s67, v26
	s_delay_alu instid0(VALU_DEP_1) | instskip(SKIP_1) | instid1(SALU_CYCLE_1)
	v_cmp_ge_f32_e32 vcc_lo, 0x41a00000, v111
	s_and_b32 s28, s80, vcc_lo
	s_and_saveexec_b32 s29, s28
	s_cbranch_execz .LBB150_84
; %bb.83:                               ;   in Loop: Header=BB150_12 Depth=1
	v_mul_f32_e32 v26, 0x3fb8aa3b, v111
	v_cmp_ngt_f32_e32 vcc_lo, 0xc2ce8ed0, v111
	s_delay_alu instid0(VALU_DEP_2) | instskip(SKIP_1) | instid1(VALU_DEP_1)
	v_rndne_f32_e32 v28, v26
	v_fma_f32 v29, 0x3fb8aa3b, v111, -v26
	v_dual_sub_f32 v26, v26, v28 :: v_dual_fmac_f32 v29, 0x32a5705f, v111
	v_cvt_i32_f32_e32 v28, v28
	s_delay_alu instid0(VALU_DEP_2) | instskip(NEXT) | instid1(VALU_DEP_1)
	v_add_f32_e32 v26, v26, v29
	v_exp_f32_e32 v26, v26
	s_waitcnt_depctr 0xfff
	v_ldexp_f32 v26, v26, v28
	s_delay_alu instid0(VALU_DEP_1) | instskip(SKIP_1) | instid1(VALU_DEP_2)
	v_cndmask_b32_e32 v26, 0, v26, vcc_lo
	v_cmp_nlt_f32_e32 vcc_lo, 0x42b17218, v111
	v_cndmask_b32_e32 v26, 0x7f800000, v26, vcc_lo
	s_delay_alu instid0(VALU_DEP_1) | instskip(NEXT) | instid1(VALU_DEP_1)
	v_add_f32_e32 v30, 1.0, v26
	v_cvt_f64_f32_e32 v[28:29], v30
	s_delay_alu instid0(VALU_DEP_1) | instskip(SKIP_1) | instid1(VALU_DEP_1)
	v_frexp_exp_i32_f64_e32 v28, v[28:29]
	v_frexp_mant_f32_e32 v29, v30
	v_cmp_gt_f32_e32 vcc_lo, 0x3f2aaaab, v29
	v_add_f32_e32 v29, -1.0, v30
	s_delay_alu instid0(VALU_DEP_1) | instskip(SKIP_1) | instid1(VALU_DEP_2)
	v_sub_f32_e32 v33, v29, v30
	v_sub_f32_e32 v29, v26, v29
	v_add_f32_e32 v33, 1.0, v33
	s_delay_alu instid0(VALU_DEP_1) | instskip(SKIP_3) | instid1(VALU_DEP_2)
	v_add_f32_e32 v29, v29, v33
	v_cmp_gt_f32_e64 s28, 0x33800000, v26
	v_subrev_co_ci_u32_e32 v28, vcc_lo, 0, v28, vcc_lo
	v_cmp_eq_f32_e32 vcc_lo, 0x7f800000, v26
	v_sub_nc_u32_e32 v31, 0, v28
	v_cvt_f32_i32_e32 v28, v28
	s_or_b32 vcc_lo, s28, vcc_lo
	s_delay_alu instid0(VALU_DEP_2) | instskip(SKIP_1) | instid1(VALU_DEP_2)
	v_ldexp_f32 v30, v30, v31
	v_ldexp_f32 v29, v29, v31
	v_add_f32_e32 v31, -1.0, v30
	s_delay_alu instid0(VALU_DEP_1) | instskip(NEXT) | instid1(VALU_DEP_1)
	v_dual_add_f32 v111, 1.0, v30 :: v_dual_add_f32 v112, 1.0, v31
	v_add_f32_e32 v33, -1.0, v111
	s_delay_alu instid0(VALU_DEP_1) | instskip(NEXT) | instid1(VALU_DEP_1)
	v_sub_f32_e32 v33, v30, v33
	v_dual_sub_f32 v30, v30, v112 :: v_dual_add_f32 v33, v29, v33
	s_delay_alu instid0(VALU_DEP_1) | instskip(NEXT) | instid1(VALU_DEP_1)
	v_add_f32_e32 v112, v111, v33
	v_sub_f32_e32 v111, v111, v112
	s_delay_alu instid0(VALU_DEP_1) | instskip(NEXT) | instid1(VALU_DEP_4)
	v_add_f32_e32 v33, v33, v111
	v_add_f32_e32 v29, v29, v30
	v_rcp_f32_e32 v30, v112
	s_delay_alu instid0(VALU_DEP_1) | instskip(SKIP_2) | instid1(VALU_DEP_1)
	v_add_f32_e32 v113, v31, v29
	s_waitcnt_depctr 0xfff
	v_dual_sub_f32 v31, v31, v113 :: v_dual_mul_f32 v114, v113, v30
	v_add_f32_e32 v29, v29, v31
	s_delay_alu instid0(VALU_DEP_2) | instskip(NEXT) | instid1(VALU_DEP_1)
	v_mul_f32_e32 v115, v112, v114
	v_fma_f32 v111, v114, v112, -v115
	s_delay_alu instid0(VALU_DEP_1) | instskip(NEXT) | instid1(VALU_DEP_1)
	v_fmac_f32_e32 v111, v114, v33
	v_add_f32_e32 v116, v115, v111
	s_delay_alu instid0(VALU_DEP_1) | instskip(SKIP_1) | instid1(VALU_DEP_2)
	v_sub_f32_e32 v117, v113, v116
	v_sub_f32_e32 v31, v116, v115
	;; [unrolled: 1-line block ×3, first 2 shown]
	s_delay_alu instid0(VALU_DEP_2) | instskip(NEXT) | instid1(VALU_DEP_2)
	v_sub_f32_e32 v31, v31, v111
	v_sub_f32_e32 v113, v113, v116
	s_delay_alu instid0(VALU_DEP_1) | instskip(NEXT) | instid1(VALU_DEP_1)
	v_add_f32_e32 v29, v29, v113
	v_add_f32_e32 v29, v31, v29
	s_delay_alu instid0(VALU_DEP_1) | instskip(NEXT) | instid1(VALU_DEP_1)
	v_add_f32_e32 v31, v117, v29
	v_mul_f32_e32 v111, v30, v31
	v_sub_f32_e32 v116, v117, v31
	s_delay_alu instid0(VALU_DEP_2) | instskip(NEXT) | instid1(VALU_DEP_2)
	v_mul_f32_e32 v113, v112, v111
	v_add_f32_e32 v29, v29, v116
	s_delay_alu instid0(VALU_DEP_2) | instskip(NEXT) | instid1(VALU_DEP_1)
	v_fma_f32 v112, v111, v112, -v113
	v_fmac_f32_e32 v112, v111, v33
	s_delay_alu instid0(VALU_DEP_1) | instskip(NEXT) | instid1(VALU_DEP_1)
	v_add_f32_e32 v33, v113, v112
	v_sub_f32_e32 v115, v31, v33
	v_sub_f32_e32 v113, v33, v113
	s_delay_alu instid0(VALU_DEP_2) | instskip(NEXT) | instid1(VALU_DEP_1)
	v_sub_f32_e32 v31, v31, v115
	v_sub_f32_e32 v31, v31, v33
	s_delay_alu instid0(VALU_DEP_3) | instskip(NEXT) | instid1(VALU_DEP_2)
	v_sub_f32_e32 v33, v113, v112
	v_add_f32_e32 v29, v29, v31
	v_add_f32_e32 v31, v114, v111
	s_delay_alu instid0(VALU_DEP_2) | instskip(NEXT) | instid1(VALU_DEP_2)
	v_add_f32_e32 v29, v33, v29
	v_sub_f32_e32 v33, v31, v114
	s_delay_alu instid0(VALU_DEP_2) | instskip(NEXT) | instid1(VALU_DEP_2)
	v_add_f32_e32 v29, v115, v29
	v_sub_f32_e32 v33, v111, v33
	s_delay_alu instid0(VALU_DEP_2) | instskip(NEXT) | instid1(VALU_DEP_1)
	v_mul_f32_e32 v29, v30, v29
	v_add_f32_e32 v29, v33, v29
	s_delay_alu instid0(VALU_DEP_1) | instskip(NEXT) | instid1(VALU_DEP_1)
	v_add_f32_e32 v30, v31, v29
	v_mul_f32_e32 v33, v30, v30
	s_delay_alu instid0(VALU_DEP_1) | instskip(NEXT) | instid1(VALU_DEP_1)
	v_fmaak_f32 v111, s84, v33, 0x3ecc95a3
	v_dual_mul_f32 v112, v30, v33 :: v_dual_fmaak_f32 v33, v33, v111, 0x3f2aaada
	v_ldexp_f32 v111, v30, 1
	s_delay_alu instid0(VALU_DEP_2) | instskip(NEXT) | instid1(VALU_DEP_1)
	v_dual_sub_f32 v30, v30, v31 :: v_dual_mul_f32 v33, v112, v33
	v_dual_mul_f32 v112, 0x3f317218, v28 :: v_dual_sub_f32 v29, v29, v30
	s_delay_alu instid0(VALU_DEP_2) | instskip(NEXT) | instid1(VALU_DEP_2)
	v_add_f32_e32 v31, v111, v33
	v_ldexp_f32 v29, v29, 1
	s_delay_alu instid0(VALU_DEP_2) | instskip(NEXT) | instid1(VALU_DEP_4)
	v_sub_f32_e32 v30, v31, v111
	v_fma_f32 v111, 0x3f317218, v28, -v112
	s_delay_alu instid0(VALU_DEP_1) | instskip(NEXT) | instid1(VALU_DEP_1)
	v_dual_sub_f32 v30, v33, v30 :: v_dual_fmac_f32 v111, 0xb102e308, v28
	v_dual_add_f32 v28, v29, v30 :: v_dual_add_f32 v29, v112, v111
	s_delay_alu instid0(VALU_DEP_1) | instskip(NEXT) | instid1(VALU_DEP_2)
	v_add_f32_e32 v30, v31, v28
	v_sub_f32_e32 v112, v29, v112
	s_delay_alu instid0(VALU_DEP_2) | instskip(SKIP_1) | instid1(VALU_DEP_3)
	v_add_f32_e32 v33, v29, v30
	v_sub_f32_e32 v31, v30, v31
	v_sub_f32_e32 v111, v111, v112
	s_delay_alu instid0(VALU_DEP_2) | instskip(NEXT) | instid1(VALU_DEP_1)
	v_dual_sub_f32 v113, v33, v29 :: v_dual_sub_f32 v28, v28, v31
	v_sub_f32_e32 v114, v33, v113
	s_delay_alu instid0(VALU_DEP_2) | instskip(NEXT) | instid1(VALU_DEP_2)
	v_dual_sub_f32 v30, v30, v113 :: v_dual_add_f32 v31, v111, v28
	v_sub_f32_e32 v29, v29, v114
	s_delay_alu instid0(VALU_DEP_1) | instskip(NEXT) | instid1(VALU_DEP_1)
	v_dual_add_f32 v29, v30, v29 :: v_dual_sub_f32 v30, v31, v111
	v_add_f32_e32 v29, v31, v29
	s_delay_alu instid0(VALU_DEP_2) | instskip(SKIP_1) | instid1(VALU_DEP_2)
	v_sub_f32_e32 v31, v31, v30
	v_sub_f32_e32 v28, v28, v30
	v_dual_add_f32 v112, v33, v29 :: v_dual_sub_f32 v31, v111, v31
	s_delay_alu instid0(VALU_DEP_1) | instskip(NEXT) | instid1(VALU_DEP_1)
	v_sub_f32_e32 v30, v112, v33
	v_dual_add_f32 v28, v28, v31 :: v_dual_sub_f32 v29, v29, v30
	s_delay_alu instid0(VALU_DEP_1) | instskip(NEXT) | instid1(VALU_DEP_1)
	v_add_f32_e32 v28, v28, v29
	v_add_f32_e32 v28, v112, v28
	s_delay_alu instid0(VALU_DEP_1)
	v_cndmask_b32_e32 v111, v28, v26, vcc_lo
.LBB150_84:                             ;   in Loop: Header=BB150_12 Depth=1
	s_or_b32 exec_lo, exec_lo, s29
	v_add_f32_e32 v112, s67, v27
	s_delay_alu instid0(VALU_DEP_1) | instskip(SKIP_1) | instid1(SALU_CYCLE_1)
	v_cmp_ge_f32_e32 vcc_lo, 0x41a00000, v112
	s_and_b32 s28, s80, vcc_lo
	s_and_saveexec_b32 s29, s28
	s_cbranch_execz .LBB150_86
; %bb.85:                               ;   in Loop: Header=BB150_12 Depth=1
	v_mul_f32_e32 v26, 0x3fb8aa3b, v112
	v_cmp_ngt_f32_e32 vcc_lo, 0xc2ce8ed0, v112
	s_delay_alu instid0(VALU_DEP_2) | instskip(SKIP_1) | instid1(VALU_DEP_2)
	v_rndne_f32_e32 v27, v26
	v_fma_f32 v28, 0x3fb8aa3b, v112, -v26
	v_sub_f32_e32 v26, v26, v27
	s_delay_alu instid0(VALU_DEP_2) | instskip(SKIP_1) | instid1(VALU_DEP_2)
	v_fmac_f32_e32 v28, 0x32a5705f, v112
	v_cvt_i32_f32_e32 v27, v27
	v_add_f32_e32 v26, v26, v28
	s_delay_alu instid0(VALU_DEP_1) | instskip(SKIP_2) | instid1(VALU_DEP_1)
	v_exp_f32_e32 v26, v26
	s_waitcnt_depctr 0xfff
	v_ldexp_f32 v26, v26, v27
	v_cndmask_b32_e32 v26, 0, v26, vcc_lo
	v_cmp_nlt_f32_e32 vcc_lo, 0x42b17218, v112
	s_delay_alu instid0(VALU_DEP_2) | instskip(NEXT) | instid1(VALU_DEP_1)
	v_cndmask_b32_e32 v28, 0x7f800000, v26, vcc_lo
	v_add_f32_e32 v29, 1.0, v28
	s_delay_alu instid0(VALU_DEP_1) | instskip(NEXT) | instid1(VALU_DEP_1)
	v_cvt_f64_f32_e32 v[26:27], v29
	v_frexp_exp_i32_f64_e32 v26, v[26:27]
	v_frexp_mant_f32_e32 v27, v29
	s_delay_alu instid0(VALU_DEP_1) | instskip(SKIP_1) | instid1(VALU_DEP_1)
	v_cmp_gt_f32_e32 vcc_lo, 0x3f2aaaab, v27
	v_add_f32_e32 v27, -1.0, v29
	v_sub_f32_e32 v31, v27, v29
	s_delay_alu instid0(VALU_DEP_1) | instskip(SKIP_1) | instid1(VALU_DEP_1)
	v_add_f32_e32 v31, 1.0, v31
	v_subrev_co_ci_u32_e32 v26, vcc_lo, 0, v26, vcc_lo
	v_sub_nc_u32_e32 v30, 0, v26
	v_cvt_f32_i32_e32 v26, v26
	s_delay_alu instid0(VALU_DEP_2) | instskip(NEXT) | instid1(VALU_DEP_1)
	v_ldexp_f32 v29, v29, v30
	v_add_f32_e32 v33, 1.0, v29
	v_sub_f32_e32 v27, v28, v27
	v_cmp_eq_f32_e32 vcc_lo, 0x7f800000, v28
	v_cmp_gt_f32_e64 s28, 0x33800000, v28
	s_delay_alu instid0(VALU_DEP_3) | instskip(NEXT) | instid1(VALU_DEP_2)
	v_add_f32_e32 v27, v27, v31
	s_or_b32 vcc_lo, s28, vcc_lo
	s_delay_alu instid0(VALU_DEP_1) | instskip(SKIP_1) | instid1(VALU_DEP_1)
	v_ldexp_f32 v27, v27, v30
	v_add_f32_e32 v30, -1.0, v29
	v_dual_add_f32 v31, -1.0, v33 :: v_dual_add_f32 v112, 1.0, v30
	s_delay_alu instid0(VALU_DEP_1) | instskip(NEXT) | instid1(VALU_DEP_2)
	v_sub_f32_e32 v31, v29, v31
	v_sub_f32_e32 v29, v29, v112
	s_delay_alu instid0(VALU_DEP_2) | instskip(NEXT) | instid1(VALU_DEP_1)
	v_add_f32_e32 v31, v27, v31
	v_dual_add_f32 v27, v27, v29 :: v_dual_add_f32 v112, v33, v31
	s_delay_alu instid0(VALU_DEP_1) | instskip(NEXT) | instid1(VALU_DEP_2)
	v_add_f32_e32 v113, v30, v27
	v_rcp_f32_e32 v29, v112
	s_delay_alu instid0(VALU_DEP_1) | instskip(SKIP_2) | instid1(VALU_DEP_1)
	v_sub_f32_e32 v30, v30, v113
	s_waitcnt_depctr 0xfff
	v_mul_f32_e32 v114, v113, v29
	v_mul_f32_e32 v115, v112, v114
	v_sub_f32_e32 v33, v33, v112
	s_delay_alu instid0(VALU_DEP_1) | instskip(NEXT) | instid1(VALU_DEP_3)
	v_add_f32_e32 v31, v31, v33
	v_fma_f32 v33, v114, v112, -v115
	v_add_f32_e32 v27, v27, v30
	s_delay_alu instid0(VALU_DEP_2) | instskip(NEXT) | instid1(VALU_DEP_1)
	v_fmac_f32_e32 v33, v114, v31
	v_add_f32_e32 v116, v115, v33
	s_delay_alu instid0(VALU_DEP_1) | instskip(NEXT) | instid1(VALU_DEP_1)
	v_dual_sub_f32 v117, v113, v116 :: v_dual_sub_f32 v30, v116, v115
	v_sub_f32_e32 v113, v113, v117
	s_delay_alu instid0(VALU_DEP_1) | instskip(NEXT) | instid1(VALU_DEP_1)
	v_dual_sub_f32 v30, v30, v33 :: v_dual_sub_f32 v113, v113, v116
	v_add_f32_e32 v27, v27, v113
	s_delay_alu instid0(VALU_DEP_1) | instskip(NEXT) | instid1(VALU_DEP_1)
	v_add_f32_e32 v27, v30, v27
	v_add_f32_e32 v30, v117, v27
	s_delay_alu instid0(VALU_DEP_1) | instskip(NEXT) | instid1(VALU_DEP_1)
	v_mul_f32_e32 v33, v29, v30
	v_dual_sub_f32 v116, v117, v30 :: v_dual_mul_f32 v113, v112, v33
	s_delay_alu instid0(VALU_DEP_1) | instskip(NEXT) | instid1(VALU_DEP_2)
	v_add_f32_e32 v27, v27, v116
	v_fma_f32 v112, v33, v112, -v113
	s_delay_alu instid0(VALU_DEP_1) | instskip(NEXT) | instid1(VALU_DEP_1)
	v_fmac_f32_e32 v112, v33, v31
	v_add_f32_e32 v31, v113, v112
	s_delay_alu instid0(VALU_DEP_1) | instskip(NEXT) | instid1(VALU_DEP_1)
	v_sub_f32_e32 v115, v30, v31
	v_dual_sub_f32 v113, v31, v113 :: v_dual_sub_f32 v30, v30, v115
	s_delay_alu instid0(VALU_DEP_1) | instskip(NEXT) | instid1(VALU_DEP_1)
	v_dual_sub_f32 v30, v30, v31 :: v_dual_sub_f32 v31, v113, v112
	v_dual_add_f32 v27, v27, v30 :: v_dual_add_f32 v30, v114, v33
	s_delay_alu instid0(VALU_DEP_1) | instskip(NEXT) | instid1(VALU_DEP_2)
	v_add_f32_e32 v27, v31, v27
	v_sub_f32_e32 v31, v30, v114
	s_delay_alu instid0(VALU_DEP_2) | instskip(NEXT) | instid1(VALU_DEP_2)
	v_add_f32_e32 v27, v115, v27
	v_sub_f32_e32 v31, v33, v31
	s_delay_alu instid0(VALU_DEP_2) | instskip(NEXT) | instid1(VALU_DEP_1)
	v_mul_f32_e32 v27, v29, v27
	v_add_f32_e32 v27, v31, v27
	s_delay_alu instid0(VALU_DEP_1) | instskip(NEXT) | instid1(VALU_DEP_1)
	v_add_f32_e32 v29, v30, v27
	v_mul_f32_e32 v31, v29, v29
	s_delay_alu instid0(VALU_DEP_1) | instskip(NEXT) | instid1(VALU_DEP_1)
	v_fmaak_f32 v33, s84, v31, 0x3ecc95a3
	v_dual_mul_f32 v112, v29, v31 :: v_dual_fmaak_f32 v31, v31, v33, 0x3f2aaada
	v_ldexp_f32 v33, v29, 1
	v_sub_f32_e32 v29, v29, v30
	s_delay_alu instid0(VALU_DEP_3) | instskip(NEXT) | instid1(VALU_DEP_1)
	v_dual_mul_f32 v31, v112, v31 :: v_dual_mul_f32 v112, 0x3f317218, v26
	v_dual_sub_f32 v27, v27, v29 :: v_dual_add_f32 v30, v33, v31
	s_delay_alu instid0(VALU_DEP_1) | instskip(NEXT) | instid1(VALU_DEP_2)
	v_ldexp_f32 v27, v27, 1
	v_sub_f32_e32 v29, v30, v33
	s_delay_alu instid0(VALU_DEP_4) | instskip(NEXT) | instid1(VALU_DEP_2)
	v_fma_f32 v33, 0x3f317218, v26, -v112
	v_sub_f32_e32 v29, v31, v29
	s_delay_alu instid0(VALU_DEP_1) | instskip(NEXT) | instid1(VALU_DEP_1)
	v_dual_fmac_f32 v33, 0xb102e308, v26 :: v_dual_add_f32 v26, v27, v29
	v_add_f32_e32 v27, v112, v33
	s_delay_alu instid0(VALU_DEP_1) | instskip(NEXT) | instid1(VALU_DEP_1)
	v_dual_add_f32 v29, v30, v26 :: v_dual_sub_f32 v112, v27, v112
	v_dual_add_f32 v31, v27, v29 :: v_dual_sub_f32 v30, v29, v30
	s_delay_alu instid0(VALU_DEP_2) | instskip(NEXT) | instid1(VALU_DEP_2)
	v_sub_f32_e32 v33, v33, v112
	v_dual_sub_f32 v113, v31, v27 :: v_dual_sub_f32 v26, v26, v30
	s_delay_alu instid0(VALU_DEP_1) | instskip(SKIP_1) | instid1(VALU_DEP_3)
	v_sub_f32_e32 v114, v31, v113
	v_sub_f32_e32 v29, v29, v113
	v_add_f32_e32 v30, v33, v26
	s_delay_alu instid0(VALU_DEP_3) | instskip(NEXT) | instid1(VALU_DEP_1)
	v_sub_f32_e32 v27, v27, v114
	v_add_f32_e32 v27, v29, v27
	s_delay_alu instid0(VALU_DEP_3) | instskip(NEXT) | instid1(VALU_DEP_2)
	v_sub_f32_e32 v29, v30, v33
	v_add_f32_e32 v27, v30, v27
	s_delay_alu instid0(VALU_DEP_2) | instskip(SKIP_1) | instid1(VALU_DEP_3)
	v_sub_f32_e32 v30, v30, v29
	v_sub_f32_e32 v26, v26, v29
	v_add_f32_e32 v112, v31, v27
	s_delay_alu instid0(VALU_DEP_1) | instskip(NEXT) | instid1(VALU_DEP_1)
	v_dual_sub_f32 v30, v33, v30 :: v_dual_sub_f32 v29, v112, v31
	v_dual_add_f32 v26, v26, v30 :: v_dual_sub_f32 v27, v27, v29
	s_delay_alu instid0(VALU_DEP_1) | instskip(NEXT) | instid1(VALU_DEP_1)
	v_add_f32_e32 v26, v26, v27
	v_add_f32_e32 v26, v112, v26
	s_delay_alu instid0(VALU_DEP_1)
	v_cndmask_b32_e32 v112, v26, v28, vcc_lo
.LBB150_86:                             ;   in Loop: Header=BB150_12 Depth=1
	s_or_b32 exec_lo, exec_lo, s29
	s_waitcnt lgkmcnt(4)
	v_add_f32_e32 v113, s67, v24
	s_delay_alu instid0(VALU_DEP_1) | instskip(SKIP_1) | instid1(SALU_CYCLE_1)
	v_cmp_ge_f32_e32 vcc_lo, 0x41a00000, v113
	s_and_b32 s28, s80, vcc_lo
	s_and_saveexec_b32 s29, s28
	s_cbranch_execz .LBB150_88
; %bb.87:                               ;   in Loop: Header=BB150_12 Depth=1
	v_mul_f32_e32 v24, 0x3fb8aa3b, v113
	v_cmp_ngt_f32_e32 vcc_lo, 0xc2ce8ed0, v113
	s_delay_alu instid0(VALU_DEP_2) | instskip(SKIP_1) | instid1(VALU_DEP_1)
	v_rndne_f32_e32 v26, v24
	v_fma_f32 v27, 0x3fb8aa3b, v113, -v24
	v_dual_sub_f32 v24, v24, v26 :: v_dual_fmac_f32 v27, 0x32a5705f, v113
	v_cvt_i32_f32_e32 v26, v26
	s_delay_alu instid0(VALU_DEP_2) | instskip(NEXT) | instid1(VALU_DEP_1)
	v_add_f32_e32 v24, v24, v27
	v_exp_f32_e32 v24, v24
	s_waitcnt_depctr 0xfff
	v_ldexp_f32 v24, v24, v26
	s_delay_alu instid0(VALU_DEP_1) | instskip(SKIP_1) | instid1(VALU_DEP_2)
	v_cndmask_b32_e32 v24, 0, v24, vcc_lo
	v_cmp_nlt_f32_e32 vcc_lo, 0x42b17218, v113
	v_cndmask_b32_e32 v24, 0x7f800000, v24, vcc_lo
	s_delay_alu instid0(VALU_DEP_1) | instskip(NEXT) | instid1(VALU_DEP_1)
	v_add_f32_e32 v28, 1.0, v24
	v_cvt_f64_f32_e32 v[26:27], v28
	s_delay_alu instid0(VALU_DEP_1) | instskip(SKIP_1) | instid1(VALU_DEP_1)
	v_frexp_exp_i32_f64_e32 v26, v[26:27]
	v_frexp_mant_f32_e32 v27, v28
	v_cmp_gt_f32_e32 vcc_lo, 0x3f2aaaab, v27
	v_add_f32_e32 v27, -1.0, v28
	s_delay_alu instid0(VALU_DEP_1) | instskip(SKIP_1) | instid1(VALU_DEP_1)
	v_dual_sub_f32 v30, v27, v28 :: v_dual_sub_f32 v27, v24, v27
	v_subrev_co_ci_u32_e32 v26, vcc_lo, 0, v26, vcc_lo
	v_sub_nc_u32_e32 v29, 0, v26
	v_cvt_f32_i32_e32 v26, v26
	s_delay_alu instid0(VALU_DEP_2) | instskip(NEXT) | instid1(VALU_DEP_1)
	v_ldexp_f32 v28, v28, v29
	v_dual_add_f32 v30, 1.0, v30 :: v_dual_add_f32 v31, 1.0, v28
	s_delay_alu instid0(VALU_DEP_1) | instskip(NEXT) | instid1(VALU_DEP_1)
	v_add_f32_e32 v27, v27, v30
	v_ldexp_f32 v27, v27, v29
	s_delay_alu instid0(VALU_DEP_3) | instskip(NEXT) | instid1(VALU_DEP_1)
	v_dual_add_f32 v29, -1.0, v28 :: v_dual_add_f32 v30, -1.0, v31
	v_dual_add_f32 v33, 1.0, v29 :: v_dual_sub_f32 v30, v28, v30
	v_cmp_eq_f32_e32 vcc_lo, 0x7f800000, v24
	v_cmp_gt_f32_e64 s28, 0x33800000, v24
	s_delay_alu instid0(VALU_DEP_3) | instskip(NEXT) | instid1(VALU_DEP_4)
	v_add_f32_e32 v30, v27, v30
	v_sub_f32_e32 v28, v28, v33
	s_delay_alu instid0(VALU_DEP_3) | instskip(NEXT) | instid1(VALU_DEP_2)
	s_or_b32 vcc_lo, s28, vcc_lo
	v_add_f32_e32 v33, v31, v30
	s_delay_alu instid0(VALU_DEP_2) | instskip(NEXT) | instid1(VALU_DEP_2)
	v_add_f32_e32 v27, v27, v28
	v_rcp_f32_e32 v28, v33
	s_delay_alu instid0(VALU_DEP_1) | instskip(SKIP_1) | instid1(VALU_DEP_1)
	v_add_f32_e32 v113, v29, v27
	v_sub_f32_e32 v31, v31, v33
	v_dual_sub_f32 v29, v29, v113 :: v_dual_add_f32 v30, v30, v31
	s_waitcnt_depctr 0xfff
	v_dual_mul_f32 v114, v113, v28 :: v_dual_add_f32 v27, v27, v29
	s_delay_alu instid0(VALU_DEP_1) | instskip(NEXT) | instid1(VALU_DEP_1)
	v_mul_f32_e32 v115, v33, v114
	v_fma_f32 v31, v114, v33, -v115
	s_delay_alu instid0(VALU_DEP_1) | instskip(NEXT) | instid1(VALU_DEP_1)
	v_fmac_f32_e32 v31, v114, v30
	v_add_f32_e32 v116, v115, v31
	s_delay_alu instid0(VALU_DEP_1) | instskip(NEXT) | instid1(VALU_DEP_1)
	v_sub_f32_e32 v117, v113, v116
	v_sub_f32_e32 v113, v113, v117
	;; [unrolled: 1-line block ×3, first 2 shown]
	s_delay_alu instid0(VALU_DEP_2) | instskip(NEXT) | instid1(VALU_DEP_2)
	v_sub_f32_e32 v113, v113, v116
	v_sub_f32_e32 v29, v29, v31
	s_delay_alu instid0(VALU_DEP_2) | instskip(NEXT) | instid1(VALU_DEP_1)
	v_add_f32_e32 v27, v27, v113
	v_add_f32_e32 v27, v29, v27
	s_delay_alu instid0(VALU_DEP_1) | instskip(NEXT) | instid1(VALU_DEP_1)
	v_add_f32_e32 v29, v117, v27
	v_mul_f32_e32 v31, v28, v29
	v_sub_f32_e32 v116, v117, v29
	s_delay_alu instid0(VALU_DEP_2) | instskip(NEXT) | instid1(VALU_DEP_2)
	v_mul_f32_e32 v113, v33, v31
	v_add_f32_e32 v27, v27, v116
	s_delay_alu instid0(VALU_DEP_2) | instskip(NEXT) | instid1(VALU_DEP_1)
	v_fma_f32 v33, v31, v33, -v113
	v_fmac_f32_e32 v33, v31, v30
	s_delay_alu instid0(VALU_DEP_1) | instskip(NEXT) | instid1(VALU_DEP_1)
	v_add_f32_e32 v30, v113, v33
	v_sub_f32_e32 v115, v29, v30
	v_sub_f32_e32 v113, v30, v113
	s_delay_alu instid0(VALU_DEP_2) | instskip(NEXT) | instid1(VALU_DEP_1)
	v_sub_f32_e32 v29, v29, v115
	v_sub_f32_e32 v29, v29, v30
	s_delay_alu instid0(VALU_DEP_3) | instskip(NEXT) | instid1(VALU_DEP_2)
	v_sub_f32_e32 v30, v113, v33
	v_add_f32_e32 v27, v27, v29
	v_add_f32_e32 v29, v114, v31
	s_delay_alu instid0(VALU_DEP_1) | instskip(NEXT) | instid1(VALU_DEP_1)
	v_dual_add_f32 v27, v30, v27 :: v_dual_sub_f32 v30, v29, v114
	v_add_f32_e32 v27, v115, v27
	s_delay_alu instid0(VALU_DEP_1) | instskip(NEXT) | instid1(VALU_DEP_1)
	v_dual_sub_f32 v30, v31, v30 :: v_dual_mul_f32 v27, v28, v27
	v_add_f32_e32 v27, v30, v27
	s_delay_alu instid0(VALU_DEP_1) | instskip(NEXT) | instid1(VALU_DEP_1)
	v_add_f32_e32 v28, v29, v27
	v_mul_f32_e32 v30, v28, v28
	s_delay_alu instid0(VALU_DEP_1) | instskip(NEXT) | instid1(VALU_DEP_1)
	v_fmaak_f32 v31, s84, v30, 0x3ecc95a3
	v_dual_mul_f32 v33, v28, v30 :: v_dual_fmaak_f32 v30, v30, v31, 0x3f2aaada
	v_ldexp_f32 v31, v28, 1
	v_sub_f32_e32 v28, v28, v29
	s_delay_alu instid0(VALU_DEP_3) | instskip(SKIP_1) | instid1(VALU_DEP_3)
	v_mul_f32_e32 v30, v33, v30
	v_mul_f32_e32 v33, 0x3f317218, v26
	v_sub_f32_e32 v27, v27, v28
	s_delay_alu instid0(VALU_DEP_3) | instskip(NEXT) | instid1(VALU_DEP_2)
	v_add_f32_e32 v29, v31, v30
	v_ldexp_f32 v27, v27, 1
	s_delay_alu instid0(VALU_DEP_2) | instskip(SKIP_1) | instid1(VALU_DEP_1)
	v_sub_f32_e32 v28, v29, v31
	v_fma_f32 v31, 0x3f317218, v26, -v33
	v_dual_sub_f32 v28, v30, v28 :: v_dual_fmac_f32 v31, 0xb102e308, v26
	s_delay_alu instid0(VALU_DEP_1) | instskip(NEXT) | instid1(VALU_DEP_1)
	v_dual_add_f32 v26, v27, v28 :: v_dual_add_f32 v27, v33, v31
	v_dual_add_f32 v28, v29, v26 :: v_dual_sub_f32 v33, v27, v33
	s_delay_alu instid0(VALU_DEP_1) | instskip(NEXT) | instid1(VALU_DEP_2)
	v_dual_add_f32 v30, v27, v28 :: v_dual_sub_f32 v29, v28, v29
	v_sub_f32_e32 v31, v31, v33
	s_delay_alu instid0(VALU_DEP_2) | instskip(NEXT) | instid1(VALU_DEP_3)
	v_sub_f32_e32 v113, v30, v27
	v_sub_f32_e32 v26, v26, v29
	s_delay_alu instid0(VALU_DEP_2) | instskip(NEXT) | instid1(VALU_DEP_2)
	v_sub_f32_e32 v114, v30, v113
	v_dual_sub_f32 v28, v28, v113 :: v_dual_add_f32 v29, v31, v26
	s_delay_alu instid0(VALU_DEP_2) | instskip(NEXT) | instid1(VALU_DEP_1)
	v_sub_f32_e32 v27, v27, v114
	v_add_f32_e32 v27, v28, v27
	s_delay_alu instid0(VALU_DEP_3) | instskip(NEXT) | instid1(VALU_DEP_2)
	v_sub_f32_e32 v28, v29, v31
	v_add_f32_e32 v27, v29, v27
	s_delay_alu instid0(VALU_DEP_2) | instskip(SKIP_1) | instid1(VALU_DEP_3)
	v_sub_f32_e32 v29, v29, v28
	v_sub_f32_e32 v26, v26, v28
	v_add_f32_e32 v33, v30, v27
	s_delay_alu instid0(VALU_DEP_1) | instskip(NEXT) | instid1(VALU_DEP_1)
	v_dual_sub_f32 v29, v31, v29 :: v_dual_sub_f32 v28, v33, v30
	v_dual_add_f32 v26, v26, v29 :: v_dual_sub_f32 v27, v27, v28
	s_delay_alu instid0(VALU_DEP_1) | instskip(NEXT) | instid1(VALU_DEP_1)
	v_add_f32_e32 v26, v26, v27
	v_add_f32_e32 v26, v33, v26
	s_delay_alu instid0(VALU_DEP_1)
	v_cndmask_b32_e32 v113, v26, v24, vcc_lo
.LBB150_88:                             ;   in Loop: Header=BB150_12 Depth=1
	s_or_b32 exec_lo, exec_lo, s29
	v_add_f32_e32 v114, s67, v25
	s_delay_alu instid0(VALU_DEP_1) | instskip(SKIP_1) | instid1(SALU_CYCLE_1)
	v_cmp_ge_f32_e32 vcc_lo, 0x41a00000, v114
	s_and_b32 s28, s80, vcc_lo
	s_and_saveexec_b32 s29, s28
	s_cbranch_execz .LBB150_90
; %bb.89:                               ;   in Loop: Header=BB150_12 Depth=1
	v_mul_f32_e32 v24, 0x3fb8aa3b, v114
	v_cmp_ngt_f32_e32 vcc_lo, 0xc2ce8ed0, v114
	s_delay_alu instid0(VALU_DEP_2) | instskip(SKIP_1) | instid1(VALU_DEP_2)
	v_rndne_f32_e32 v25, v24
	v_fma_f32 v26, 0x3fb8aa3b, v114, -v24
	v_sub_f32_e32 v24, v24, v25
	s_delay_alu instid0(VALU_DEP_2) | instskip(SKIP_1) | instid1(VALU_DEP_2)
	v_fmac_f32_e32 v26, 0x32a5705f, v114
	v_cvt_i32_f32_e32 v25, v25
	v_add_f32_e32 v24, v24, v26
	s_delay_alu instid0(VALU_DEP_1) | instskip(SKIP_2) | instid1(VALU_DEP_1)
	v_exp_f32_e32 v24, v24
	s_waitcnt_depctr 0xfff
	v_ldexp_f32 v24, v24, v25
	v_cndmask_b32_e32 v24, 0, v24, vcc_lo
	v_cmp_nlt_f32_e32 vcc_lo, 0x42b17218, v114
	s_delay_alu instid0(VALU_DEP_2) | instskip(NEXT) | instid1(VALU_DEP_1)
	v_cndmask_b32_e32 v26, 0x7f800000, v24, vcc_lo
	v_add_f32_e32 v27, 1.0, v26
	s_delay_alu instid0(VALU_DEP_1) | instskip(NEXT) | instid1(VALU_DEP_1)
	v_cvt_f64_f32_e32 v[24:25], v27
	v_frexp_exp_i32_f64_e32 v24, v[24:25]
	v_frexp_mant_f32_e32 v25, v27
	s_delay_alu instid0(VALU_DEP_1) | instskip(SKIP_1) | instid1(VALU_DEP_1)
	v_cmp_gt_f32_e32 vcc_lo, 0x3f2aaaab, v25
	v_add_f32_e32 v25, -1.0, v27
	v_sub_f32_e32 v29, v25, v27
	v_sub_f32_e32 v25, v26, v25
	s_delay_alu instid0(VALU_DEP_2) | instskip(NEXT) | instid1(VALU_DEP_1)
	v_add_f32_e32 v29, 1.0, v29
	v_add_f32_e32 v25, v25, v29
	v_cmp_gt_f32_e64 s28, 0x33800000, v26
	v_subrev_co_ci_u32_e32 v24, vcc_lo, 0, v24, vcc_lo
	v_cmp_eq_f32_e32 vcc_lo, 0x7f800000, v26
	s_delay_alu instid0(VALU_DEP_2) | instskip(SKIP_2) | instid1(VALU_DEP_2)
	v_sub_nc_u32_e32 v28, 0, v24
	v_cvt_f32_i32_e32 v24, v24
	s_or_b32 vcc_lo, s28, vcc_lo
	v_ldexp_f32 v27, v27, v28
	v_ldexp_f32 v25, v25, v28
	s_delay_alu instid0(VALU_DEP_2) | instskip(NEXT) | instid1(VALU_DEP_1)
	v_add_f32_e32 v30, 1.0, v27
	v_dual_add_f32 v28, -1.0, v27 :: v_dual_add_f32 v29, -1.0, v30
	s_delay_alu instid0(VALU_DEP_1) | instskip(NEXT) | instid1(VALU_DEP_2)
	v_add_f32_e32 v31, 1.0, v28
	v_sub_f32_e32 v29, v27, v29
	s_delay_alu instid0(VALU_DEP_2) | instskip(NEXT) | instid1(VALU_DEP_2)
	v_sub_f32_e32 v27, v27, v31
	v_add_f32_e32 v29, v25, v29
	s_delay_alu instid0(VALU_DEP_2) | instskip(NEXT) | instid1(VALU_DEP_2)
	v_add_f32_e32 v25, v25, v27
	v_add_f32_e32 v31, v30, v29
	s_delay_alu instid0(VALU_DEP_1) | instskip(NEXT) | instid1(VALU_DEP_2)
	v_rcp_f32_e32 v27, v31
	v_dual_add_f32 v33, v28, v25 :: v_dual_sub_f32 v30, v30, v31
	s_delay_alu instid0(VALU_DEP_1) | instskip(SKIP_3) | instid1(VALU_DEP_2)
	v_sub_f32_e32 v28, v28, v33
	s_waitcnt_depctr 0xfff
	v_mul_f32_e32 v114, v33, v27
	v_add_f32_e32 v25, v25, v28
	v_mul_f32_e32 v115, v31, v114
	v_add_f32_e32 v29, v29, v30
	s_delay_alu instid0(VALU_DEP_2) | instskip(NEXT) | instid1(VALU_DEP_1)
	v_fma_f32 v30, v114, v31, -v115
	v_fmac_f32_e32 v30, v114, v29
	s_delay_alu instid0(VALU_DEP_1) | instskip(NEXT) | instid1(VALU_DEP_1)
	v_add_f32_e32 v116, v115, v30
	v_dual_sub_f32 v28, v116, v115 :: v_dual_sub_f32 v117, v33, v116
	s_delay_alu instid0(VALU_DEP_1) | instskip(NEXT) | instid1(VALU_DEP_1)
	v_dual_sub_f32 v28, v28, v30 :: v_dual_sub_f32 v33, v33, v117
	v_sub_f32_e32 v33, v33, v116
	s_delay_alu instid0(VALU_DEP_1) | instskip(NEXT) | instid1(VALU_DEP_1)
	v_add_f32_e32 v25, v25, v33
	v_add_f32_e32 v25, v28, v25
	s_delay_alu instid0(VALU_DEP_1) | instskip(NEXT) | instid1(VALU_DEP_1)
	v_add_f32_e32 v28, v117, v25
	v_sub_f32_e32 v116, v117, v28
	v_mul_f32_e32 v30, v27, v28
	s_delay_alu instid0(VALU_DEP_2) | instskip(NEXT) | instid1(VALU_DEP_2)
	v_add_f32_e32 v25, v25, v116
	v_mul_f32_e32 v33, v31, v30
	s_delay_alu instid0(VALU_DEP_1) | instskip(NEXT) | instid1(VALU_DEP_1)
	v_fma_f32 v31, v30, v31, -v33
	v_fmac_f32_e32 v31, v30, v29
	s_delay_alu instid0(VALU_DEP_1) | instskip(NEXT) | instid1(VALU_DEP_1)
	v_add_f32_e32 v29, v33, v31
	v_sub_f32_e32 v115, v28, v29
	s_delay_alu instid0(VALU_DEP_1) | instskip(NEXT) | instid1(VALU_DEP_1)
	v_dual_sub_f32 v33, v29, v33 :: v_dual_sub_f32 v28, v28, v115
	v_dual_sub_f32 v28, v28, v29 :: v_dual_sub_f32 v29, v33, v31
	s_delay_alu instid0(VALU_DEP_1) | instskip(NEXT) | instid1(VALU_DEP_1)
	v_dual_add_f32 v25, v25, v28 :: v_dual_add_f32 v28, v114, v30
	v_add_f32_e32 v25, v29, v25
	s_delay_alu instid0(VALU_DEP_2) | instskip(NEXT) | instid1(VALU_DEP_2)
	v_sub_f32_e32 v29, v28, v114
	v_add_f32_e32 v25, v115, v25
	s_delay_alu instid0(VALU_DEP_2) | instskip(NEXT) | instid1(VALU_DEP_2)
	v_sub_f32_e32 v29, v30, v29
	v_mul_f32_e32 v25, v27, v25
	s_delay_alu instid0(VALU_DEP_1) | instskip(NEXT) | instid1(VALU_DEP_1)
	v_add_f32_e32 v25, v29, v25
	v_add_f32_e32 v27, v28, v25
	s_delay_alu instid0(VALU_DEP_1) | instskip(NEXT) | instid1(VALU_DEP_1)
	v_mul_f32_e32 v29, v27, v27
	v_fmaak_f32 v30, s84, v29, 0x3ecc95a3
	v_mul_f32_e32 v31, v27, v29
	s_delay_alu instid0(VALU_DEP_2) | instskip(SKIP_2) | instid1(VALU_DEP_3)
	v_fmaak_f32 v29, v29, v30, 0x3f2aaada
	v_ldexp_f32 v30, v27, 1
	v_sub_f32_e32 v27, v27, v28
	v_mul_f32_e32 v29, v31, v29
	v_mul_f32_e32 v31, 0x3f317218, v24
	s_delay_alu instid0(VALU_DEP_2) | instskip(NEXT) | instid1(VALU_DEP_1)
	v_dual_sub_f32 v25, v25, v27 :: v_dual_add_f32 v28, v30, v29
	v_ldexp_f32 v25, v25, 1
	s_delay_alu instid0(VALU_DEP_2) | instskip(NEXT) | instid1(VALU_DEP_4)
	v_sub_f32_e32 v27, v28, v30
	v_fma_f32 v30, 0x3f317218, v24, -v31
	s_delay_alu instid0(VALU_DEP_1) | instskip(NEXT) | instid1(VALU_DEP_1)
	v_dual_sub_f32 v27, v29, v27 :: v_dual_fmac_f32 v30, 0xb102e308, v24
	v_dual_add_f32 v24, v25, v27 :: v_dual_add_f32 v25, v31, v30
	s_delay_alu instid0(VALU_DEP_1) | instskip(NEXT) | instid1(VALU_DEP_2)
	v_add_f32_e32 v27, v28, v24
	v_sub_f32_e32 v31, v25, v31
	s_delay_alu instid0(VALU_DEP_2) | instskip(NEXT) | instid1(VALU_DEP_1)
	v_dual_add_f32 v29, v25, v27 :: v_dual_sub_f32 v28, v27, v28
	v_dual_sub_f32 v30, v30, v31 :: v_dual_sub_f32 v33, v29, v25
	s_delay_alu instid0(VALU_DEP_2) | instskip(NEXT) | instid1(VALU_DEP_2)
	v_sub_f32_e32 v24, v24, v28
	v_sub_f32_e32 v114, v29, v33
	s_delay_alu instid0(VALU_DEP_2) | instskip(NEXT) | instid1(VALU_DEP_2)
	v_dual_sub_f32 v27, v27, v33 :: v_dual_add_f32 v28, v30, v24
	v_sub_f32_e32 v25, v25, v114
	s_delay_alu instid0(VALU_DEP_1) | instskip(NEXT) | instid1(VALU_DEP_3)
	v_add_f32_e32 v25, v27, v25
	v_sub_f32_e32 v27, v28, v30
	s_delay_alu instid0(VALU_DEP_2) | instskip(NEXT) | instid1(VALU_DEP_2)
	v_add_f32_e32 v25, v28, v25
	v_sub_f32_e32 v28, v28, v27
	s_delay_alu instid0(VALU_DEP_2) | instskip(NEXT) | instid1(VALU_DEP_1)
	v_dual_sub_f32 v24, v24, v27 :: v_dual_add_f32 v31, v29, v25
	v_dual_sub_f32 v28, v30, v28 :: v_dual_sub_f32 v27, v31, v29
	s_delay_alu instid0(VALU_DEP_1) | instskip(NEXT) | instid1(VALU_DEP_1)
	v_dual_add_f32 v24, v24, v28 :: v_dual_sub_f32 v25, v25, v27
	v_add_f32_e32 v24, v24, v25
	s_delay_alu instid0(VALU_DEP_1) | instskip(NEXT) | instid1(VALU_DEP_1)
	v_add_f32_e32 v24, v31, v24
	v_cndmask_b32_e32 v114, v24, v26, vcc_lo
.LBB150_90:                             ;   in Loop: Header=BB150_12 Depth=1
	s_or_b32 exec_lo, exec_lo, s29
	s_waitcnt lgkmcnt(3)
	v_add_f32_e32 v115, s67, v22
	s_delay_alu instid0(VALU_DEP_1) | instskip(SKIP_1) | instid1(SALU_CYCLE_1)
	v_cmp_ge_f32_e32 vcc_lo, 0x41a00000, v115
	s_and_b32 s28, s80, vcc_lo
	s_and_saveexec_b32 s29, s28
	s_cbranch_execz .LBB150_92
; %bb.91:                               ;   in Loop: Header=BB150_12 Depth=1
	v_mul_f32_e32 v22, 0x3fb8aa3b, v115
	v_cmp_ngt_f32_e32 vcc_lo, 0xc2ce8ed0, v115
	s_delay_alu instid0(VALU_DEP_2) | instskip(SKIP_1) | instid1(VALU_DEP_1)
	v_rndne_f32_e32 v24, v22
	v_fma_f32 v25, 0x3fb8aa3b, v115, -v22
	v_dual_sub_f32 v22, v22, v24 :: v_dual_fmac_f32 v25, 0x32a5705f, v115
	v_cvt_i32_f32_e32 v24, v24
	s_delay_alu instid0(VALU_DEP_2) | instskip(NEXT) | instid1(VALU_DEP_1)
	v_add_f32_e32 v22, v22, v25
	v_exp_f32_e32 v22, v22
	s_waitcnt_depctr 0xfff
	v_ldexp_f32 v22, v22, v24
	s_delay_alu instid0(VALU_DEP_1) | instskip(SKIP_1) | instid1(VALU_DEP_2)
	v_cndmask_b32_e32 v22, 0, v22, vcc_lo
	v_cmp_nlt_f32_e32 vcc_lo, 0x42b17218, v115
	v_cndmask_b32_e32 v22, 0x7f800000, v22, vcc_lo
	s_delay_alu instid0(VALU_DEP_1) | instskip(NEXT) | instid1(VALU_DEP_1)
	v_add_f32_e32 v26, 1.0, v22
	v_cvt_f64_f32_e32 v[24:25], v26
	s_delay_alu instid0(VALU_DEP_1) | instskip(SKIP_1) | instid1(VALU_DEP_1)
	v_frexp_exp_i32_f64_e32 v24, v[24:25]
	v_frexp_mant_f32_e32 v25, v26
	v_cmp_gt_f32_e32 vcc_lo, 0x3f2aaaab, v25
	v_add_f32_e32 v25, -1.0, v26
	s_delay_alu instid0(VALU_DEP_1) | instskip(SKIP_1) | instid1(VALU_DEP_1)
	v_dual_sub_f32 v28, v25, v26 :: v_dual_sub_f32 v25, v22, v25
	v_subrev_co_ci_u32_e32 v24, vcc_lo, 0, v24, vcc_lo
	v_sub_nc_u32_e32 v27, 0, v24
	v_cvt_f32_i32_e32 v24, v24
	s_delay_alu instid0(VALU_DEP_2) | instskip(NEXT) | instid1(VALU_DEP_1)
	v_ldexp_f32 v26, v26, v27
	v_dual_add_f32 v28, 1.0, v28 :: v_dual_add_f32 v29, 1.0, v26
	s_delay_alu instid0(VALU_DEP_1) | instskip(NEXT) | instid1(VALU_DEP_1)
	v_add_f32_e32 v25, v25, v28
	v_ldexp_f32 v25, v25, v27
	s_delay_alu instid0(VALU_DEP_3) | instskip(NEXT) | instid1(VALU_DEP_1)
	v_dual_add_f32 v27, -1.0, v26 :: v_dual_add_f32 v28, -1.0, v29
	v_add_f32_e32 v30, 1.0, v27
	s_delay_alu instid0(VALU_DEP_2) | instskip(NEXT) | instid1(VALU_DEP_2)
	v_sub_f32_e32 v28, v26, v28
	v_sub_f32_e32 v26, v26, v30
	s_delay_alu instid0(VALU_DEP_2) | instskip(NEXT) | instid1(VALU_DEP_2)
	v_add_f32_e32 v28, v25, v28
	v_add_f32_e32 v25, v25, v26
	s_delay_alu instid0(VALU_DEP_1) | instskip(SKIP_2) | instid1(VALU_DEP_3)
	v_add_f32_e32 v31, v27, v25
	v_cmp_eq_f32_e32 vcc_lo, 0x7f800000, v22
	v_cmp_gt_f32_e64 s28, 0x33800000, v22
	v_dual_sub_f32 v27, v27, v31 :: v_dual_add_f32 v30, v29, v28
	s_delay_alu instid0(VALU_DEP_2) | instskip(NEXT) | instid1(VALU_DEP_1)
	s_or_b32 vcc_lo, s28, vcc_lo
	v_add_f32_e32 v25, v25, v27
	s_delay_alu instid0(VALU_DEP_2) | instskip(SKIP_3) | instid1(VALU_DEP_2)
	v_rcp_f32_e32 v26, v30
	s_waitcnt_depctr 0xfff
	v_mul_f32_e32 v33, v31, v26
	v_sub_f32_e32 v29, v29, v30
	v_mul_f32_e32 v115, v30, v33
	s_delay_alu instid0(VALU_DEP_2) | instskip(NEXT) | instid1(VALU_DEP_2)
	v_add_f32_e32 v28, v28, v29
	v_fma_f32 v29, v33, v30, -v115
	s_delay_alu instid0(VALU_DEP_1) | instskip(NEXT) | instid1(VALU_DEP_1)
	v_fmac_f32_e32 v29, v33, v28
	v_add_f32_e32 v116, v115, v29
	s_delay_alu instid0(VALU_DEP_1) | instskip(NEXT) | instid1(VALU_DEP_1)
	v_sub_f32_e32 v117, v31, v116
	v_sub_f32_e32 v31, v31, v117
	s_delay_alu instid0(VALU_DEP_1) | instskip(NEXT) | instid1(VALU_DEP_1)
	v_sub_f32_e32 v31, v31, v116
	v_add_f32_e32 v25, v25, v31
	v_sub_f32_e32 v27, v116, v115
	s_delay_alu instid0(VALU_DEP_1) | instskip(NEXT) | instid1(VALU_DEP_1)
	v_sub_f32_e32 v27, v27, v29
	v_add_f32_e32 v25, v27, v25
	s_delay_alu instid0(VALU_DEP_1) | instskip(NEXT) | instid1(VALU_DEP_1)
	v_add_f32_e32 v27, v117, v25
	v_mul_f32_e32 v29, v26, v27
	s_delay_alu instid0(VALU_DEP_1) | instskip(NEXT) | instid1(VALU_DEP_1)
	v_mul_f32_e32 v31, v30, v29
	v_fma_f32 v30, v29, v30, -v31
	s_delay_alu instid0(VALU_DEP_1) | instskip(NEXT) | instid1(VALU_DEP_1)
	v_fmac_f32_e32 v30, v29, v28
	v_add_f32_e32 v28, v31, v30
	s_delay_alu instid0(VALU_DEP_1) | instskip(NEXT) | instid1(VALU_DEP_1)
	v_dual_sub_f32 v116, v117, v27 :: v_dual_sub_f32 v115, v27, v28
	v_add_f32_e32 v25, v25, v116
	v_sub_f32_e32 v31, v28, v31
	s_delay_alu instid0(VALU_DEP_3) | instskip(NEXT) | instid1(VALU_DEP_1)
	v_sub_f32_e32 v27, v27, v115
	v_sub_f32_e32 v27, v27, v28
	s_delay_alu instid0(VALU_DEP_1) | instskip(SKIP_1) | instid1(VALU_DEP_2)
	v_dual_sub_f32 v28, v31, v30 :: v_dual_add_f32 v25, v25, v27
	v_add_f32_e32 v27, v33, v29
	v_add_f32_e32 v25, v28, v25
	s_delay_alu instid0(VALU_DEP_2) | instskip(NEXT) | instid1(VALU_DEP_1)
	v_sub_f32_e32 v28, v27, v33
	v_dual_add_f32 v25, v115, v25 :: v_dual_sub_f32 v28, v29, v28
	s_delay_alu instid0(VALU_DEP_1) | instskip(NEXT) | instid1(VALU_DEP_1)
	v_mul_f32_e32 v25, v26, v25
	v_add_f32_e32 v25, v28, v25
	s_delay_alu instid0(VALU_DEP_1) | instskip(NEXT) | instid1(VALU_DEP_1)
	v_add_f32_e32 v26, v27, v25
	v_mul_f32_e32 v28, v26, v26
	s_delay_alu instid0(VALU_DEP_1) | instskip(SKIP_1) | instid1(VALU_DEP_2)
	v_fmaak_f32 v29, s84, v28, 0x3ecc95a3
	v_mul_f32_e32 v30, v26, v28
	v_fmaak_f32 v28, v28, v29, 0x3f2aaada
	v_ldexp_f32 v29, v26, 1
	v_sub_f32_e32 v26, v26, v27
	s_delay_alu instid0(VALU_DEP_3) | instskip(SKIP_1) | instid1(VALU_DEP_2)
	v_mul_f32_e32 v28, v30, v28
	v_mul_f32_e32 v30, 0x3f317218, v24
	v_add_f32_e32 v27, v29, v28
	s_delay_alu instid0(VALU_DEP_1) | instskip(NEXT) | instid1(VALU_DEP_3)
	v_dual_sub_f32 v25, v25, v26 :: v_dual_sub_f32 v26, v27, v29
	v_fma_f32 v29, 0x3f317218, v24, -v30
	s_delay_alu instid0(VALU_DEP_2) | instskip(NEXT) | instid1(VALU_DEP_2)
	v_ldexp_f32 v25, v25, 1
	v_dual_sub_f32 v26, v28, v26 :: v_dual_fmac_f32 v29, 0xb102e308, v24
	s_delay_alu instid0(VALU_DEP_1) | instskip(NEXT) | instid1(VALU_DEP_1)
	v_dual_add_f32 v24, v25, v26 :: v_dual_add_f32 v25, v30, v29
	v_add_f32_e32 v26, v27, v24
	s_delay_alu instid0(VALU_DEP_2) | instskip(NEXT) | instid1(VALU_DEP_2)
	v_sub_f32_e32 v30, v25, v30
	v_dual_add_f32 v28, v25, v26 :: v_dual_sub_f32 v27, v26, v27
	s_delay_alu instid0(VALU_DEP_2) | instskip(NEXT) | instid1(VALU_DEP_2)
	v_sub_f32_e32 v29, v29, v30
	v_sub_f32_e32 v31, v28, v25
	s_delay_alu instid0(VALU_DEP_3) | instskip(NEXT) | instid1(VALU_DEP_1)
	v_sub_f32_e32 v24, v24, v27
	v_dual_sub_f32 v26, v26, v31 :: v_dual_add_f32 v27, v29, v24
	v_sub_f32_e32 v33, v28, v31
	s_delay_alu instid0(VALU_DEP_1) | instskip(NEXT) | instid1(VALU_DEP_1)
	v_sub_f32_e32 v25, v25, v33
	v_add_f32_e32 v25, v26, v25
	s_delay_alu instid0(VALU_DEP_4) | instskip(NEXT) | instid1(VALU_DEP_2)
	v_sub_f32_e32 v26, v27, v29
	v_add_f32_e32 v25, v27, v25
	s_delay_alu instid0(VALU_DEP_2) | instskip(SKIP_1) | instid1(VALU_DEP_2)
	v_sub_f32_e32 v27, v27, v26
	v_sub_f32_e32 v24, v24, v26
	v_dual_add_f32 v30, v28, v25 :: v_dual_sub_f32 v27, v29, v27
	s_delay_alu instid0(VALU_DEP_1) | instskip(NEXT) | instid1(VALU_DEP_1)
	v_sub_f32_e32 v26, v30, v28
	v_dual_add_f32 v24, v24, v27 :: v_dual_sub_f32 v25, v25, v26
	s_delay_alu instid0(VALU_DEP_1) | instskip(NEXT) | instid1(VALU_DEP_1)
	v_add_f32_e32 v24, v24, v25
	v_add_f32_e32 v24, v30, v24
	s_delay_alu instid0(VALU_DEP_1)
	v_cndmask_b32_e32 v115, v24, v22, vcc_lo
.LBB150_92:                             ;   in Loop: Header=BB150_12 Depth=1
	s_or_b32 exec_lo, exec_lo, s29
	v_add_f32_e32 v116, s67, v23
	s_delay_alu instid0(VALU_DEP_1) | instskip(SKIP_1) | instid1(SALU_CYCLE_1)
	v_cmp_ge_f32_e32 vcc_lo, 0x41a00000, v116
	s_and_b32 s28, s80, vcc_lo
	s_and_saveexec_b32 s29, s28
	s_cbranch_execz .LBB150_94
; %bb.93:                               ;   in Loop: Header=BB150_12 Depth=1
	v_mul_f32_e32 v22, 0x3fb8aa3b, v116
	v_cmp_ngt_f32_e32 vcc_lo, 0xc2ce8ed0, v116
	s_delay_alu instid0(VALU_DEP_2) | instskip(SKIP_1) | instid1(VALU_DEP_2)
	v_rndne_f32_e32 v23, v22
	v_fma_f32 v24, 0x3fb8aa3b, v116, -v22
	v_sub_f32_e32 v22, v22, v23
	s_delay_alu instid0(VALU_DEP_2) | instskip(SKIP_1) | instid1(VALU_DEP_2)
	v_fmac_f32_e32 v24, 0x32a5705f, v116
	v_cvt_i32_f32_e32 v23, v23
	v_add_f32_e32 v22, v22, v24
	s_delay_alu instid0(VALU_DEP_1) | instskip(SKIP_2) | instid1(VALU_DEP_1)
	v_exp_f32_e32 v22, v22
	s_waitcnt_depctr 0xfff
	v_ldexp_f32 v22, v22, v23
	v_cndmask_b32_e32 v22, 0, v22, vcc_lo
	v_cmp_nlt_f32_e32 vcc_lo, 0x42b17218, v116
	s_delay_alu instid0(VALU_DEP_2) | instskip(NEXT) | instid1(VALU_DEP_1)
	v_cndmask_b32_e32 v24, 0x7f800000, v22, vcc_lo
	v_add_f32_e32 v25, 1.0, v24
	s_delay_alu instid0(VALU_DEP_1) | instskip(NEXT) | instid1(VALU_DEP_1)
	v_cvt_f64_f32_e32 v[22:23], v25
	v_frexp_exp_i32_f64_e32 v22, v[22:23]
	v_frexp_mant_f32_e32 v23, v25
	s_delay_alu instid0(VALU_DEP_1) | instskip(SKIP_1) | instid1(VALU_DEP_1)
	v_cmp_gt_f32_e32 vcc_lo, 0x3f2aaaab, v23
	v_add_f32_e32 v23, -1.0, v25
	v_sub_f32_e32 v27, v23, v25
	v_sub_f32_e32 v23, v24, v23
	s_delay_alu instid0(VALU_DEP_2) | instskip(NEXT) | instid1(VALU_DEP_1)
	v_add_f32_e32 v27, 1.0, v27
	v_add_f32_e32 v23, v23, v27
	v_cmp_gt_f32_e64 s28, 0x33800000, v24
	v_subrev_co_ci_u32_e32 v22, vcc_lo, 0, v22, vcc_lo
	v_cmp_eq_f32_e32 vcc_lo, 0x7f800000, v24
	s_delay_alu instid0(VALU_DEP_2) | instskip(SKIP_2) | instid1(VALU_DEP_2)
	v_sub_nc_u32_e32 v26, 0, v22
	v_cvt_f32_i32_e32 v22, v22
	s_or_b32 vcc_lo, s28, vcc_lo
	v_ldexp_f32 v25, v25, v26
	v_ldexp_f32 v23, v23, v26
	s_delay_alu instid0(VALU_DEP_2) | instskip(NEXT) | instid1(VALU_DEP_1)
	v_add_f32_e32 v28, 1.0, v25
	v_dual_add_f32 v26, -1.0, v25 :: v_dual_add_f32 v27, -1.0, v28
	s_delay_alu instid0(VALU_DEP_1) | instskip(NEXT) | instid1(VALU_DEP_2)
	v_add_f32_e32 v29, 1.0, v26
	v_sub_f32_e32 v27, v25, v27
	s_delay_alu instid0(VALU_DEP_2) | instskip(NEXT) | instid1(VALU_DEP_2)
	v_sub_f32_e32 v25, v25, v29
	v_add_f32_e32 v27, v23, v27
	s_delay_alu instid0(VALU_DEP_2) | instskip(NEXT) | instid1(VALU_DEP_2)
	v_add_f32_e32 v23, v23, v25
	v_add_f32_e32 v29, v28, v27
	s_delay_alu instid0(VALU_DEP_2) | instskip(NEXT) | instid1(VALU_DEP_2)
	v_add_f32_e32 v30, v26, v23
	v_rcp_f32_e32 v25, v29
	v_sub_f32_e32 v28, v28, v29
	s_delay_alu instid0(VALU_DEP_2) | instskip(SKIP_2) | instid1(VALU_DEP_1)
	v_sub_f32_e32 v26, v26, v30
	s_waitcnt_depctr 0xfff
	v_mul_f32_e32 v31, v30, v25
	v_mul_f32_e32 v33, v29, v31
	v_add_f32_e32 v27, v27, v28
	s_delay_alu instid0(VALU_DEP_2) | instskip(NEXT) | instid1(VALU_DEP_1)
	v_fma_f32 v28, v31, v29, -v33
	v_fmac_f32_e32 v28, v31, v27
	s_delay_alu instid0(VALU_DEP_1) | instskip(NEXT) | instid1(VALU_DEP_1)
	v_add_f32_e32 v116, v33, v28
	v_sub_f32_e32 v117, v30, v116
	s_delay_alu instid0(VALU_DEP_1) | instskip(SKIP_1) | instid1(VALU_DEP_2)
	v_dual_sub_f32 v30, v30, v117 :: v_dual_add_f32 v23, v23, v26
	v_sub_f32_e32 v26, v116, v33
	v_sub_f32_e32 v30, v30, v116
	s_delay_alu instid0(VALU_DEP_1) | instskip(NEXT) | instid1(VALU_DEP_1)
	v_dual_sub_f32 v26, v26, v28 :: v_dual_add_f32 v23, v23, v30
	v_add_f32_e32 v23, v26, v23
	s_delay_alu instid0(VALU_DEP_1) | instskip(NEXT) | instid1(VALU_DEP_1)
	v_add_f32_e32 v26, v117, v23
	v_mul_f32_e32 v28, v25, v26
	v_sub_f32_e32 v116, v117, v26
	s_delay_alu instid0(VALU_DEP_2) | instskip(NEXT) | instid1(VALU_DEP_2)
	v_mul_f32_e32 v30, v29, v28
	v_add_f32_e32 v23, v23, v116
	s_delay_alu instid0(VALU_DEP_2) | instskip(NEXT) | instid1(VALU_DEP_1)
	v_fma_f32 v29, v28, v29, -v30
	v_fmac_f32_e32 v29, v28, v27
	s_delay_alu instid0(VALU_DEP_1) | instskip(NEXT) | instid1(VALU_DEP_1)
	v_add_f32_e32 v27, v30, v29
	v_sub_f32_e32 v33, v26, v27
	s_delay_alu instid0(VALU_DEP_1) | instskip(NEXT) | instid1(VALU_DEP_1)
	v_sub_f32_e32 v26, v26, v33
	v_sub_f32_e32 v26, v26, v27
	s_delay_alu instid0(VALU_DEP_1) | instskip(SKIP_2) | instid1(VALU_DEP_1)
	v_add_f32_e32 v23, v23, v26
	v_add_f32_e32 v26, v31, v28
	v_sub_f32_e32 v30, v27, v30
	v_sub_f32_e32 v27, v30, v29
	s_delay_alu instid0(VALU_DEP_1) | instskip(NEXT) | instid1(VALU_DEP_4)
	v_add_f32_e32 v23, v27, v23
	v_sub_f32_e32 v27, v26, v31
	s_delay_alu instid0(VALU_DEP_2) | instskip(NEXT) | instid1(VALU_DEP_2)
	v_add_f32_e32 v23, v33, v23
	v_sub_f32_e32 v27, v28, v27
	s_delay_alu instid0(VALU_DEP_2) | instskip(NEXT) | instid1(VALU_DEP_1)
	v_mul_f32_e32 v23, v25, v23
	v_add_f32_e32 v23, v27, v23
	s_delay_alu instid0(VALU_DEP_1) | instskip(NEXT) | instid1(VALU_DEP_1)
	v_add_f32_e32 v25, v26, v23
	v_mul_f32_e32 v27, v25, v25
	s_delay_alu instid0(VALU_DEP_1) | instskip(SKIP_1) | instid1(VALU_DEP_2)
	v_fmaak_f32 v28, s84, v27, 0x3ecc95a3
	v_mul_f32_e32 v29, v25, v27
	v_fmaak_f32 v27, v27, v28, 0x3f2aaada
	v_ldexp_f32 v28, v25, 1
	s_delay_alu instid0(VALU_DEP_2) | instskip(SKIP_1) | instid1(VALU_DEP_2)
	v_mul_f32_e32 v27, v29, v27
	v_sub_f32_e32 v25, v25, v26
	v_dual_mul_f32 v29, 0x3f317218, v22 :: v_dual_add_f32 v26, v28, v27
	s_delay_alu instid0(VALU_DEP_2) | instskip(NEXT) | instid1(VALU_DEP_2)
	v_sub_f32_e32 v23, v23, v25
	v_sub_f32_e32 v25, v26, v28
	s_delay_alu instid0(VALU_DEP_3) | instskip(NEXT) | instid1(VALU_DEP_3)
	v_fma_f32 v28, 0x3f317218, v22, -v29
	v_ldexp_f32 v23, v23, 1
	s_delay_alu instid0(VALU_DEP_2) | instskip(NEXT) | instid1(VALU_DEP_1)
	v_dual_sub_f32 v25, v27, v25 :: v_dual_fmac_f32 v28, 0xb102e308, v22
	v_dual_add_f32 v22, v23, v25 :: v_dual_add_f32 v23, v29, v28
	s_delay_alu instid0(VALU_DEP_1) | instskip(NEXT) | instid1(VALU_DEP_1)
	v_add_f32_e32 v25, v26, v22
	v_dual_add_f32 v27, v23, v25 :: v_dual_sub_f32 v26, v25, v26
	s_delay_alu instid0(VALU_DEP_1) | instskip(NEXT) | instid1(VALU_DEP_2)
	v_sub_f32_e32 v30, v27, v23
	v_dual_sub_f32 v29, v23, v29 :: v_dual_sub_f32 v22, v22, v26
	s_delay_alu instid0(VALU_DEP_1) | instskip(SKIP_1) | instid1(VALU_DEP_2)
	v_dual_sub_f32 v31, v27, v30 :: v_dual_sub_f32 v28, v28, v29
	v_sub_f32_e32 v25, v25, v30
	v_dual_sub_f32 v23, v23, v31 :: v_dual_add_f32 v26, v28, v22
	s_delay_alu instid0(VALU_DEP_1) | instskip(NEXT) | instid1(VALU_DEP_2)
	v_add_f32_e32 v23, v25, v23
	v_sub_f32_e32 v25, v26, v28
	s_delay_alu instid0(VALU_DEP_2) | instskip(NEXT) | instid1(VALU_DEP_2)
	v_add_f32_e32 v23, v26, v23
	v_sub_f32_e32 v26, v26, v25
	s_delay_alu instid0(VALU_DEP_2) | instskip(NEXT) | instid1(VALU_DEP_1)
	v_dual_sub_f32 v22, v22, v25 :: v_dual_add_f32 v29, v27, v23
	v_dual_sub_f32 v26, v28, v26 :: v_dual_sub_f32 v25, v29, v27
	s_delay_alu instid0(VALU_DEP_1) | instskip(NEXT) | instid1(VALU_DEP_1)
	v_dual_add_f32 v22, v22, v26 :: v_dual_sub_f32 v23, v23, v25
	v_add_f32_e32 v22, v22, v23
	s_delay_alu instid0(VALU_DEP_1) | instskip(NEXT) | instid1(VALU_DEP_1)
	v_add_f32_e32 v22, v29, v22
	v_cndmask_b32_e32 v116, v22, v24, vcc_lo
.LBB150_94:                             ;   in Loop: Header=BB150_12 Depth=1
	s_or_b32 exec_lo, exec_lo, s29
	s_waitcnt lgkmcnt(2)
	v_add_f32_e32 v117, s67, v20
	s_delay_alu instid0(VALU_DEP_1) | instskip(SKIP_1) | instid1(SALU_CYCLE_1)
	v_cmp_ge_f32_e32 vcc_lo, 0x41a00000, v117
	s_and_b32 s28, s80, vcc_lo
	s_and_saveexec_b32 s29, s28
	s_cbranch_execz .LBB150_96
; %bb.95:                               ;   in Loop: Header=BB150_12 Depth=1
	v_mul_f32_e32 v20, 0x3fb8aa3b, v117
	v_cmp_ngt_f32_e32 vcc_lo, 0xc2ce8ed0, v117
	s_delay_alu instid0(VALU_DEP_2) | instskip(SKIP_1) | instid1(VALU_DEP_1)
	v_rndne_f32_e32 v22, v20
	v_fma_f32 v23, 0x3fb8aa3b, v117, -v20
	v_dual_sub_f32 v20, v20, v22 :: v_dual_fmac_f32 v23, 0x32a5705f, v117
	v_cvt_i32_f32_e32 v22, v22
	s_delay_alu instid0(VALU_DEP_2) | instskip(NEXT) | instid1(VALU_DEP_1)
	v_add_f32_e32 v20, v20, v23
	v_exp_f32_e32 v20, v20
	s_waitcnt_depctr 0xfff
	v_ldexp_f32 v20, v20, v22
	s_delay_alu instid0(VALU_DEP_1) | instskip(SKIP_1) | instid1(VALU_DEP_2)
	v_cndmask_b32_e32 v20, 0, v20, vcc_lo
	v_cmp_nlt_f32_e32 vcc_lo, 0x42b17218, v117
	v_cndmask_b32_e32 v20, 0x7f800000, v20, vcc_lo
	s_delay_alu instid0(VALU_DEP_1) | instskip(NEXT) | instid1(VALU_DEP_1)
	v_add_f32_e32 v24, 1.0, v20
	v_cvt_f64_f32_e32 v[22:23], v24
	s_delay_alu instid0(VALU_DEP_1) | instskip(SKIP_1) | instid1(VALU_DEP_1)
	v_frexp_exp_i32_f64_e32 v22, v[22:23]
	v_frexp_mant_f32_e32 v23, v24
	v_cmp_gt_f32_e32 vcc_lo, 0x3f2aaaab, v23
	v_add_f32_e32 v23, -1.0, v24
	s_delay_alu instid0(VALU_DEP_1) | instskip(SKIP_1) | instid1(VALU_DEP_1)
	v_dual_sub_f32 v26, v23, v24 :: v_dual_sub_f32 v23, v20, v23
	v_subrev_co_ci_u32_e32 v22, vcc_lo, 0, v22, vcc_lo
	v_sub_nc_u32_e32 v25, 0, v22
	v_cvt_f32_i32_e32 v22, v22
	s_delay_alu instid0(VALU_DEP_2) | instskip(NEXT) | instid1(VALU_DEP_1)
	v_ldexp_f32 v24, v24, v25
	v_dual_add_f32 v26, 1.0, v26 :: v_dual_add_f32 v27, 1.0, v24
	s_delay_alu instid0(VALU_DEP_1) | instskip(NEXT) | instid1(VALU_DEP_1)
	v_add_f32_e32 v23, v23, v26
	v_ldexp_f32 v23, v23, v25
	s_delay_alu instid0(VALU_DEP_3) | instskip(NEXT) | instid1(VALU_DEP_1)
	v_dual_add_f32 v25, -1.0, v24 :: v_dual_add_f32 v26, -1.0, v27
	v_add_f32_e32 v28, 1.0, v25
	s_delay_alu instid0(VALU_DEP_2) | instskip(NEXT) | instid1(VALU_DEP_2)
	v_sub_f32_e32 v26, v24, v26
	v_sub_f32_e32 v24, v24, v28
	s_delay_alu instid0(VALU_DEP_2) | instskip(NEXT) | instid1(VALU_DEP_2)
	v_add_f32_e32 v26, v23, v26
	v_add_f32_e32 v23, v23, v24
	s_delay_alu instid0(VALU_DEP_1) | instskip(SKIP_2) | instid1(VALU_DEP_3)
	v_dual_add_f32 v29, v25, v23 :: v_dual_add_f32 v28, v27, v26
	v_cmp_eq_f32_e32 vcc_lo, 0x7f800000, v20
	v_cmp_gt_f32_e64 s28, 0x33800000, v20
	v_sub_f32_e32 v25, v25, v29
	s_delay_alu instid0(VALU_DEP_4) | instskip(SKIP_1) | instid1(VALU_DEP_3)
	v_rcp_f32_e32 v24, v28
	v_sub_f32_e32 v27, v27, v28
	s_or_b32 vcc_lo, s28, vcc_lo
	s_delay_alu instid0(VALU_DEP_1) | instskip(SKIP_2) | instid1(VALU_DEP_1)
	v_dual_add_f32 v23, v23, v25 :: v_dual_add_f32 v26, v26, v27
	s_waitcnt_depctr 0xfff
	v_mul_f32_e32 v30, v29, v24
	v_mul_f32_e32 v31, v28, v30
	s_delay_alu instid0(VALU_DEP_1) | instskip(NEXT) | instid1(VALU_DEP_1)
	v_fma_f32 v27, v30, v28, -v31
	v_fmac_f32_e32 v27, v30, v26
	s_delay_alu instid0(VALU_DEP_1) | instskip(NEXT) | instid1(VALU_DEP_1)
	v_add_f32_e32 v33, v31, v27
	v_sub_f32_e32 v117, v29, v33
	s_delay_alu instid0(VALU_DEP_1) | instskip(SKIP_1) | instid1(VALU_DEP_2)
	v_sub_f32_e32 v29, v29, v117
	v_sub_f32_e32 v25, v33, v31
	;; [unrolled: 1-line block ×3, first 2 shown]
	s_delay_alu instid0(VALU_DEP_2) | instskip(NEXT) | instid1(VALU_DEP_2)
	v_sub_f32_e32 v25, v25, v27
	v_add_f32_e32 v23, v23, v29
	s_delay_alu instid0(VALU_DEP_1) | instskip(NEXT) | instid1(VALU_DEP_1)
	v_add_f32_e32 v23, v25, v23
	v_add_f32_e32 v25, v117, v23
	s_delay_alu instid0(VALU_DEP_1) | instskip(SKIP_1) | instid1(VALU_DEP_2)
	v_mul_f32_e32 v27, v24, v25
	v_sub_f32_e32 v33, v117, v25
	v_mul_f32_e32 v29, v28, v27
	s_delay_alu instid0(VALU_DEP_2) | instskip(NEXT) | instid1(VALU_DEP_2)
	v_add_f32_e32 v23, v23, v33
	v_fma_f32 v28, v27, v28, -v29
	s_delay_alu instid0(VALU_DEP_1) | instskip(NEXT) | instid1(VALU_DEP_1)
	v_fmac_f32_e32 v28, v27, v26
	v_add_f32_e32 v26, v29, v28
	s_delay_alu instid0(VALU_DEP_1) | instskip(SKIP_1) | instid1(VALU_DEP_2)
	v_sub_f32_e32 v31, v25, v26
	v_sub_f32_e32 v29, v26, v29
	;; [unrolled: 1-line block ×3, first 2 shown]
	s_delay_alu instid0(VALU_DEP_1) | instskip(NEXT) | instid1(VALU_DEP_1)
	v_sub_f32_e32 v25, v25, v26
	v_dual_sub_f32 v26, v29, v28 :: v_dual_add_f32 v23, v23, v25
	v_add_f32_e32 v25, v30, v27
	s_delay_alu instid0(VALU_DEP_1) | instskip(NEXT) | instid1(VALU_DEP_1)
	v_dual_add_f32 v23, v26, v23 :: v_dual_sub_f32 v26, v25, v30
	v_add_f32_e32 v23, v31, v23
	s_delay_alu instid0(VALU_DEP_1) | instskip(NEXT) | instid1(VALU_DEP_1)
	v_dual_sub_f32 v26, v27, v26 :: v_dual_mul_f32 v23, v24, v23
	v_add_f32_e32 v23, v26, v23
	s_delay_alu instid0(VALU_DEP_1) | instskip(NEXT) | instid1(VALU_DEP_1)
	v_add_f32_e32 v24, v25, v23
	v_mul_f32_e32 v26, v24, v24
	s_delay_alu instid0(VALU_DEP_1) | instskip(SKIP_1) | instid1(VALU_DEP_2)
	v_fmaak_f32 v27, s84, v26, 0x3ecc95a3
	v_mul_f32_e32 v28, v24, v26
	v_fmaak_f32 v26, v26, v27, 0x3f2aaada
	v_ldexp_f32 v27, v24, 1
	v_sub_f32_e32 v24, v24, v25
	s_delay_alu instid0(VALU_DEP_3) | instskip(NEXT) | instid1(VALU_DEP_2)
	v_mul_f32_e32 v26, v28, v26
	v_dual_mul_f32 v28, 0x3f317218, v22 :: v_dual_sub_f32 v23, v23, v24
	s_delay_alu instid0(VALU_DEP_2) | instskip(NEXT) | instid1(VALU_DEP_2)
	v_add_f32_e32 v25, v27, v26
	v_ldexp_f32 v23, v23, 1
	s_delay_alu instid0(VALU_DEP_2) | instskip(NEXT) | instid1(VALU_DEP_4)
	v_sub_f32_e32 v24, v25, v27
	v_fma_f32 v27, 0x3f317218, v22, -v28
	s_delay_alu instid0(VALU_DEP_1) | instskip(NEXT) | instid1(VALU_DEP_1)
	v_dual_sub_f32 v24, v26, v24 :: v_dual_fmac_f32 v27, 0xb102e308, v22
	v_dual_add_f32 v22, v23, v24 :: v_dual_add_f32 v23, v28, v27
	s_delay_alu instid0(VALU_DEP_1) | instskip(NEXT) | instid1(VALU_DEP_2)
	v_add_f32_e32 v24, v25, v22
	v_sub_f32_e32 v28, v23, v28
	s_delay_alu instid0(VALU_DEP_2) | instskip(NEXT) | instid1(VALU_DEP_2)
	v_dual_add_f32 v26, v23, v24 :: v_dual_sub_f32 v25, v24, v25
	v_sub_f32_e32 v27, v27, v28
	s_delay_alu instid0(VALU_DEP_2) | instskip(NEXT) | instid1(VALU_DEP_3)
	v_sub_f32_e32 v29, v26, v23
	v_sub_f32_e32 v22, v22, v25
	s_delay_alu instid0(VALU_DEP_2) | instskip(NEXT) | instid1(VALU_DEP_2)
	v_sub_f32_e32 v30, v26, v29
	v_dual_sub_f32 v24, v24, v29 :: v_dual_add_f32 v25, v27, v22
	s_delay_alu instid0(VALU_DEP_2) | instskip(NEXT) | instid1(VALU_DEP_1)
	v_sub_f32_e32 v23, v23, v30
	v_add_f32_e32 v23, v24, v23
	s_delay_alu instid0(VALU_DEP_3) | instskip(NEXT) | instid1(VALU_DEP_2)
	v_sub_f32_e32 v24, v25, v27
	v_add_f32_e32 v23, v25, v23
	s_delay_alu instid0(VALU_DEP_2) | instskip(SKIP_1) | instid1(VALU_DEP_2)
	v_sub_f32_e32 v25, v25, v24
	v_sub_f32_e32 v22, v22, v24
	v_dual_add_f32 v28, v26, v23 :: v_dual_sub_f32 v25, v27, v25
	s_delay_alu instid0(VALU_DEP_1) | instskip(NEXT) | instid1(VALU_DEP_1)
	v_sub_f32_e32 v24, v28, v26
	v_dual_add_f32 v22, v22, v25 :: v_dual_sub_f32 v23, v23, v24
	s_delay_alu instid0(VALU_DEP_1) | instskip(NEXT) | instid1(VALU_DEP_1)
	v_add_f32_e32 v22, v22, v23
	v_add_f32_e32 v22, v28, v22
	s_delay_alu instid0(VALU_DEP_1)
	v_cndmask_b32_e32 v117, v22, v20, vcc_lo
.LBB150_96:                             ;   in Loop: Header=BB150_12 Depth=1
	s_or_b32 exec_lo, exec_lo, s29
	v_add_f32_e32 v118, s67, v21
	s_delay_alu instid0(VALU_DEP_1) | instskip(SKIP_1) | instid1(SALU_CYCLE_1)
	v_cmp_ge_f32_e32 vcc_lo, 0x41a00000, v118
	s_and_b32 s28, s80, vcc_lo
	s_and_saveexec_b32 s29, s28
	s_cbranch_execz .LBB150_98
; %bb.97:                               ;   in Loop: Header=BB150_12 Depth=1
	v_mul_f32_e32 v20, 0x3fb8aa3b, v118
	v_cmp_ngt_f32_e32 vcc_lo, 0xc2ce8ed0, v118
	s_delay_alu instid0(VALU_DEP_2) | instskip(SKIP_1) | instid1(VALU_DEP_2)
	v_rndne_f32_e32 v21, v20
	v_fma_f32 v22, 0x3fb8aa3b, v118, -v20
	v_sub_f32_e32 v20, v20, v21
	s_delay_alu instid0(VALU_DEP_2) | instskip(SKIP_1) | instid1(VALU_DEP_2)
	v_fmac_f32_e32 v22, 0x32a5705f, v118
	v_cvt_i32_f32_e32 v21, v21
	v_add_f32_e32 v20, v20, v22
	s_delay_alu instid0(VALU_DEP_1) | instskip(SKIP_2) | instid1(VALU_DEP_1)
	v_exp_f32_e32 v20, v20
	s_waitcnt_depctr 0xfff
	v_ldexp_f32 v20, v20, v21
	v_cndmask_b32_e32 v20, 0, v20, vcc_lo
	v_cmp_nlt_f32_e32 vcc_lo, 0x42b17218, v118
	s_delay_alu instid0(VALU_DEP_2) | instskip(NEXT) | instid1(VALU_DEP_1)
	v_cndmask_b32_e32 v22, 0x7f800000, v20, vcc_lo
	v_add_f32_e32 v23, 1.0, v22
	s_delay_alu instid0(VALU_DEP_1) | instskip(NEXT) | instid1(VALU_DEP_1)
	v_cvt_f64_f32_e32 v[20:21], v23
	v_frexp_exp_i32_f64_e32 v20, v[20:21]
	v_frexp_mant_f32_e32 v21, v23
	s_delay_alu instid0(VALU_DEP_1) | instskip(SKIP_1) | instid1(VALU_DEP_1)
	v_cmp_gt_f32_e32 vcc_lo, 0x3f2aaaab, v21
	v_add_f32_e32 v21, -1.0, v23
	v_sub_f32_e32 v25, v21, v23
	v_sub_f32_e32 v21, v22, v21
	s_delay_alu instid0(VALU_DEP_2) | instskip(NEXT) | instid1(VALU_DEP_1)
	v_add_f32_e32 v25, 1.0, v25
	v_add_f32_e32 v21, v21, v25
	v_cmp_gt_f32_e64 s28, 0x33800000, v22
	v_subrev_co_ci_u32_e32 v20, vcc_lo, 0, v20, vcc_lo
	v_cmp_eq_f32_e32 vcc_lo, 0x7f800000, v22
	s_delay_alu instid0(VALU_DEP_2) | instskip(SKIP_2) | instid1(VALU_DEP_2)
	v_sub_nc_u32_e32 v24, 0, v20
	v_cvt_f32_i32_e32 v20, v20
	s_or_b32 vcc_lo, s28, vcc_lo
	v_ldexp_f32 v23, v23, v24
	v_ldexp_f32 v21, v21, v24
	s_delay_alu instid0(VALU_DEP_2) | instskip(NEXT) | instid1(VALU_DEP_1)
	v_add_f32_e32 v26, 1.0, v23
	v_dual_add_f32 v24, -1.0, v23 :: v_dual_add_f32 v25, -1.0, v26
	s_delay_alu instid0(VALU_DEP_1) | instskip(NEXT) | instid1(VALU_DEP_2)
	v_add_f32_e32 v27, 1.0, v24
	v_sub_f32_e32 v25, v23, v25
	s_delay_alu instid0(VALU_DEP_2) | instskip(NEXT) | instid1(VALU_DEP_2)
	v_sub_f32_e32 v23, v23, v27
	v_add_f32_e32 v25, v21, v25
	s_delay_alu instid0(VALU_DEP_2) | instskip(NEXT) | instid1(VALU_DEP_1)
	v_add_f32_e32 v21, v21, v23
	v_add_f32_e32 v28, v24, v21
	s_delay_alu instid0(VALU_DEP_1) | instskip(NEXT) | instid1(VALU_DEP_1)
	v_dual_add_f32 v27, v26, v25 :: v_dual_sub_f32 v24, v24, v28
	v_rcp_f32_e32 v23, v27
	v_sub_f32_e32 v26, v26, v27
	s_delay_alu instid0(VALU_DEP_1) | instskip(SKIP_2) | instid1(VALU_DEP_1)
	v_add_f32_e32 v25, v25, v26
	s_waitcnt_depctr 0xfff
	v_mul_f32_e32 v29, v28, v23
	v_mul_f32_e32 v30, v27, v29
	s_delay_alu instid0(VALU_DEP_1) | instskip(NEXT) | instid1(VALU_DEP_1)
	v_fma_f32 v26, v29, v27, -v30
	v_fmac_f32_e32 v26, v29, v25
	s_delay_alu instid0(VALU_DEP_1) | instskip(NEXT) | instid1(VALU_DEP_1)
	v_add_f32_e32 v31, v30, v26
	v_sub_f32_e32 v33, v28, v31
	s_delay_alu instid0(VALU_DEP_1) | instskip(SKIP_1) | instid1(VALU_DEP_2)
	v_dual_sub_f32 v28, v28, v33 :: v_dual_add_f32 v21, v21, v24
	v_sub_f32_e32 v24, v31, v30
	v_sub_f32_e32 v28, v28, v31
	s_delay_alu instid0(VALU_DEP_1) | instskip(NEXT) | instid1(VALU_DEP_1)
	v_dual_sub_f32 v24, v24, v26 :: v_dual_add_f32 v21, v21, v28
	v_add_f32_e32 v21, v24, v21
	s_delay_alu instid0(VALU_DEP_1) | instskip(NEXT) | instid1(VALU_DEP_1)
	v_add_f32_e32 v24, v33, v21
	v_mul_f32_e32 v26, v23, v24
	s_delay_alu instid0(VALU_DEP_1) | instskip(NEXT) | instid1(VALU_DEP_1)
	v_dual_sub_f32 v31, v33, v24 :: v_dual_mul_f32 v28, v27, v26
	v_fma_f32 v27, v26, v27, -v28
	s_delay_alu instid0(VALU_DEP_1) | instskip(NEXT) | instid1(VALU_DEP_1)
	v_fmac_f32_e32 v27, v26, v25
	v_add_f32_e32 v25, v28, v27
	s_delay_alu instid0(VALU_DEP_1) | instskip(NEXT) | instid1(VALU_DEP_1)
	v_sub_f32_e32 v30, v24, v25
	v_dual_sub_f32 v24, v24, v30 :: v_dual_add_f32 v21, v21, v31
	s_delay_alu instid0(VALU_DEP_1) | instskip(NEXT) | instid1(VALU_DEP_1)
	v_sub_f32_e32 v24, v24, v25
	v_add_f32_e32 v21, v21, v24
	v_add_f32_e32 v24, v29, v26
	v_sub_f32_e32 v28, v25, v28
	s_delay_alu instid0(VALU_DEP_1) | instskip(NEXT) | instid1(VALU_DEP_1)
	v_sub_f32_e32 v25, v28, v27
	v_add_f32_e32 v21, v25, v21
	s_delay_alu instid0(VALU_DEP_4) | instskip(NEXT) | instid1(VALU_DEP_2)
	v_sub_f32_e32 v25, v24, v29
	v_add_f32_e32 v21, v30, v21
	s_delay_alu instid0(VALU_DEP_2) | instskip(NEXT) | instid1(VALU_DEP_2)
	v_sub_f32_e32 v25, v26, v25
	v_mul_f32_e32 v21, v23, v21
	s_delay_alu instid0(VALU_DEP_1) | instskip(NEXT) | instid1(VALU_DEP_1)
	v_add_f32_e32 v21, v25, v21
	v_add_f32_e32 v23, v24, v21
	s_delay_alu instid0(VALU_DEP_1) | instskip(NEXT) | instid1(VALU_DEP_1)
	v_mul_f32_e32 v25, v23, v23
	v_fmaak_f32 v26, s84, v25, 0x3ecc95a3
	v_mul_f32_e32 v27, v23, v25
	s_delay_alu instid0(VALU_DEP_2) | instskip(SKIP_1) | instid1(VALU_DEP_2)
	v_fmaak_f32 v25, v25, v26, 0x3f2aaada
	v_ldexp_f32 v26, v23, 1
	v_mul_f32_e32 v25, v27, v25
	v_sub_f32_e32 v23, v23, v24
	s_delay_alu instid0(VALU_DEP_2) | instskip(NEXT) | instid1(VALU_DEP_2)
	v_dual_mul_f32 v27, 0x3f317218, v20 :: v_dual_add_f32 v24, v26, v25
	v_sub_f32_e32 v21, v21, v23
	s_delay_alu instid0(VALU_DEP_2) | instskip(NEXT) | instid1(VALU_DEP_3)
	v_sub_f32_e32 v23, v24, v26
	v_fma_f32 v26, 0x3f317218, v20, -v27
	s_delay_alu instid0(VALU_DEP_3) | instskip(NEXT) | instid1(VALU_DEP_2)
	v_ldexp_f32 v21, v21, 1
	v_dual_sub_f32 v23, v25, v23 :: v_dual_fmac_f32 v26, 0xb102e308, v20
	s_delay_alu instid0(VALU_DEP_1) | instskip(NEXT) | instid1(VALU_DEP_1)
	v_dual_add_f32 v20, v21, v23 :: v_dual_add_f32 v21, v27, v26
	v_add_f32_e32 v23, v24, v20
	s_delay_alu instid0(VALU_DEP_1) | instskip(NEXT) | instid1(VALU_DEP_1)
	v_dual_add_f32 v25, v21, v23 :: v_dual_sub_f32 v24, v23, v24
	v_sub_f32_e32 v28, v25, v21
	s_delay_alu instid0(VALU_DEP_2) | instskip(NEXT) | instid1(VALU_DEP_1)
	v_dual_sub_f32 v27, v21, v27 :: v_dual_sub_f32 v20, v20, v24
	v_dual_sub_f32 v29, v25, v28 :: v_dual_sub_f32 v26, v26, v27
	v_sub_f32_e32 v23, v23, v28
	s_delay_alu instid0(VALU_DEP_2) | instskip(NEXT) | instid1(VALU_DEP_1)
	v_dual_sub_f32 v21, v21, v29 :: v_dual_add_f32 v24, v26, v20
	v_add_f32_e32 v21, v23, v21
	s_delay_alu instid0(VALU_DEP_2) | instskip(NEXT) | instid1(VALU_DEP_2)
	v_sub_f32_e32 v23, v24, v26
	v_add_f32_e32 v21, v24, v21
	s_delay_alu instid0(VALU_DEP_2) | instskip(NEXT) | instid1(VALU_DEP_2)
	v_sub_f32_e32 v24, v24, v23
	v_dual_sub_f32 v20, v20, v23 :: v_dual_add_f32 v27, v25, v21
	s_delay_alu instid0(VALU_DEP_1) | instskip(NEXT) | instid1(VALU_DEP_1)
	v_dual_sub_f32 v24, v26, v24 :: v_dual_sub_f32 v23, v27, v25
	v_dual_add_f32 v20, v20, v24 :: v_dual_sub_f32 v21, v21, v23
	s_delay_alu instid0(VALU_DEP_1) | instskip(NEXT) | instid1(VALU_DEP_1)
	v_add_f32_e32 v20, v20, v21
	v_add_f32_e32 v20, v27, v20
	s_delay_alu instid0(VALU_DEP_1)
	v_cndmask_b32_e32 v118, v20, v22, vcc_lo
.LBB150_98:                             ;   in Loop: Header=BB150_12 Depth=1
	s_or_b32 exec_lo, exec_lo, s29
	s_waitcnt lgkmcnt(1)
	v_add_f32_e32 v119, s67, v18
	s_delay_alu instid0(VALU_DEP_1) | instskip(SKIP_1) | instid1(SALU_CYCLE_1)
	v_cmp_ge_f32_e32 vcc_lo, 0x41a00000, v119
	s_and_b32 s28, s80, vcc_lo
	s_and_saveexec_b32 s29, s28
	s_cbranch_execz .LBB150_100
; %bb.99:                               ;   in Loop: Header=BB150_12 Depth=1
	v_mul_f32_e32 v18, 0x3fb8aa3b, v119
	v_cmp_ngt_f32_e32 vcc_lo, 0xc2ce8ed0, v119
	s_delay_alu instid0(VALU_DEP_2) | instskip(SKIP_1) | instid1(VALU_DEP_1)
	v_rndne_f32_e32 v20, v18
	v_fma_f32 v21, 0x3fb8aa3b, v119, -v18
	v_dual_sub_f32 v18, v18, v20 :: v_dual_fmac_f32 v21, 0x32a5705f, v119
	v_cvt_i32_f32_e32 v20, v20
	s_delay_alu instid0(VALU_DEP_2) | instskip(NEXT) | instid1(VALU_DEP_1)
	v_add_f32_e32 v18, v18, v21
	v_exp_f32_e32 v18, v18
	s_waitcnt_depctr 0xfff
	v_ldexp_f32 v18, v18, v20
	s_delay_alu instid0(VALU_DEP_1) | instskip(SKIP_1) | instid1(VALU_DEP_2)
	v_cndmask_b32_e32 v18, 0, v18, vcc_lo
	v_cmp_nlt_f32_e32 vcc_lo, 0x42b17218, v119
	v_cndmask_b32_e32 v18, 0x7f800000, v18, vcc_lo
	s_delay_alu instid0(VALU_DEP_1) | instskip(NEXT) | instid1(VALU_DEP_1)
	v_add_f32_e32 v22, 1.0, v18
	v_cvt_f64_f32_e32 v[20:21], v22
	s_delay_alu instid0(VALU_DEP_1) | instskip(SKIP_1) | instid1(VALU_DEP_1)
	v_frexp_exp_i32_f64_e32 v20, v[20:21]
	v_frexp_mant_f32_e32 v21, v22
	v_cmp_gt_f32_e32 vcc_lo, 0x3f2aaaab, v21
	v_add_f32_e32 v21, -1.0, v22
	s_delay_alu instid0(VALU_DEP_1) | instskip(SKIP_1) | instid1(VALU_DEP_1)
	v_dual_sub_f32 v24, v21, v22 :: v_dual_sub_f32 v21, v18, v21
	v_subrev_co_ci_u32_e32 v20, vcc_lo, 0, v20, vcc_lo
	v_sub_nc_u32_e32 v23, 0, v20
	v_cvt_f32_i32_e32 v20, v20
	s_delay_alu instid0(VALU_DEP_2) | instskip(NEXT) | instid1(VALU_DEP_1)
	v_ldexp_f32 v22, v22, v23
	v_dual_add_f32 v24, 1.0, v24 :: v_dual_add_f32 v25, 1.0, v22
	s_delay_alu instid0(VALU_DEP_1) | instskip(NEXT) | instid1(VALU_DEP_1)
	v_add_f32_e32 v21, v21, v24
	v_ldexp_f32 v21, v21, v23
	s_delay_alu instid0(VALU_DEP_3) | instskip(NEXT) | instid1(VALU_DEP_1)
	v_dual_add_f32 v23, -1.0, v22 :: v_dual_add_f32 v24, -1.0, v25
	v_add_f32_e32 v26, 1.0, v23
	s_delay_alu instid0(VALU_DEP_2) | instskip(NEXT) | instid1(VALU_DEP_2)
	v_sub_f32_e32 v24, v22, v24
	v_sub_f32_e32 v22, v22, v26
	s_delay_alu instid0(VALU_DEP_2) | instskip(NEXT) | instid1(VALU_DEP_2)
	v_add_f32_e32 v24, v21, v24
	v_add_f32_e32 v21, v21, v22
	s_delay_alu instid0(VALU_DEP_1) | instskip(SKIP_2) | instid1(VALU_DEP_3)
	v_dual_add_f32 v27, v23, v21 :: v_dual_add_f32 v26, v25, v24
	v_cmp_eq_f32_e32 vcc_lo, 0x7f800000, v18
	v_cmp_gt_f32_e64 s28, 0x33800000, v18
	v_sub_f32_e32 v23, v23, v27
	s_delay_alu instid0(VALU_DEP_4) | instskip(SKIP_1) | instid1(VALU_DEP_3)
	v_rcp_f32_e32 v22, v26
	v_sub_f32_e32 v25, v25, v26
	s_or_b32 vcc_lo, s28, vcc_lo
	s_delay_alu instid0(VALU_DEP_1) | instskip(SKIP_2) | instid1(VALU_DEP_1)
	v_dual_add_f32 v21, v21, v23 :: v_dual_add_f32 v24, v24, v25
	s_waitcnt_depctr 0xfff
	v_mul_f32_e32 v28, v27, v22
	v_mul_f32_e32 v29, v26, v28
	s_delay_alu instid0(VALU_DEP_1) | instskip(NEXT) | instid1(VALU_DEP_1)
	v_fma_f32 v25, v28, v26, -v29
	v_fmac_f32_e32 v25, v28, v24
	s_delay_alu instid0(VALU_DEP_1) | instskip(NEXT) | instid1(VALU_DEP_1)
	v_add_f32_e32 v30, v29, v25
	v_sub_f32_e32 v31, v27, v30
	s_delay_alu instid0(VALU_DEP_1) | instskip(NEXT) | instid1(VALU_DEP_1)
	v_sub_f32_e32 v27, v27, v31
	v_sub_f32_e32 v27, v27, v30
	;; [unrolled: 1-line block ×3, first 2 shown]
	s_delay_alu instid0(VALU_DEP_2) | instskip(NEXT) | instid1(VALU_DEP_2)
	v_add_f32_e32 v21, v21, v27
	v_sub_f32_e32 v23, v23, v25
	s_delay_alu instid0(VALU_DEP_1) | instskip(NEXT) | instid1(VALU_DEP_1)
	v_add_f32_e32 v21, v23, v21
	v_add_f32_e32 v23, v31, v21
	s_delay_alu instid0(VALU_DEP_1) | instskip(NEXT) | instid1(VALU_DEP_1)
	v_mul_f32_e32 v25, v22, v23
	v_dual_sub_f32 v30, v31, v23 :: v_dual_mul_f32 v27, v26, v25
	s_delay_alu instid0(VALU_DEP_1) | instskip(NEXT) | instid1(VALU_DEP_2)
	v_add_f32_e32 v21, v21, v30
	v_fma_f32 v26, v25, v26, -v27
	s_delay_alu instid0(VALU_DEP_1) | instskip(NEXT) | instid1(VALU_DEP_1)
	v_fmac_f32_e32 v26, v25, v24
	v_add_f32_e32 v24, v27, v26
	s_delay_alu instid0(VALU_DEP_1) | instskip(NEXT) | instid1(VALU_DEP_1)
	v_sub_f32_e32 v29, v23, v24
	v_sub_f32_e32 v23, v23, v29
	s_delay_alu instid0(VALU_DEP_1) | instskip(NEXT) | instid1(VALU_DEP_1)
	v_sub_f32_e32 v23, v23, v24
	v_add_f32_e32 v21, v21, v23
	v_add_f32_e32 v23, v28, v25
	v_sub_f32_e32 v27, v24, v27
	s_delay_alu instid0(VALU_DEP_1) | instskip(NEXT) | instid1(VALU_DEP_1)
	v_sub_f32_e32 v24, v27, v26
	v_dual_add_f32 v21, v24, v21 :: v_dual_sub_f32 v24, v23, v28
	s_delay_alu instid0(VALU_DEP_1) | instskip(NEXT) | instid1(VALU_DEP_1)
	v_add_f32_e32 v21, v29, v21
	v_dual_sub_f32 v24, v25, v24 :: v_dual_mul_f32 v21, v22, v21
	s_delay_alu instid0(VALU_DEP_1) | instskip(NEXT) | instid1(VALU_DEP_1)
	v_add_f32_e32 v21, v24, v21
	v_add_f32_e32 v22, v23, v21
	s_delay_alu instid0(VALU_DEP_1) | instskip(NEXT) | instid1(VALU_DEP_1)
	v_mul_f32_e32 v24, v22, v22
	v_fmaak_f32 v25, s84, v24, 0x3ecc95a3
	v_mul_f32_e32 v26, v22, v24
	s_delay_alu instid0(VALU_DEP_2) | instskip(SKIP_2) | instid1(VALU_DEP_3)
	v_fmaak_f32 v24, v24, v25, 0x3f2aaada
	v_ldexp_f32 v25, v22, 1
	v_sub_f32_e32 v22, v22, v23
	v_mul_f32_e32 v24, v26, v24
	v_mul_f32_e32 v26, 0x3f317218, v20
	s_delay_alu instid0(VALU_DEP_2) | instskip(NEXT) | instid1(VALU_DEP_1)
	v_add_f32_e32 v23, v25, v24
	v_dual_sub_f32 v21, v21, v22 :: v_dual_sub_f32 v22, v23, v25
	s_delay_alu instid0(VALU_DEP_3) | instskip(NEXT) | instid1(VALU_DEP_2)
	v_fma_f32 v25, 0x3f317218, v20, -v26
	v_ldexp_f32 v21, v21, 1
	s_delay_alu instid0(VALU_DEP_2) | instskip(NEXT) | instid1(VALU_DEP_1)
	v_dual_sub_f32 v22, v24, v22 :: v_dual_fmac_f32 v25, 0xb102e308, v20
	v_dual_add_f32 v20, v21, v22 :: v_dual_add_f32 v21, v26, v25
	s_delay_alu instid0(VALU_DEP_1) | instskip(NEXT) | instid1(VALU_DEP_1)
	v_add_f32_e32 v22, v23, v20
	v_add_f32_e32 v24, v21, v22
	s_delay_alu instid0(VALU_DEP_1) | instskip(NEXT) | instid1(VALU_DEP_1)
	v_sub_f32_e32 v27, v24, v21
	v_sub_f32_e32 v28, v24, v27
	;; [unrolled: 1-line block ×4, first 2 shown]
	s_delay_alu instid0(VALU_DEP_2) | instskip(SKIP_1) | instid1(VALU_DEP_1)
	v_sub_f32_e32 v20, v20, v23
	v_sub_f32_e32 v26, v21, v26
	;; [unrolled: 1-line block ×3, first 2 shown]
	s_delay_alu instid0(VALU_DEP_1) | instskip(SKIP_1) | instid1(VALU_DEP_1)
	v_add_f32_e32 v23, v25, v20
	v_sub_f32_e32 v21, v21, v28
	v_add_f32_e32 v21, v22, v21
	s_delay_alu instid0(VALU_DEP_3) | instskip(NEXT) | instid1(VALU_DEP_1)
	v_sub_f32_e32 v22, v23, v25
	v_dual_sub_f32 v20, v20, v22 :: v_dual_add_f32 v21, v23, v21
	s_delay_alu instid0(VALU_DEP_1) | instskip(NEXT) | instid1(VALU_DEP_1)
	v_dual_sub_f32 v23, v23, v22 :: v_dual_add_f32 v26, v24, v21
	v_dual_sub_f32 v23, v25, v23 :: v_dual_sub_f32 v22, v26, v24
	s_delay_alu instid0(VALU_DEP_1) | instskip(NEXT) | instid1(VALU_DEP_1)
	v_dual_add_f32 v20, v20, v23 :: v_dual_sub_f32 v21, v21, v22
	v_add_f32_e32 v20, v20, v21
	s_delay_alu instid0(VALU_DEP_1) | instskip(NEXT) | instid1(VALU_DEP_1)
	v_add_f32_e32 v20, v26, v20
	v_cndmask_b32_e32 v119, v20, v18, vcc_lo
.LBB150_100:                            ;   in Loop: Header=BB150_12 Depth=1
	s_or_b32 exec_lo, exec_lo, s29
	v_add_f32_e32 v120, s67, v19
	s_delay_alu instid0(VALU_DEP_1) | instskip(SKIP_1) | instid1(SALU_CYCLE_1)
	v_cmp_ge_f32_e32 vcc_lo, 0x41a00000, v120
	s_and_b32 s28, s80, vcc_lo
	s_and_saveexec_b32 s29, s28
	s_cbranch_execz .LBB150_102
; %bb.101:                              ;   in Loop: Header=BB150_12 Depth=1
	v_mul_f32_e32 v18, 0x3fb8aa3b, v120
	v_cmp_ngt_f32_e32 vcc_lo, 0xc2ce8ed0, v120
	s_delay_alu instid0(VALU_DEP_2) | instskip(SKIP_1) | instid1(VALU_DEP_2)
	v_rndne_f32_e32 v19, v18
	v_fma_f32 v20, 0x3fb8aa3b, v120, -v18
	v_sub_f32_e32 v18, v18, v19
	s_delay_alu instid0(VALU_DEP_2) | instskip(SKIP_1) | instid1(VALU_DEP_2)
	v_fmac_f32_e32 v20, 0x32a5705f, v120
	v_cvt_i32_f32_e32 v19, v19
	v_add_f32_e32 v18, v18, v20
	s_delay_alu instid0(VALU_DEP_1) | instskip(SKIP_2) | instid1(VALU_DEP_1)
	v_exp_f32_e32 v18, v18
	s_waitcnt_depctr 0xfff
	v_ldexp_f32 v18, v18, v19
	v_cndmask_b32_e32 v18, 0, v18, vcc_lo
	v_cmp_nlt_f32_e32 vcc_lo, 0x42b17218, v120
	s_delay_alu instid0(VALU_DEP_2) | instskip(NEXT) | instid1(VALU_DEP_1)
	v_cndmask_b32_e32 v20, 0x7f800000, v18, vcc_lo
	v_add_f32_e32 v21, 1.0, v20
	s_delay_alu instid0(VALU_DEP_1) | instskip(NEXT) | instid1(VALU_DEP_1)
	v_cvt_f64_f32_e32 v[18:19], v21
	v_frexp_exp_i32_f64_e32 v18, v[18:19]
	v_frexp_mant_f32_e32 v19, v21
	s_delay_alu instid0(VALU_DEP_1) | instskip(SKIP_1) | instid1(VALU_DEP_1)
	v_cmp_gt_f32_e32 vcc_lo, 0x3f2aaaab, v19
	v_add_f32_e32 v19, -1.0, v21
	v_sub_f32_e32 v23, v19, v21
	v_sub_f32_e32 v19, v20, v19
	s_delay_alu instid0(VALU_DEP_2) | instskip(NEXT) | instid1(VALU_DEP_1)
	v_add_f32_e32 v23, 1.0, v23
	v_add_f32_e32 v19, v19, v23
	v_cmp_gt_f32_e64 s28, 0x33800000, v20
	v_subrev_co_ci_u32_e32 v18, vcc_lo, 0, v18, vcc_lo
	v_cmp_eq_f32_e32 vcc_lo, 0x7f800000, v20
	s_delay_alu instid0(VALU_DEP_2) | instskip(SKIP_2) | instid1(VALU_DEP_2)
	v_sub_nc_u32_e32 v22, 0, v18
	v_cvt_f32_i32_e32 v18, v18
	s_or_b32 vcc_lo, s28, vcc_lo
	v_ldexp_f32 v21, v21, v22
	v_ldexp_f32 v19, v19, v22
	s_delay_alu instid0(VALU_DEP_2) | instskip(NEXT) | instid1(VALU_DEP_1)
	v_add_f32_e32 v24, 1.0, v21
	v_dual_add_f32 v22, -1.0, v21 :: v_dual_add_f32 v23, -1.0, v24
	s_delay_alu instid0(VALU_DEP_1) | instskip(NEXT) | instid1(VALU_DEP_2)
	v_add_f32_e32 v25, 1.0, v22
	v_sub_f32_e32 v23, v21, v23
	s_delay_alu instid0(VALU_DEP_2) | instskip(NEXT) | instid1(VALU_DEP_2)
	v_sub_f32_e32 v21, v21, v25
	v_add_f32_e32 v23, v19, v23
	s_delay_alu instid0(VALU_DEP_2) | instskip(NEXT) | instid1(VALU_DEP_1)
	v_add_f32_e32 v19, v19, v21
	v_add_f32_e32 v26, v22, v19
	s_delay_alu instid0(VALU_DEP_1) | instskip(NEXT) | instid1(VALU_DEP_1)
	v_dual_add_f32 v25, v24, v23 :: v_dual_sub_f32 v22, v22, v26
	v_rcp_f32_e32 v21, v25
	v_sub_f32_e32 v24, v24, v25
	s_delay_alu instid0(VALU_DEP_1) | instskip(SKIP_2) | instid1(VALU_DEP_1)
	v_add_f32_e32 v23, v23, v24
	s_waitcnt_depctr 0xfff
	v_mul_f32_e32 v27, v26, v21
	v_mul_f32_e32 v28, v25, v27
	s_delay_alu instid0(VALU_DEP_1) | instskip(NEXT) | instid1(VALU_DEP_1)
	v_fma_f32 v24, v27, v25, -v28
	v_fmac_f32_e32 v24, v27, v23
	s_delay_alu instid0(VALU_DEP_1) | instskip(NEXT) | instid1(VALU_DEP_1)
	v_add_f32_e32 v29, v28, v24
	v_sub_f32_e32 v30, v26, v29
	s_delay_alu instid0(VALU_DEP_1) | instskip(SKIP_1) | instid1(VALU_DEP_2)
	v_sub_f32_e32 v26, v26, v30
	v_dual_add_f32 v19, v19, v22 :: v_dual_sub_f32 v22, v29, v28
	v_sub_f32_e32 v26, v26, v29
	s_delay_alu instid0(VALU_DEP_1) | instskip(NEXT) | instid1(VALU_DEP_1)
	v_dual_sub_f32 v22, v22, v24 :: v_dual_add_f32 v19, v19, v26
	v_add_f32_e32 v19, v22, v19
	s_delay_alu instid0(VALU_DEP_1) | instskip(NEXT) | instid1(VALU_DEP_1)
	v_add_f32_e32 v22, v30, v19
	v_mul_f32_e32 v24, v21, v22
	s_delay_alu instid0(VALU_DEP_1) | instskip(NEXT) | instid1(VALU_DEP_1)
	v_dual_sub_f32 v29, v30, v22 :: v_dual_mul_f32 v26, v25, v24
	v_add_f32_e32 v19, v19, v29
	s_delay_alu instid0(VALU_DEP_2) | instskip(NEXT) | instid1(VALU_DEP_1)
	v_fma_f32 v25, v24, v25, -v26
	v_fmac_f32_e32 v25, v24, v23
	s_delay_alu instid0(VALU_DEP_1) | instskip(NEXT) | instid1(VALU_DEP_1)
	v_add_f32_e32 v23, v26, v25
	v_sub_f32_e32 v28, v22, v23
	s_delay_alu instid0(VALU_DEP_1) | instskip(NEXT) | instid1(VALU_DEP_1)
	v_sub_f32_e32 v22, v22, v28
	v_sub_f32_e32 v22, v22, v23
	s_delay_alu instid0(VALU_DEP_1) | instskip(SKIP_2) | instid1(VALU_DEP_1)
	v_add_f32_e32 v19, v19, v22
	v_add_f32_e32 v22, v27, v24
	v_sub_f32_e32 v26, v23, v26
	v_sub_f32_e32 v23, v26, v25
	s_delay_alu instid0(VALU_DEP_1) | instskip(NEXT) | instid1(VALU_DEP_4)
	v_add_f32_e32 v19, v23, v19
	v_sub_f32_e32 v23, v22, v27
	s_delay_alu instid0(VALU_DEP_2) | instskip(NEXT) | instid1(VALU_DEP_2)
	v_add_f32_e32 v19, v28, v19
	v_sub_f32_e32 v23, v24, v23
	s_delay_alu instid0(VALU_DEP_2) | instskip(NEXT) | instid1(VALU_DEP_1)
	v_mul_f32_e32 v19, v21, v19
	v_add_f32_e32 v19, v23, v19
	s_delay_alu instid0(VALU_DEP_1) | instskip(NEXT) | instid1(VALU_DEP_1)
	v_add_f32_e32 v21, v22, v19
	v_mul_f32_e32 v23, v21, v21
	s_delay_alu instid0(VALU_DEP_1) | instskip(SKIP_1) | instid1(VALU_DEP_2)
	v_fmaak_f32 v24, s84, v23, 0x3ecc95a3
	v_mul_f32_e32 v25, v21, v23
	v_fmaak_f32 v23, v23, v24, 0x3f2aaada
	v_ldexp_f32 v24, v21, 1
	s_delay_alu instid0(VALU_DEP_2) | instskip(SKIP_1) | instid1(VALU_DEP_2)
	v_mul_f32_e32 v23, v25, v23
	v_sub_f32_e32 v21, v21, v22
	v_dual_mul_f32 v25, 0x3f317218, v18 :: v_dual_add_f32 v22, v24, v23
	s_delay_alu instid0(VALU_DEP_2) | instskip(NEXT) | instid1(VALU_DEP_2)
	v_sub_f32_e32 v19, v19, v21
	v_sub_f32_e32 v21, v22, v24
	s_delay_alu instid0(VALU_DEP_3) | instskip(NEXT) | instid1(VALU_DEP_3)
	v_fma_f32 v24, 0x3f317218, v18, -v25
	v_ldexp_f32 v19, v19, 1
	s_delay_alu instid0(VALU_DEP_2) | instskip(NEXT) | instid1(VALU_DEP_1)
	v_dual_sub_f32 v21, v23, v21 :: v_dual_fmac_f32 v24, 0xb102e308, v18
	v_dual_add_f32 v18, v19, v21 :: v_dual_add_f32 v19, v25, v24
	s_delay_alu instid0(VALU_DEP_1) | instskip(NEXT) | instid1(VALU_DEP_1)
	v_add_f32_e32 v21, v22, v18
	v_dual_add_f32 v23, v19, v21 :: v_dual_sub_f32 v22, v21, v22
	s_delay_alu instid0(VALU_DEP_1) | instskip(NEXT) | instid1(VALU_DEP_2)
	v_sub_f32_e32 v26, v23, v19
	v_dual_sub_f32 v25, v19, v25 :: v_dual_sub_f32 v18, v18, v22
	s_delay_alu instid0(VALU_DEP_1) | instskip(SKIP_1) | instid1(VALU_DEP_2)
	v_dual_sub_f32 v27, v23, v26 :: v_dual_sub_f32 v24, v24, v25
	v_sub_f32_e32 v21, v21, v26
	v_dual_sub_f32 v19, v19, v27 :: v_dual_add_f32 v22, v24, v18
	s_delay_alu instid0(VALU_DEP_1) | instskip(NEXT) | instid1(VALU_DEP_2)
	v_add_f32_e32 v19, v21, v19
	v_sub_f32_e32 v21, v22, v24
	s_delay_alu instid0(VALU_DEP_2) | instskip(NEXT) | instid1(VALU_DEP_2)
	v_add_f32_e32 v19, v22, v19
	v_sub_f32_e32 v22, v22, v21
	s_delay_alu instid0(VALU_DEP_2) | instskip(NEXT) | instid1(VALU_DEP_1)
	v_dual_sub_f32 v18, v18, v21 :: v_dual_add_f32 v25, v23, v19
	v_dual_sub_f32 v22, v24, v22 :: v_dual_sub_f32 v21, v25, v23
	s_delay_alu instid0(VALU_DEP_1) | instskip(NEXT) | instid1(VALU_DEP_1)
	v_dual_add_f32 v18, v18, v22 :: v_dual_sub_f32 v19, v19, v21
	v_add_f32_e32 v18, v18, v19
	s_delay_alu instid0(VALU_DEP_1) | instskip(NEXT) | instid1(VALU_DEP_1)
	v_add_f32_e32 v18, v25, v18
	v_cndmask_b32_e32 v120, v18, v20, vcc_lo
.LBB150_102:                            ;   in Loop: Header=BB150_12 Depth=1
	s_or_b32 exec_lo, exec_lo, s29
	s_waitcnt lgkmcnt(0)
	v_add_f32_e32 v121, s67, v16
	s_delay_alu instid0(VALU_DEP_1) | instskip(SKIP_1) | instid1(SALU_CYCLE_1)
	v_cmp_ge_f32_e32 vcc_lo, 0x41a00000, v121
	s_and_b32 s28, s80, vcc_lo
	s_and_saveexec_b32 s29, s28
	s_cbranch_execz .LBB150_104
; %bb.103:                              ;   in Loop: Header=BB150_12 Depth=1
	v_mul_f32_e32 v16, 0x3fb8aa3b, v121
	v_cmp_ngt_f32_e32 vcc_lo, 0xc2ce8ed0, v121
	s_delay_alu instid0(VALU_DEP_2) | instskip(SKIP_1) | instid1(VALU_DEP_1)
	v_rndne_f32_e32 v18, v16
	v_fma_f32 v19, 0x3fb8aa3b, v121, -v16
	v_dual_sub_f32 v16, v16, v18 :: v_dual_fmac_f32 v19, 0x32a5705f, v121
	v_cvt_i32_f32_e32 v18, v18
	s_delay_alu instid0(VALU_DEP_2) | instskip(NEXT) | instid1(VALU_DEP_1)
	v_add_f32_e32 v16, v16, v19
	v_exp_f32_e32 v16, v16
	s_waitcnt_depctr 0xfff
	v_ldexp_f32 v16, v16, v18
	s_delay_alu instid0(VALU_DEP_1) | instskip(SKIP_1) | instid1(VALU_DEP_2)
	v_cndmask_b32_e32 v16, 0, v16, vcc_lo
	v_cmp_nlt_f32_e32 vcc_lo, 0x42b17218, v121
	v_cndmask_b32_e32 v16, 0x7f800000, v16, vcc_lo
	s_delay_alu instid0(VALU_DEP_1) | instskip(NEXT) | instid1(VALU_DEP_1)
	v_add_f32_e32 v20, 1.0, v16
	v_cvt_f64_f32_e32 v[18:19], v20
	s_delay_alu instid0(VALU_DEP_1) | instskip(SKIP_1) | instid1(VALU_DEP_1)
	v_frexp_exp_i32_f64_e32 v18, v[18:19]
	v_frexp_mant_f32_e32 v19, v20
	v_cmp_gt_f32_e32 vcc_lo, 0x3f2aaaab, v19
	v_add_f32_e32 v19, -1.0, v20
	s_delay_alu instid0(VALU_DEP_1) | instskip(SKIP_1) | instid1(VALU_DEP_1)
	v_dual_sub_f32 v22, v19, v20 :: v_dual_sub_f32 v19, v16, v19
	v_subrev_co_ci_u32_e32 v18, vcc_lo, 0, v18, vcc_lo
	v_sub_nc_u32_e32 v21, 0, v18
	v_cvt_f32_i32_e32 v18, v18
	s_delay_alu instid0(VALU_DEP_2) | instskip(NEXT) | instid1(VALU_DEP_1)
	v_ldexp_f32 v20, v20, v21
	v_dual_add_f32 v22, 1.0, v22 :: v_dual_add_f32 v23, 1.0, v20
	s_delay_alu instid0(VALU_DEP_1) | instskip(NEXT) | instid1(VALU_DEP_1)
	v_add_f32_e32 v19, v19, v22
	v_ldexp_f32 v19, v19, v21
	s_delay_alu instid0(VALU_DEP_3) | instskip(NEXT) | instid1(VALU_DEP_1)
	v_dual_add_f32 v21, -1.0, v20 :: v_dual_add_f32 v22, -1.0, v23
	v_add_f32_e32 v24, 1.0, v21
	s_delay_alu instid0(VALU_DEP_2) | instskip(NEXT) | instid1(VALU_DEP_2)
	v_sub_f32_e32 v22, v20, v22
	v_sub_f32_e32 v20, v20, v24
	s_delay_alu instid0(VALU_DEP_2) | instskip(NEXT) | instid1(VALU_DEP_2)
	v_add_f32_e32 v22, v19, v22
	v_add_f32_e32 v19, v19, v20
	s_delay_alu instid0(VALU_DEP_1) | instskip(SKIP_2) | instid1(VALU_DEP_3)
	v_dual_add_f32 v25, v21, v19 :: v_dual_add_f32 v24, v23, v22
	v_cmp_eq_f32_e32 vcc_lo, 0x7f800000, v16
	v_cmp_gt_f32_e64 s28, 0x33800000, v16
	v_sub_f32_e32 v21, v21, v25
	s_delay_alu instid0(VALU_DEP_4) | instskip(SKIP_1) | instid1(VALU_DEP_3)
	v_rcp_f32_e32 v20, v24
	v_sub_f32_e32 v23, v23, v24
	s_or_b32 vcc_lo, s28, vcc_lo
	s_delay_alu instid0(VALU_DEP_1) | instskip(SKIP_2) | instid1(VALU_DEP_1)
	v_dual_add_f32 v19, v19, v21 :: v_dual_add_f32 v22, v22, v23
	s_waitcnt_depctr 0xfff
	v_mul_f32_e32 v26, v25, v20
	v_mul_f32_e32 v27, v24, v26
	s_delay_alu instid0(VALU_DEP_1) | instskip(NEXT) | instid1(VALU_DEP_1)
	v_fma_f32 v23, v26, v24, -v27
	v_fmac_f32_e32 v23, v26, v22
	s_delay_alu instid0(VALU_DEP_1) | instskip(NEXT) | instid1(VALU_DEP_1)
	v_add_f32_e32 v28, v27, v23
	v_sub_f32_e32 v29, v25, v28
	s_delay_alu instid0(VALU_DEP_1) | instskip(NEXT) | instid1(VALU_DEP_1)
	v_sub_f32_e32 v25, v25, v29
	v_sub_f32_e32 v25, v25, v28
	;; [unrolled: 1-line block ×3, first 2 shown]
	s_delay_alu instid0(VALU_DEP_2) | instskip(NEXT) | instid1(VALU_DEP_2)
	v_add_f32_e32 v19, v19, v25
	v_sub_f32_e32 v21, v21, v23
	s_delay_alu instid0(VALU_DEP_1) | instskip(NEXT) | instid1(VALU_DEP_1)
	v_add_f32_e32 v19, v21, v19
	v_add_f32_e32 v21, v29, v19
	s_delay_alu instid0(VALU_DEP_1) | instskip(NEXT) | instid1(VALU_DEP_1)
	v_mul_f32_e32 v23, v20, v21
	v_dual_sub_f32 v28, v29, v21 :: v_dual_mul_f32 v25, v24, v23
	s_delay_alu instid0(VALU_DEP_1) | instskip(NEXT) | instid1(VALU_DEP_2)
	v_add_f32_e32 v19, v19, v28
	v_fma_f32 v24, v23, v24, -v25
	s_delay_alu instid0(VALU_DEP_1) | instskip(NEXT) | instid1(VALU_DEP_1)
	v_fmac_f32_e32 v24, v23, v22
	v_add_f32_e32 v22, v25, v24
	s_delay_alu instid0(VALU_DEP_1) | instskip(NEXT) | instid1(VALU_DEP_1)
	v_sub_f32_e32 v27, v21, v22
	v_sub_f32_e32 v21, v21, v27
	s_delay_alu instid0(VALU_DEP_1) | instskip(NEXT) | instid1(VALU_DEP_1)
	v_sub_f32_e32 v21, v21, v22
	v_add_f32_e32 v19, v19, v21
	v_add_f32_e32 v21, v26, v23
	v_sub_f32_e32 v25, v22, v25
	s_delay_alu instid0(VALU_DEP_1) | instskip(NEXT) | instid1(VALU_DEP_1)
	v_sub_f32_e32 v22, v25, v24
	v_dual_add_f32 v19, v22, v19 :: v_dual_sub_f32 v22, v21, v26
	s_delay_alu instid0(VALU_DEP_1) | instskip(NEXT) | instid1(VALU_DEP_1)
	v_add_f32_e32 v19, v27, v19
	v_dual_sub_f32 v22, v23, v22 :: v_dual_mul_f32 v19, v20, v19
	s_delay_alu instid0(VALU_DEP_1) | instskip(NEXT) | instid1(VALU_DEP_1)
	v_add_f32_e32 v19, v22, v19
	v_add_f32_e32 v20, v21, v19
	s_delay_alu instid0(VALU_DEP_1) | instskip(NEXT) | instid1(VALU_DEP_1)
	v_mul_f32_e32 v22, v20, v20
	v_fmaak_f32 v23, s84, v22, 0x3ecc95a3
	v_mul_f32_e32 v24, v20, v22
	s_delay_alu instid0(VALU_DEP_2) | instskip(SKIP_2) | instid1(VALU_DEP_3)
	v_fmaak_f32 v22, v22, v23, 0x3f2aaada
	v_ldexp_f32 v23, v20, 1
	v_sub_f32_e32 v20, v20, v21
	v_mul_f32_e32 v22, v24, v22
	v_mul_f32_e32 v24, 0x3f317218, v18
	s_delay_alu instid0(VALU_DEP_2) | instskip(NEXT) | instid1(VALU_DEP_1)
	v_add_f32_e32 v21, v23, v22
	v_dual_sub_f32 v19, v19, v20 :: v_dual_sub_f32 v20, v21, v23
	s_delay_alu instid0(VALU_DEP_3) | instskip(NEXT) | instid1(VALU_DEP_2)
	v_fma_f32 v23, 0x3f317218, v18, -v24
	v_ldexp_f32 v19, v19, 1
	s_delay_alu instid0(VALU_DEP_2) | instskip(NEXT) | instid1(VALU_DEP_1)
	v_dual_sub_f32 v20, v22, v20 :: v_dual_fmac_f32 v23, 0xb102e308, v18
	v_dual_add_f32 v18, v19, v20 :: v_dual_add_f32 v19, v24, v23
	s_delay_alu instid0(VALU_DEP_1) | instskip(NEXT) | instid1(VALU_DEP_1)
	v_add_f32_e32 v20, v21, v18
	v_add_f32_e32 v22, v19, v20
	s_delay_alu instid0(VALU_DEP_1) | instskip(NEXT) | instid1(VALU_DEP_1)
	v_sub_f32_e32 v25, v22, v19
	v_sub_f32_e32 v26, v22, v25
	;; [unrolled: 1-line block ×4, first 2 shown]
	s_delay_alu instid0(VALU_DEP_2) | instskip(SKIP_1) | instid1(VALU_DEP_1)
	v_sub_f32_e32 v18, v18, v21
	v_sub_f32_e32 v24, v19, v24
	;; [unrolled: 1-line block ×3, first 2 shown]
	s_delay_alu instid0(VALU_DEP_1) | instskip(SKIP_1) | instid1(VALU_DEP_1)
	v_add_f32_e32 v21, v23, v18
	v_sub_f32_e32 v19, v19, v26
	v_add_f32_e32 v19, v20, v19
	s_delay_alu instid0(VALU_DEP_3) | instskip(NEXT) | instid1(VALU_DEP_1)
	v_sub_f32_e32 v20, v21, v23
	v_dual_sub_f32 v18, v18, v20 :: v_dual_add_f32 v19, v21, v19
	s_delay_alu instid0(VALU_DEP_1) | instskip(NEXT) | instid1(VALU_DEP_1)
	v_dual_sub_f32 v21, v21, v20 :: v_dual_add_f32 v24, v22, v19
	v_dual_sub_f32 v21, v23, v21 :: v_dual_sub_f32 v20, v24, v22
	s_delay_alu instid0(VALU_DEP_1) | instskip(NEXT) | instid1(VALU_DEP_1)
	v_dual_add_f32 v18, v18, v21 :: v_dual_sub_f32 v19, v19, v20
	v_add_f32_e32 v18, v18, v19
	s_delay_alu instid0(VALU_DEP_1) | instskip(NEXT) | instid1(VALU_DEP_1)
	v_add_f32_e32 v18, v24, v18
	v_cndmask_b32_e32 v121, v18, v16, vcc_lo
.LBB150_104:                            ;   in Loop: Header=BB150_12 Depth=1
	s_or_b32 exec_lo, exec_lo, s29
	v_add_f32_e32 v138, s67, v17
	s_delay_alu instid0(VALU_DEP_1) | instskip(SKIP_1) | instid1(SALU_CYCLE_1)
	v_cmp_ge_f32_e32 vcc_lo, 0x41a00000, v138
	s_and_b32 s28, s80, vcc_lo
	s_and_saveexec_b32 s29, s28
	s_cbranch_execz .LBB150_106
; %bb.105:                              ;   in Loop: Header=BB150_12 Depth=1
	v_mul_f32_e32 v16, 0x3fb8aa3b, v138
	v_cmp_ngt_f32_e32 vcc_lo, 0xc2ce8ed0, v138
	s_delay_alu instid0(VALU_DEP_2) | instskip(SKIP_1) | instid1(VALU_DEP_2)
	v_rndne_f32_e32 v17, v16
	v_fma_f32 v18, 0x3fb8aa3b, v138, -v16
	v_sub_f32_e32 v16, v16, v17
	s_delay_alu instid0(VALU_DEP_2) | instskip(SKIP_1) | instid1(VALU_DEP_2)
	v_fmac_f32_e32 v18, 0x32a5705f, v138
	v_cvt_i32_f32_e32 v17, v17
	v_add_f32_e32 v16, v16, v18
	s_delay_alu instid0(VALU_DEP_1) | instskip(SKIP_2) | instid1(VALU_DEP_1)
	v_exp_f32_e32 v16, v16
	s_waitcnt_depctr 0xfff
	v_ldexp_f32 v16, v16, v17
	v_cndmask_b32_e32 v16, 0, v16, vcc_lo
	v_cmp_nlt_f32_e32 vcc_lo, 0x42b17218, v138
	s_delay_alu instid0(VALU_DEP_2) | instskip(NEXT) | instid1(VALU_DEP_1)
	v_cndmask_b32_e32 v18, 0x7f800000, v16, vcc_lo
	v_add_f32_e32 v19, 1.0, v18
	s_delay_alu instid0(VALU_DEP_1) | instskip(NEXT) | instid1(VALU_DEP_1)
	v_cvt_f64_f32_e32 v[16:17], v19
	v_frexp_exp_i32_f64_e32 v16, v[16:17]
	v_frexp_mant_f32_e32 v17, v19
	s_delay_alu instid0(VALU_DEP_1) | instskip(SKIP_1) | instid1(VALU_DEP_1)
	v_cmp_gt_f32_e32 vcc_lo, 0x3f2aaaab, v17
	v_add_f32_e32 v17, -1.0, v19
	v_sub_f32_e32 v21, v17, v19
	v_sub_f32_e32 v17, v18, v17
	s_delay_alu instid0(VALU_DEP_2) | instskip(NEXT) | instid1(VALU_DEP_1)
	v_add_f32_e32 v21, 1.0, v21
	v_add_f32_e32 v17, v17, v21
	v_cmp_gt_f32_e64 s28, 0x33800000, v18
	v_subrev_co_ci_u32_e32 v16, vcc_lo, 0, v16, vcc_lo
	v_cmp_eq_f32_e32 vcc_lo, 0x7f800000, v18
	s_delay_alu instid0(VALU_DEP_2) | instskip(SKIP_2) | instid1(VALU_DEP_2)
	v_sub_nc_u32_e32 v20, 0, v16
	v_cvt_f32_i32_e32 v16, v16
	s_or_b32 vcc_lo, s28, vcc_lo
	v_ldexp_f32 v19, v19, v20
	v_ldexp_f32 v17, v17, v20
	s_delay_alu instid0(VALU_DEP_2) | instskip(NEXT) | instid1(VALU_DEP_1)
	v_add_f32_e32 v22, 1.0, v19
	v_dual_add_f32 v20, -1.0, v19 :: v_dual_add_f32 v21, -1.0, v22
	s_delay_alu instid0(VALU_DEP_1) | instskip(NEXT) | instid1(VALU_DEP_2)
	v_add_f32_e32 v23, 1.0, v20
	v_sub_f32_e32 v21, v19, v21
	s_delay_alu instid0(VALU_DEP_2) | instskip(NEXT) | instid1(VALU_DEP_2)
	v_sub_f32_e32 v19, v19, v23
	v_add_f32_e32 v21, v17, v21
	s_delay_alu instid0(VALU_DEP_2) | instskip(NEXT) | instid1(VALU_DEP_1)
	v_add_f32_e32 v17, v17, v19
	v_add_f32_e32 v24, v20, v17
	s_delay_alu instid0(VALU_DEP_1) | instskip(NEXT) | instid1(VALU_DEP_1)
	v_dual_add_f32 v23, v22, v21 :: v_dual_sub_f32 v20, v20, v24
	v_rcp_f32_e32 v19, v23
	v_sub_f32_e32 v22, v22, v23
	s_delay_alu instid0(VALU_DEP_1) | instskip(SKIP_2) | instid1(VALU_DEP_1)
	v_add_f32_e32 v21, v21, v22
	s_waitcnt_depctr 0xfff
	v_mul_f32_e32 v25, v24, v19
	v_mul_f32_e32 v26, v23, v25
	s_delay_alu instid0(VALU_DEP_1) | instskip(NEXT) | instid1(VALU_DEP_1)
	v_fma_f32 v22, v25, v23, -v26
	v_fmac_f32_e32 v22, v25, v21
	s_delay_alu instid0(VALU_DEP_1) | instskip(NEXT) | instid1(VALU_DEP_1)
	v_add_f32_e32 v27, v26, v22
	v_sub_f32_e32 v28, v24, v27
	s_delay_alu instid0(VALU_DEP_1) | instskip(SKIP_1) | instid1(VALU_DEP_2)
	v_sub_f32_e32 v24, v24, v28
	v_dual_add_f32 v17, v17, v20 :: v_dual_sub_f32 v20, v27, v26
	v_sub_f32_e32 v24, v24, v27
	s_delay_alu instid0(VALU_DEP_1) | instskip(NEXT) | instid1(VALU_DEP_1)
	v_dual_sub_f32 v20, v20, v22 :: v_dual_add_f32 v17, v17, v24
	v_add_f32_e32 v17, v20, v17
	s_delay_alu instid0(VALU_DEP_1) | instskip(NEXT) | instid1(VALU_DEP_1)
	v_add_f32_e32 v20, v28, v17
	v_mul_f32_e32 v22, v19, v20
	s_delay_alu instid0(VALU_DEP_1) | instskip(NEXT) | instid1(VALU_DEP_1)
	v_dual_sub_f32 v27, v28, v20 :: v_dual_mul_f32 v24, v23, v22
	v_add_f32_e32 v17, v17, v27
	s_delay_alu instid0(VALU_DEP_2) | instskip(NEXT) | instid1(VALU_DEP_1)
	v_fma_f32 v23, v22, v23, -v24
	v_fmac_f32_e32 v23, v22, v21
	s_delay_alu instid0(VALU_DEP_1) | instskip(NEXT) | instid1(VALU_DEP_1)
	v_add_f32_e32 v21, v24, v23
	v_sub_f32_e32 v26, v20, v21
	s_delay_alu instid0(VALU_DEP_1) | instskip(NEXT) | instid1(VALU_DEP_1)
	v_sub_f32_e32 v20, v20, v26
	v_sub_f32_e32 v20, v20, v21
	s_delay_alu instid0(VALU_DEP_1) | instskip(SKIP_2) | instid1(VALU_DEP_1)
	v_add_f32_e32 v17, v17, v20
	v_add_f32_e32 v20, v25, v22
	v_sub_f32_e32 v24, v21, v24
	v_sub_f32_e32 v21, v24, v23
	s_delay_alu instid0(VALU_DEP_1) | instskip(NEXT) | instid1(VALU_DEP_4)
	v_add_f32_e32 v17, v21, v17
	v_sub_f32_e32 v21, v20, v25
	s_delay_alu instid0(VALU_DEP_2) | instskip(NEXT) | instid1(VALU_DEP_2)
	v_add_f32_e32 v17, v26, v17
	v_sub_f32_e32 v21, v22, v21
	s_delay_alu instid0(VALU_DEP_2) | instskip(NEXT) | instid1(VALU_DEP_1)
	v_mul_f32_e32 v17, v19, v17
	v_add_f32_e32 v17, v21, v17
	s_delay_alu instid0(VALU_DEP_1) | instskip(NEXT) | instid1(VALU_DEP_1)
	v_add_f32_e32 v19, v20, v17
	v_mul_f32_e32 v21, v19, v19
	s_delay_alu instid0(VALU_DEP_1) | instskip(SKIP_1) | instid1(VALU_DEP_2)
	v_fmaak_f32 v22, s84, v21, 0x3ecc95a3
	v_mul_f32_e32 v23, v19, v21
	v_fmaak_f32 v21, v21, v22, 0x3f2aaada
	v_ldexp_f32 v22, v19, 1
	s_delay_alu instid0(VALU_DEP_2) | instskip(SKIP_1) | instid1(VALU_DEP_2)
	v_mul_f32_e32 v21, v23, v21
	v_sub_f32_e32 v19, v19, v20
	v_dual_mul_f32 v23, 0x3f317218, v16 :: v_dual_add_f32 v20, v22, v21
	s_delay_alu instid0(VALU_DEP_2) | instskip(NEXT) | instid1(VALU_DEP_2)
	v_sub_f32_e32 v17, v17, v19
	v_sub_f32_e32 v19, v20, v22
	s_delay_alu instid0(VALU_DEP_3) | instskip(NEXT) | instid1(VALU_DEP_3)
	v_fma_f32 v22, 0x3f317218, v16, -v23
	v_ldexp_f32 v17, v17, 1
	s_delay_alu instid0(VALU_DEP_2) | instskip(NEXT) | instid1(VALU_DEP_1)
	v_dual_sub_f32 v19, v21, v19 :: v_dual_fmac_f32 v22, 0xb102e308, v16
	v_dual_add_f32 v16, v17, v19 :: v_dual_add_f32 v17, v23, v22
	s_delay_alu instid0(VALU_DEP_1) | instskip(NEXT) | instid1(VALU_DEP_1)
	v_add_f32_e32 v19, v20, v16
	v_dual_add_f32 v21, v17, v19 :: v_dual_sub_f32 v20, v19, v20
	s_delay_alu instid0(VALU_DEP_1) | instskip(NEXT) | instid1(VALU_DEP_2)
	v_sub_f32_e32 v24, v21, v17
	v_dual_sub_f32 v23, v17, v23 :: v_dual_sub_f32 v16, v16, v20
	s_delay_alu instid0(VALU_DEP_1) | instskip(SKIP_1) | instid1(VALU_DEP_2)
	v_dual_sub_f32 v25, v21, v24 :: v_dual_sub_f32 v22, v22, v23
	v_sub_f32_e32 v19, v19, v24
	v_dual_sub_f32 v17, v17, v25 :: v_dual_add_f32 v20, v22, v16
	s_delay_alu instid0(VALU_DEP_1) | instskip(NEXT) | instid1(VALU_DEP_2)
	v_add_f32_e32 v17, v19, v17
	v_sub_f32_e32 v19, v20, v22
	s_delay_alu instid0(VALU_DEP_2) | instskip(NEXT) | instid1(VALU_DEP_2)
	v_add_f32_e32 v17, v20, v17
	v_sub_f32_e32 v20, v20, v19
	s_delay_alu instid0(VALU_DEP_2) | instskip(NEXT) | instid1(VALU_DEP_1)
	v_dual_sub_f32 v16, v16, v19 :: v_dual_add_f32 v23, v21, v17
	v_dual_sub_f32 v20, v22, v20 :: v_dual_sub_f32 v19, v23, v21
	s_delay_alu instid0(VALU_DEP_1) | instskip(NEXT) | instid1(VALU_DEP_1)
	v_dual_add_f32 v16, v16, v20 :: v_dual_sub_f32 v17, v17, v19
	v_add_f32_e32 v16, v16, v17
	s_delay_alu instid0(VALU_DEP_1) | instskip(NEXT) | instid1(VALU_DEP_1)
	v_add_f32_e32 v16, v23, v16
	v_cndmask_b32_e32 v138, v16, v18, vcc_lo
.LBB150_106:                            ;   in Loop: Header=BB150_12 Depth=1
	s_or_b32 exec_lo, exec_lo, s29
	v_dual_mul_f32 v122, s68, v14 :: v_dual_mul_f32 v123, s68, v13
	v_dual_mul_f32 v124, s68, v12 :: v_dual_mul_f32 v125, s68, v11
	v_dual_mul_f32 v126, s68, v10 :: v_dual_mul_f32 v127, s68, v9
	v_dual_mul_f32 v128, s68, v8 :: v_dual_mul_f32 v129, s68, v7
	v_dual_mul_f32 v130, s68, v6 :: v_dual_mul_f32 v131, s68, v5
	v_dual_mul_f32 v132, s68, v4 :: v_dual_mul_f32 v135, s68, v2
	v_dual_mul_f32 v134, s68, v3 :: v_dual_mul_f32 v137, s68, v0
	v_dual_mul_f32 v136, s68, v1 :: v_dual_mul_f32 v133, s68, v15
	s_and_b32 vcc_lo, exec_lo, s81
	s_barrier
	buffer_gl0_inv
	s_cbranch_vccz .LBB150_202
; %bb.107:                              ;   in Loop: Header=BB150_12 Depth=1
	v_dual_mul_f32 v139, v15, v138 :: v_dual_mul_f32 v144, v14, v121
	v_add_co_u32 v15, s28, s53, v32
	s_delay_alu instid0(VALU_DEP_1) | instskip(SKIP_1) | instid1(VALU_DEP_1)
	v_add_co_ci_u32_e64 v16, null, s74, 0, s28
	v_add_co_u32 v17, s28, s57, v32
	v_add_co_ci_u32_e64 v18, null, s75, 0, s28
	s_delay_alu instid0(VALU_DEP_4) | instskip(NEXT) | instid1(VALU_DEP_4)
	v_add_co_u32 v140, vcc_lo, v15, v106
	v_add_co_ci_u32_e32 v141, vcc_lo, 0, v16, vcc_lo
	s_delay_alu instid0(VALU_DEP_4) | instskip(NEXT) | instid1(VALU_DEP_4)
	v_add_co_u32 v142, vcc_lo, v17, v106
	v_add_co_ci_u32_e32 v143, vcc_lo, 0, v18, vcc_lo
	v_cmp_gt_u32_e32 vcc_lo, s40, v34
	s_cmp_lg_u32 s86, 0
	v_cmp_gt_u32_e64 s30, s40, v92
	s_cselect_b32 s51, -1, 0
	s_cmp_eq_u32 s86, s83
	v_cmp_gt_u32_e64 s31, s40, v93
	s_cselect_b32 s87, -1, 0
	s_or_b32 s28, s82, vcc_lo
	v_cmp_gt_u32_e32 vcc_lo, s40, v91
	v_cmp_gt_u32_e64 s33, s40, v94
	v_cmp_gt_u32_e64 s34, s40, v95
	;; [unrolled: 1-line block ×4, first 2 shown]
	s_or_b32 s29, s82, vcc_lo
	v_cmp_gt_u32_e32 vcc_lo, s40, v96
	v_cmp_gt_u32_e64 s38, s40, v99
	v_cmp_gt_u32_e64 s39, s40, v100
	;; [unrolled: 1-line block ×4, first 2 shown]
	s_or_b32 s35, s82, vcc_lo
	v_cmp_gt_u32_e32 vcc_lo, s40, v101
	v_cmp_gt_u32_e64 s43, s40, v104
	v_cmp_gt_u32_e64 s44, s40, v105
	v_dual_mul_f32 v145, v13, v120 :: v_dual_mul_f32 v146, v12, v119
	v_dual_mul_f32 v147, v11, v118 :: v_dual_mul_f32 v148, v10, v117
	;; [unrolled: 1-line block ×7, first 2 shown]
	s_mov_b32 s64, 0
	s_or_b32 s30, s82, s30
	s_or_b32 s31, s82, s31
	;; [unrolled: 1-line block ×8, first 2 shown]
	s_or_b32 s40, s82, vcc_lo
	s_or_b32 s41, s82, s41
	s_or_b32 s42, s82, s42
	;; [unrolled: 1-line block ×4, first 2 shown]
	s_mov_b32 s54, s64
	s_mov_b32 s58, s64
	;; [unrolled: 1-line block ×5, first 2 shown]
	s_branch .LBB150_109
.LBB150_108:                            ;   in Loop: Header=BB150_109 Depth=2
	s_or_b32 exec_lo, exec_lo, s45
	v_cndmask_b32_e64 v16, v180, v21, s11
	v_cndmask_b32_e64 v17, v179, v20, s11
	s_add_i32 s88, s88, -1
	s_add_i32 s89, s89, 8
	s_add_i32 s60, s60, s62
	v_fma_f32 v16, v16, v160, v33
	v_mul_f32_e32 v17, v17, v160
	s_add_i32 s58, s58, s56
	s_add_i32 s54, s54, s52
	;; [unrolled: 1-line block ×3, first 2 shown]
	v_cndmask_b32_e64 v16, v16, v33, s10
	v_cndmask_b32_e64 v17, v17, v160, s10
	s_cmp_eq_u32 s88, 0
	s_waitcnt lgkmcnt(0)
	s_delay_alu instid0(VALU_DEP_1) | instskip(NEXT) | instid1(VALU_DEP_1)
	v_fmac_f32_e32 v16, v18, v17
	v_fmac_f32_e32 v30, v16, v159
	s_delay_alu instid0(VALU_DEP_1) | instskip(NEXT) | instid1(VALU_DEP_1)
	v_fmac_f32_e32 v32, v30, v161
	v_fmac_f32_e32 v31, v32, v162
	s_delay_alu instid0(VALU_DEP_1) | instskip(NEXT) | instid1(VALU_DEP_1)
	v_dual_fmac_f32 v137, v14, v16 :: v_dual_fmac_f32 v28, v31, v163
	v_dual_fmac_f32 v134, v13, v31 :: v_dual_fmac_f32 v29, v28, v164
	;; [unrolled: 1-line block ×3, first 2 shown]
	s_delay_alu instid0(VALU_DEP_2) | instskip(SKIP_1) | instid1(VALU_DEP_2)
	v_fmac_f32_e32 v26, v29, v165
	v_fmac_f32_e32 v131, v11, v29
	v_fmac_f32_e32 v27, v26, v166
	v_fmac_f32_e32 v132, v10, v28
	s_delay_alu instid0(VALU_DEP_2) | instskip(SKIP_1) | instid1(VALU_DEP_2)
	v_fmac_f32_e32 v24, v27, v167
	v_fmac_f32_e32 v129, v9, v27
	;; [unrolled: 1-line block ×3, first 2 shown]
	s_delay_alu instid0(VALU_DEP_1) | instskip(SKIP_1) | instid1(VALU_DEP_2)
	v_fmac_f32_e32 v22, v25, v169
	v_fmac_f32_e32 v127, v7, v25
	;; [unrolled: 1-line block ×4, first 2 shown]
	s_delay_alu instid0(VALU_DEP_2) | instskip(NEXT) | instid1(VALU_DEP_1)
	v_dual_fmac_f32 v170, v23, v172 :: v_dual_fmac_f32 v125, v5, v23
	v_fmac_f32_e32 v124, v0, v170
	v_fmac_f32_e32 v171, v170, v174
	s_delay_alu instid0(VALU_DEP_1) | instskip(SKIP_1) | instid1(VALU_DEP_2)
	v_dual_fmac_f32 v130, v8, v26 :: v_dual_fmac_f32 v173, v171, v176
	v_dual_fmac_f32 v126, v4, v22 :: v_dual_fmac_f32 v123, v1, v171
	v_fmac_f32_e32 v122, v2, v173
	v_fmac_f32_e32 v175, v173, v177
	s_delay_alu instid0(VALU_DEP_1)
	v_fmac_f32_e32 v133, v3, v175
	s_cbranch_scc1 .LBB150_202
.LBB150_109:                            ;   Parent Loop BB150_12 Depth=1
                                        ; =>  This Inner Loop Header: Depth=2
	s_lshl_b64 s[46:47], s[64:65], 2
	s_mov_b32 s55, s65
	s_add_u32 s46, s73, s46
	s_addc_u32 s47, s63, s47
	v_dual_mov_b32 v2, 0 :: v_dual_mov_b32 v3, 0
	global_load_b32 v159, v37, s[46:47]
	s_lshl_b64 s[46:47], s[54:55], 2
	s_delay_alu instid0(SALU_CYCLE_1)
	v_add_co_u32 v0, vcc_lo, v140, s46
	v_add_co_ci_u32_e32 v1, vcc_lo, s47, v141, vcc_lo
	s_and_saveexec_b32 s45, s12
	s_cbranch_execz .LBB150_111
; %bb.110:                              ;   in Loop: Header=BB150_109 Depth=2
	global_load_b32 v3, v[0:1], off
.LBB150_111:                            ;   in Loop: Header=BB150_109 Depth=2
	s_or_b32 exec_lo, exec_lo, s45
	s_and_saveexec_b32 s45, s13
	s_cbranch_execz .LBB150_113
; %bb.112:                              ;   in Loop: Header=BB150_109 Depth=2
	global_load_b32 v2, v[0:1], off offset:128
.LBB150_113:                            ;   in Loop: Header=BB150_109 Depth=2
	s_or_b32 exec_lo, exec_lo, s45
	v_dual_mov_b32 v4, 0 :: v_dual_mov_b32 v5, 0
	s_and_saveexec_b32 s45, s14
	s_cbranch_execz .LBB150_115
; %bb.114:                              ;   in Loop: Header=BB150_109 Depth=2
	global_load_b32 v5, v[0:1], off offset:256
.LBB150_115:                            ;   in Loop: Header=BB150_109 Depth=2
	s_or_b32 exec_lo, exec_lo, s45
	s_and_saveexec_b32 s45, s15
	s_cbranch_execz .LBB150_117
; %bb.116:                              ;   in Loop: Header=BB150_109 Depth=2
	global_load_b32 v4, v[0:1], off offset:384
.LBB150_117:                            ;   in Loop: Header=BB150_109 Depth=2
	s_or_b32 exec_lo, exec_lo, s45
	v_dual_mov_b32 v6, 0 :: v_dual_mov_b32 v7, 0
	s_and_saveexec_b32 s45, s16
	s_cbranch_execz .LBB150_119
; %bb.118:                              ;   in Loop: Header=BB150_109 Depth=2
	global_load_b32 v7, v[0:1], off offset:512
.LBB150_119:                            ;   in Loop: Header=BB150_109 Depth=2
	;; [unrolled: 13-line block ×7, first 2 shown]
	s_or_b32 exec_lo, exec_lo, s45
	s_and_saveexec_b32 s45, s27
	s_cbranch_execz .LBB150_141
; %bb.140:                              ;   in Loop: Header=BB150_109 Depth=2
	global_load_b32 v16, v[0:1], off offset:1920
.LBB150_141:                            ;   in Loop: Header=BB150_109 Depth=2
	s_or_b32 exec_lo, exec_lo, s45
	s_waitcnt vmcnt(0)
	ds_store_b32 v53, v3
	ds_store_b32 v54, v2 offset:128
	ds_store_b32 v55, v5 offset:256
	;; [unrolled: 1-line block ×15, first 2 shown]
	; wave barrier
	ds_load_2addr_b32 v[32:33], v69 offset1:1
	ds_load_2addr_b32 v[30:31], v69 offset0:2 offset1:3
	ds_load_2addr_b32 v[28:29], v69 offset0:4 offset1:5
	;; [unrolled: 1-line block ×7, first 2 shown]
	s_mov_b32 s59, s65
	v_dual_mov_b32 v2, 0 :: v_dual_mov_b32 v3, 0
	s_lshl_b64 s[46:47], s[58:59], 2
	s_delay_alu instid0(SALU_CYCLE_1)
	v_add_co_u32 v0, vcc_lo, v142, s46
	v_add_co_ci_u32_e32 v1, vcc_lo, s47, v143, vcc_lo
	s_and_saveexec_b32 s45, s12
	s_cbranch_execz .LBB150_143
; %bb.142:                              ;   in Loop: Header=BB150_109 Depth=2
	global_load_b32 v3, v[0:1], off
.LBB150_143:                            ;   in Loop: Header=BB150_109 Depth=2
	s_or_b32 exec_lo, exec_lo, s45
	s_and_saveexec_b32 s45, s13
	s_cbranch_execz .LBB150_145
; %bb.144:                              ;   in Loop: Header=BB150_109 Depth=2
	global_load_b32 v2, v[0:1], off offset:128
.LBB150_145:                            ;   in Loop: Header=BB150_109 Depth=2
	s_or_b32 exec_lo, exec_lo, s45
	v_dual_mov_b32 v4, 0 :: v_dual_mov_b32 v5, 0
	s_and_saveexec_b32 s45, s14
	s_cbranch_execz .LBB150_147
; %bb.146:                              ;   in Loop: Header=BB150_109 Depth=2
	global_load_b32 v5, v[0:1], off offset:256
.LBB150_147:                            ;   in Loop: Header=BB150_109 Depth=2
	s_or_b32 exec_lo, exec_lo, s45
	s_and_saveexec_b32 s45, s15
	s_cbranch_execz .LBB150_149
; %bb.148:                              ;   in Loop: Header=BB150_109 Depth=2
	global_load_b32 v4, v[0:1], off offset:384
.LBB150_149:                            ;   in Loop: Header=BB150_109 Depth=2
	s_or_b32 exec_lo, exec_lo, s45
	v_dual_mov_b32 v6, 0 :: v_dual_mov_b32 v7, 0
	s_and_saveexec_b32 s45, s16
	s_cbranch_execz .LBB150_151
; %bb.150:                              ;   in Loop: Header=BB150_109 Depth=2
	global_load_b32 v7, v[0:1], off offset:512
.LBB150_151:                            ;   in Loop: Header=BB150_109 Depth=2
	;; [unrolled: 13-line block ×7, first 2 shown]
	s_or_b32 exec_lo, exec_lo, s45
	s_and_saveexec_b32 s45, s27
	s_cbranch_execz .LBB150_173
; %bb.172:                              ;   in Loop: Header=BB150_109 Depth=2
	global_load_b32 v16, v[0:1], off offset:1920
.LBB150_173:                            ;   in Loop: Header=BB150_109 Depth=2
	s_or_b32 exec_lo, exec_lo, s45
	s_waitcnt vmcnt(0)
	ds_store_b32 v53, v3 offset:4224
	ds_store_b32 v70, v2 offset:128
	;; [unrolled: 1-line block ×16, first 2 shown]
	v_add_nc_u32_e32 v2, 0x1080, v69
	; wave barrier
	ds_load_2addr_b32 v[12:13], v85 offset0:2 offset1:3
	ds_load_2addr_b32 v[10:11], v85 offset0:4 offset1:5
	;; [unrolled: 1-line block ×6, first 2 shown]
	ds_load_2addr_b32 v[14:15], v2 offset1:1
	ds_load_2addr_b32 v[2:3], v85 offset0:14 offset1:15
	s_and_not1_b32 vcc_lo, exec_lo, s51
	s_cbranch_vccnz .LBB150_175
; %bb.174:                              ;   in Loop: Header=BB150_109 Depth=2
	v_mov_b32_e32 v16, s89
	ds_load_b64 v[16:17], v16
	s_cbranch_execz .LBB150_176
	s_branch .LBB150_179
.LBB150_175:                            ;   in Loop: Header=BB150_109 Depth=2
                                        ; implicit-def: $vgpr16
.LBB150_176:                            ;   in Loop: Header=BB150_109 Depth=2
	s_waitcnt lgkmcnt(0)
	v_mov_b32_e32 v17, 0
	s_and_not1_b32 vcc_lo, exec_lo, s66
	s_cbranch_vccnz .LBB150_178
; %bb.177:                              ;   in Loop: Header=BB150_109 Depth=2
	s_mov_b32 s61, s65
	s_delay_alu instid0(SALU_CYCLE_1) | instskip(NEXT) | instid1(SALU_CYCLE_1)
	s_lshl_b64 s[46:47], s[60:61], 2
	s_add_u32 s46, s76, s46
	s_addc_u32 s47, s77, s47
	global_load_b32 v17, v37, s[46:47]
.LBB150_178:                            ;   in Loop: Header=BB150_109 Depth=2
	v_mov_b32_e32 v16, 1.0
.LBB150_179:                            ;   in Loop: Header=BB150_109 Depth=2
	s_waitcnt lgkmcnt(31)
	v_dual_mul_f32 v173, 0x3fb8aa3b, v159 :: v_dual_mul_f32 v32, v32, v158
	s_waitcnt lgkmcnt(29)
	v_dual_mul_f32 v161, v33, v157 :: v_dual_mul_f32 v28, v28, v154
	s_delay_alu instid0(VALU_DEP_2) | instskip(NEXT) | instid1(VALU_DEP_3)
	v_dual_mul_f32 v162, v30, v156 :: v_dual_mul_f32 v159, v173, v107
	v_cndmask_b32_e64 v33, 0, v32, s28
	v_mul_f32_e32 v32, v173, v110
	s_waitcnt lgkmcnt(26)
	v_dual_mul_f32 v167, v173, v114 :: v_dual_mul_f32 v22, v22, v148
	v_cmp_gt_f32_e32 vcc_lo, 0xc2fc0000, v159
	v_mul_f32_e32 v174, v173, v119
	v_cmp_gt_f32_e64 s47, 0xc2fc0000, v32
	v_cndmask_b32_e64 v28, 0, v28, s33
	s_waitcnt lgkmcnt(24)
	v_dual_mul_f32 v177, v173, v138 :: v_dual_mul_f32 v18, v18, v144
	v_cndmask_b32_e64 v30, 0, 0x42800000, vcc_lo
	v_cndmask_b32_e64 v32, 0, 0x42800000, s47
	v_cndmask_b32_e64 v22, 0, v22, s39
	v_dual_mul_f32 v31, v31, v155 :: v_dual_mul_f32 v26, v26, v152
	s_delay_alu instid0(VALU_DEP_4) | instskip(SKIP_2) | instid1(VALU_DEP_4)
	v_fmac_f32_e32 v30, v173, v107
	v_mul_f32_e32 v27, v27, v151
	v_mul_f32_e32 v23, v23, v147
	v_cndmask_b32_e64 v31, 0, v31, s31
	v_cndmask_b32_e64 v26, 0, v26, s35
	v_exp_f32_e32 v163, v30
	v_cndmask_b32_e64 v30, 0, v161, s29
	v_cndmask_b32_e64 v161, 1.0, 0x1f800000, vcc_lo
	v_mul_f32_e32 v160, v173, v108
	v_cndmask_b32_e64 v27, 0, v27, s36
	v_cndmask_b32_e64 v23, 0, v23, s40
	v_mul_f32_e32 v24, v24, v150
	v_dual_mul_f32 v20, v20, v146 :: v_dual_mul_f32 v19, v19, v139
	v_mul_f32_e32 v21, v21, v145
	s_delay_alu instid0(TRANS32_DEP_1) | instskip(SKIP_2) | instid1(VALU_DEP_2)
	v_mul_f32_e32 v161, v163, v161
	v_cmp_gt_f32_e64 s45, 0xc2fc0000, v160
	v_cndmask_b32_e64 v24, 0, v24, s37
	v_cndmask_b32_e64 v159, 0, 0x42800000, s45
	v_cndmask_b32_e64 v164, 1.0, 0x1f800000, s45
	s_delay_alu instid0(VALU_DEP_2) | instskip(NEXT) | instid1(VALU_DEP_1)
	v_fmac_f32_e32 v159, v173, v108
	v_exp_f32_e32 v159, v159
	s_waitcnt_depctr 0xfff
	v_dual_mul_f32 v160, v173, v109 :: v_dual_mul_f32 v159, v159, v164
	s_delay_alu instid0(VALU_DEP_1) | instskip(NEXT) | instid1(VALU_DEP_2)
	v_cmp_gt_f32_e64 s46, 0xc2fc0000, v160
	v_cndmask_b32_e64 v159, 1.0, v159, s29
	s_delay_alu instid0(VALU_DEP_2) | instskip(SKIP_2) | instid1(VALU_DEP_3)
	v_cndmask_b32_e64 v160, 0, 0x42800000, s46
	v_cndmask_b32_e64 v166, 1.0, 0x1f800000, s46
	v_cmp_gt_f32_e64 s46, 0xc2fc0000, v167
	v_fmac_f32_e32 v160, v173, v109
	s_delay_alu instid0(VALU_DEP_1) | instskip(SKIP_1) | instid1(VALU_DEP_1)
	v_exp_f32_e32 v165, v160
	v_mul_f32_e32 v160, v173, v111
	v_cmp_gt_f32_e32 vcc_lo, 0xc2fc0000, v160
	v_cndmask_b32_e64 v160, 1.0, v161, s28
	s_waitcnt_depctr 0xfff
	v_mul_f32_e32 v161, v165, v166
	v_cndmask_b32_e64 v164, 0, 0x42800000, vcc_lo
	v_cndmask_b32_e64 v165, 1.0, 0x1f800000, s47
	v_mul_f32_e32 v166, v173, v113
	s_delay_alu instid0(VALU_DEP_4) | instskip(NEXT) | instid1(VALU_DEP_4)
	v_cndmask_b32_e64 v161, 1.0, v161, s30
	v_fmac_f32_e32 v164, v173, v111
	s_delay_alu instid0(VALU_DEP_1) | instskip(SKIP_1) | instid1(VALU_DEP_1)
	v_exp_f32_e32 v164, v164
	v_fmac_f32_e32 v32, v173, v110
	v_exp_f32_e32 v163, v32
	v_cndmask_b32_e64 v32, 0, v162, s30
	v_mul_f32_e32 v162, v173, v112
	s_delay_alu instid0(VALU_DEP_1) | instskip(SKIP_4) | instid1(VALU_DEP_3)
	v_cmp_gt_f32_e64 s45, 0xc2fc0000, v162
	s_waitcnt_depctr 0xfff
	v_mul_f32_e32 v163, v163, v165
	v_cndmask_b32_e64 v165, 0, 0x42800000, s45
	v_cndmask_b32_e64 v167, 1.0, 0x1f800000, s45
	v_cndmask_b32_e64 v162, 1.0, v163, s31
	v_cndmask_b32_e64 v163, 1.0, 0x1f800000, vcc_lo
	v_cmp_gt_f32_e32 vcc_lo, 0xc2fc0000, v166
	s_delay_alu instid0(VALU_DEP_2) | instskip(SKIP_1) | instid1(VALU_DEP_2)
	v_mul_f32_e32 v163, v164, v163
	v_cndmask_b32_e64 v166, 0, 0x42800000, vcc_lo
	v_cndmask_b32_e64 v163, 1.0, v163, s33
	s_delay_alu instid0(VALU_DEP_2) | instskip(NEXT) | instid1(VALU_DEP_1)
	v_fmac_f32_e32 v166, v173, v113
	v_exp_f32_e32 v166, v166
	v_fmac_f32_e32 v165, v173, v112
	s_delay_alu instid0(VALU_DEP_1) | instskip(SKIP_4) | instid1(VALU_DEP_2)
	v_exp_f32_e32 v164, v165
	v_cndmask_b32_e64 v165, 0, 0x42800000, s46
	s_waitcnt_depctr 0xfff
	v_dual_fmac_f32 v165, v173, v114 :: v_dual_mul_f32 v164, v164, v167
	v_cndmask_b32_e64 v167, 1.0, 0x1f800000, vcc_lo
	v_exp_f32_e32 v168, v165
	v_mul_f32_e32 v165, v173, v115
	s_delay_alu instid0(VALU_DEP_3) | instskip(NEXT) | instid1(VALU_DEP_3)
	v_cndmask_b32_e64 v164, 1.0, v164, s34
	v_mul_f32_e32 v166, v166, v167
	v_cndmask_b32_e64 v167, 1.0, 0x1f800000, s46
	s_delay_alu instid0(VALU_DEP_4) | instskip(SKIP_1) | instid1(VALU_DEP_4)
	v_cmp_gt_f32_e32 vcc_lo, 0xc2fc0000, v165
	v_mul_f32_e32 v29, v29, v153
	v_cndmask_b32_e64 v165, 1.0, v166, s35
	s_delay_alu instid0(TRANS32_DEP_1) | instid1(VALU_DEP_4)
	v_mul_f32_e32 v166, v168, v167
	v_cndmask_b32_e64 v169, 0, 0x42800000, vcc_lo
	v_mul_f32_e32 v167, v173, v116
	v_cndmask_b32_e64 v171, 1.0, 0x1f800000, vcc_lo
	v_cndmask_b32_e64 v29, 0, v29, s34
	v_cndmask_b32_e64 v166, 1.0, v166, s36
	v_fmac_f32_e32 v169, v173, v115
	v_cmp_gt_f32_e64 s45, 0xc2fc0000, v167
	v_mul_f32_e32 v168, v173, v117
	s_delay_alu instid0(VALU_DEP_3) | instskip(NEXT) | instid1(VALU_DEP_2)
	v_exp_f32_e32 v169, v169
	v_cndmask_b32_e64 v167, 0, 0x42800000, s45
	s_delay_alu instid0(VALU_DEP_2) | instskip(NEXT) | instid1(VALU_DEP_2)
	v_cmp_gt_f32_e64 s46, 0xc2fc0000, v168
	v_fmac_f32_e32 v167, v173, v116
	s_delay_alu instid0(VALU_DEP_2) | instskip(NEXT) | instid1(VALU_DEP_2)
	v_cndmask_b32_e64 v168, 0, 0x42800000, s46
	v_exp_f32_e32 v172, v167
	s_waitcnt_depctr 0xfff
	v_mul_f32_e32 v167, v169, v171
	v_fmac_f32_e32 v168, v173, v117
	v_cndmask_b32_e64 v169, 1.0, 0x1f800000, s45
	v_cndmask_b32_e64 v171, 1.0, 0x1f800000, s46
	s_delay_alu instid0(VALU_DEP_4) | instskip(SKIP_3) | instid1(VALU_DEP_2)
	v_cndmask_b32_e64 v167, 1.0, v167, s37
	v_mul_f32_e32 v170, v173, v118
	v_exp_f32_e32 v168, v168
	v_mul_f32_e32 v169, v172, v169
	v_cmp_gt_f32_e32 vcc_lo, 0xc2fc0000, v170
	v_cndmask_b32_e64 v170, 0, 0x42800000, vcc_lo
	v_cndmask_b32_e64 v172, 1.0, 0x1f800000, vcc_lo
	s_waitcnt_depctr 0xfff
	v_mul_f32_e32 v171, v168, v171
	v_cmp_gt_f32_e32 vcc_lo, 0xc2fc0000, v174
	v_cndmask_b32_e64 v168, 1.0, v169, s38
	v_fmac_f32_e32 v170, v173, v118
	v_fma_f32 v174, v159, v33, v30
	v_cndmask_b32_e64 v169, 1.0, v171, s39
	v_cndmask_b32_e64 v171, 0, 0x42800000, vcc_lo
	s_delay_alu instid0(VALU_DEP_4) | instskip(NEXT) | instid1(VALU_DEP_3)
	v_exp_f32_e32 v170, v170
	v_fma_f32 v174, v174, v161, v32
	s_delay_alu instid0(VALU_DEP_1) | instskip(SKIP_4) | instid1(VALU_DEP_3)
	v_fma_f32 v174, v174, v162, v31
	s_waitcnt_depctr 0xfff
	v_mul_f32_e32 v170, v170, v172
	v_mul_f32_e32 v172, v159, v160
	v_fma_f32 v174, v174, v163, v28
	v_cndmask_b32_e64 v178, 1.0, v170, s40
	s_delay_alu instid0(VALU_DEP_3) | instskip(SKIP_3) | instid1(VALU_DEP_4)
	v_mul_f32_e32 v172, v172, v161
	v_cndmask_b32_e64 v170, 1.0, 0x1f800000, vcc_lo
	v_mul_f32_e32 v175, v173, v120
	v_fma_f32 v174, v174, v164, v29
	v_dual_mul_f32 v172, v172, v162 :: v_dual_mul_f32 v25, v25, v149
	s_delay_alu instid0(VALU_DEP_3) | instskip(NEXT) | instid1(VALU_DEP_3)
	v_cmp_gt_f32_e64 s45, 0xc2fc0000, v175
	v_fma_f32 v174, v174, v165, v26
	s_delay_alu instid0(VALU_DEP_3) | instskip(SKIP_1) | instid1(VALU_DEP_4)
	v_mul_f32_e32 v172, v172, v163
	v_fmac_f32_e32 v171, v173, v119
	v_cndmask_b32_e64 v175, 0, 0x42800000, s45
	s_delay_alu instid0(VALU_DEP_4) | instskip(SKIP_3) | instid1(VALU_DEP_3)
	v_fma_f32 v174, v174, v166, v27
	v_cndmask_b32_e64 v25, 0, v25, s38
	v_mul_f32_e32 v176, v172, v164
	v_exp_f32_e32 v171, v171
	v_fma_f32 v174, v174, v167, v24
	s_waitcnt_depctr 0xfff
	v_mul_f32_e32 v171, v171, v170
	v_cndmask_b32_e64 v170, 0, v20, s41
	v_cndmask_b32_e64 v20, 1.0, 0x1f800000, s45
	v_cmp_gt_f32_e64 s45, 0xc2fc0000, v177
	v_fma_f32 v177, v174, v168, v25
	v_cndmask_b32_e64 v172, 1.0, v171, s41
	v_mul_f32_e32 v171, v176, v165
	v_mul_f32_e32 v176, v173, v121
	s_delay_alu instid0(VALU_DEP_1) | instskip(SKIP_1) | instid1(VALU_DEP_1)
	v_cmp_gt_f32_e32 vcc_lo, 0xc2fc0000, v176
	v_cndmask_b32_e64 v176, 0, 0x42800000, vcc_lo
	v_fmac_f32_e32 v176, v173, v121
	s_delay_alu instid0(VALU_DEP_1) | instskip(SKIP_1) | instid1(VALU_DEP_1)
	v_exp_f32_e32 v176, v176
	v_fmac_f32_e32 v175, v173, v120
	v_exp_f32_e32 v175, v175
	s_waitcnt_depctr 0xfff
	v_mul_f32_e32 v20, v175, v20
	v_mul_f32_e32 v175, v171, v166
	v_cndmask_b32_e64 v171, 0, v21, s42
	s_delay_alu instid0(VALU_DEP_3) | instskip(NEXT) | instid1(VALU_DEP_3)
	v_cndmask_b32_e64 v174, 1.0, v20, s42
	v_mul_f32_e32 v21, v175, v167
	v_cndmask_b32_e64 v175, 0, 0x42800000, s45
	s_delay_alu instid0(VALU_DEP_1) | instskip(SKIP_1) | instid1(VALU_DEP_2)
	v_fmac_f32_e32 v175, v173, v138
	v_cndmask_b32_e64 v173, 1.0, 0x1f800000, vcc_lo
	v_exp_f32_e32 v175, v175
	s_delay_alu instid0(VALU_DEP_1) | instskip(SKIP_3) | instid1(VALU_DEP_4)
	v_mul_f32_e32 v176, v176, v173
	v_cndmask_b32_e64 v173, 0, v18, s43
	v_cndmask_b32_e64 v18, 1.0, 0x1f800000, s45
	v_mul_f32_e32 v21, v21, v168
	v_cndmask_b32_e64 v176, 1.0, v176, s43
	s_waitcnt_depctr 0xfff
	v_mul_f32_e32 v18, v175, v18
	v_mul_f32_e32 v20, v21, v169
	v_fma_f32 v21, v177, v169, v22
	v_cndmask_b32_e64 v175, 0, v19, s44
	s_delay_alu instid0(VALU_DEP_4) | instskip(NEXT) | instid1(VALU_DEP_4)
	v_cndmask_b32_e64 v177, 1.0, v18, s44
	v_mul_f32_e32 v20, v20, v178
	s_delay_alu instid0(VALU_DEP_4) | instskip(NEXT) | instid1(VALU_DEP_2)
	v_fma_f32 v21, v21, v178, v23
	v_mul_f32_e32 v20, v20, v172
	s_delay_alu instid0(VALU_DEP_2) | instskip(NEXT) | instid1(VALU_DEP_2)
	v_fma_f32 v21, v21, v172, v170
	v_mul_f32_e32 v20, v20, v174
	s_delay_alu instid0(VALU_DEP_2) | instskip(NEXT) | instid1(VALU_DEP_2)
	;; [unrolled: 3-line block ×4, first 2 shown]
	v_fma_f32 v19, v19, v177, v175
	v_mov_b32_dpp v21, v18 row_shr:1 row_mask:0xf bank_mask:0xf
	s_delay_alu instid0(VALU_DEP_2)
	v_mov_b32_dpp v20, v19 row_shr:1 row_mask:0xf bank_mask:0xf
	s_and_saveexec_b32 s45, s0
; %bb.180:                              ;   in Loop: Header=BB150_109 Depth=2
	s_delay_alu instid0(VALU_DEP_2) | instskip(NEXT) | instid1(VALU_DEP_1)
	v_mul_f32_e32 v21, v18, v21
	v_dual_fmac_f32 v19, v18, v20 :: v_dual_mov_b32 v18, v21
; %bb.181:                              ;   in Loop: Header=BB150_109 Depth=2
	s_or_b32 exec_lo, exec_lo, s45
	s_delay_alu instid0(VALU_DEP_1) | instskip(NEXT) | instid1(VALU_DEP_2)
	v_mov_b32_dpp v20, v18 row_shr:2 row_mask:0xf bank_mask:0xf
	v_mov_b32_dpp v21, v19 row_shr:2 row_mask:0xf bank_mask:0xf
	s_and_saveexec_b32 s45, s1
; %bb.182:                              ;   in Loop: Header=BB150_109 Depth=2
	s_delay_alu instid0(VALU_DEP_1) | instskip(NEXT) | instid1(VALU_DEP_3)
	v_fmac_f32_e32 v19, v18, v21
	v_mul_f32_e32 v18, v18, v20
; %bb.183:                              ;   in Loop: Header=BB150_109 Depth=2
	s_or_b32 exec_lo, exec_lo, s45
	s_delay_alu instid0(VALU_DEP_1) | instskip(NEXT) | instid1(VALU_DEP_3)
	v_mov_b32_dpp v20, v18 row_shr:4 row_mask:0xf bank_mask:0xf
	v_mov_b32_dpp v21, v19 row_shr:4 row_mask:0xf bank_mask:0xf
	s_and_saveexec_b32 s45, s2
; %bb.184:                              ;   in Loop: Header=BB150_109 Depth=2
	s_delay_alu instid0(VALU_DEP_1) | instskip(NEXT) | instid1(VALU_DEP_3)
	v_fmac_f32_e32 v19, v18, v21
	v_mul_f32_e32 v18, v18, v20
; %bb.185:                              ;   in Loop: Header=BB150_109 Depth=2
	s_or_b32 exec_lo, exec_lo, s45
	s_delay_alu instid0(VALU_DEP_1) | instskip(NEXT) | instid1(VALU_DEP_3)
	v_mov_b32_dpp v20, v18 row_shr:8 row_mask:0xf bank_mask:0xf
	v_mov_b32_dpp v21, v19 row_shr:8 row_mask:0xf bank_mask:0xf
	s_and_saveexec_b32 s45, s3
; %bb.186:                              ;   in Loop: Header=BB150_109 Depth=2
	s_delay_alu instid0(VALU_DEP_1) | instskip(NEXT) | instid1(VALU_DEP_3)
	v_fmac_f32_e32 v19, v18, v21
	v_mul_f32_e32 v18, v18, v20
; %bb.187:                              ;   in Loop: Header=BB150_109 Depth=2
	s_or_b32 exec_lo, exec_lo, s45
	ds_swizzle_b32 v21, v18 offset:swizzle(BROADCAST,32,15)
	ds_swizzle_b32 v20, v19 offset:swizzle(BROADCAST,32,15)
	s_and_saveexec_b32 s45, s4
	s_cbranch_execz .LBB150_189
; %bb.188:                              ;   in Loop: Header=BB150_109 Depth=2
	s_waitcnt lgkmcnt(1)
	v_mul_f32_e32 v21, v18, v21
	s_waitcnt lgkmcnt(0)
	s_delay_alu instid0(VALU_DEP_1)
	v_dual_fmac_f32 v19, v18, v20 :: v_dual_mov_b32 v18, v21
.LBB150_189:                            ;   in Loop: Header=BB150_109 Depth=2
	s_or_b32 exec_lo, exec_lo, s45
	s_and_saveexec_b32 s45, s5
	s_cbranch_execz .LBB150_191
; %bb.190:                              ;   in Loop: Header=BB150_109 Depth=2
	ds_store_b64 v86, v[18:19] offset:8448
.LBB150_191:                            ;   in Loop: Header=BB150_109 Depth=2
	s_or_b32 exec_lo, exec_lo, s45
	s_waitcnt vmcnt(0) lgkmcnt(0)
	s_waitcnt_vscnt null, 0x0
	s_barrier
	buffer_gl0_inv
	s_and_saveexec_b32 s45, s6
	s_cbranch_execz .LBB150_193
; %bb.192:                              ;   in Loop: Header=BB150_109 Depth=2
	ds_load_b64 v[20:21], v87 offset:8448
	s_waitcnt lgkmcnt(0)
	v_mov_b32_dpp v179, v20 row_shr:1 row_mask:0xf bank_mask:0xf
	v_mov_b32_dpp v180, v21 row_shr:1 row_mask:0xf bank_mask:0xf
	s_delay_alu instid0(VALU_DEP_2) | instskip(NEXT) | instid1(VALU_DEP_2)
	v_mul_f32_e32 v179, v20, v179
	v_fma_f32 v180, v20, v180, v21
	s_delay_alu instid0(VALU_DEP_2) | instskip(NEXT) | instid1(VALU_DEP_2)
	v_cndmask_b32_e64 v20, v179, v20, s7
	v_cndmask_b32_e64 v21, v180, v21, s7
	ds_store_b64 v87, v[20:21] offset:8448
.LBB150_193:                            ;   in Loop: Header=BB150_109 Depth=2
	s_or_b32 exec_lo, exec_lo, s45
	s_waitcnt lgkmcnt(0)
	s_barrier
	buffer_gl0_inv
                                        ; implicit-def: $vgpr21
	s_and_saveexec_b32 s45, s9
	s_cbranch_execz .LBB150_195
; %bb.194:                              ;   in Loop: Header=BB150_109 Depth=2
	ds_load_b64 v[20:21], v86 offset:8440
	s_waitcnt lgkmcnt(0)
	v_mul_f32_e32 v179, v18, v20
	s_delay_alu instid0(VALU_DEP_1)
	v_dual_fmac_f32 v19, v18, v21 :: v_dual_mov_b32 v18, v179
.LBB150_195:                            ;   in Loop: Header=BB150_109 Depth=2
	s_or_b32 exec_lo, exec_lo, s45
	ds_bpermute_b32 v179, v88, v18
	ds_bpermute_b32 v180, v88, v19
	s_and_saveexec_b32 s45, s8
	s_cbranch_execz .LBB150_199
; %bb.196:                              ;   in Loop: Header=BB150_109 Depth=2
	ds_load_b64 v[18:19], v37 offset:8456
	s_and_saveexec_b32 s46, s10
	s_cbranch_execz .LBB150_198
; %bb.197:                              ;   in Loop: Header=BB150_109 Depth=2
	ds_store_b64 v37, v[16:17] offset:8456
.LBB150_198:                            ;   in Loop: Header=BB150_109 Depth=2
	s_or_b32 exec_lo, exec_lo, s46
	s_waitcnt lgkmcnt(0)
	v_fmac_f32_e32 v19, v17, v18
	s_delay_alu instid0(VALU_DEP_1)
	v_dual_mul_f32 v16, v16, v18 :: v_dual_mov_b32 v17, v19
.LBB150_199:                            ;   in Loop: Header=BB150_109 Depth=2
	s_or_b32 exec_lo, exec_lo, s45
	s_waitcnt lgkmcnt(0)
	s_barrier
	buffer_gl0_inv
	ds_load_b32 v18, v37 offset:8460
	s_and_saveexec_b32 s45, s10
	s_cbranch_execz .LBB150_108
; %bb.200:                              ;   in Loop: Header=BB150_109 Depth=2
	v_mov_b32_e32 v19, s89
	s_and_not1_b32 vcc_lo, exec_lo, s87
	ds_store_b64 v19, v[16:17]
	s_cbranch_vccnz .LBB150_108
; %bb.201:                              ;   in Loop: Header=BB150_109 Depth=2
	s_mov_b32 s61, s65
	s_delay_alu instid0(SALU_CYCLE_1) | instskip(NEXT) | instid1(SALU_CYCLE_1)
	s_lshl_b64 s[46:47], s[60:61], 2
	s_add_u32 s46, s76, s46
	s_addc_u32 s47, s77, s47
	global_store_b32 v37, v17, s[46:47]
	s_branch .LBB150_108
.LBB150_202:                            ;   in Loop: Header=BB150_12 Depth=1
	s_waitcnt_vscnt null, 0x0
	s_barrier
	buffer_gl0_inv
	ds_store_2addr_b32 v69, v137, v136 offset1:1
	ds_store_2addr_b32 v69, v135, v134 offset0:2 offset1:3
	ds_store_2addr_b32 v69, v132, v131 offset0:4 offset1:5
	;; [unrolled: 1-line block ×7, first 2 shown]
	; wave barrier
	ds_load_b32 v16, v54 offset:128
	ds_load_b32 v15, v55 offset:256
	;; [unrolled: 1-line block ×15, first 2 shown]
	s_mov_b32 s51, s65
	s_delay_alu instid0(SALU_CYCLE_1) | instskip(NEXT) | instid1(SALU_CYCLE_1)
	s_lshl_b64 s[28:29], s[50:51], 2
	v_add_co_u32 v0, vcc_lo, v89, s28
	v_add_co_ci_u32_e32 v1, vcc_lo, s29, v90, vcc_lo
	s_and_saveexec_b32 s28, s12
	s_cbranch_execnz .LBB150_220
; %bb.203:                              ;   in Loop: Header=BB150_12 Depth=1
	s_or_b32 exec_lo, exec_lo, s28
	s_and_saveexec_b32 s12, s13
	s_cbranch_execnz .LBB150_221
.LBB150_204:                            ;   in Loop: Header=BB150_12 Depth=1
	s_or_b32 exec_lo, exec_lo, s12
	s_and_saveexec_b32 s12, s14
	s_cbranch_execnz .LBB150_222
.LBB150_205:                            ;   in Loop: Header=BB150_12 Depth=1
	s_or_b32 exec_lo, exec_lo, s12
	s_and_saveexec_b32 s12, s15
	s_cbranch_execnz .LBB150_223
.LBB150_206:                            ;   in Loop: Header=BB150_12 Depth=1
	s_or_b32 exec_lo, exec_lo, s12
	s_and_saveexec_b32 s12, s16
	s_cbranch_execnz .LBB150_224
.LBB150_207:                            ;   in Loop: Header=BB150_12 Depth=1
	s_or_b32 exec_lo, exec_lo, s12
	s_and_saveexec_b32 s12, s17
	s_cbranch_execnz .LBB150_225
.LBB150_208:                            ;   in Loop: Header=BB150_12 Depth=1
	s_or_b32 exec_lo, exec_lo, s12
	s_and_saveexec_b32 s12, s18
	s_cbranch_execnz .LBB150_226
.LBB150_209:                            ;   in Loop: Header=BB150_12 Depth=1
	s_or_b32 exec_lo, exec_lo, s12
	s_and_saveexec_b32 s12, s19
	s_cbranch_execnz .LBB150_227
.LBB150_210:                            ;   in Loop: Header=BB150_12 Depth=1
	s_or_b32 exec_lo, exec_lo, s12
	s_and_saveexec_b32 s12, s20
	s_cbranch_execnz .LBB150_228
.LBB150_211:                            ;   in Loop: Header=BB150_12 Depth=1
	s_or_b32 exec_lo, exec_lo, s12
	s_and_saveexec_b32 s12, s21
	s_cbranch_execnz .LBB150_229
.LBB150_212:                            ;   in Loop: Header=BB150_12 Depth=1
	s_or_b32 exec_lo, exec_lo, s12
	s_and_saveexec_b32 s12, s22
	s_cbranch_execnz .LBB150_230
.LBB150_213:                            ;   in Loop: Header=BB150_12 Depth=1
	s_or_b32 exec_lo, exec_lo, s12
	s_and_saveexec_b32 s12, s23
	s_cbranch_execnz .LBB150_231
.LBB150_214:                            ;   in Loop: Header=BB150_12 Depth=1
	s_or_b32 exec_lo, exec_lo, s12
	s_and_saveexec_b32 s12, s24
	s_cbranch_execnz .LBB150_232
.LBB150_215:                            ;   in Loop: Header=BB150_12 Depth=1
	s_or_b32 exec_lo, exec_lo, s12
	s_and_saveexec_b32 s12, s25
	s_cbranch_execnz .LBB150_233
.LBB150_216:                            ;   in Loop: Header=BB150_12 Depth=1
	s_or_b32 exec_lo, exec_lo, s12
	s_and_saveexec_b32 s12, s26
	s_cbranch_execnz .LBB150_234
.LBB150_217:                            ;   in Loop: Header=BB150_12 Depth=1
	s_or_b32 exec_lo, exec_lo, s12
	s_and_saveexec_b32 s12, s27
	s_cbranch_execz .LBB150_11
	s_branch .LBB150_235
.LBB150_218:                            ;   in Loop: Header=BB150_12 Depth=1
	global_load_b32 v33, v[16:17], off offset:1664
	s_or_b32 exec_lo, exec_lo, s28
	s_and_saveexec_b32 s28, s26
	s_cbranch_execz .LBB150_72
.LBB150_219:                            ;   in Loop: Header=BB150_12 Depth=1
	global_load_b32 v31, v[16:17], off offset:1792
	s_or_b32 exec_lo, exec_lo, s28
	v_mov_b32_e32 v107, 0
	s_and_saveexec_b32 s28, s27
	s_cbranch_execnz .LBB150_73
	s_branch .LBB150_74
.LBB150_220:                            ;   in Loop: Header=BB150_12 Depth=1
	ds_load_b32 v17, v53
	s_waitcnt lgkmcnt(0)
	global_store_b32 v[0:1], v17, off
	s_or_b32 exec_lo, exec_lo, s28
	s_and_saveexec_b32 s12, s13
	s_cbranch_execz .LBB150_204
.LBB150_221:                            ;   in Loop: Header=BB150_12 Depth=1
	s_waitcnt lgkmcnt(14)
	global_store_b32 v[0:1], v16, off offset:128
	s_or_b32 exec_lo, exec_lo, s12
	s_and_saveexec_b32 s12, s14
	s_cbranch_execz .LBB150_205
.LBB150_222:                            ;   in Loop: Header=BB150_12 Depth=1
	s_waitcnt lgkmcnt(13)
	global_store_b32 v[0:1], v15, off offset:256
	s_or_b32 exec_lo, exec_lo, s12
	s_and_saveexec_b32 s12, s15
	s_cbranch_execz .LBB150_206
.LBB150_223:                            ;   in Loop: Header=BB150_12 Depth=1
	s_waitcnt lgkmcnt(12)
	global_store_b32 v[0:1], v14, off offset:384
	s_or_b32 exec_lo, exec_lo, s12
	s_and_saveexec_b32 s12, s16
	s_cbranch_execz .LBB150_207
.LBB150_224:                            ;   in Loop: Header=BB150_12 Depth=1
	s_waitcnt lgkmcnt(11)
	global_store_b32 v[0:1], v13, off offset:512
	s_or_b32 exec_lo, exec_lo, s12
	s_and_saveexec_b32 s12, s17
	s_cbranch_execz .LBB150_208
.LBB150_225:                            ;   in Loop: Header=BB150_12 Depth=1
	s_waitcnt lgkmcnt(10)
	global_store_b32 v[0:1], v12, off offset:640
	s_or_b32 exec_lo, exec_lo, s12
	s_and_saveexec_b32 s12, s18
	s_cbranch_execz .LBB150_209
.LBB150_226:                            ;   in Loop: Header=BB150_12 Depth=1
	s_waitcnt lgkmcnt(9)
	global_store_b32 v[0:1], v11, off offset:768
	s_or_b32 exec_lo, exec_lo, s12
	s_and_saveexec_b32 s12, s19
	s_cbranch_execz .LBB150_210
.LBB150_227:                            ;   in Loop: Header=BB150_12 Depth=1
	s_waitcnt lgkmcnt(8)
	global_store_b32 v[0:1], v10, off offset:896
	s_or_b32 exec_lo, exec_lo, s12
	s_and_saveexec_b32 s12, s20
	s_cbranch_execz .LBB150_211
.LBB150_228:                            ;   in Loop: Header=BB150_12 Depth=1
	s_waitcnt lgkmcnt(7)
	global_store_b32 v[0:1], v9, off offset:1024
	s_or_b32 exec_lo, exec_lo, s12
	s_and_saveexec_b32 s12, s21
	s_cbranch_execz .LBB150_212
.LBB150_229:                            ;   in Loop: Header=BB150_12 Depth=1
	s_waitcnt lgkmcnt(6)
	global_store_b32 v[0:1], v8, off offset:1152
	s_or_b32 exec_lo, exec_lo, s12
	s_and_saveexec_b32 s12, s22
	s_cbranch_execz .LBB150_213
.LBB150_230:                            ;   in Loop: Header=BB150_12 Depth=1
	s_waitcnt lgkmcnt(5)
	global_store_b32 v[0:1], v7, off offset:1280
	s_or_b32 exec_lo, exec_lo, s12
	s_and_saveexec_b32 s12, s23
	s_cbranch_execz .LBB150_214
.LBB150_231:                            ;   in Loop: Header=BB150_12 Depth=1
	s_waitcnt lgkmcnt(4)
	global_store_b32 v[0:1], v6, off offset:1408
	s_or_b32 exec_lo, exec_lo, s12
	s_and_saveexec_b32 s12, s24
	s_cbranch_execz .LBB150_215
.LBB150_232:                            ;   in Loop: Header=BB150_12 Depth=1
	s_waitcnt lgkmcnt(3)
	global_store_b32 v[0:1], v5, off offset:1536
	s_or_b32 exec_lo, exec_lo, s12
	s_and_saveexec_b32 s12, s25
	s_cbranch_execz .LBB150_216
.LBB150_233:                            ;   in Loop: Header=BB150_12 Depth=1
	s_waitcnt lgkmcnt(2)
	global_store_b32 v[0:1], v4, off offset:1664
	s_or_b32 exec_lo, exec_lo, s12
	s_and_saveexec_b32 s12, s26
	s_cbranch_execz .LBB150_217
.LBB150_234:                            ;   in Loop: Header=BB150_12 Depth=1
	s_waitcnt lgkmcnt(1)
	global_store_b32 v[0:1], v3, off offset:1792
	s_or_b32 exec_lo, exec_lo, s12
	s_and_saveexec_b32 s12, s27
	s_cbranch_execz .LBB150_11
.LBB150_235:                            ;   in Loop: Header=BB150_12 Depth=1
	s_waitcnt lgkmcnt(0)
	global_store_b32 v[0:1], v2, off offset:1920
	s_branch .LBB150_11
.LBB150_236:
	s_nop 0
	s_sendmsg sendmsg(MSG_DEALLOC_VGPRS)
	s_endpgm
	.section	.rodata,"a",@progbits
	.p2align	6, 0x0
	.amdhsa_kernel _Z25selective_scan_fwd_kernelI32Selective_Scan_fwd_kernel_traitsILi64ELi16ELi1ELb0ELb1ELb1ELb0ELb1EfffEEv13SSMParamsBase
		.amdhsa_group_segment_fixed_size 0
		.amdhsa_private_segment_fixed_size 0
		.amdhsa_kernarg_size 248
		.amdhsa_user_sgpr_count 14
		.amdhsa_user_sgpr_dispatch_ptr 0
		.amdhsa_user_sgpr_queue_ptr 0
		.amdhsa_user_sgpr_kernarg_segment_ptr 1
		.amdhsa_user_sgpr_dispatch_id 0
		.amdhsa_user_sgpr_private_segment_size 0
		.amdhsa_wavefront_size32 1
		.amdhsa_uses_dynamic_stack 0
		.amdhsa_enable_private_segment 0
		.amdhsa_system_sgpr_workgroup_id_x 1
		.amdhsa_system_sgpr_workgroup_id_y 1
		.amdhsa_system_sgpr_workgroup_id_z 0
		.amdhsa_system_sgpr_workgroup_info 0
		.amdhsa_system_vgpr_workitem_id 0
		.amdhsa_next_free_vgpr 181
		.amdhsa_next_free_sgpr 90
		.amdhsa_reserve_vcc 1
		.amdhsa_float_round_mode_32 0
		.amdhsa_float_round_mode_16_64 0
		.amdhsa_float_denorm_mode_32 3
		.amdhsa_float_denorm_mode_16_64 3
		.amdhsa_dx10_clamp 1
		.amdhsa_ieee_mode 1
		.amdhsa_fp16_overflow 0
		.amdhsa_workgroup_processor_mode 1
		.amdhsa_memory_ordered 1
		.amdhsa_forward_progress 0
		.amdhsa_shared_vgpr_count 0
		.amdhsa_exception_fp_ieee_invalid_op 0
		.amdhsa_exception_fp_denorm_src 0
		.amdhsa_exception_fp_ieee_div_zero 0
		.amdhsa_exception_fp_ieee_overflow 0
		.amdhsa_exception_fp_ieee_underflow 0
		.amdhsa_exception_fp_ieee_inexact 0
		.amdhsa_exception_int_div_zero 0
	.end_amdhsa_kernel
	.section	.text._Z25selective_scan_fwd_kernelI32Selective_Scan_fwd_kernel_traitsILi64ELi16ELi1ELb0ELb1ELb1ELb0ELb1EfffEEv13SSMParamsBase,"axG",@progbits,_Z25selective_scan_fwd_kernelI32Selective_Scan_fwd_kernel_traitsILi64ELi16ELi1ELb0ELb1ELb1ELb0ELb1EfffEEv13SSMParamsBase,comdat
.Lfunc_end150:
	.size	_Z25selective_scan_fwd_kernelI32Selective_Scan_fwd_kernel_traitsILi64ELi16ELi1ELb0ELb1ELb1ELb0ELb1EfffEEv13SSMParamsBase, .Lfunc_end150-_Z25selective_scan_fwd_kernelI32Selective_Scan_fwd_kernel_traitsILi64ELi16ELi1ELb0ELb1ELb1ELb0ELb1EfffEEv13SSMParamsBase
                                        ; -- End function
	.section	.AMDGPU.csdata,"",@progbits
; Kernel info:
; codeLenInByte = 20556
; NumSgprs: 92
; NumVgprs: 181
; ScratchSize: 0
; MemoryBound: 0
; FloatMode: 240
; IeeeMode: 1
; LDSByteSize: 0 bytes/workgroup (compile time only)
; SGPRBlocks: 11
; VGPRBlocks: 22
; NumSGPRsForWavesPerEU: 92
; NumVGPRsForWavesPerEU: 181
; Occupancy: 8
; WaveLimiterHint : 1
; COMPUTE_PGM_RSRC2:SCRATCH_EN: 0
; COMPUTE_PGM_RSRC2:USER_SGPR: 14
; COMPUTE_PGM_RSRC2:TRAP_HANDLER: 0
; COMPUTE_PGM_RSRC2:TGID_X_EN: 1
; COMPUTE_PGM_RSRC2:TGID_Y_EN: 1
; COMPUTE_PGM_RSRC2:TGID_Z_EN: 0
; COMPUTE_PGM_RSRC2:TIDIG_COMP_CNT: 0
	.section	.text._Z25selective_scan_fwd_kernelI32Selective_Scan_fwd_kernel_traitsILi64ELi16ELi1ELb0ELb1ELb1ELb0ELb0EfffEEv13SSMParamsBase,"axG",@progbits,_Z25selective_scan_fwd_kernelI32Selective_Scan_fwd_kernel_traitsILi64ELi16ELi1ELb0ELb1ELb1ELb0ELb0EfffEEv13SSMParamsBase,comdat
	.protected	_Z25selective_scan_fwd_kernelI32Selective_Scan_fwd_kernel_traitsILi64ELi16ELi1ELb0ELb1ELb1ELb0ELb0EfffEEv13SSMParamsBase ; -- Begin function _Z25selective_scan_fwd_kernelI32Selective_Scan_fwd_kernel_traitsILi64ELi16ELi1ELb0ELb1ELb1ELb0ELb0EfffEEv13SSMParamsBase
	.globl	_Z25selective_scan_fwd_kernelI32Selective_Scan_fwd_kernel_traitsILi64ELi16ELi1ELb0ELb1ELb1ELb0ELb0EfffEEv13SSMParamsBase
	.p2align	8
	.type	_Z25selective_scan_fwd_kernelI32Selective_Scan_fwd_kernel_traitsILi64ELi16ELi1ELb0ELb1ELb1ELb0ELb0EfffEEv13SSMParamsBase,@function
_Z25selective_scan_fwd_kernelI32Selective_Scan_fwd_kernel_traitsILi64ELi16ELi1ELb0ELb1ELb1ELb0ELb0EfffEEv13SSMParamsBase: ; @_Z25selective_scan_fwd_kernelI32Selective_Scan_fwd_kernel_traitsILi64ELi16ELi1ELb0ELb1ELb1ELb0ELb0EfffEEv13SSMParamsBase
; %bb.0:
	s_clause 0x1
	s_load_b32 s9, s[0:1], 0x18
	s_load_b128 s[4:7], s[0:1], 0xe8
	s_mov_b32 s12, s15
	s_mov_b32 s68, 0
	s_waitcnt lgkmcnt(0)
	s_abs_i32 s8, s9
	s_cmp_eq_u64 s[6:7], 0
	v_cvt_f32_u32_e32 v1, s8
	s_delay_alu instid0(VALU_DEP_1) | instskip(SKIP_2) | instid1(VALU_DEP_1)
	v_rcp_iflag_f32_e32 v1, v1
	s_waitcnt_depctr 0xfff
	v_mul_f32_e32 v1, 0x4f7ffffe, v1
	v_cvt_u32_f32_e32 v1, v1
	s_delay_alu instid0(VALU_DEP_1)
	v_readfirstlane_b32 s10, v1
	s_cbranch_scc1 .LBB151_2
; %bb.1:
	v_mov_b32_e32 v1, 0
	s_ashr_i32 s3, s14, 31
	s_add_u32 s2, s6, s14
	s_addc_u32 s3, s7, s3
	global_load_u8 v1, v1, s[2:3]
	s_waitcnt vmcnt(0)
	v_and_b32_e32 v1, 1, v1
	s_delay_alu instid0(VALU_DEP_1)
	v_cmp_eq_u32_e64 s68, 1, v1
.LBB151_2:
	s_load_b64 s[6:7], s[0:1], 0x20
	s_cmp_eq_u64 s[4:5], 0
	s_cbranch_scc1 .LBB151_4
; %bb.3:
	s_ashr_i32 s15, s14, 31
	s_delay_alu instid0(SALU_CYCLE_1) | instskip(NEXT) | instid1(SALU_CYCLE_1)
	s_lshl_b64 s[2:3], s[14:15], 2
	s_add_u32 s2, s4, s2
	s_addc_u32 s3, s5, s3
	s_load_b32 s2, s[2:3], 0x0
	s_waitcnt lgkmcnt(0)
	s_ashr_i32 s3, s2, 31
	s_delay_alu instid0(SALU_CYCLE_1)
	s_cmp_eq_u64 s[6:7], s[2:3]
	s_cbranch_scc0 .LBB151_5
	s_branch .LBB151_236
.LBB151_4:
	s_mov_b32 s2, s14
	s_delay_alu instid0(SALU_CYCLE_1)
	s_ashr_i32 s3, s2, 31
	s_waitcnt lgkmcnt(0)
	s_cmp_eq_u64 s[6:7], s[2:3]
	s_cbranch_scc1 .LBB151_236
.LBB151_5:
	s_clause 0x1
	s_load_b512 s[16:31], s[0:1], 0x88
	s_load_b64 s[64:65], s[0:1], 0x8
	s_mov_b32 s69, 0
	s_mov_b32 s70, 0
	s_waitcnt lgkmcnt(0)
	s_cmp_eq_u64 s[22:23], 0
	s_cbranch_scc1 .LBB151_7
; %bb.6:
	s_ashr_i32 s13, s12, 31
	s_delay_alu instid0(SALU_CYCLE_1) | instskip(NEXT) | instid1(SALU_CYCLE_1)
	s_lshl_b64 s[4:5], s[12:13], 2
	s_add_u32 s4, s22, s4
	s_addc_u32 s5, s23, s5
	s_load_b32 s70, s[4:5], 0x0
.LBB151_7:
	s_cmp_eq_u64 s[28:29], 0
	s_cbranch_scc1 .LBB151_9
; %bb.8:
	s_ashr_i32 s13, s12, 31
	s_delay_alu instid0(SALU_CYCLE_1) | instskip(NEXT) | instid1(SALU_CYCLE_1)
	s_lshl_b64 s[4:5], s[12:13], 2
	s_add_u32 s4, s28, s4
	s_addc_u32 s5, s29, s5
	s_load_b32 s69, s[4:5], 0x0
.LBB151_9:
	s_cmp_lt_i32 s64, 1
	s_cbranch_scc1 .LBB151_236
; %bb.10:
	s_sub_i32 s3, 0, s8
	s_clause 0x1
	s_load_b64 s[4:5], s[0:1], 0x5c
	s_load_b128 s[56:59], s[0:1], 0x4c
	s_mul_i32 s3, s3, s10
	s_abs_i32 s6, s12
	s_mul_hi_u32 s3, s10, s3
	s_ashr_i32 s9, s9, 31
	s_add_i32 s10, s10, s3
	s_ashr_i32 s3, s12, 31
	s_mul_hi_u32 s7, s6, s10
	s_xor_b32 s3, s3, s9
	s_mul_i32 s10, s7, s8
	s_add_i32 s9, s7, 1
	s_sub_i32 s6, s6, s10
	s_load_b256 s[48:55], s[0:1], 0x2c
	s_sub_i32 s10, s6, s8
	s_cmp_ge_u32 s6, s8
	s_mov_b32 s67, 0
	s_cselect_b32 s7, s9, s7
	s_cselect_b32 s6, s10, s6
	s_add_i32 s9, s7, 1
	s_cmp_ge_u32 s6, s8
	s_waitcnt lgkmcnt(0)
	s_mul_i32 s66, s58, s14
	s_cselect_b32 s6, s9, s7
	s_clause 0x1
	s_load_b128 s[60:63], s[0:1], 0x7c
	s_load_b64 s[10:11], s[0:1], 0x6c
	s_xor_b32 s8, s6, s3
	s_lshl_b64 s[6:7], s[66:67], 2
	s_sub_i32 s3, s8, s3
	s_mul_i32 s66, s59, s12
	s_add_u32 s8, s24, s6
	s_addc_u32 s9, s25, s7
	s_lshl_b64 s[6:7], s[66:67], 2
	s_mul_i32 s66, s4, s14
	s_add_u32 s71, s8, s6
	s_addc_u32 s72, s9, s7
	s_lshl_b64 s[6:7], s[66:67], 2
	;; [unrolled: 4-line block ×3, first 2 shown]
	s_mul_i32 s66, s48, s12
	s_add_u32 s73, s6, s4
	s_addc_u32 s48, s7, s5
	s_load_b64 s[6:7], s[0:1], 0xc8
	s_lshl_b64 s[4:5], s[66:67], 2
	v_dual_mov_b32 v37, 0 :: v_dual_lshlrev_b32 v34, 4, v0
	s_mul_i32 s66, s50, s14
	s_add_u32 s74, s16, s4
	s_waitcnt lgkmcnt(0)
	s_addc_u32 s63, s17, s5
	s_lshl_b64 s[4:5], s[66:67], 2
	s_mul_i32 s66, s3, s53
	s_load_b32 s0, s[0:1], 0x28
	s_add_u32 s8, s18, s4
	v_mbcnt_lo_u32_b32 v35, -1, 0
	v_and_b32_e32 v1, 0x200, v34
	s_addc_u32 s9, s19, s5
	s_lshl_b64 s[4:5], s[66:67], 2
	s_mul_i32 s66, s54, s14
	s_add_u32 s53, s8, s4
	s_addc_u32 s75, s9, s5
	s_lshl_b64 s[4:5], s[66:67], 2
	s_mul_i32 s66, s3, s57
	v_or_b32_e32 v36, v35, v1
	s_add_u32 s8, s20, s4
	s_addc_u32 s3, s21, s5
	s_lshl_b64 s[4:5], s[66:67], 2
	s_mul_i32 s66, s2, s60
	s_add_u32 s57, s8, s4
	s_addc_u32 s76, s3, s5
	s_lshl_b64 s[2:3], s[66:67], 2
	v_or_b32_e32 v38, 32, v36
	v_lshrrev_b32_e32 v2, 5, v1
	v_and_b32_e32 v14, 32, v0
	s_mul_i32 s66, s61, s12
	s_add_u32 s4, s6, s2
	s_addc_u32 s5, s7, s3
	s_lshl_b64 s[2:3], s[66:67], 2
	v_or_b32_e32 v39, 64, v36
	s_add_u32 s77, s4, s2
	v_or_b32_e32 v40, 0x60, v36
	v_or_b32_e32 v41, 0x80, v36
	;; [unrolled: 1-line block ×11, first 2 shown]
	v_add_nc_u32_e32 v2, v2, v36
	v_lshrrev_b32_e32 v3, 5, v38
	v_or_b32_e32 v51, 0x1c0, v36
	v_or_b32_e32 v52, 0x1e0, v36
	;; [unrolled: 1-line block ×3, first 2 shown]
	s_addc_u32 s78, s5, s3
	s_add_i32 s2, s64, 0x7ff
	v_lshrrev_b32_e32 v4, 5, v39
	s_lshr_b32 s79, s2, 11
	s_waitcnt lgkmcnt(0)
	s_bitcmp1_b32 s0, 0
	v_lshl_add_u32 v53, v2, 2, 0
	v_add_lshl_u32 v2, v3, v36, 2
	v_lshrrev_b32_e32 v3, 5, v40
	v_lshrrev_b32_e32 v5, 5, v41
	;; [unrolled: 1-line block ×13, first 2 shown]
	v_lshlrev_b32_e32 v19, 4, v17
	v_bfe_u32 v17, v17, 1, 27
	s_cselect_b32 s80, -1, 0
	s_cmp_gt_i32 s65, 0
	v_add_lshl_u32 v4, v4, v36, 2
	s_cselect_b32 s81, -1, 0
	s_add_i32 s0, 0, 0x1080
	v_add_nc_u32_e32 v54, 0, v2
	v_add_lshl_u32 v3, v3, v36, 2
	v_add_lshl_u32 v5, v5, v36, 2
	;; [unrolled: 1-line block ×14, first 2 shown]
	v_add_nc_u32_e32 v70, s0, v2
	v_and_b32_e32 v2, 15, v35
	s_and_b32 s1, s64, 0x3ff
	v_add_nc_u32_e32 v71, s0, v4
	v_add_nc_u32_e32 v72, s0, v3
	v_add_nc_u32_e32 v73, s0, v5
	v_add_nc_u32_e32 v74, s0, v6
	v_add_nc_u32_e32 v75, s0, v7
	v_add_nc_u32_e32 v76, s0, v8
	v_add_nc_u32_e32 v77, s0, v9
	v_add_nc_u32_e32 v78, s0, v10
	v_add_nc_u32_e32 v79, s0, v11
	v_add_nc_u32_e32 v80, s0, v12
	v_add_nc_u32_e32 v81, s0, v13
	v_add_nc_u32_e32 v82, s0, v15
	v_add_nc_u32_e32 v83, s0, v16
	v_add_nc_u32_e32 v84, s0, v18
	s_cmp_eq_u32 s1, 0
	v_add_nc_u32_e32 v85, s0, v17
	v_cmp_ne_u32_e64 s0, 0, v2
	v_cmp_lt_u32_e64 s1, 1, v2
	v_cmp_lt_u32_e64 s2, 3, v2
	;; [unrolled: 1-line block ×3, first 2 shown]
	v_add_nc_u32_e32 v2, -1, v35
	v_add_nc_u32_e32 v56, 0, v3
	v_lshrrev_b32_e32 v3, 2, v0
	v_add_nc_u32_e32 v57, 0, v5
	v_or_b32_e32 v5, 31, v14
	v_cmp_gt_i32_e32 vcc_lo, 0, v2
	s_mul_i32 s66, s10, s14
	v_and_b32_e32 v3, 8, v3
	s_cselect_b32 s82, -1, 0
	s_lshl_b64 s[14:15], s[66:67], 2
	v_cndmask_b32_e32 v2, v2, v35, vcc_lo
	s_add_i32 s83, s79, -1
	s_mul_i32 s66, s11, s12
	v_cmp_eq_u32_e64 s5, v5, v0
	v_cmp_gt_u32_e64 s6, 2, v0
	v_lshl_add_u32 v87, v0, 3, 0
	v_cmp_gt_u32_e64 s8, 32, v0
	v_cmp_lt_u32_e64 s9, 31, v0
	v_cmp_eq_u32_e64 s10, 0, v0
	s_add_u32 s14, s30, s14
	v_lshlrev_b32_e32 v0, 2, v35
	s_addc_u32 s11, s31, s15
	s_lshl_b64 s[12:13], s[66:67], 2
	v_add_nc_u32_e32 v86, 0, v3
	v_and_b32_e32 v3, 1, v35
	s_add_u32 s12, s14, s12
	v_lshlrev_b32_e32 v88, 2, v2
	s_addc_u32 s11, s11, s13
	v_lshlrev_b32_e32 v2, 2, v1
	v_add_co_u32 v0, s12, s12, v0
	v_add_nc_u32_e32 v55, 0, v4
	v_and_b32_e32 v4, 16, v35
	v_cmp_eq_u32_e64 s7, 0, v3
	v_add_co_ci_u32_e64 v3, null, s11, 0, s12
	v_add_co_u32 v89, vcc_lo, v0, v2
	v_add_nc_u32_e32 v58, 0, v6
	v_add_nc_u32_e32 v59, 0, v7
	;; [unrolled: 1-line block ×12, first 2 shown]
	v_cmp_ne_u32_e64 s4, 0, v4
	v_cmp_eq_u32_e64 s11, 0, v35
	v_add_co_ci_u32_e32 v90, vcc_lo, 0, v3, vcc_lo
	v_or_b32_e32 v91, 1, v34
	v_or_b32_e32 v92, 2, v34
	;; [unrolled: 1-line block ×15, first 2 shown]
	v_lshlrev_b32_e32 v106, 2, v1
	s_mov_b32 s84, 0x3e9b6dac
	s_add_i32 s85, 0, 0x2110
	s_mov_b32 s86, 0
	s_branch .LBB151_12
.LBB151_11:                             ;   in Loop: Header=BB151_12 Depth=1
	s_or_b32 exec_lo, exec_lo, s12
	s_add_u32 s73, s73, 0x1000
	s_addc_u32 s48, s48, 0
	s_add_u32 s71, s71, 0x1000
	s_addc_u32 s72, s72, 0
	;; [unrolled: 2-line block ×4, first 2 shown]
	s_add_i32 s86, s86, 1
	s_delay_alu instid0(SALU_CYCLE_1)
	s_cmp_eq_u32 s86, s79
	s_cbranch_scc1 .LBB151_236
.LBB151_12:                             ; =>This Loop Header: Depth=1
                                        ;     Child Loop BB151_109 Depth 2
	v_lshlrev_b32_e32 v32, 2, v35
	s_lshl_b32 s50, s86, 10
	s_waitcnt lgkmcnt(0)
	v_mov_b32_e32 v2, 0
	s_sub_i32 s40, s64, s50
	v_add_co_u32 v0, s12, s71, v32
	s_delay_alu instid0(VALU_DEP_1) | instskip(SKIP_1) | instid1(VALU_DEP_3)
	v_add_co_ci_u32_e64 v1, null, s72, 0, s12
	v_cmp_gt_u32_e64 s12, s40, v36
	v_add_co_u32 v0, vcc_lo, v0, v106
	s_delay_alu instid0(VALU_DEP_3)
	v_add_co_ci_u32_e32 v1, vcc_lo, 0, v1, vcc_lo
	s_waitcnt_vscnt null, 0x0
	s_barrier
	buffer_gl0_inv
	s_and_saveexec_b32 s13, s12
	s_cbranch_execz .LBB151_14
; %bb.13:                               ;   in Loop: Header=BB151_12 Depth=1
	global_load_b32 v2, v[0:1], off
.LBB151_14:                             ;   in Loop: Header=BB151_12 Depth=1
	s_or_b32 exec_lo, exec_lo, s13
	v_cmp_gt_u32_e64 s13, s40, v38
	v_dual_mov_b32 v3, 0 :: v_dual_mov_b32 v4, 0
	s_delay_alu instid0(VALU_DEP_2)
	s_and_saveexec_b32 s14, s13
	s_cbranch_execz .LBB151_16
; %bb.15:                               ;   in Loop: Header=BB151_12 Depth=1
	global_load_b32 v4, v[0:1], off offset:128
.LBB151_16:                             ;   in Loop: Header=BB151_12 Depth=1
	s_or_b32 exec_lo, exec_lo, s14
	v_cmp_gt_u32_e64 s14, s40, v39
	s_delay_alu instid0(VALU_DEP_1)
	s_and_saveexec_b32 s15, s14
	s_cbranch_execz .LBB151_18
; %bb.17:                               ;   in Loop: Header=BB151_12 Depth=1
	global_load_b32 v3, v[0:1], off offset:256
.LBB151_18:                             ;   in Loop: Header=BB151_12 Depth=1
	s_or_b32 exec_lo, exec_lo, s15
	v_cmp_gt_u32_e64 s15, s40, v40
	v_dual_mov_b32 v5, 0 :: v_dual_mov_b32 v6, 0
	s_delay_alu instid0(VALU_DEP_2)
	s_and_saveexec_b32 s16, s15
	s_cbranch_execz .LBB151_20
; %bb.19:                               ;   in Loop: Header=BB151_12 Depth=1
	global_load_b32 v6, v[0:1], off offset:384
.LBB151_20:                             ;   in Loop: Header=BB151_12 Depth=1
	s_or_b32 exec_lo, exec_lo, s16
	v_cmp_gt_u32_e64 s16, s40, v41
	s_delay_alu instid0(VALU_DEP_1)
	s_and_saveexec_b32 s17, s16
	s_cbranch_execz .LBB151_22
; %bb.21:                               ;   in Loop: Header=BB151_12 Depth=1
	global_load_b32 v5, v[0:1], off offset:512
.LBB151_22:                             ;   in Loop: Header=BB151_12 Depth=1
	;; [unrolled: 17-line block ×7, first 2 shown]
	s_or_b32 exec_lo, exec_lo, s27
	v_cmp_gt_u32_e64 s27, s40, v52
	v_dual_mov_b32 v18, 0 :: v_dual_mov_b32 v17, 0
	s_delay_alu instid0(VALU_DEP_2)
	s_and_saveexec_b32 s28, s27
	s_cbranch_execz .LBB151_44
; %bb.43:                               ;   in Loop: Header=BB151_12 Depth=1
	global_load_b32 v17, v[0:1], off offset:1920
.LBB151_44:                             ;   in Loop: Header=BB151_12 Depth=1
	s_or_b32 exec_lo, exec_lo, s28
	s_waitcnt vmcnt(0)
	ds_store_b32 v53, v2
	ds_store_b32 v54, v4 offset:128
	ds_store_b32 v55, v3 offset:256
	;; [unrolled: 1-line block ×15, first 2 shown]
	; wave barrier
	ds_load_2addr_b32 v[0:1], v69 offset1:1
	ds_load_2addr_b32 v[2:3], v69 offset0:2 offset1:3
	ds_load_2addr_b32 v[4:5], v69 offset0:4 offset1:5
	;; [unrolled: 1-line block ×7, first 2 shown]
	v_add_co_u32 v16, s28, s73, v32
	s_delay_alu instid0(VALU_DEP_1) | instskip(SKIP_1) | instid1(VALU_DEP_2)
	v_add_co_ci_u32_e64 v17, null, s48, 0, s28
	s_waitcnt lgkmcnt(0)
	v_add_co_u32 v16, vcc_lo, v16, v106
	s_delay_alu instid0(VALU_DEP_2)
	v_add_co_ci_u32_e32 v17, vcc_lo, 0, v17, vcc_lo
	s_barrier
	buffer_gl0_inv
	s_and_saveexec_b32 s28, s12
	s_cbranch_execz .LBB151_46
; %bb.45:                               ;   in Loop: Header=BB151_12 Depth=1
	global_load_b32 v18, v[16:17], off
.LBB151_46:                             ;   in Loop: Header=BB151_12 Depth=1
	s_or_b32 exec_lo, exec_lo, s28
	v_dual_mov_b32 v19, 0 :: v_dual_mov_b32 v20, 0
	s_and_saveexec_b32 s28, s13
	s_cbranch_execz .LBB151_48
; %bb.47:                               ;   in Loop: Header=BB151_12 Depth=1
	global_load_b32 v20, v[16:17], off offset:128
.LBB151_48:                             ;   in Loop: Header=BB151_12 Depth=1
	s_or_b32 exec_lo, exec_lo, s28
	s_and_saveexec_b32 s28, s14
	s_cbranch_execz .LBB151_50
; %bb.49:                               ;   in Loop: Header=BB151_12 Depth=1
	global_load_b32 v19, v[16:17], off offset:256
.LBB151_50:                             ;   in Loop: Header=BB151_12 Depth=1
	s_or_b32 exec_lo, exec_lo, s28
	v_dual_mov_b32 v21, 0 :: v_dual_mov_b32 v22, 0
	s_and_saveexec_b32 s28, s15
	s_cbranch_execz .LBB151_52
; %bb.51:                               ;   in Loop: Header=BB151_12 Depth=1
	global_load_b32 v22, v[16:17], off offset:384
.LBB151_52:                             ;   in Loop: Header=BB151_12 Depth=1
	s_or_b32 exec_lo, exec_lo, s28
	s_and_saveexec_b32 s28, s16
	s_cbranch_execz .LBB151_54
; %bb.53:                               ;   in Loop: Header=BB151_12 Depth=1
	global_load_b32 v21, v[16:17], off offset:512
.LBB151_54:                             ;   in Loop: Header=BB151_12 Depth=1
	;; [unrolled: 13-line block ×6, first 2 shown]
	s_or_b32 exec_lo, exec_lo, s28
	v_mov_b32_e32 v31, 0
	v_mov_b32_e32 v33, 0
	s_and_saveexec_b32 s28, s25
	s_cbranch_execnz .LBB151_218
; %bb.71:                               ;   in Loop: Header=BB151_12 Depth=1
	s_or_b32 exec_lo, exec_lo, s28
	s_and_saveexec_b32 s28, s26
	s_cbranch_execnz .LBB151_219
.LBB151_72:                             ;   in Loop: Header=BB151_12 Depth=1
	s_or_b32 exec_lo, exec_lo, s28
	v_mov_b32_e32 v107, 0
	s_and_saveexec_b32 s28, s27
	s_cbranch_execz .LBB151_74
.LBB151_73:                             ;   in Loop: Header=BB151_12 Depth=1
	global_load_b32 v107, v[16:17], off offset:1920
.LBB151_74:                             ;   in Loop: Header=BB151_12 Depth=1
	s_or_b32 exec_lo, exec_lo, s28
	s_waitcnt vmcnt(0)
	ds_store_b32 v53, v18
	ds_store_b32 v54, v20 offset:128
	ds_store_b32 v55, v19 offset:256
	;; [unrolled: 1-line block ×15, first 2 shown]
	; wave barrier
	ds_load_2addr_b32 v[30:31], v69 offset1:1
	ds_load_2addr_b32 v[28:29], v69 offset0:2 offset1:3
	ds_load_2addr_b32 v[26:27], v69 offset0:4 offset1:5
	;; [unrolled: 1-line block ×7, first 2 shown]
	s_waitcnt lgkmcnt(7)
	v_add_f32_e32 v107, s69, v30
	s_delay_alu instid0(VALU_DEP_1) | instskip(SKIP_1) | instid1(SALU_CYCLE_1)
	v_cmp_ge_f32_e32 vcc_lo, 0x41a00000, v107
	s_and_b32 s28, s80, vcc_lo
	s_and_saveexec_b32 s29, s28
	s_cbranch_execz .LBB151_76
; %bb.75:                               ;   in Loop: Header=BB151_12 Depth=1
	v_mul_f32_e32 v30, 0x3fb8aa3b, v107
	v_cmp_ngt_f32_e32 vcc_lo, 0xc2ce8ed0, v107
	s_delay_alu instid0(VALU_DEP_2) | instskip(SKIP_1) | instid1(VALU_DEP_2)
	v_rndne_f32_e32 v33, v30
	v_fma_f32 v108, 0x3fb8aa3b, v107, -v30
	v_sub_f32_e32 v30, v30, v33
	s_delay_alu instid0(VALU_DEP_2) | instskip(SKIP_1) | instid1(VALU_DEP_2)
	v_fmac_f32_e32 v108, 0x32a5705f, v107
	v_cvt_i32_f32_e32 v33, v33
	v_add_f32_e32 v30, v30, v108
	s_delay_alu instid0(VALU_DEP_1) | instskip(SKIP_2) | instid1(VALU_DEP_1)
	v_exp_f32_e32 v30, v30
	s_waitcnt_depctr 0xfff
	v_ldexp_f32 v30, v30, v33
	v_cndmask_b32_e32 v30, 0, v30, vcc_lo
	v_cmp_nlt_f32_e32 vcc_lo, 0x42b17218, v107
	s_delay_alu instid0(VALU_DEP_2) | instskip(NEXT) | instid1(VALU_DEP_1)
	v_cndmask_b32_e32 v30, 0x7f800000, v30, vcc_lo
	v_add_f32_e32 v33, 1.0, v30
	s_delay_alu instid0(VALU_DEP_1) | instskip(NEXT) | instid1(VALU_DEP_1)
	v_cvt_f64_f32_e32 v[107:108], v33
	v_frexp_exp_i32_f64_e32 v107, v[107:108]
	v_frexp_mant_f32_e32 v108, v33
	s_delay_alu instid0(VALU_DEP_1) | instskip(SKIP_1) | instid1(VALU_DEP_1)
	v_cmp_gt_f32_e32 vcc_lo, 0x3f2aaaab, v108
	v_add_f32_e32 v108, -1.0, v33
	v_sub_f32_e32 v110, v108, v33
	v_sub_f32_e32 v108, v30, v108
	s_delay_alu instid0(VALU_DEP_2) | instskip(NEXT) | instid1(VALU_DEP_1)
	v_add_f32_e32 v110, 1.0, v110
	v_add_f32_e32 v108, v108, v110
	v_subrev_co_ci_u32_e32 v107, vcc_lo, 0, v107, vcc_lo
	s_delay_alu instid0(VALU_DEP_1) | instskip(SKIP_1) | instid1(VALU_DEP_2)
	v_sub_nc_u32_e32 v109, 0, v107
	v_cvt_f32_i32_e32 v107, v107
	v_ldexp_f32 v33, v33, v109
	v_ldexp_f32 v108, v108, v109
	s_delay_alu instid0(VALU_DEP_2) | instskip(NEXT) | instid1(VALU_DEP_1)
	v_add_f32_e32 v111, 1.0, v33
	v_dual_add_f32 v109, -1.0, v33 :: v_dual_add_f32 v110, -1.0, v111
	s_delay_alu instid0(VALU_DEP_1) | instskip(NEXT) | instid1(VALU_DEP_2)
	v_add_f32_e32 v112, 1.0, v109
	v_sub_f32_e32 v110, v33, v110
	s_delay_alu instid0(VALU_DEP_1) | instskip(NEXT) | instid1(VALU_DEP_1)
	v_dual_sub_f32 v33, v33, v112 :: v_dual_add_f32 v110, v108, v110
	v_dual_add_f32 v33, v108, v33 :: v_dual_add_f32 v112, v111, v110
	s_delay_alu instid0(VALU_DEP_1) | instskip(SKIP_2) | instid1(VALU_DEP_4)
	v_add_f32_e32 v113, v109, v33
	v_cmp_eq_f32_e32 vcc_lo, 0x7f800000, v30
	v_cmp_gt_f32_e64 s28, 0x33800000, v30
	v_rcp_f32_e32 v108, v112
	v_sub_f32_e32 v111, v111, v112
	v_sub_f32_e32 v109, v109, v113
	s_delay_alu instid0(VALU_DEP_3) | instskip(NEXT) | instid1(VALU_DEP_1)
	s_or_b32 vcc_lo, s28, vcc_lo
	v_dual_add_f32 v33, v33, v109 :: v_dual_add_f32 v110, v110, v111
	s_waitcnt_depctr 0xfff
	v_mul_f32_e32 v114, v113, v108
	s_delay_alu instid0(VALU_DEP_1) | instskip(NEXT) | instid1(VALU_DEP_1)
	v_mul_f32_e32 v115, v112, v114
	v_fma_f32 v111, v114, v112, -v115
	s_delay_alu instid0(VALU_DEP_1) | instskip(NEXT) | instid1(VALU_DEP_1)
	v_fmac_f32_e32 v111, v114, v110
	v_add_f32_e32 v116, v115, v111
	s_delay_alu instid0(VALU_DEP_1) | instskip(SKIP_1) | instid1(VALU_DEP_2)
	v_sub_f32_e32 v117, v113, v116
	v_sub_f32_e32 v109, v116, v115
	;; [unrolled: 1-line block ×3, first 2 shown]
	s_delay_alu instid0(VALU_DEP_2) | instskip(NEXT) | instid1(VALU_DEP_2)
	v_sub_f32_e32 v109, v109, v111
	v_sub_f32_e32 v113, v113, v116
	s_delay_alu instid0(VALU_DEP_1) | instskip(NEXT) | instid1(VALU_DEP_1)
	v_add_f32_e32 v33, v33, v113
	v_add_f32_e32 v33, v109, v33
	s_delay_alu instid0(VALU_DEP_1) | instskip(NEXT) | instid1(VALU_DEP_1)
	v_add_f32_e32 v109, v117, v33
	v_mul_f32_e32 v111, v108, v109
	s_delay_alu instid0(VALU_DEP_1) | instskip(NEXT) | instid1(VALU_DEP_1)
	v_mul_f32_e32 v113, v112, v111
	v_fma_f32 v112, v111, v112, -v113
	s_delay_alu instid0(VALU_DEP_1) | instskip(SKIP_1) | instid1(VALU_DEP_2)
	v_fmac_f32_e32 v112, v111, v110
	v_sub_f32_e32 v116, v117, v109
	v_add_f32_e32 v110, v113, v112
	s_delay_alu instid0(VALU_DEP_2) | instskip(NEXT) | instid1(VALU_DEP_2)
	v_add_f32_e32 v33, v33, v116
	v_sub_f32_e32 v115, v109, v110
	s_delay_alu instid0(VALU_DEP_1) | instskip(NEXT) | instid1(VALU_DEP_1)
	v_sub_f32_e32 v109, v109, v115
	v_sub_f32_e32 v109, v109, v110
	s_delay_alu instid0(VALU_DEP_1) | instskip(SKIP_2) | instid1(VALU_DEP_1)
	v_add_f32_e32 v33, v33, v109
	v_add_f32_e32 v109, v114, v111
	v_sub_f32_e32 v113, v110, v113
	v_sub_f32_e32 v110, v113, v112
	s_delay_alu instid0(VALU_DEP_1) | instskip(NEXT) | instid1(VALU_DEP_1)
	v_dual_add_f32 v33, v110, v33 :: v_dual_sub_f32 v110, v109, v114
	v_add_f32_e32 v33, v115, v33
	s_delay_alu instid0(VALU_DEP_1) | instskip(NEXT) | instid1(VALU_DEP_1)
	v_dual_sub_f32 v110, v111, v110 :: v_dual_mul_f32 v33, v108, v33
	v_add_f32_e32 v33, v110, v33
	s_delay_alu instid0(VALU_DEP_1) | instskip(NEXT) | instid1(VALU_DEP_1)
	v_add_f32_e32 v108, v109, v33
	v_mul_f32_e32 v110, v108, v108
	s_delay_alu instid0(VALU_DEP_1) | instskip(SKIP_1) | instid1(VALU_DEP_2)
	v_fmaak_f32 v111, s84, v110, 0x3ecc95a3
	v_mul_f32_e32 v112, v108, v110
	v_fmaak_f32 v110, v110, v111, 0x3f2aaada
	v_ldexp_f32 v111, v108, 1
	s_delay_alu instid0(VALU_DEP_2) | instskip(SKIP_1) | instid1(VALU_DEP_2)
	v_mul_f32_e32 v110, v112, v110
	v_sub_f32_e32 v108, v108, v109
	v_dual_mul_f32 v112, 0x3f317218, v107 :: v_dual_add_f32 v109, v111, v110
	s_delay_alu instid0(VALU_DEP_2) | instskip(NEXT) | instid1(VALU_DEP_2)
	v_sub_f32_e32 v33, v33, v108
	v_sub_f32_e32 v108, v109, v111
	s_delay_alu instid0(VALU_DEP_3) | instskip(NEXT) | instid1(VALU_DEP_3)
	v_fma_f32 v111, 0x3f317218, v107, -v112
	v_ldexp_f32 v33, v33, 1
	s_delay_alu instid0(VALU_DEP_2) | instskip(NEXT) | instid1(VALU_DEP_1)
	v_dual_sub_f32 v108, v110, v108 :: v_dual_fmac_f32 v111, 0xb102e308, v107
	v_add_f32_e32 v33, v33, v108
	s_delay_alu instid0(VALU_DEP_1) | instskip(NEXT) | instid1(VALU_DEP_1)
	v_dual_add_f32 v107, v112, v111 :: v_dual_add_f32 v108, v109, v33
	v_sub_f32_e32 v112, v107, v112
	s_delay_alu instid0(VALU_DEP_2) | instskip(NEXT) | instid1(VALU_DEP_2)
	v_dual_add_f32 v110, v107, v108 :: v_dual_sub_f32 v109, v108, v109
	v_sub_f32_e32 v111, v111, v112
	s_delay_alu instid0(VALU_DEP_2) | instskip(NEXT) | instid1(VALU_DEP_1)
	v_sub_f32_e32 v113, v110, v107
	v_sub_f32_e32 v114, v110, v113
	;; [unrolled: 1-line block ×4, first 2 shown]
	s_delay_alu instid0(VALU_DEP_1) | instskip(NEXT) | instid1(VALU_DEP_4)
	v_add_f32_e32 v109, v111, v33
	v_sub_f32_e32 v107, v107, v114
	s_delay_alu instid0(VALU_DEP_1) | instskip(NEXT) | instid1(VALU_DEP_3)
	v_add_f32_e32 v107, v108, v107
	v_sub_f32_e32 v108, v109, v111
	s_delay_alu instid0(VALU_DEP_2) | instskip(NEXT) | instid1(VALU_DEP_2)
	v_add_f32_e32 v107, v109, v107
	v_sub_f32_e32 v109, v109, v108
	s_delay_alu instid0(VALU_DEP_2) | instskip(NEXT) | instid1(VALU_DEP_1)
	v_dual_sub_f32 v33, v33, v108 :: v_dual_add_f32 v112, v110, v107
	v_dual_sub_f32 v108, v112, v110 :: v_dual_sub_f32 v109, v111, v109
	s_delay_alu instid0(VALU_DEP_1) | instskip(NEXT) | instid1(VALU_DEP_2)
	v_sub_f32_e32 v107, v107, v108
	v_add_f32_e32 v33, v33, v109
	s_delay_alu instid0(VALU_DEP_1) | instskip(NEXT) | instid1(VALU_DEP_1)
	v_add_f32_e32 v33, v33, v107
	v_add_f32_e32 v33, v112, v33
	s_delay_alu instid0(VALU_DEP_1)
	v_cndmask_b32_e32 v107, v33, v30, vcc_lo
.LBB151_76:                             ;   in Loop: Header=BB151_12 Depth=1
	s_or_b32 exec_lo, exec_lo, s29
	v_add_f32_e32 v108, s69, v31
	s_delay_alu instid0(VALU_DEP_1) | instskip(SKIP_1) | instid1(SALU_CYCLE_1)
	v_cmp_ge_f32_e32 vcc_lo, 0x41a00000, v108
	s_and_b32 s28, s80, vcc_lo
	s_and_saveexec_b32 s29, s28
	s_cbranch_execz .LBB151_78
; %bb.77:                               ;   in Loop: Header=BB151_12 Depth=1
	v_mul_f32_e32 v30, 0x3fb8aa3b, v108
	v_cmp_ngt_f32_e32 vcc_lo, 0xc2ce8ed0, v108
	s_delay_alu instid0(VALU_DEP_2) | instskip(SKIP_1) | instid1(VALU_DEP_1)
	v_rndne_f32_e32 v31, v30
	v_fma_f32 v33, 0x3fb8aa3b, v108, -v30
	v_dual_sub_f32 v30, v30, v31 :: v_dual_fmac_f32 v33, 0x32a5705f, v108
	v_cvt_i32_f32_e32 v31, v31
	s_delay_alu instid0(VALU_DEP_2) | instskip(NEXT) | instid1(VALU_DEP_1)
	v_add_f32_e32 v30, v30, v33
	v_exp_f32_e32 v30, v30
	s_waitcnt_depctr 0xfff
	v_ldexp_f32 v30, v30, v31
	s_delay_alu instid0(VALU_DEP_1) | instskip(SKIP_1) | instid1(VALU_DEP_2)
	v_cndmask_b32_e32 v30, 0, v30, vcc_lo
	v_cmp_nlt_f32_e32 vcc_lo, 0x42b17218, v108
	v_cndmask_b32_e32 v33, 0x7f800000, v30, vcc_lo
	s_delay_alu instid0(VALU_DEP_1) | instskip(NEXT) | instid1(VALU_DEP_1)
	v_add_f32_e32 v108, 1.0, v33
	v_cvt_f64_f32_e32 v[30:31], v108
	s_delay_alu instid0(VALU_DEP_1) | instskip(SKIP_1) | instid1(VALU_DEP_1)
	v_frexp_exp_i32_f64_e32 v30, v[30:31]
	v_frexp_mant_f32_e32 v31, v108
	v_cmp_gt_f32_e32 vcc_lo, 0x3f2aaaab, v31
	v_add_f32_e32 v31, -1.0, v108
	s_delay_alu instid0(VALU_DEP_1) | instskip(SKIP_1) | instid1(VALU_DEP_2)
	v_dual_sub_f32 v110, v31, v108 :: v_dual_sub_f32 v31, v33, v31
	v_cmp_gt_f32_e64 s28, 0x33800000, v33
	v_add_f32_e32 v110, 1.0, v110
	s_delay_alu instid0(VALU_DEP_1) | instskip(SKIP_2) | instid1(VALU_DEP_2)
	v_add_f32_e32 v31, v31, v110
	v_subrev_co_ci_u32_e32 v30, vcc_lo, 0, v30, vcc_lo
	v_cmp_eq_f32_e32 vcc_lo, 0x7f800000, v33
	v_sub_nc_u32_e32 v109, 0, v30
	v_cvt_f32_i32_e32 v30, v30
	s_or_b32 vcc_lo, s28, vcc_lo
	s_delay_alu instid0(VALU_DEP_2) | instskip(SKIP_1) | instid1(VALU_DEP_2)
	v_ldexp_f32 v108, v108, v109
	v_ldexp_f32 v31, v31, v109
	v_add_f32_e32 v109, -1.0, v108
	s_delay_alu instid0(VALU_DEP_1) | instskip(NEXT) | instid1(VALU_DEP_1)
	v_dual_add_f32 v111, 1.0, v108 :: v_dual_add_f32 v112, 1.0, v109
	v_add_f32_e32 v110, -1.0, v111
	s_delay_alu instid0(VALU_DEP_1) | instskip(NEXT) | instid1(VALU_DEP_3)
	v_sub_f32_e32 v110, v108, v110
	v_sub_f32_e32 v108, v108, v112
	s_delay_alu instid0(VALU_DEP_2) | instskip(NEXT) | instid1(VALU_DEP_2)
	v_add_f32_e32 v110, v31, v110
	v_add_f32_e32 v31, v31, v108
	s_delay_alu instid0(VALU_DEP_1) | instskip(NEXT) | instid1(VALU_DEP_1)
	v_dual_add_f32 v113, v109, v31 :: v_dual_add_f32 v112, v111, v110
	v_sub_f32_e32 v109, v109, v113
	s_delay_alu instid0(VALU_DEP_2) | instskip(SKIP_1) | instid1(VALU_DEP_1)
	v_rcp_f32_e32 v108, v112
	v_sub_f32_e32 v111, v111, v112
	v_dual_add_f32 v31, v31, v109 :: v_dual_add_f32 v110, v110, v111
	s_waitcnt_depctr 0xfff
	v_mul_f32_e32 v114, v113, v108
	s_delay_alu instid0(VALU_DEP_1) | instskip(NEXT) | instid1(VALU_DEP_1)
	v_mul_f32_e32 v115, v112, v114
	v_fma_f32 v111, v114, v112, -v115
	s_delay_alu instid0(VALU_DEP_1) | instskip(NEXT) | instid1(VALU_DEP_1)
	v_fmac_f32_e32 v111, v114, v110
	v_add_f32_e32 v116, v115, v111
	s_delay_alu instid0(VALU_DEP_1) | instskip(SKIP_1) | instid1(VALU_DEP_2)
	v_sub_f32_e32 v117, v113, v116
	v_sub_f32_e32 v109, v116, v115
	;; [unrolled: 1-line block ×3, first 2 shown]
	s_delay_alu instid0(VALU_DEP_2) | instskip(NEXT) | instid1(VALU_DEP_2)
	v_sub_f32_e32 v109, v109, v111
	v_sub_f32_e32 v113, v113, v116
	s_delay_alu instid0(VALU_DEP_1) | instskip(NEXT) | instid1(VALU_DEP_1)
	v_add_f32_e32 v31, v31, v113
	v_add_f32_e32 v31, v109, v31
	s_delay_alu instid0(VALU_DEP_1) | instskip(NEXT) | instid1(VALU_DEP_1)
	v_add_f32_e32 v109, v117, v31
	v_mul_f32_e32 v111, v108, v109
	s_delay_alu instid0(VALU_DEP_1) | instskip(NEXT) | instid1(VALU_DEP_1)
	v_dual_sub_f32 v116, v117, v109 :: v_dual_mul_f32 v113, v112, v111
	v_add_f32_e32 v31, v31, v116
	s_delay_alu instid0(VALU_DEP_2) | instskip(NEXT) | instid1(VALU_DEP_1)
	v_fma_f32 v112, v111, v112, -v113
	v_fmac_f32_e32 v112, v111, v110
	s_delay_alu instid0(VALU_DEP_1) | instskip(NEXT) | instid1(VALU_DEP_1)
	v_add_f32_e32 v110, v113, v112
	v_sub_f32_e32 v115, v109, v110
	s_delay_alu instid0(VALU_DEP_1) | instskip(NEXT) | instid1(VALU_DEP_1)
	v_sub_f32_e32 v109, v109, v115
	v_sub_f32_e32 v109, v109, v110
	s_delay_alu instid0(VALU_DEP_1) | instskip(SKIP_2) | instid1(VALU_DEP_1)
	v_add_f32_e32 v31, v31, v109
	v_add_f32_e32 v109, v114, v111
	v_sub_f32_e32 v113, v110, v113
	v_sub_f32_e32 v110, v113, v112
	s_delay_alu instid0(VALU_DEP_1) | instskip(NEXT) | instid1(VALU_DEP_1)
	v_dual_add_f32 v31, v110, v31 :: v_dual_sub_f32 v110, v109, v114
	v_add_f32_e32 v31, v115, v31
	s_delay_alu instid0(VALU_DEP_1) | instskip(NEXT) | instid1(VALU_DEP_1)
	v_dual_sub_f32 v110, v111, v110 :: v_dual_mul_f32 v31, v108, v31
	v_add_f32_e32 v31, v110, v31
	s_delay_alu instid0(VALU_DEP_1) | instskip(NEXT) | instid1(VALU_DEP_1)
	v_add_f32_e32 v108, v109, v31
	v_mul_f32_e32 v110, v108, v108
	s_delay_alu instid0(VALU_DEP_1) | instskip(SKIP_1) | instid1(VALU_DEP_2)
	v_fmaak_f32 v111, s84, v110, 0x3ecc95a3
	v_mul_f32_e32 v112, v108, v110
	v_fmaak_f32 v110, v110, v111, 0x3f2aaada
	v_ldexp_f32 v111, v108, 1
	v_sub_f32_e32 v108, v108, v109
	s_delay_alu instid0(VALU_DEP_3) | instskip(NEXT) | instid1(VALU_DEP_2)
	v_mul_f32_e32 v110, v112, v110
	v_dual_mul_f32 v112, 0x3f317218, v30 :: v_dual_sub_f32 v31, v31, v108
	s_delay_alu instid0(VALU_DEP_2) | instskip(NEXT) | instid1(VALU_DEP_2)
	v_add_f32_e32 v109, v111, v110
	v_ldexp_f32 v31, v31, 1
	s_delay_alu instid0(VALU_DEP_2) | instskip(NEXT) | instid1(VALU_DEP_4)
	v_sub_f32_e32 v108, v109, v111
	v_fma_f32 v111, 0x3f317218, v30, -v112
	s_delay_alu instid0(VALU_DEP_1) | instskip(NEXT) | instid1(VALU_DEP_1)
	v_dual_sub_f32 v108, v110, v108 :: v_dual_fmac_f32 v111, 0xb102e308, v30
	v_add_f32_e32 v30, v31, v108
	s_delay_alu instid0(VALU_DEP_1) | instskip(NEXT) | instid1(VALU_DEP_1)
	v_add_f32_e32 v108, v109, v30
	v_sub_f32_e32 v109, v108, v109
	s_delay_alu instid0(VALU_DEP_1) | instskip(NEXT) | instid1(VALU_DEP_1)
	v_dual_sub_f32 v30, v30, v109 :: v_dual_add_f32 v31, v112, v111
	v_add_f32_e32 v110, v31, v108
	s_delay_alu instid0(VALU_DEP_1) | instskip(NEXT) | instid1(VALU_DEP_1)
	v_dual_sub_f32 v112, v31, v112 :: v_dual_sub_f32 v113, v110, v31
	v_dual_sub_f32 v111, v111, v112 :: v_dual_sub_f32 v114, v110, v113
	s_delay_alu instid0(VALU_DEP_1) | instskip(NEXT) | instid1(VALU_DEP_2)
	v_dual_sub_f32 v108, v108, v113 :: v_dual_add_f32 v109, v111, v30
	v_sub_f32_e32 v31, v31, v114
	s_delay_alu instid0(VALU_DEP_1) | instskip(NEXT) | instid1(VALU_DEP_3)
	v_add_f32_e32 v31, v108, v31
	v_sub_f32_e32 v108, v109, v111
	s_delay_alu instid0(VALU_DEP_2) | instskip(NEXT) | instid1(VALU_DEP_2)
	v_add_f32_e32 v31, v109, v31
	v_sub_f32_e32 v109, v109, v108
	v_sub_f32_e32 v30, v30, v108
	s_delay_alu instid0(VALU_DEP_2) | instskip(NEXT) | instid1(VALU_DEP_1)
	v_dual_add_f32 v112, v110, v31 :: v_dual_sub_f32 v109, v111, v109
	v_sub_f32_e32 v108, v112, v110
	s_delay_alu instid0(VALU_DEP_1) | instskip(NEXT) | instid1(VALU_DEP_1)
	v_dual_add_f32 v30, v30, v109 :: v_dual_sub_f32 v31, v31, v108
	v_add_f32_e32 v30, v30, v31
	s_delay_alu instid0(VALU_DEP_1) | instskip(NEXT) | instid1(VALU_DEP_1)
	v_add_f32_e32 v30, v112, v30
	v_cndmask_b32_e32 v108, v30, v33, vcc_lo
.LBB151_78:                             ;   in Loop: Header=BB151_12 Depth=1
	s_or_b32 exec_lo, exec_lo, s29
	s_waitcnt lgkmcnt(6)
	v_add_f32_e32 v109, s69, v28
	s_delay_alu instid0(VALU_DEP_1) | instskip(SKIP_1) | instid1(SALU_CYCLE_1)
	v_cmp_ge_f32_e32 vcc_lo, 0x41a00000, v109
	s_and_b32 s28, s80, vcc_lo
	s_and_saveexec_b32 s29, s28
	s_cbranch_execz .LBB151_80
; %bb.79:                               ;   in Loop: Header=BB151_12 Depth=1
	v_mul_f32_e32 v28, 0x3fb8aa3b, v109
	v_cmp_ngt_f32_e32 vcc_lo, 0xc2ce8ed0, v109
	s_delay_alu instid0(VALU_DEP_2) | instskip(SKIP_1) | instid1(VALU_DEP_1)
	v_rndne_f32_e32 v30, v28
	v_fma_f32 v31, 0x3fb8aa3b, v109, -v28
	v_dual_sub_f32 v28, v28, v30 :: v_dual_fmac_f32 v31, 0x32a5705f, v109
	v_cvt_i32_f32_e32 v30, v30
	s_delay_alu instid0(VALU_DEP_2) | instskip(NEXT) | instid1(VALU_DEP_1)
	v_add_f32_e32 v28, v28, v31
	v_exp_f32_e32 v28, v28
	s_waitcnt_depctr 0xfff
	v_ldexp_f32 v28, v28, v30
	s_delay_alu instid0(VALU_DEP_1) | instskip(SKIP_1) | instid1(VALU_DEP_2)
	v_cndmask_b32_e32 v28, 0, v28, vcc_lo
	v_cmp_nlt_f32_e32 vcc_lo, 0x42b17218, v109
	v_cndmask_b32_e32 v28, 0x7f800000, v28, vcc_lo
	s_delay_alu instid0(VALU_DEP_1) | instskip(NEXT) | instid1(VALU_DEP_1)
	v_add_f32_e32 v33, 1.0, v28
	v_cvt_f64_f32_e32 v[30:31], v33
	s_delay_alu instid0(VALU_DEP_1) | instskip(SKIP_1) | instid1(VALU_DEP_1)
	v_frexp_exp_i32_f64_e32 v30, v[30:31]
	v_frexp_mant_f32_e32 v31, v33
	v_cmp_gt_f32_e32 vcc_lo, 0x3f2aaaab, v31
	v_add_f32_e32 v31, -1.0, v33
	s_delay_alu instid0(VALU_DEP_1) | instskip(NEXT) | instid1(VALU_DEP_1)
	v_dual_sub_f32 v110, v31, v33 :: v_dual_sub_f32 v31, v28, v31
	v_add_f32_e32 v110, 1.0, v110
	s_delay_alu instid0(VALU_DEP_1) | instskip(SKIP_1) | instid1(VALU_DEP_1)
	v_add_f32_e32 v31, v31, v110
	v_subrev_co_ci_u32_e32 v30, vcc_lo, 0, v30, vcc_lo
	v_sub_nc_u32_e32 v109, 0, v30
	v_cvt_f32_i32_e32 v30, v30
	s_delay_alu instid0(VALU_DEP_2) | instskip(SKIP_1) | instid1(VALU_DEP_2)
	v_ldexp_f32 v33, v33, v109
	v_ldexp_f32 v31, v31, v109
	v_add_f32_e32 v111, 1.0, v33
	v_add_f32_e32 v109, -1.0, v33
	v_cmp_eq_f32_e32 vcc_lo, 0x7f800000, v28
	v_cmp_gt_f32_e64 s28, 0x33800000, v28
	s_delay_alu instid0(VALU_DEP_3) | instskip(SKIP_1) | instid1(VALU_DEP_3)
	v_add_f32_e32 v112, 1.0, v109
	v_add_f32_e32 v110, -1.0, v111
	s_or_b32 vcc_lo, s28, vcc_lo
	s_delay_alu instid0(VALU_DEP_1) | instskip(NEXT) | instid1(VALU_DEP_1)
	v_sub_f32_e32 v110, v33, v110
	v_dual_sub_f32 v33, v33, v112 :: v_dual_add_f32 v110, v31, v110
	s_delay_alu instid0(VALU_DEP_1) | instskip(NEXT) | instid1(VALU_DEP_1)
	v_add_f32_e32 v31, v31, v33
	v_dual_add_f32 v113, v109, v31 :: v_dual_add_f32 v112, v111, v110
	s_delay_alu instid0(VALU_DEP_1) | instskip(NEXT) | instid1(VALU_DEP_2)
	v_sub_f32_e32 v109, v109, v113
	v_rcp_f32_e32 v33, v112
	v_sub_f32_e32 v111, v111, v112
	s_delay_alu instid0(VALU_DEP_1) | instskip(SKIP_2) | instid1(VALU_DEP_1)
	v_dual_add_f32 v31, v31, v109 :: v_dual_add_f32 v110, v110, v111
	s_waitcnt_depctr 0xfff
	v_mul_f32_e32 v114, v113, v33
	v_mul_f32_e32 v115, v112, v114
	s_delay_alu instid0(VALU_DEP_1) | instskip(NEXT) | instid1(VALU_DEP_1)
	v_fma_f32 v111, v114, v112, -v115
	v_fmac_f32_e32 v111, v114, v110
	s_delay_alu instid0(VALU_DEP_1) | instskip(NEXT) | instid1(VALU_DEP_1)
	v_add_f32_e32 v116, v115, v111
	v_sub_f32_e32 v117, v113, v116
	s_delay_alu instid0(VALU_DEP_1) | instskip(SKIP_1) | instid1(VALU_DEP_2)
	v_sub_f32_e32 v113, v113, v117
	v_sub_f32_e32 v109, v116, v115
	;; [unrolled: 1-line block ×3, first 2 shown]
	s_delay_alu instid0(VALU_DEP_2) | instskip(NEXT) | instid1(VALU_DEP_2)
	v_sub_f32_e32 v109, v109, v111
	v_add_f32_e32 v31, v31, v113
	s_delay_alu instid0(VALU_DEP_1) | instskip(NEXT) | instid1(VALU_DEP_1)
	v_add_f32_e32 v31, v109, v31
	v_add_f32_e32 v109, v117, v31
	s_delay_alu instid0(VALU_DEP_1) | instskip(NEXT) | instid1(VALU_DEP_1)
	v_mul_f32_e32 v111, v33, v109
	v_dual_sub_f32 v116, v117, v109 :: v_dual_mul_f32 v113, v112, v111
	s_delay_alu instid0(VALU_DEP_1) | instskip(NEXT) | instid1(VALU_DEP_2)
	v_add_f32_e32 v31, v31, v116
	v_fma_f32 v112, v111, v112, -v113
	s_delay_alu instid0(VALU_DEP_1) | instskip(NEXT) | instid1(VALU_DEP_1)
	v_fmac_f32_e32 v112, v111, v110
	v_add_f32_e32 v110, v113, v112
	s_delay_alu instid0(VALU_DEP_1) | instskip(SKIP_1) | instid1(VALU_DEP_2)
	v_sub_f32_e32 v115, v109, v110
	v_sub_f32_e32 v113, v110, v113
	v_sub_f32_e32 v109, v109, v115
	s_delay_alu instid0(VALU_DEP_1) | instskip(NEXT) | instid1(VALU_DEP_1)
	v_sub_f32_e32 v109, v109, v110
	v_dual_sub_f32 v110, v113, v112 :: v_dual_add_f32 v31, v31, v109
	v_add_f32_e32 v109, v114, v111
	s_delay_alu instid0(VALU_DEP_1) | instskip(NEXT) | instid1(VALU_DEP_1)
	v_dual_add_f32 v31, v110, v31 :: v_dual_sub_f32 v110, v109, v114
	v_add_f32_e32 v31, v115, v31
	s_delay_alu instid0(VALU_DEP_1) | instskip(NEXT) | instid1(VALU_DEP_1)
	v_dual_sub_f32 v110, v111, v110 :: v_dual_mul_f32 v31, v33, v31
	v_add_f32_e32 v31, v110, v31
	s_delay_alu instid0(VALU_DEP_1) | instskip(NEXT) | instid1(VALU_DEP_1)
	v_add_f32_e32 v33, v109, v31
	v_mul_f32_e32 v110, v33, v33
	s_delay_alu instid0(VALU_DEP_1) | instskip(SKIP_1) | instid1(VALU_DEP_2)
	v_fmaak_f32 v111, s84, v110, 0x3ecc95a3
	v_mul_f32_e32 v112, v33, v110
	v_fmaak_f32 v110, v110, v111, 0x3f2aaada
	v_ldexp_f32 v111, v33, 1
	s_delay_alu instid0(VALU_DEP_2) | instskip(NEXT) | instid1(VALU_DEP_1)
	v_dual_sub_f32 v33, v33, v109 :: v_dual_mul_f32 v110, v112, v110
	v_dual_mul_f32 v112, 0x3f317218, v30 :: v_dual_sub_f32 v31, v31, v33
	s_delay_alu instid0(VALU_DEP_2) | instskip(NEXT) | instid1(VALU_DEP_2)
	v_add_f32_e32 v109, v111, v110
	v_ldexp_f32 v31, v31, 1
	s_delay_alu instid0(VALU_DEP_2) | instskip(NEXT) | instid1(VALU_DEP_4)
	v_sub_f32_e32 v33, v109, v111
	v_fma_f32 v111, 0x3f317218, v30, -v112
	s_delay_alu instid0(VALU_DEP_2) | instskip(NEXT) | instid1(VALU_DEP_1)
	v_sub_f32_e32 v33, v110, v33
	v_dual_fmac_f32 v111, 0xb102e308, v30 :: v_dual_add_f32 v30, v31, v33
	s_delay_alu instid0(VALU_DEP_1) | instskip(NEXT) | instid1(VALU_DEP_1)
	v_add_f32_e32 v31, v112, v111
	v_dual_add_f32 v33, v109, v30 :: v_dual_sub_f32 v112, v31, v112
	s_delay_alu instid0(VALU_DEP_1) | instskip(SKIP_1) | instid1(VALU_DEP_3)
	v_add_f32_e32 v110, v31, v33
	v_sub_f32_e32 v109, v33, v109
	v_sub_f32_e32 v111, v111, v112
	s_delay_alu instid0(VALU_DEP_3) | instskip(NEXT) | instid1(VALU_DEP_3)
	v_sub_f32_e32 v113, v110, v31
	v_sub_f32_e32 v30, v30, v109
	s_delay_alu instid0(VALU_DEP_2) | instskip(SKIP_1) | instid1(VALU_DEP_3)
	v_sub_f32_e32 v114, v110, v113
	v_sub_f32_e32 v33, v33, v113
	v_add_f32_e32 v109, v111, v30
	s_delay_alu instid0(VALU_DEP_3) | instskip(NEXT) | instid1(VALU_DEP_1)
	v_sub_f32_e32 v31, v31, v114
	v_add_f32_e32 v31, v33, v31
	s_delay_alu instid0(VALU_DEP_3) | instskip(NEXT) | instid1(VALU_DEP_2)
	v_sub_f32_e32 v33, v109, v111
	v_add_f32_e32 v31, v109, v31
	s_delay_alu instid0(VALU_DEP_2) | instskip(SKIP_1) | instid1(VALU_DEP_2)
	v_sub_f32_e32 v109, v109, v33
	v_sub_f32_e32 v30, v30, v33
	v_dual_add_f32 v112, v110, v31 :: v_dual_sub_f32 v109, v111, v109
	s_delay_alu instid0(VALU_DEP_1) | instskip(NEXT) | instid1(VALU_DEP_1)
	v_dual_sub_f32 v33, v112, v110 :: v_dual_add_f32 v30, v30, v109
	v_sub_f32_e32 v31, v31, v33
	s_delay_alu instid0(VALU_DEP_1) | instskip(NEXT) | instid1(VALU_DEP_1)
	v_add_f32_e32 v30, v30, v31
	v_add_f32_e32 v30, v112, v30
	s_delay_alu instid0(VALU_DEP_1)
	v_cndmask_b32_e32 v109, v30, v28, vcc_lo
.LBB151_80:                             ;   in Loop: Header=BB151_12 Depth=1
	s_or_b32 exec_lo, exec_lo, s29
	v_add_f32_e32 v110, s69, v29
	s_delay_alu instid0(VALU_DEP_1) | instskip(SKIP_1) | instid1(SALU_CYCLE_1)
	v_cmp_ge_f32_e32 vcc_lo, 0x41a00000, v110
	s_and_b32 s28, s80, vcc_lo
	s_and_saveexec_b32 s29, s28
	s_cbranch_execz .LBB151_82
; %bb.81:                               ;   in Loop: Header=BB151_12 Depth=1
	v_mul_f32_e32 v28, 0x3fb8aa3b, v110
	v_cmp_ngt_f32_e32 vcc_lo, 0xc2ce8ed0, v110
	s_delay_alu instid0(VALU_DEP_2) | instskip(SKIP_1) | instid1(VALU_DEP_2)
	v_rndne_f32_e32 v29, v28
	v_fma_f32 v30, 0x3fb8aa3b, v110, -v28
	v_sub_f32_e32 v28, v28, v29
	s_delay_alu instid0(VALU_DEP_2) | instskip(SKIP_1) | instid1(VALU_DEP_2)
	v_fmac_f32_e32 v30, 0x32a5705f, v110
	v_cvt_i32_f32_e32 v29, v29
	v_add_f32_e32 v28, v28, v30
	s_delay_alu instid0(VALU_DEP_1) | instskip(SKIP_2) | instid1(VALU_DEP_1)
	v_exp_f32_e32 v28, v28
	s_waitcnt_depctr 0xfff
	v_ldexp_f32 v28, v28, v29
	v_cndmask_b32_e32 v28, 0, v28, vcc_lo
	v_cmp_nlt_f32_e32 vcc_lo, 0x42b17218, v110
	s_delay_alu instid0(VALU_DEP_2) | instskip(NEXT) | instid1(VALU_DEP_1)
	v_cndmask_b32_e32 v30, 0x7f800000, v28, vcc_lo
	v_add_f32_e32 v31, 1.0, v30
	s_delay_alu instid0(VALU_DEP_1) | instskip(NEXT) | instid1(VALU_DEP_1)
	v_cvt_f64_f32_e32 v[28:29], v31
	v_frexp_exp_i32_f64_e32 v28, v[28:29]
	v_frexp_mant_f32_e32 v29, v31
	s_delay_alu instid0(VALU_DEP_1) | instskip(SKIP_1) | instid1(VALU_DEP_1)
	v_cmp_gt_f32_e32 vcc_lo, 0x3f2aaaab, v29
	v_add_f32_e32 v29, -1.0, v31
	v_dual_sub_f32 v110, v29, v31 :: v_dual_sub_f32 v29, v30, v29
	s_delay_alu instid0(VALU_DEP_1) | instskip(NEXT) | instid1(VALU_DEP_1)
	v_add_f32_e32 v110, 1.0, v110
	v_add_f32_e32 v29, v29, v110
	v_subrev_co_ci_u32_e32 v28, vcc_lo, 0, v28, vcc_lo
	s_delay_alu instid0(VALU_DEP_1) | instskip(SKIP_1) | instid1(VALU_DEP_2)
	v_sub_nc_u32_e32 v33, 0, v28
	v_cvt_f32_i32_e32 v28, v28
	v_ldexp_f32 v31, v31, v33
	v_ldexp_f32 v29, v29, v33
	s_delay_alu instid0(VALU_DEP_2) | instskip(SKIP_3) | instid1(VALU_DEP_4)
	v_add_f32_e32 v111, 1.0, v31
	v_add_f32_e32 v33, -1.0, v31
	v_cmp_eq_f32_e32 vcc_lo, 0x7f800000, v30
	v_cmp_gt_f32_e64 s28, 0x33800000, v30
	v_add_f32_e32 v110, -1.0, v111
	s_delay_alu instid0(VALU_DEP_4) | instskip(NEXT) | instid1(VALU_DEP_3)
	v_add_f32_e32 v112, 1.0, v33
	s_or_b32 vcc_lo, s28, vcc_lo
	s_delay_alu instid0(VALU_DEP_2) | instskip(NEXT) | instid1(VALU_DEP_1)
	v_sub_f32_e32 v110, v31, v110
	v_dual_sub_f32 v31, v31, v112 :: v_dual_add_f32 v110, v29, v110
	s_delay_alu instid0(VALU_DEP_1) | instskip(NEXT) | instid1(VALU_DEP_1)
	v_add_f32_e32 v29, v29, v31
	v_dual_add_f32 v113, v33, v29 :: v_dual_add_f32 v112, v111, v110
	s_delay_alu instid0(VALU_DEP_1) | instskip(NEXT) | instid1(VALU_DEP_2)
	v_sub_f32_e32 v33, v33, v113
	v_rcp_f32_e32 v31, v112
	v_sub_f32_e32 v111, v111, v112
	s_delay_alu instid0(VALU_DEP_1) | instskip(SKIP_2) | instid1(VALU_DEP_1)
	v_dual_add_f32 v110, v110, v111 :: v_dual_add_f32 v29, v29, v33
	s_waitcnt_depctr 0xfff
	v_mul_f32_e32 v114, v113, v31
	v_mul_f32_e32 v115, v112, v114
	s_delay_alu instid0(VALU_DEP_1) | instskip(NEXT) | instid1(VALU_DEP_1)
	v_fma_f32 v111, v114, v112, -v115
	v_fmac_f32_e32 v111, v114, v110
	s_delay_alu instid0(VALU_DEP_1) | instskip(NEXT) | instid1(VALU_DEP_1)
	v_add_f32_e32 v116, v115, v111
	v_sub_f32_e32 v117, v113, v116
	s_delay_alu instid0(VALU_DEP_1) | instskip(SKIP_1) | instid1(VALU_DEP_2)
	v_sub_f32_e32 v113, v113, v117
	v_sub_f32_e32 v33, v116, v115
	;; [unrolled: 1-line block ×3, first 2 shown]
	s_delay_alu instid0(VALU_DEP_2) | instskip(NEXT) | instid1(VALU_DEP_2)
	v_sub_f32_e32 v33, v33, v111
	v_add_f32_e32 v29, v29, v113
	s_delay_alu instid0(VALU_DEP_1) | instskip(NEXT) | instid1(VALU_DEP_1)
	v_add_f32_e32 v29, v33, v29
	v_add_f32_e32 v33, v117, v29
	s_delay_alu instid0(VALU_DEP_1) | instskip(NEXT) | instid1(VALU_DEP_1)
	v_mul_f32_e32 v111, v31, v33
	v_dual_sub_f32 v116, v117, v33 :: v_dual_mul_f32 v113, v112, v111
	s_delay_alu instid0(VALU_DEP_1) | instskip(NEXT) | instid1(VALU_DEP_2)
	v_add_f32_e32 v29, v29, v116
	v_fma_f32 v112, v111, v112, -v113
	s_delay_alu instid0(VALU_DEP_1) | instskip(NEXT) | instid1(VALU_DEP_1)
	v_fmac_f32_e32 v112, v111, v110
	v_add_f32_e32 v110, v113, v112
	s_delay_alu instid0(VALU_DEP_1) | instskip(NEXT) | instid1(VALU_DEP_1)
	v_sub_f32_e32 v115, v33, v110
	v_sub_f32_e32 v33, v33, v115
	s_delay_alu instid0(VALU_DEP_1) | instskip(NEXT) | instid1(VALU_DEP_1)
	v_sub_f32_e32 v33, v33, v110
	v_add_f32_e32 v29, v29, v33
	v_add_f32_e32 v33, v114, v111
	v_sub_f32_e32 v113, v110, v113
	s_delay_alu instid0(VALU_DEP_1) | instskip(NEXT) | instid1(VALU_DEP_1)
	v_sub_f32_e32 v110, v113, v112
	v_dual_add_f32 v29, v110, v29 :: v_dual_sub_f32 v110, v33, v114
	s_delay_alu instid0(VALU_DEP_1) | instskip(NEXT) | instid1(VALU_DEP_2)
	v_add_f32_e32 v29, v115, v29
	v_sub_f32_e32 v110, v111, v110
	s_delay_alu instid0(VALU_DEP_2) | instskip(NEXT) | instid1(VALU_DEP_1)
	v_mul_f32_e32 v29, v31, v29
	v_add_f32_e32 v29, v110, v29
	s_delay_alu instid0(VALU_DEP_1) | instskip(NEXT) | instid1(VALU_DEP_1)
	v_add_f32_e32 v31, v33, v29
	v_mul_f32_e32 v110, v31, v31
	s_delay_alu instid0(VALU_DEP_1) | instskip(SKIP_1) | instid1(VALU_DEP_2)
	v_fmaak_f32 v111, s84, v110, 0x3ecc95a3
	v_mul_f32_e32 v112, v31, v110
	v_fmaak_f32 v110, v110, v111, 0x3f2aaada
	v_ldexp_f32 v111, v31, 1
	s_delay_alu instid0(VALU_DEP_2) | instskip(NEXT) | instid1(VALU_DEP_1)
	v_dual_sub_f32 v31, v31, v33 :: v_dual_mul_f32 v110, v112, v110
	v_dual_mul_f32 v112, 0x3f317218, v28 :: v_dual_sub_f32 v29, v29, v31
	s_delay_alu instid0(VALU_DEP_2) | instskip(NEXT) | instid1(VALU_DEP_2)
	v_add_f32_e32 v33, v111, v110
	v_ldexp_f32 v29, v29, 1
	s_delay_alu instid0(VALU_DEP_2) | instskip(NEXT) | instid1(VALU_DEP_4)
	v_sub_f32_e32 v31, v33, v111
	v_fma_f32 v111, 0x3f317218, v28, -v112
	s_delay_alu instid0(VALU_DEP_2) | instskip(NEXT) | instid1(VALU_DEP_1)
	v_sub_f32_e32 v31, v110, v31
	v_dual_fmac_f32 v111, 0xb102e308, v28 :: v_dual_add_f32 v28, v29, v31
	s_delay_alu instid0(VALU_DEP_1) | instskip(NEXT) | instid1(VALU_DEP_2)
	v_add_f32_e32 v29, v112, v111
	v_add_f32_e32 v31, v33, v28
	s_delay_alu instid0(VALU_DEP_2) | instskip(NEXT) | instid1(VALU_DEP_2)
	v_sub_f32_e32 v112, v29, v112
	v_dual_add_f32 v110, v29, v31 :: v_dual_sub_f32 v33, v31, v33
	s_delay_alu instid0(VALU_DEP_2) | instskip(NEXT) | instid1(VALU_DEP_2)
	v_sub_f32_e32 v111, v111, v112
	v_sub_f32_e32 v113, v110, v29
	s_delay_alu instid0(VALU_DEP_3) | instskip(NEXT) | instid1(VALU_DEP_2)
	v_sub_f32_e32 v28, v28, v33
	v_sub_f32_e32 v114, v110, v113
	;; [unrolled: 1-line block ×3, first 2 shown]
	s_delay_alu instid0(VALU_DEP_3) | instskip(NEXT) | instid1(VALU_DEP_3)
	v_add_f32_e32 v33, v111, v28
	v_sub_f32_e32 v29, v29, v114
	s_delay_alu instid0(VALU_DEP_1) | instskip(NEXT) | instid1(VALU_DEP_3)
	v_add_f32_e32 v29, v31, v29
	v_sub_f32_e32 v31, v33, v111
	s_delay_alu instid0(VALU_DEP_2) | instskip(NEXT) | instid1(VALU_DEP_2)
	v_add_f32_e32 v29, v33, v29
	v_sub_f32_e32 v33, v33, v31
	v_sub_f32_e32 v28, v28, v31
	s_delay_alu instid0(VALU_DEP_3) | instskip(NEXT) | instid1(VALU_DEP_3)
	v_add_f32_e32 v112, v110, v29
	v_sub_f32_e32 v33, v111, v33
	s_delay_alu instid0(VALU_DEP_2) | instskip(NEXT) | instid1(VALU_DEP_1)
	v_sub_f32_e32 v31, v112, v110
	v_dual_add_f32 v28, v28, v33 :: v_dual_sub_f32 v29, v29, v31
	s_delay_alu instid0(VALU_DEP_1) | instskip(NEXT) | instid1(VALU_DEP_1)
	v_add_f32_e32 v28, v28, v29
	v_add_f32_e32 v28, v112, v28
	s_delay_alu instid0(VALU_DEP_1)
	v_cndmask_b32_e32 v110, v28, v30, vcc_lo
.LBB151_82:                             ;   in Loop: Header=BB151_12 Depth=1
	s_or_b32 exec_lo, exec_lo, s29
	s_waitcnt lgkmcnt(5)
	v_add_f32_e32 v111, s69, v26
	s_delay_alu instid0(VALU_DEP_1) | instskip(SKIP_1) | instid1(SALU_CYCLE_1)
	v_cmp_ge_f32_e32 vcc_lo, 0x41a00000, v111
	s_and_b32 s28, s80, vcc_lo
	s_and_saveexec_b32 s29, s28
	s_cbranch_execz .LBB151_84
; %bb.83:                               ;   in Loop: Header=BB151_12 Depth=1
	v_mul_f32_e32 v26, 0x3fb8aa3b, v111
	v_cmp_ngt_f32_e32 vcc_lo, 0xc2ce8ed0, v111
	s_delay_alu instid0(VALU_DEP_2) | instskip(SKIP_1) | instid1(VALU_DEP_1)
	v_rndne_f32_e32 v28, v26
	v_fma_f32 v29, 0x3fb8aa3b, v111, -v26
	v_dual_sub_f32 v26, v26, v28 :: v_dual_fmac_f32 v29, 0x32a5705f, v111
	v_cvt_i32_f32_e32 v28, v28
	s_delay_alu instid0(VALU_DEP_2) | instskip(NEXT) | instid1(VALU_DEP_1)
	v_add_f32_e32 v26, v26, v29
	v_exp_f32_e32 v26, v26
	s_waitcnt_depctr 0xfff
	v_ldexp_f32 v26, v26, v28
	s_delay_alu instid0(VALU_DEP_1) | instskip(SKIP_1) | instid1(VALU_DEP_2)
	v_cndmask_b32_e32 v26, 0, v26, vcc_lo
	v_cmp_nlt_f32_e32 vcc_lo, 0x42b17218, v111
	v_cndmask_b32_e32 v26, 0x7f800000, v26, vcc_lo
	s_delay_alu instid0(VALU_DEP_1) | instskip(NEXT) | instid1(VALU_DEP_1)
	v_add_f32_e32 v30, 1.0, v26
	v_cvt_f64_f32_e32 v[28:29], v30
	s_delay_alu instid0(VALU_DEP_1) | instskip(SKIP_1) | instid1(VALU_DEP_1)
	v_frexp_exp_i32_f64_e32 v28, v[28:29]
	v_frexp_mant_f32_e32 v29, v30
	v_cmp_gt_f32_e32 vcc_lo, 0x3f2aaaab, v29
	v_add_f32_e32 v29, -1.0, v30
	s_delay_alu instid0(VALU_DEP_1) | instskip(SKIP_1) | instid1(VALU_DEP_2)
	v_sub_f32_e32 v33, v29, v30
	v_sub_f32_e32 v29, v26, v29
	v_add_f32_e32 v33, 1.0, v33
	s_delay_alu instid0(VALU_DEP_1) | instskip(SKIP_3) | instid1(VALU_DEP_2)
	v_add_f32_e32 v29, v29, v33
	v_cmp_gt_f32_e64 s28, 0x33800000, v26
	v_subrev_co_ci_u32_e32 v28, vcc_lo, 0, v28, vcc_lo
	v_cmp_eq_f32_e32 vcc_lo, 0x7f800000, v26
	v_sub_nc_u32_e32 v31, 0, v28
	v_cvt_f32_i32_e32 v28, v28
	s_or_b32 vcc_lo, s28, vcc_lo
	s_delay_alu instid0(VALU_DEP_2) | instskip(SKIP_1) | instid1(VALU_DEP_2)
	v_ldexp_f32 v30, v30, v31
	v_ldexp_f32 v29, v29, v31
	v_add_f32_e32 v31, -1.0, v30
	s_delay_alu instid0(VALU_DEP_1) | instskip(NEXT) | instid1(VALU_DEP_1)
	v_dual_add_f32 v111, 1.0, v30 :: v_dual_add_f32 v112, 1.0, v31
	v_add_f32_e32 v33, -1.0, v111
	s_delay_alu instid0(VALU_DEP_1) | instskip(NEXT) | instid1(VALU_DEP_1)
	v_sub_f32_e32 v33, v30, v33
	v_dual_sub_f32 v30, v30, v112 :: v_dual_add_f32 v33, v29, v33
	s_delay_alu instid0(VALU_DEP_1) | instskip(NEXT) | instid1(VALU_DEP_1)
	v_add_f32_e32 v112, v111, v33
	v_sub_f32_e32 v111, v111, v112
	s_delay_alu instid0(VALU_DEP_1) | instskip(NEXT) | instid1(VALU_DEP_4)
	v_add_f32_e32 v33, v33, v111
	v_add_f32_e32 v29, v29, v30
	v_rcp_f32_e32 v30, v112
	s_delay_alu instid0(VALU_DEP_1) | instskip(SKIP_2) | instid1(VALU_DEP_1)
	v_add_f32_e32 v113, v31, v29
	s_waitcnt_depctr 0xfff
	v_dual_sub_f32 v31, v31, v113 :: v_dual_mul_f32 v114, v113, v30
	v_add_f32_e32 v29, v29, v31
	s_delay_alu instid0(VALU_DEP_2) | instskip(NEXT) | instid1(VALU_DEP_1)
	v_mul_f32_e32 v115, v112, v114
	v_fma_f32 v111, v114, v112, -v115
	s_delay_alu instid0(VALU_DEP_1) | instskip(NEXT) | instid1(VALU_DEP_1)
	v_fmac_f32_e32 v111, v114, v33
	v_add_f32_e32 v116, v115, v111
	s_delay_alu instid0(VALU_DEP_1) | instskip(SKIP_1) | instid1(VALU_DEP_2)
	v_sub_f32_e32 v117, v113, v116
	v_sub_f32_e32 v31, v116, v115
	;; [unrolled: 1-line block ×3, first 2 shown]
	s_delay_alu instid0(VALU_DEP_2) | instskip(NEXT) | instid1(VALU_DEP_2)
	v_sub_f32_e32 v31, v31, v111
	v_sub_f32_e32 v113, v113, v116
	s_delay_alu instid0(VALU_DEP_1) | instskip(NEXT) | instid1(VALU_DEP_1)
	v_add_f32_e32 v29, v29, v113
	v_add_f32_e32 v29, v31, v29
	s_delay_alu instid0(VALU_DEP_1) | instskip(NEXT) | instid1(VALU_DEP_1)
	v_add_f32_e32 v31, v117, v29
	v_mul_f32_e32 v111, v30, v31
	v_sub_f32_e32 v116, v117, v31
	s_delay_alu instid0(VALU_DEP_2) | instskip(NEXT) | instid1(VALU_DEP_2)
	v_mul_f32_e32 v113, v112, v111
	v_add_f32_e32 v29, v29, v116
	s_delay_alu instid0(VALU_DEP_2) | instskip(NEXT) | instid1(VALU_DEP_1)
	v_fma_f32 v112, v111, v112, -v113
	v_fmac_f32_e32 v112, v111, v33
	s_delay_alu instid0(VALU_DEP_1) | instskip(NEXT) | instid1(VALU_DEP_1)
	v_add_f32_e32 v33, v113, v112
	v_sub_f32_e32 v115, v31, v33
	v_sub_f32_e32 v113, v33, v113
	s_delay_alu instid0(VALU_DEP_2) | instskip(NEXT) | instid1(VALU_DEP_1)
	v_sub_f32_e32 v31, v31, v115
	v_sub_f32_e32 v31, v31, v33
	s_delay_alu instid0(VALU_DEP_3) | instskip(NEXT) | instid1(VALU_DEP_2)
	v_sub_f32_e32 v33, v113, v112
	v_add_f32_e32 v29, v29, v31
	v_add_f32_e32 v31, v114, v111
	s_delay_alu instid0(VALU_DEP_2) | instskip(NEXT) | instid1(VALU_DEP_2)
	v_add_f32_e32 v29, v33, v29
	v_sub_f32_e32 v33, v31, v114
	s_delay_alu instid0(VALU_DEP_2) | instskip(NEXT) | instid1(VALU_DEP_2)
	v_add_f32_e32 v29, v115, v29
	v_sub_f32_e32 v33, v111, v33
	s_delay_alu instid0(VALU_DEP_2) | instskip(NEXT) | instid1(VALU_DEP_1)
	v_mul_f32_e32 v29, v30, v29
	v_add_f32_e32 v29, v33, v29
	s_delay_alu instid0(VALU_DEP_1) | instskip(NEXT) | instid1(VALU_DEP_1)
	v_add_f32_e32 v30, v31, v29
	v_mul_f32_e32 v33, v30, v30
	s_delay_alu instid0(VALU_DEP_1) | instskip(NEXT) | instid1(VALU_DEP_1)
	v_fmaak_f32 v111, s84, v33, 0x3ecc95a3
	v_dual_mul_f32 v112, v30, v33 :: v_dual_fmaak_f32 v33, v33, v111, 0x3f2aaada
	v_ldexp_f32 v111, v30, 1
	s_delay_alu instid0(VALU_DEP_2) | instskip(NEXT) | instid1(VALU_DEP_1)
	v_dual_sub_f32 v30, v30, v31 :: v_dual_mul_f32 v33, v112, v33
	v_dual_mul_f32 v112, 0x3f317218, v28 :: v_dual_sub_f32 v29, v29, v30
	s_delay_alu instid0(VALU_DEP_2) | instskip(NEXT) | instid1(VALU_DEP_2)
	v_add_f32_e32 v31, v111, v33
	v_ldexp_f32 v29, v29, 1
	s_delay_alu instid0(VALU_DEP_2) | instskip(NEXT) | instid1(VALU_DEP_4)
	v_sub_f32_e32 v30, v31, v111
	v_fma_f32 v111, 0x3f317218, v28, -v112
	s_delay_alu instid0(VALU_DEP_1) | instskip(NEXT) | instid1(VALU_DEP_1)
	v_dual_sub_f32 v30, v33, v30 :: v_dual_fmac_f32 v111, 0xb102e308, v28
	v_dual_add_f32 v28, v29, v30 :: v_dual_add_f32 v29, v112, v111
	s_delay_alu instid0(VALU_DEP_1) | instskip(NEXT) | instid1(VALU_DEP_2)
	v_add_f32_e32 v30, v31, v28
	v_sub_f32_e32 v112, v29, v112
	s_delay_alu instid0(VALU_DEP_2) | instskip(SKIP_1) | instid1(VALU_DEP_3)
	v_add_f32_e32 v33, v29, v30
	v_sub_f32_e32 v31, v30, v31
	v_sub_f32_e32 v111, v111, v112
	s_delay_alu instid0(VALU_DEP_2) | instskip(NEXT) | instid1(VALU_DEP_1)
	v_dual_sub_f32 v113, v33, v29 :: v_dual_sub_f32 v28, v28, v31
	v_sub_f32_e32 v114, v33, v113
	s_delay_alu instid0(VALU_DEP_2) | instskip(NEXT) | instid1(VALU_DEP_2)
	v_dual_sub_f32 v30, v30, v113 :: v_dual_add_f32 v31, v111, v28
	v_sub_f32_e32 v29, v29, v114
	s_delay_alu instid0(VALU_DEP_1) | instskip(NEXT) | instid1(VALU_DEP_1)
	v_dual_add_f32 v29, v30, v29 :: v_dual_sub_f32 v30, v31, v111
	v_add_f32_e32 v29, v31, v29
	s_delay_alu instid0(VALU_DEP_2) | instskip(SKIP_1) | instid1(VALU_DEP_2)
	v_sub_f32_e32 v31, v31, v30
	v_sub_f32_e32 v28, v28, v30
	v_dual_add_f32 v112, v33, v29 :: v_dual_sub_f32 v31, v111, v31
	s_delay_alu instid0(VALU_DEP_1) | instskip(NEXT) | instid1(VALU_DEP_1)
	v_sub_f32_e32 v30, v112, v33
	v_dual_add_f32 v28, v28, v31 :: v_dual_sub_f32 v29, v29, v30
	s_delay_alu instid0(VALU_DEP_1) | instskip(NEXT) | instid1(VALU_DEP_1)
	v_add_f32_e32 v28, v28, v29
	v_add_f32_e32 v28, v112, v28
	s_delay_alu instid0(VALU_DEP_1)
	v_cndmask_b32_e32 v111, v28, v26, vcc_lo
.LBB151_84:                             ;   in Loop: Header=BB151_12 Depth=1
	s_or_b32 exec_lo, exec_lo, s29
	v_add_f32_e32 v112, s69, v27
	s_delay_alu instid0(VALU_DEP_1) | instskip(SKIP_1) | instid1(SALU_CYCLE_1)
	v_cmp_ge_f32_e32 vcc_lo, 0x41a00000, v112
	s_and_b32 s28, s80, vcc_lo
	s_and_saveexec_b32 s29, s28
	s_cbranch_execz .LBB151_86
; %bb.85:                               ;   in Loop: Header=BB151_12 Depth=1
	v_mul_f32_e32 v26, 0x3fb8aa3b, v112
	v_cmp_ngt_f32_e32 vcc_lo, 0xc2ce8ed0, v112
	s_delay_alu instid0(VALU_DEP_2) | instskip(SKIP_1) | instid1(VALU_DEP_2)
	v_rndne_f32_e32 v27, v26
	v_fma_f32 v28, 0x3fb8aa3b, v112, -v26
	v_sub_f32_e32 v26, v26, v27
	s_delay_alu instid0(VALU_DEP_2) | instskip(SKIP_1) | instid1(VALU_DEP_2)
	v_fmac_f32_e32 v28, 0x32a5705f, v112
	v_cvt_i32_f32_e32 v27, v27
	v_add_f32_e32 v26, v26, v28
	s_delay_alu instid0(VALU_DEP_1) | instskip(SKIP_2) | instid1(VALU_DEP_1)
	v_exp_f32_e32 v26, v26
	s_waitcnt_depctr 0xfff
	v_ldexp_f32 v26, v26, v27
	v_cndmask_b32_e32 v26, 0, v26, vcc_lo
	v_cmp_nlt_f32_e32 vcc_lo, 0x42b17218, v112
	s_delay_alu instid0(VALU_DEP_2) | instskip(NEXT) | instid1(VALU_DEP_1)
	v_cndmask_b32_e32 v28, 0x7f800000, v26, vcc_lo
	v_add_f32_e32 v29, 1.0, v28
	s_delay_alu instid0(VALU_DEP_1) | instskip(NEXT) | instid1(VALU_DEP_1)
	v_cvt_f64_f32_e32 v[26:27], v29
	v_frexp_exp_i32_f64_e32 v26, v[26:27]
	v_frexp_mant_f32_e32 v27, v29
	s_delay_alu instid0(VALU_DEP_1) | instskip(SKIP_1) | instid1(VALU_DEP_1)
	v_cmp_gt_f32_e32 vcc_lo, 0x3f2aaaab, v27
	v_add_f32_e32 v27, -1.0, v29
	v_sub_f32_e32 v31, v27, v29
	s_delay_alu instid0(VALU_DEP_1) | instskip(SKIP_1) | instid1(VALU_DEP_1)
	v_add_f32_e32 v31, 1.0, v31
	v_subrev_co_ci_u32_e32 v26, vcc_lo, 0, v26, vcc_lo
	v_sub_nc_u32_e32 v30, 0, v26
	v_cvt_f32_i32_e32 v26, v26
	s_delay_alu instid0(VALU_DEP_2) | instskip(NEXT) | instid1(VALU_DEP_1)
	v_ldexp_f32 v29, v29, v30
	v_add_f32_e32 v33, 1.0, v29
	v_sub_f32_e32 v27, v28, v27
	v_cmp_eq_f32_e32 vcc_lo, 0x7f800000, v28
	v_cmp_gt_f32_e64 s28, 0x33800000, v28
	s_delay_alu instid0(VALU_DEP_3) | instskip(NEXT) | instid1(VALU_DEP_2)
	v_add_f32_e32 v27, v27, v31
	s_or_b32 vcc_lo, s28, vcc_lo
	s_delay_alu instid0(VALU_DEP_1) | instskip(SKIP_1) | instid1(VALU_DEP_1)
	v_ldexp_f32 v27, v27, v30
	v_add_f32_e32 v30, -1.0, v29
	v_dual_add_f32 v31, -1.0, v33 :: v_dual_add_f32 v112, 1.0, v30
	s_delay_alu instid0(VALU_DEP_1) | instskip(NEXT) | instid1(VALU_DEP_2)
	v_sub_f32_e32 v31, v29, v31
	v_sub_f32_e32 v29, v29, v112
	s_delay_alu instid0(VALU_DEP_2) | instskip(NEXT) | instid1(VALU_DEP_1)
	v_add_f32_e32 v31, v27, v31
	v_dual_add_f32 v27, v27, v29 :: v_dual_add_f32 v112, v33, v31
	s_delay_alu instid0(VALU_DEP_1) | instskip(NEXT) | instid1(VALU_DEP_2)
	v_add_f32_e32 v113, v30, v27
	v_rcp_f32_e32 v29, v112
	s_delay_alu instid0(VALU_DEP_1) | instskip(SKIP_2) | instid1(VALU_DEP_1)
	v_sub_f32_e32 v30, v30, v113
	s_waitcnt_depctr 0xfff
	v_mul_f32_e32 v114, v113, v29
	v_mul_f32_e32 v115, v112, v114
	v_sub_f32_e32 v33, v33, v112
	s_delay_alu instid0(VALU_DEP_1) | instskip(NEXT) | instid1(VALU_DEP_3)
	v_add_f32_e32 v31, v31, v33
	v_fma_f32 v33, v114, v112, -v115
	v_add_f32_e32 v27, v27, v30
	s_delay_alu instid0(VALU_DEP_2) | instskip(NEXT) | instid1(VALU_DEP_1)
	v_fmac_f32_e32 v33, v114, v31
	v_add_f32_e32 v116, v115, v33
	s_delay_alu instid0(VALU_DEP_1) | instskip(NEXT) | instid1(VALU_DEP_1)
	v_dual_sub_f32 v117, v113, v116 :: v_dual_sub_f32 v30, v116, v115
	v_sub_f32_e32 v113, v113, v117
	s_delay_alu instid0(VALU_DEP_1) | instskip(NEXT) | instid1(VALU_DEP_1)
	v_dual_sub_f32 v30, v30, v33 :: v_dual_sub_f32 v113, v113, v116
	v_add_f32_e32 v27, v27, v113
	s_delay_alu instid0(VALU_DEP_1) | instskip(NEXT) | instid1(VALU_DEP_1)
	v_add_f32_e32 v27, v30, v27
	v_add_f32_e32 v30, v117, v27
	s_delay_alu instid0(VALU_DEP_1) | instskip(NEXT) | instid1(VALU_DEP_1)
	v_mul_f32_e32 v33, v29, v30
	v_dual_sub_f32 v116, v117, v30 :: v_dual_mul_f32 v113, v112, v33
	s_delay_alu instid0(VALU_DEP_1) | instskip(NEXT) | instid1(VALU_DEP_2)
	v_add_f32_e32 v27, v27, v116
	v_fma_f32 v112, v33, v112, -v113
	s_delay_alu instid0(VALU_DEP_1) | instskip(NEXT) | instid1(VALU_DEP_1)
	v_fmac_f32_e32 v112, v33, v31
	v_add_f32_e32 v31, v113, v112
	s_delay_alu instid0(VALU_DEP_1) | instskip(NEXT) | instid1(VALU_DEP_1)
	v_sub_f32_e32 v115, v30, v31
	v_dual_sub_f32 v113, v31, v113 :: v_dual_sub_f32 v30, v30, v115
	s_delay_alu instid0(VALU_DEP_1) | instskip(NEXT) | instid1(VALU_DEP_1)
	v_dual_sub_f32 v30, v30, v31 :: v_dual_sub_f32 v31, v113, v112
	v_dual_add_f32 v27, v27, v30 :: v_dual_add_f32 v30, v114, v33
	s_delay_alu instid0(VALU_DEP_1) | instskip(NEXT) | instid1(VALU_DEP_2)
	v_add_f32_e32 v27, v31, v27
	v_sub_f32_e32 v31, v30, v114
	s_delay_alu instid0(VALU_DEP_2) | instskip(NEXT) | instid1(VALU_DEP_2)
	v_add_f32_e32 v27, v115, v27
	v_sub_f32_e32 v31, v33, v31
	s_delay_alu instid0(VALU_DEP_2) | instskip(NEXT) | instid1(VALU_DEP_1)
	v_mul_f32_e32 v27, v29, v27
	v_add_f32_e32 v27, v31, v27
	s_delay_alu instid0(VALU_DEP_1) | instskip(NEXT) | instid1(VALU_DEP_1)
	v_add_f32_e32 v29, v30, v27
	v_mul_f32_e32 v31, v29, v29
	s_delay_alu instid0(VALU_DEP_1) | instskip(NEXT) | instid1(VALU_DEP_1)
	v_fmaak_f32 v33, s84, v31, 0x3ecc95a3
	v_dual_mul_f32 v112, v29, v31 :: v_dual_fmaak_f32 v31, v31, v33, 0x3f2aaada
	v_ldexp_f32 v33, v29, 1
	v_sub_f32_e32 v29, v29, v30
	s_delay_alu instid0(VALU_DEP_3) | instskip(NEXT) | instid1(VALU_DEP_1)
	v_dual_mul_f32 v31, v112, v31 :: v_dual_mul_f32 v112, 0x3f317218, v26
	v_dual_sub_f32 v27, v27, v29 :: v_dual_add_f32 v30, v33, v31
	s_delay_alu instid0(VALU_DEP_1) | instskip(NEXT) | instid1(VALU_DEP_2)
	v_ldexp_f32 v27, v27, 1
	v_sub_f32_e32 v29, v30, v33
	s_delay_alu instid0(VALU_DEP_4) | instskip(NEXT) | instid1(VALU_DEP_2)
	v_fma_f32 v33, 0x3f317218, v26, -v112
	v_sub_f32_e32 v29, v31, v29
	s_delay_alu instid0(VALU_DEP_1) | instskip(NEXT) | instid1(VALU_DEP_1)
	v_dual_fmac_f32 v33, 0xb102e308, v26 :: v_dual_add_f32 v26, v27, v29
	v_add_f32_e32 v27, v112, v33
	s_delay_alu instid0(VALU_DEP_1) | instskip(NEXT) | instid1(VALU_DEP_1)
	v_dual_add_f32 v29, v30, v26 :: v_dual_sub_f32 v112, v27, v112
	v_dual_add_f32 v31, v27, v29 :: v_dual_sub_f32 v30, v29, v30
	s_delay_alu instid0(VALU_DEP_2) | instskip(NEXT) | instid1(VALU_DEP_2)
	v_sub_f32_e32 v33, v33, v112
	v_dual_sub_f32 v113, v31, v27 :: v_dual_sub_f32 v26, v26, v30
	s_delay_alu instid0(VALU_DEP_1) | instskip(SKIP_1) | instid1(VALU_DEP_3)
	v_sub_f32_e32 v114, v31, v113
	v_sub_f32_e32 v29, v29, v113
	v_add_f32_e32 v30, v33, v26
	s_delay_alu instid0(VALU_DEP_3) | instskip(NEXT) | instid1(VALU_DEP_1)
	v_sub_f32_e32 v27, v27, v114
	v_add_f32_e32 v27, v29, v27
	s_delay_alu instid0(VALU_DEP_3) | instskip(NEXT) | instid1(VALU_DEP_2)
	v_sub_f32_e32 v29, v30, v33
	v_add_f32_e32 v27, v30, v27
	s_delay_alu instid0(VALU_DEP_2) | instskip(SKIP_1) | instid1(VALU_DEP_3)
	v_sub_f32_e32 v30, v30, v29
	v_sub_f32_e32 v26, v26, v29
	v_add_f32_e32 v112, v31, v27
	s_delay_alu instid0(VALU_DEP_1) | instskip(NEXT) | instid1(VALU_DEP_1)
	v_dual_sub_f32 v30, v33, v30 :: v_dual_sub_f32 v29, v112, v31
	v_dual_add_f32 v26, v26, v30 :: v_dual_sub_f32 v27, v27, v29
	s_delay_alu instid0(VALU_DEP_1) | instskip(NEXT) | instid1(VALU_DEP_1)
	v_add_f32_e32 v26, v26, v27
	v_add_f32_e32 v26, v112, v26
	s_delay_alu instid0(VALU_DEP_1)
	v_cndmask_b32_e32 v112, v26, v28, vcc_lo
.LBB151_86:                             ;   in Loop: Header=BB151_12 Depth=1
	s_or_b32 exec_lo, exec_lo, s29
	s_waitcnt lgkmcnt(4)
	v_add_f32_e32 v113, s69, v24
	s_delay_alu instid0(VALU_DEP_1) | instskip(SKIP_1) | instid1(SALU_CYCLE_1)
	v_cmp_ge_f32_e32 vcc_lo, 0x41a00000, v113
	s_and_b32 s28, s80, vcc_lo
	s_and_saveexec_b32 s29, s28
	s_cbranch_execz .LBB151_88
; %bb.87:                               ;   in Loop: Header=BB151_12 Depth=1
	v_mul_f32_e32 v24, 0x3fb8aa3b, v113
	v_cmp_ngt_f32_e32 vcc_lo, 0xc2ce8ed0, v113
	s_delay_alu instid0(VALU_DEP_2) | instskip(SKIP_1) | instid1(VALU_DEP_1)
	v_rndne_f32_e32 v26, v24
	v_fma_f32 v27, 0x3fb8aa3b, v113, -v24
	v_dual_sub_f32 v24, v24, v26 :: v_dual_fmac_f32 v27, 0x32a5705f, v113
	v_cvt_i32_f32_e32 v26, v26
	s_delay_alu instid0(VALU_DEP_2) | instskip(NEXT) | instid1(VALU_DEP_1)
	v_add_f32_e32 v24, v24, v27
	v_exp_f32_e32 v24, v24
	s_waitcnt_depctr 0xfff
	v_ldexp_f32 v24, v24, v26
	s_delay_alu instid0(VALU_DEP_1) | instskip(SKIP_1) | instid1(VALU_DEP_2)
	v_cndmask_b32_e32 v24, 0, v24, vcc_lo
	v_cmp_nlt_f32_e32 vcc_lo, 0x42b17218, v113
	v_cndmask_b32_e32 v24, 0x7f800000, v24, vcc_lo
	s_delay_alu instid0(VALU_DEP_1) | instskip(NEXT) | instid1(VALU_DEP_1)
	v_add_f32_e32 v28, 1.0, v24
	v_cvt_f64_f32_e32 v[26:27], v28
	s_delay_alu instid0(VALU_DEP_1) | instskip(SKIP_1) | instid1(VALU_DEP_1)
	v_frexp_exp_i32_f64_e32 v26, v[26:27]
	v_frexp_mant_f32_e32 v27, v28
	v_cmp_gt_f32_e32 vcc_lo, 0x3f2aaaab, v27
	v_add_f32_e32 v27, -1.0, v28
	s_delay_alu instid0(VALU_DEP_1) | instskip(SKIP_1) | instid1(VALU_DEP_1)
	v_dual_sub_f32 v30, v27, v28 :: v_dual_sub_f32 v27, v24, v27
	v_subrev_co_ci_u32_e32 v26, vcc_lo, 0, v26, vcc_lo
	v_sub_nc_u32_e32 v29, 0, v26
	v_cvt_f32_i32_e32 v26, v26
	s_delay_alu instid0(VALU_DEP_2) | instskip(NEXT) | instid1(VALU_DEP_1)
	v_ldexp_f32 v28, v28, v29
	v_dual_add_f32 v30, 1.0, v30 :: v_dual_add_f32 v31, 1.0, v28
	s_delay_alu instid0(VALU_DEP_1) | instskip(NEXT) | instid1(VALU_DEP_1)
	v_add_f32_e32 v27, v27, v30
	v_ldexp_f32 v27, v27, v29
	s_delay_alu instid0(VALU_DEP_3) | instskip(NEXT) | instid1(VALU_DEP_1)
	v_dual_add_f32 v29, -1.0, v28 :: v_dual_add_f32 v30, -1.0, v31
	v_dual_add_f32 v33, 1.0, v29 :: v_dual_sub_f32 v30, v28, v30
	v_cmp_eq_f32_e32 vcc_lo, 0x7f800000, v24
	v_cmp_gt_f32_e64 s28, 0x33800000, v24
	s_delay_alu instid0(VALU_DEP_3) | instskip(NEXT) | instid1(VALU_DEP_4)
	v_add_f32_e32 v30, v27, v30
	v_sub_f32_e32 v28, v28, v33
	s_delay_alu instid0(VALU_DEP_3) | instskip(NEXT) | instid1(VALU_DEP_2)
	s_or_b32 vcc_lo, s28, vcc_lo
	v_add_f32_e32 v33, v31, v30
	s_delay_alu instid0(VALU_DEP_2) | instskip(NEXT) | instid1(VALU_DEP_2)
	v_add_f32_e32 v27, v27, v28
	v_rcp_f32_e32 v28, v33
	s_delay_alu instid0(VALU_DEP_1) | instskip(SKIP_1) | instid1(VALU_DEP_1)
	v_add_f32_e32 v113, v29, v27
	v_sub_f32_e32 v31, v31, v33
	v_dual_sub_f32 v29, v29, v113 :: v_dual_add_f32 v30, v30, v31
	s_waitcnt_depctr 0xfff
	v_dual_mul_f32 v114, v113, v28 :: v_dual_add_f32 v27, v27, v29
	s_delay_alu instid0(VALU_DEP_1) | instskip(NEXT) | instid1(VALU_DEP_1)
	v_mul_f32_e32 v115, v33, v114
	v_fma_f32 v31, v114, v33, -v115
	s_delay_alu instid0(VALU_DEP_1) | instskip(NEXT) | instid1(VALU_DEP_1)
	v_fmac_f32_e32 v31, v114, v30
	v_add_f32_e32 v116, v115, v31
	s_delay_alu instid0(VALU_DEP_1) | instskip(NEXT) | instid1(VALU_DEP_1)
	v_sub_f32_e32 v117, v113, v116
	v_sub_f32_e32 v113, v113, v117
	;; [unrolled: 1-line block ×3, first 2 shown]
	s_delay_alu instid0(VALU_DEP_2) | instskip(NEXT) | instid1(VALU_DEP_2)
	v_sub_f32_e32 v113, v113, v116
	v_sub_f32_e32 v29, v29, v31
	s_delay_alu instid0(VALU_DEP_2) | instskip(NEXT) | instid1(VALU_DEP_1)
	v_add_f32_e32 v27, v27, v113
	v_add_f32_e32 v27, v29, v27
	s_delay_alu instid0(VALU_DEP_1) | instskip(NEXT) | instid1(VALU_DEP_1)
	v_add_f32_e32 v29, v117, v27
	v_mul_f32_e32 v31, v28, v29
	v_sub_f32_e32 v116, v117, v29
	s_delay_alu instid0(VALU_DEP_2) | instskip(NEXT) | instid1(VALU_DEP_2)
	v_mul_f32_e32 v113, v33, v31
	v_add_f32_e32 v27, v27, v116
	s_delay_alu instid0(VALU_DEP_2) | instskip(NEXT) | instid1(VALU_DEP_1)
	v_fma_f32 v33, v31, v33, -v113
	v_fmac_f32_e32 v33, v31, v30
	s_delay_alu instid0(VALU_DEP_1) | instskip(NEXT) | instid1(VALU_DEP_1)
	v_add_f32_e32 v30, v113, v33
	v_sub_f32_e32 v115, v29, v30
	v_sub_f32_e32 v113, v30, v113
	s_delay_alu instid0(VALU_DEP_2) | instskip(NEXT) | instid1(VALU_DEP_1)
	v_sub_f32_e32 v29, v29, v115
	v_sub_f32_e32 v29, v29, v30
	s_delay_alu instid0(VALU_DEP_3) | instskip(NEXT) | instid1(VALU_DEP_2)
	v_sub_f32_e32 v30, v113, v33
	v_add_f32_e32 v27, v27, v29
	v_add_f32_e32 v29, v114, v31
	s_delay_alu instid0(VALU_DEP_1) | instskip(NEXT) | instid1(VALU_DEP_1)
	v_dual_add_f32 v27, v30, v27 :: v_dual_sub_f32 v30, v29, v114
	v_add_f32_e32 v27, v115, v27
	s_delay_alu instid0(VALU_DEP_1) | instskip(NEXT) | instid1(VALU_DEP_1)
	v_dual_sub_f32 v30, v31, v30 :: v_dual_mul_f32 v27, v28, v27
	v_add_f32_e32 v27, v30, v27
	s_delay_alu instid0(VALU_DEP_1) | instskip(NEXT) | instid1(VALU_DEP_1)
	v_add_f32_e32 v28, v29, v27
	v_mul_f32_e32 v30, v28, v28
	s_delay_alu instid0(VALU_DEP_1) | instskip(NEXT) | instid1(VALU_DEP_1)
	v_fmaak_f32 v31, s84, v30, 0x3ecc95a3
	v_dual_mul_f32 v33, v28, v30 :: v_dual_fmaak_f32 v30, v30, v31, 0x3f2aaada
	v_ldexp_f32 v31, v28, 1
	v_sub_f32_e32 v28, v28, v29
	s_delay_alu instid0(VALU_DEP_3) | instskip(SKIP_1) | instid1(VALU_DEP_3)
	v_mul_f32_e32 v30, v33, v30
	v_mul_f32_e32 v33, 0x3f317218, v26
	v_sub_f32_e32 v27, v27, v28
	s_delay_alu instid0(VALU_DEP_3) | instskip(NEXT) | instid1(VALU_DEP_2)
	v_add_f32_e32 v29, v31, v30
	v_ldexp_f32 v27, v27, 1
	s_delay_alu instid0(VALU_DEP_2) | instskip(SKIP_1) | instid1(VALU_DEP_1)
	v_sub_f32_e32 v28, v29, v31
	v_fma_f32 v31, 0x3f317218, v26, -v33
	v_dual_sub_f32 v28, v30, v28 :: v_dual_fmac_f32 v31, 0xb102e308, v26
	s_delay_alu instid0(VALU_DEP_1) | instskip(NEXT) | instid1(VALU_DEP_1)
	v_dual_add_f32 v26, v27, v28 :: v_dual_add_f32 v27, v33, v31
	v_dual_add_f32 v28, v29, v26 :: v_dual_sub_f32 v33, v27, v33
	s_delay_alu instid0(VALU_DEP_1) | instskip(NEXT) | instid1(VALU_DEP_2)
	v_dual_add_f32 v30, v27, v28 :: v_dual_sub_f32 v29, v28, v29
	v_sub_f32_e32 v31, v31, v33
	s_delay_alu instid0(VALU_DEP_2) | instskip(NEXT) | instid1(VALU_DEP_3)
	v_sub_f32_e32 v113, v30, v27
	v_sub_f32_e32 v26, v26, v29
	s_delay_alu instid0(VALU_DEP_2) | instskip(NEXT) | instid1(VALU_DEP_2)
	v_sub_f32_e32 v114, v30, v113
	v_dual_sub_f32 v28, v28, v113 :: v_dual_add_f32 v29, v31, v26
	s_delay_alu instid0(VALU_DEP_2) | instskip(NEXT) | instid1(VALU_DEP_1)
	v_sub_f32_e32 v27, v27, v114
	v_add_f32_e32 v27, v28, v27
	s_delay_alu instid0(VALU_DEP_3) | instskip(NEXT) | instid1(VALU_DEP_2)
	v_sub_f32_e32 v28, v29, v31
	v_add_f32_e32 v27, v29, v27
	s_delay_alu instid0(VALU_DEP_2) | instskip(SKIP_1) | instid1(VALU_DEP_3)
	v_sub_f32_e32 v29, v29, v28
	v_sub_f32_e32 v26, v26, v28
	v_add_f32_e32 v33, v30, v27
	s_delay_alu instid0(VALU_DEP_1) | instskip(NEXT) | instid1(VALU_DEP_1)
	v_dual_sub_f32 v29, v31, v29 :: v_dual_sub_f32 v28, v33, v30
	v_dual_add_f32 v26, v26, v29 :: v_dual_sub_f32 v27, v27, v28
	s_delay_alu instid0(VALU_DEP_1) | instskip(NEXT) | instid1(VALU_DEP_1)
	v_add_f32_e32 v26, v26, v27
	v_add_f32_e32 v26, v33, v26
	s_delay_alu instid0(VALU_DEP_1)
	v_cndmask_b32_e32 v113, v26, v24, vcc_lo
.LBB151_88:                             ;   in Loop: Header=BB151_12 Depth=1
	s_or_b32 exec_lo, exec_lo, s29
	v_add_f32_e32 v114, s69, v25
	s_delay_alu instid0(VALU_DEP_1) | instskip(SKIP_1) | instid1(SALU_CYCLE_1)
	v_cmp_ge_f32_e32 vcc_lo, 0x41a00000, v114
	s_and_b32 s28, s80, vcc_lo
	s_and_saveexec_b32 s29, s28
	s_cbranch_execz .LBB151_90
; %bb.89:                               ;   in Loop: Header=BB151_12 Depth=1
	v_mul_f32_e32 v24, 0x3fb8aa3b, v114
	v_cmp_ngt_f32_e32 vcc_lo, 0xc2ce8ed0, v114
	s_delay_alu instid0(VALU_DEP_2) | instskip(SKIP_1) | instid1(VALU_DEP_2)
	v_rndne_f32_e32 v25, v24
	v_fma_f32 v26, 0x3fb8aa3b, v114, -v24
	v_sub_f32_e32 v24, v24, v25
	s_delay_alu instid0(VALU_DEP_2) | instskip(SKIP_1) | instid1(VALU_DEP_2)
	v_fmac_f32_e32 v26, 0x32a5705f, v114
	v_cvt_i32_f32_e32 v25, v25
	v_add_f32_e32 v24, v24, v26
	s_delay_alu instid0(VALU_DEP_1) | instskip(SKIP_2) | instid1(VALU_DEP_1)
	v_exp_f32_e32 v24, v24
	s_waitcnt_depctr 0xfff
	v_ldexp_f32 v24, v24, v25
	v_cndmask_b32_e32 v24, 0, v24, vcc_lo
	v_cmp_nlt_f32_e32 vcc_lo, 0x42b17218, v114
	s_delay_alu instid0(VALU_DEP_2) | instskip(NEXT) | instid1(VALU_DEP_1)
	v_cndmask_b32_e32 v26, 0x7f800000, v24, vcc_lo
	v_add_f32_e32 v27, 1.0, v26
	s_delay_alu instid0(VALU_DEP_1) | instskip(NEXT) | instid1(VALU_DEP_1)
	v_cvt_f64_f32_e32 v[24:25], v27
	v_frexp_exp_i32_f64_e32 v24, v[24:25]
	v_frexp_mant_f32_e32 v25, v27
	s_delay_alu instid0(VALU_DEP_1) | instskip(SKIP_1) | instid1(VALU_DEP_1)
	v_cmp_gt_f32_e32 vcc_lo, 0x3f2aaaab, v25
	v_add_f32_e32 v25, -1.0, v27
	v_sub_f32_e32 v29, v25, v27
	v_sub_f32_e32 v25, v26, v25
	s_delay_alu instid0(VALU_DEP_2) | instskip(NEXT) | instid1(VALU_DEP_1)
	v_add_f32_e32 v29, 1.0, v29
	v_add_f32_e32 v25, v25, v29
	v_cmp_gt_f32_e64 s28, 0x33800000, v26
	v_subrev_co_ci_u32_e32 v24, vcc_lo, 0, v24, vcc_lo
	v_cmp_eq_f32_e32 vcc_lo, 0x7f800000, v26
	s_delay_alu instid0(VALU_DEP_2) | instskip(SKIP_2) | instid1(VALU_DEP_2)
	v_sub_nc_u32_e32 v28, 0, v24
	v_cvt_f32_i32_e32 v24, v24
	s_or_b32 vcc_lo, s28, vcc_lo
	v_ldexp_f32 v27, v27, v28
	v_ldexp_f32 v25, v25, v28
	s_delay_alu instid0(VALU_DEP_2) | instskip(NEXT) | instid1(VALU_DEP_1)
	v_add_f32_e32 v30, 1.0, v27
	v_dual_add_f32 v28, -1.0, v27 :: v_dual_add_f32 v29, -1.0, v30
	s_delay_alu instid0(VALU_DEP_1) | instskip(NEXT) | instid1(VALU_DEP_2)
	v_add_f32_e32 v31, 1.0, v28
	v_sub_f32_e32 v29, v27, v29
	s_delay_alu instid0(VALU_DEP_2) | instskip(NEXT) | instid1(VALU_DEP_2)
	v_sub_f32_e32 v27, v27, v31
	v_add_f32_e32 v29, v25, v29
	s_delay_alu instid0(VALU_DEP_2) | instskip(NEXT) | instid1(VALU_DEP_2)
	v_add_f32_e32 v25, v25, v27
	v_add_f32_e32 v31, v30, v29
	s_delay_alu instid0(VALU_DEP_1) | instskip(NEXT) | instid1(VALU_DEP_2)
	v_rcp_f32_e32 v27, v31
	v_dual_add_f32 v33, v28, v25 :: v_dual_sub_f32 v30, v30, v31
	s_delay_alu instid0(VALU_DEP_1) | instskip(SKIP_3) | instid1(VALU_DEP_2)
	v_sub_f32_e32 v28, v28, v33
	s_waitcnt_depctr 0xfff
	v_mul_f32_e32 v114, v33, v27
	v_add_f32_e32 v25, v25, v28
	v_mul_f32_e32 v115, v31, v114
	v_add_f32_e32 v29, v29, v30
	s_delay_alu instid0(VALU_DEP_2) | instskip(NEXT) | instid1(VALU_DEP_1)
	v_fma_f32 v30, v114, v31, -v115
	v_fmac_f32_e32 v30, v114, v29
	s_delay_alu instid0(VALU_DEP_1) | instskip(NEXT) | instid1(VALU_DEP_1)
	v_add_f32_e32 v116, v115, v30
	v_dual_sub_f32 v28, v116, v115 :: v_dual_sub_f32 v117, v33, v116
	s_delay_alu instid0(VALU_DEP_1) | instskip(NEXT) | instid1(VALU_DEP_1)
	v_dual_sub_f32 v28, v28, v30 :: v_dual_sub_f32 v33, v33, v117
	v_sub_f32_e32 v33, v33, v116
	s_delay_alu instid0(VALU_DEP_1) | instskip(NEXT) | instid1(VALU_DEP_1)
	v_add_f32_e32 v25, v25, v33
	v_add_f32_e32 v25, v28, v25
	s_delay_alu instid0(VALU_DEP_1) | instskip(NEXT) | instid1(VALU_DEP_1)
	v_add_f32_e32 v28, v117, v25
	v_sub_f32_e32 v116, v117, v28
	v_mul_f32_e32 v30, v27, v28
	s_delay_alu instid0(VALU_DEP_2) | instskip(NEXT) | instid1(VALU_DEP_2)
	v_add_f32_e32 v25, v25, v116
	v_mul_f32_e32 v33, v31, v30
	s_delay_alu instid0(VALU_DEP_1) | instskip(NEXT) | instid1(VALU_DEP_1)
	v_fma_f32 v31, v30, v31, -v33
	v_fmac_f32_e32 v31, v30, v29
	s_delay_alu instid0(VALU_DEP_1) | instskip(NEXT) | instid1(VALU_DEP_1)
	v_add_f32_e32 v29, v33, v31
	v_sub_f32_e32 v115, v28, v29
	s_delay_alu instid0(VALU_DEP_1) | instskip(NEXT) | instid1(VALU_DEP_1)
	v_dual_sub_f32 v33, v29, v33 :: v_dual_sub_f32 v28, v28, v115
	v_dual_sub_f32 v28, v28, v29 :: v_dual_sub_f32 v29, v33, v31
	s_delay_alu instid0(VALU_DEP_1) | instskip(NEXT) | instid1(VALU_DEP_1)
	v_dual_add_f32 v25, v25, v28 :: v_dual_add_f32 v28, v114, v30
	v_add_f32_e32 v25, v29, v25
	s_delay_alu instid0(VALU_DEP_2) | instskip(NEXT) | instid1(VALU_DEP_2)
	v_sub_f32_e32 v29, v28, v114
	v_add_f32_e32 v25, v115, v25
	s_delay_alu instid0(VALU_DEP_2) | instskip(NEXT) | instid1(VALU_DEP_2)
	v_sub_f32_e32 v29, v30, v29
	v_mul_f32_e32 v25, v27, v25
	s_delay_alu instid0(VALU_DEP_1) | instskip(NEXT) | instid1(VALU_DEP_1)
	v_add_f32_e32 v25, v29, v25
	v_add_f32_e32 v27, v28, v25
	s_delay_alu instid0(VALU_DEP_1) | instskip(NEXT) | instid1(VALU_DEP_1)
	v_mul_f32_e32 v29, v27, v27
	v_fmaak_f32 v30, s84, v29, 0x3ecc95a3
	v_mul_f32_e32 v31, v27, v29
	s_delay_alu instid0(VALU_DEP_2) | instskip(SKIP_2) | instid1(VALU_DEP_3)
	v_fmaak_f32 v29, v29, v30, 0x3f2aaada
	v_ldexp_f32 v30, v27, 1
	v_sub_f32_e32 v27, v27, v28
	v_mul_f32_e32 v29, v31, v29
	v_mul_f32_e32 v31, 0x3f317218, v24
	s_delay_alu instid0(VALU_DEP_2) | instskip(NEXT) | instid1(VALU_DEP_1)
	v_dual_sub_f32 v25, v25, v27 :: v_dual_add_f32 v28, v30, v29
	v_ldexp_f32 v25, v25, 1
	s_delay_alu instid0(VALU_DEP_2) | instskip(NEXT) | instid1(VALU_DEP_4)
	v_sub_f32_e32 v27, v28, v30
	v_fma_f32 v30, 0x3f317218, v24, -v31
	s_delay_alu instid0(VALU_DEP_1) | instskip(NEXT) | instid1(VALU_DEP_1)
	v_dual_sub_f32 v27, v29, v27 :: v_dual_fmac_f32 v30, 0xb102e308, v24
	v_dual_add_f32 v24, v25, v27 :: v_dual_add_f32 v25, v31, v30
	s_delay_alu instid0(VALU_DEP_1) | instskip(NEXT) | instid1(VALU_DEP_2)
	v_add_f32_e32 v27, v28, v24
	v_sub_f32_e32 v31, v25, v31
	s_delay_alu instid0(VALU_DEP_2) | instskip(NEXT) | instid1(VALU_DEP_1)
	v_dual_add_f32 v29, v25, v27 :: v_dual_sub_f32 v28, v27, v28
	v_dual_sub_f32 v30, v30, v31 :: v_dual_sub_f32 v33, v29, v25
	s_delay_alu instid0(VALU_DEP_2) | instskip(NEXT) | instid1(VALU_DEP_2)
	v_sub_f32_e32 v24, v24, v28
	v_sub_f32_e32 v114, v29, v33
	s_delay_alu instid0(VALU_DEP_2) | instskip(NEXT) | instid1(VALU_DEP_2)
	v_dual_sub_f32 v27, v27, v33 :: v_dual_add_f32 v28, v30, v24
	v_sub_f32_e32 v25, v25, v114
	s_delay_alu instid0(VALU_DEP_1) | instskip(NEXT) | instid1(VALU_DEP_3)
	v_add_f32_e32 v25, v27, v25
	v_sub_f32_e32 v27, v28, v30
	s_delay_alu instid0(VALU_DEP_2) | instskip(NEXT) | instid1(VALU_DEP_2)
	v_add_f32_e32 v25, v28, v25
	v_sub_f32_e32 v28, v28, v27
	s_delay_alu instid0(VALU_DEP_2) | instskip(NEXT) | instid1(VALU_DEP_1)
	v_dual_sub_f32 v24, v24, v27 :: v_dual_add_f32 v31, v29, v25
	v_dual_sub_f32 v28, v30, v28 :: v_dual_sub_f32 v27, v31, v29
	s_delay_alu instid0(VALU_DEP_1) | instskip(NEXT) | instid1(VALU_DEP_1)
	v_dual_add_f32 v24, v24, v28 :: v_dual_sub_f32 v25, v25, v27
	v_add_f32_e32 v24, v24, v25
	s_delay_alu instid0(VALU_DEP_1) | instskip(NEXT) | instid1(VALU_DEP_1)
	v_add_f32_e32 v24, v31, v24
	v_cndmask_b32_e32 v114, v24, v26, vcc_lo
.LBB151_90:                             ;   in Loop: Header=BB151_12 Depth=1
	s_or_b32 exec_lo, exec_lo, s29
	s_waitcnt lgkmcnt(3)
	v_add_f32_e32 v115, s69, v22
	s_delay_alu instid0(VALU_DEP_1) | instskip(SKIP_1) | instid1(SALU_CYCLE_1)
	v_cmp_ge_f32_e32 vcc_lo, 0x41a00000, v115
	s_and_b32 s28, s80, vcc_lo
	s_and_saveexec_b32 s29, s28
	s_cbranch_execz .LBB151_92
; %bb.91:                               ;   in Loop: Header=BB151_12 Depth=1
	v_mul_f32_e32 v22, 0x3fb8aa3b, v115
	v_cmp_ngt_f32_e32 vcc_lo, 0xc2ce8ed0, v115
	s_delay_alu instid0(VALU_DEP_2) | instskip(SKIP_1) | instid1(VALU_DEP_1)
	v_rndne_f32_e32 v24, v22
	v_fma_f32 v25, 0x3fb8aa3b, v115, -v22
	v_dual_sub_f32 v22, v22, v24 :: v_dual_fmac_f32 v25, 0x32a5705f, v115
	v_cvt_i32_f32_e32 v24, v24
	s_delay_alu instid0(VALU_DEP_2) | instskip(NEXT) | instid1(VALU_DEP_1)
	v_add_f32_e32 v22, v22, v25
	v_exp_f32_e32 v22, v22
	s_waitcnt_depctr 0xfff
	v_ldexp_f32 v22, v22, v24
	s_delay_alu instid0(VALU_DEP_1) | instskip(SKIP_1) | instid1(VALU_DEP_2)
	v_cndmask_b32_e32 v22, 0, v22, vcc_lo
	v_cmp_nlt_f32_e32 vcc_lo, 0x42b17218, v115
	v_cndmask_b32_e32 v22, 0x7f800000, v22, vcc_lo
	s_delay_alu instid0(VALU_DEP_1) | instskip(NEXT) | instid1(VALU_DEP_1)
	v_add_f32_e32 v26, 1.0, v22
	v_cvt_f64_f32_e32 v[24:25], v26
	s_delay_alu instid0(VALU_DEP_1) | instskip(SKIP_1) | instid1(VALU_DEP_1)
	v_frexp_exp_i32_f64_e32 v24, v[24:25]
	v_frexp_mant_f32_e32 v25, v26
	v_cmp_gt_f32_e32 vcc_lo, 0x3f2aaaab, v25
	v_add_f32_e32 v25, -1.0, v26
	s_delay_alu instid0(VALU_DEP_1) | instskip(SKIP_1) | instid1(VALU_DEP_1)
	v_dual_sub_f32 v28, v25, v26 :: v_dual_sub_f32 v25, v22, v25
	v_subrev_co_ci_u32_e32 v24, vcc_lo, 0, v24, vcc_lo
	v_sub_nc_u32_e32 v27, 0, v24
	v_cvt_f32_i32_e32 v24, v24
	s_delay_alu instid0(VALU_DEP_2) | instskip(NEXT) | instid1(VALU_DEP_1)
	v_ldexp_f32 v26, v26, v27
	v_dual_add_f32 v28, 1.0, v28 :: v_dual_add_f32 v29, 1.0, v26
	s_delay_alu instid0(VALU_DEP_1) | instskip(NEXT) | instid1(VALU_DEP_1)
	v_add_f32_e32 v25, v25, v28
	v_ldexp_f32 v25, v25, v27
	s_delay_alu instid0(VALU_DEP_3) | instskip(NEXT) | instid1(VALU_DEP_1)
	v_dual_add_f32 v27, -1.0, v26 :: v_dual_add_f32 v28, -1.0, v29
	v_add_f32_e32 v30, 1.0, v27
	s_delay_alu instid0(VALU_DEP_2) | instskip(NEXT) | instid1(VALU_DEP_2)
	v_sub_f32_e32 v28, v26, v28
	v_sub_f32_e32 v26, v26, v30
	s_delay_alu instid0(VALU_DEP_2) | instskip(NEXT) | instid1(VALU_DEP_2)
	v_add_f32_e32 v28, v25, v28
	v_add_f32_e32 v25, v25, v26
	s_delay_alu instid0(VALU_DEP_1) | instskip(SKIP_2) | instid1(VALU_DEP_3)
	v_add_f32_e32 v31, v27, v25
	v_cmp_eq_f32_e32 vcc_lo, 0x7f800000, v22
	v_cmp_gt_f32_e64 s28, 0x33800000, v22
	v_dual_sub_f32 v27, v27, v31 :: v_dual_add_f32 v30, v29, v28
	s_delay_alu instid0(VALU_DEP_2) | instskip(NEXT) | instid1(VALU_DEP_1)
	s_or_b32 vcc_lo, s28, vcc_lo
	v_add_f32_e32 v25, v25, v27
	s_delay_alu instid0(VALU_DEP_2) | instskip(SKIP_3) | instid1(VALU_DEP_2)
	v_rcp_f32_e32 v26, v30
	s_waitcnt_depctr 0xfff
	v_mul_f32_e32 v33, v31, v26
	v_sub_f32_e32 v29, v29, v30
	v_mul_f32_e32 v115, v30, v33
	s_delay_alu instid0(VALU_DEP_2) | instskip(NEXT) | instid1(VALU_DEP_2)
	v_add_f32_e32 v28, v28, v29
	v_fma_f32 v29, v33, v30, -v115
	s_delay_alu instid0(VALU_DEP_1) | instskip(NEXT) | instid1(VALU_DEP_1)
	v_fmac_f32_e32 v29, v33, v28
	v_add_f32_e32 v116, v115, v29
	s_delay_alu instid0(VALU_DEP_1) | instskip(NEXT) | instid1(VALU_DEP_1)
	v_sub_f32_e32 v117, v31, v116
	v_sub_f32_e32 v31, v31, v117
	s_delay_alu instid0(VALU_DEP_1) | instskip(NEXT) | instid1(VALU_DEP_1)
	v_sub_f32_e32 v31, v31, v116
	v_add_f32_e32 v25, v25, v31
	v_sub_f32_e32 v27, v116, v115
	s_delay_alu instid0(VALU_DEP_1) | instskip(NEXT) | instid1(VALU_DEP_1)
	v_sub_f32_e32 v27, v27, v29
	v_add_f32_e32 v25, v27, v25
	s_delay_alu instid0(VALU_DEP_1) | instskip(NEXT) | instid1(VALU_DEP_1)
	v_add_f32_e32 v27, v117, v25
	v_mul_f32_e32 v29, v26, v27
	s_delay_alu instid0(VALU_DEP_1) | instskip(NEXT) | instid1(VALU_DEP_1)
	v_mul_f32_e32 v31, v30, v29
	v_fma_f32 v30, v29, v30, -v31
	s_delay_alu instid0(VALU_DEP_1) | instskip(NEXT) | instid1(VALU_DEP_1)
	v_fmac_f32_e32 v30, v29, v28
	v_add_f32_e32 v28, v31, v30
	s_delay_alu instid0(VALU_DEP_1) | instskip(NEXT) | instid1(VALU_DEP_1)
	v_dual_sub_f32 v116, v117, v27 :: v_dual_sub_f32 v115, v27, v28
	v_add_f32_e32 v25, v25, v116
	v_sub_f32_e32 v31, v28, v31
	s_delay_alu instid0(VALU_DEP_3) | instskip(NEXT) | instid1(VALU_DEP_1)
	v_sub_f32_e32 v27, v27, v115
	v_sub_f32_e32 v27, v27, v28
	s_delay_alu instid0(VALU_DEP_1) | instskip(SKIP_1) | instid1(VALU_DEP_2)
	v_dual_sub_f32 v28, v31, v30 :: v_dual_add_f32 v25, v25, v27
	v_add_f32_e32 v27, v33, v29
	v_add_f32_e32 v25, v28, v25
	s_delay_alu instid0(VALU_DEP_2) | instskip(NEXT) | instid1(VALU_DEP_1)
	v_sub_f32_e32 v28, v27, v33
	v_dual_add_f32 v25, v115, v25 :: v_dual_sub_f32 v28, v29, v28
	s_delay_alu instid0(VALU_DEP_1) | instskip(NEXT) | instid1(VALU_DEP_1)
	v_mul_f32_e32 v25, v26, v25
	v_add_f32_e32 v25, v28, v25
	s_delay_alu instid0(VALU_DEP_1) | instskip(NEXT) | instid1(VALU_DEP_1)
	v_add_f32_e32 v26, v27, v25
	v_mul_f32_e32 v28, v26, v26
	s_delay_alu instid0(VALU_DEP_1) | instskip(SKIP_1) | instid1(VALU_DEP_2)
	v_fmaak_f32 v29, s84, v28, 0x3ecc95a3
	v_mul_f32_e32 v30, v26, v28
	v_fmaak_f32 v28, v28, v29, 0x3f2aaada
	v_ldexp_f32 v29, v26, 1
	v_sub_f32_e32 v26, v26, v27
	s_delay_alu instid0(VALU_DEP_3) | instskip(SKIP_1) | instid1(VALU_DEP_2)
	v_mul_f32_e32 v28, v30, v28
	v_mul_f32_e32 v30, 0x3f317218, v24
	v_add_f32_e32 v27, v29, v28
	s_delay_alu instid0(VALU_DEP_1) | instskip(NEXT) | instid1(VALU_DEP_3)
	v_dual_sub_f32 v25, v25, v26 :: v_dual_sub_f32 v26, v27, v29
	v_fma_f32 v29, 0x3f317218, v24, -v30
	s_delay_alu instid0(VALU_DEP_2) | instskip(NEXT) | instid1(VALU_DEP_2)
	v_ldexp_f32 v25, v25, 1
	v_dual_sub_f32 v26, v28, v26 :: v_dual_fmac_f32 v29, 0xb102e308, v24
	s_delay_alu instid0(VALU_DEP_1) | instskip(NEXT) | instid1(VALU_DEP_1)
	v_dual_add_f32 v24, v25, v26 :: v_dual_add_f32 v25, v30, v29
	v_add_f32_e32 v26, v27, v24
	s_delay_alu instid0(VALU_DEP_2) | instskip(NEXT) | instid1(VALU_DEP_2)
	v_sub_f32_e32 v30, v25, v30
	v_dual_add_f32 v28, v25, v26 :: v_dual_sub_f32 v27, v26, v27
	s_delay_alu instid0(VALU_DEP_2) | instskip(NEXT) | instid1(VALU_DEP_2)
	v_sub_f32_e32 v29, v29, v30
	v_sub_f32_e32 v31, v28, v25
	s_delay_alu instid0(VALU_DEP_3) | instskip(NEXT) | instid1(VALU_DEP_1)
	v_sub_f32_e32 v24, v24, v27
	v_dual_sub_f32 v26, v26, v31 :: v_dual_add_f32 v27, v29, v24
	v_sub_f32_e32 v33, v28, v31
	s_delay_alu instid0(VALU_DEP_1) | instskip(NEXT) | instid1(VALU_DEP_1)
	v_sub_f32_e32 v25, v25, v33
	v_add_f32_e32 v25, v26, v25
	s_delay_alu instid0(VALU_DEP_4) | instskip(NEXT) | instid1(VALU_DEP_2)
	v_sub_f32_e32 v26, v27, v29
	v_add_f32_e32 v25, v27, v25
	s_delay_alu instid0(VALU_DEP_2) | instskip(SKIP_1) | instid1(VALU_DEP_2)
	v_sub_f32_e32 v27, v27, v26
	v_sub_f32_e32 v24, v24, v26
	v_dual_add_f32 v30, v28, v25 :: v_dual_sub_f32 v27, v29, v27
	s_delay_alu instid0(VALU_DEP_1) | instskip(NEXT) | instid1(VALU_DEP_1)
	v_sub_f32_e32 v26, v30, v28
	v_dual_add_f32 v24, v24, v27 :: v_dual_sub_f32 v25, v25, v26
	s_delay_alu instid0(VALU_DEP_1) | instskip(NEXT) | instid1(VALU_DEP_1)
	v_add_f32_e32 v24, v24, v25
	v_add_f32_e32 v24, v30, v24
	s_delay_alu instid0(VALU_DEP_1)
	v_cndmask_b32_e32 v115, v24, v22, vcc_lo
.LBB151_92:                             ;   in Loop: Header=BB151_12 Depth=1
	s_or_b32 exec_lo, exec_lo, s29
	v_add_f32_e32 v116, s69, v23
	s_delay_alu instid0(VALU_DEP_1) | instskip(SKIP_1) | instid1(SALU_CYCLE_1)
	v_cmp_ge_f32_e32 vcc_lo, 0x41a00000, v116
	s_and_b32 s28, s80, vcc_lo
	s_and_saveexec_b32 s29, s28
	s_cbranch_execz .LBB151_94
; %bb.93:                               ;   in Loop: Header=BB151_12 Depth=1
	v_mul_f32_e32 v22, 0x3fb8aa3b, v116
	v_cmp_ngt_f32_e32 vcc_lo, 0xc2ce8ed0, v116
	s_delay_alu instid0(VALU_DEP_2) | instskip(SKIP_1) | instid1(VALU_DEP_2)
	v_rndne_f32_e32 v23, v22
	v_fma_f32 v24, 0x3fb8aa3b, v116, -v22
	v_sub_f32_e32 v22, v22, v23
	s_delay_alu instid0(VALU_DEP_2) | instskip(SKIP_1) | instid1(VALU_DEP_2)
	v_fmac_f32_e32 v24, 0x32a5705f, v116
	v_cvt_i32_f32_e32 v23, v23
	v_add_f32_e32 v22, v22, v24
	s_delay_alu instid0(VALU_DEP_1) | instskip(SKIP_2) | instid1(VALU_DEP_1)
	v_exp_f32_e32 v22, v22
	s_waitcnt_depctr 0xfff
	v_ldexp_f32 v22, v22, v23
	v_cndmask_b32_e32 v22, 0, v22, vcc_lo
	v_cmp_nlt_f32_e32 vcc_lo, 0x42b17218, v116
	s_delay_alu instid0(VALU_DEP_2) | instskip(NEXT) | instid1(VALU_DEP_1)
	v_cndmask_b32_e32 v24, 0x7f800000, v22, vcc_lo
	v_add_f32_e32 v25, 1.0, v24
	s_delay_alu instid0(VALU_DEP_1) | instskip(NEXT) | instid1(VALU_DEP_1)
	v_cvt_f64_f32_e32 v[22:23], v25
	v_frexp_exp_i32_f64_e32 v22, v[22:23]
	v_frexp_mant_f32_e32 v23, v25
	s_delay_alu instid0(VALU_DEP_1) | instskip(SKIP_1) | instid1(VALU_DEP_1)
	v_cmp_gt_f32_e32 vcc_lo, 0x3f2aaaab, v23
	v_add_f32_e32 v23, -1.0, v25
	v_sub_f32_e32 v27, v23, v25
	v_sub_f32_e32 v23, v24, v23
	s_delay_alu instid0(VALU_DEP_2) | instskip(NEXT) | instid1(VALU_DEP_1)
	v_add_f32_e32 v27, 1.0, v27
	v_add_f32_e32 v23, v23, v27
	v_cmp_gt_f32_e64 s28, 0x33800000, v24
	v_subrev_co_ci_u32_e32 v22, vcc_lo, 0, v22, vcc_lo
	v_cmp_eq_f32_e32 vcc_lo, 0x7f800000, v24
	s_delay_alu instid0(VALU_DEP_2) | instskip(SKIP_2) | instid1(VALU_DEP_2)
	v_sub_nc_u32_e32 v26, 0, v22
	v_cvt_f32_i32_e32 v22, v22
	s_or_b32 vcc_lo, s28, vcc_lo
	v_ldexp_f32 v25, v25, v26
	v_ldexp_f32 v23, v23, v26
	s_delay_alu instid0(VALU_DEP_2) | instskip(NEXT) | instid1(VALU_DEP_1)
	v_add_f32_e32 v28, 1.0, v25
	v_dual_add_f32 v26, -1.0, v25 :: v_dual_add_f32 v27, -1.0, v28
	s_delay_alu instid0(VALU_DEP_1) | instskip(NEXT) | instid1(VALU_DEP_2)
	v_add_f32_e32 v29, 1.0, v26
	v_sub_f32_e32 v27, v25, v27
	s_delay_alu instid0(VALU_DEP_2) | instskip(NEXT) | instid1(VALU_DEP_2)
	v_sub_f32_e32 v25, v25, v29
	v_add_f32_e32 v27, v23, v27
	s_delay_alu instid0(VALU_DEP_2) | instskip(NEXT) | instid1(VALU_DEP_2)
	v_add_f32_e32 v23, v23, v25
	v_add_f32_e32 v29, v28, v27
	s_delay_alu instid0(VALU_DEP_2) | instskip(NEXT) | instid1(VALU_DEP_2)
	v_add_f32_e32 v30, v26, v23
	v_rcp_f32_e32 v25, v29
	v_sub_f32_e32 v28, v28, v29
	s_delay_alu instid0(VALU_DEP_2) | instskip(SKIP_2) | instid1(VALU_DEP_1)
	v_sub_f32_e32 v26, v26, v30
	s_waitcnt_depctr 0xfff
	v_mul_f32_e32 v31, v30, v25
	v_mul_f32_e32 v33, v29, v31
	v_add_f32_e32 v27, v27, v28
	s_delay_alu instid0(VALU_DEP_2) | instskip(NEXT) | instid1(VALU_DEP_1)
	v_fma_f32 v28, v31, v29, -v33
	v_fmac_f32_e32 v28, v31, v27
	s_delay_alu instid0(VALU_DEP_1) | instskip(NEXT) | instid1(VALU_DEP_1)
	v_add_f32_e32 v116, v33, v28
	v_sub_f32_e32 v117, v30, v116
	s_delay_alu instid0(VALU_DEP_1) | instskip(SKIP_1) | instid1(VALU_DEP_2)
	v_dual_sub_f32 v30, v30, v117 :: v_dual_add_f32 v23, v23, v26
	v_sub_f32_e32 v26, v116, v33
	v_sub_f32_e32 v30, v30, v116
	s_delay_alu instid0(VALU_DEP_1) | instskip(NEXT) | instid1(VALU_DEP_1)
	v_dual_sub_f32 v26, v26, v28 :: v_dual_add_f32 v23, v23, v30
	v_add_f32_e32 v23, v26, v23
	s_delay_alu instid0(VALU_DEP_1) | instskip(NEXT) | instid1(VALU_DEP_1)
	v_add_f32_e32 v26, v117, v23
	v_mul_f32_e32 v28, v25, v26
	v_sub_f32_e32 v116, v117, v26
	s_delay_alu instid0(VALU_DEP_2) | instskip(NEXT) | instid1(VALU_DEP_2)
	v_mul_f32_e32 v30, v29, v28
	v_add_f32_e32 v23, v23, v116
	s_delay_alu instid0(VALU_DEP_2) | instskip(NEXT) | instid1(VALU_DEP_1)
	v_fma_f32 v29, v28, v29, -v30
	v_fmac_f32_e32 v29, v28, v27
	s_delay_alu instid0(VALU_DEP_1) | instskip(NEXT) | instid1(VALU_DEP_1)
	v_add_f32_e32 v27, v30, v29
	v_sub_f32_e32 v33, v26, v27
	s_delay_alu instid0(VALU_DEP_1) | instskip(NEXT) | instid1(VALU_DEP_1)
	v_sub_f32_e32 v26, v26, v33
	v_sub_f32_e32 v26, v26, v27
	s_delay_alu instid0(VALU_DEP_1) | instskip(SKIP_2) | instid1(VALU_DEP_1)
	v_add_f32_e32 v23, v23, v26
	v_add_f32_e32 v26, v31, v28
	v_sub_f32_e32 v30, v27, v30
	v_sub_f32_e32 v27, v30, v29
	s_delay_alu instid0(VALU_DEP_1) | instskip(NEXT) | instid1(VALU_DEP_4)
	v_add_f32_e32 v23, v27, v23
	v_sub_f32_e32 v27, v26, v31
	s_delay_alu instid0(VALU_DEP_2) | instskip(NEXT) | instid1(VALU_DEP_2)
	v_add_f32_e32 v23, v33, v23
	v_sub_f32_e32 v27, v28, v27
	s_delay_alu instid0(VALU_DEP_2) | instskip(NEXT) | instid1(VALU_DEP_1)
	v_mul_f32_e32 v23, v25, v23
	v_add_f32_e32 v23, v27, v23
	s_delay_alu instid0(VALU_DEP_1) | instskip(NEXT) | instid1(VALU_DEP_1)
	v_add_f32_e32 v25, v26, v23
	v_mul_f32_e32 v27, v25, v25
	s_delay_alu instid0(VALU_DEP_1) | instskip(SKIP_1) | instid1(VALU_DEP_2)
	v_fmaak_f32 v28, s84, v27, 0x3ecc95a3
	v_mul_f32_e32 v29, v25, v27
	v_fmaak_f32 v27, v27, v28, 0x3f2aaada
	v_ldexp_f32 v28, v25, 1
	s_delay_alu instid0(VALU_DEP_2) | instskip(SKIP_1) | instid1(VALU_DEP_2)
	v_mul_f32_e32 v27, v29, v27
	v_sub_f32_e32 v25, v25, v26
	v_dual_mul_f32 v29, 0x3f317218, v22 :: v_dual_add_f32 v26, v28, v27
	s_delay_alu instid0(VALU_DEP_2) | instskip(NEXT) | instid1(VALU_DEP_2)
	v_sub_f32_e32 v23, v23, v25
	v_sub_f32_e32 v25, v26, v28
	s_delay_alu instid0(VALU_DEP_3) | instskip(NEXT) | instid1(VALU_DEP_3)
	v_fma_f32 v28, 0x3f317218, v22, -v29
	v_ldexp_f32 v23, v23, 1
	s_delay_alu instid0(VALU_DEP_2) | instskip(NEXT) | instid1(VALU_DEP_1)
	v_dual_sub_f32 v25, v27, v25 :: v_dual_fmac_f32 v28, 0xb102e308, v22
	v_dual_add_f32 v22, v23, v25 :: v_dual_add_f32 v23, v29, v28
	s_delay_alu instid0(VALU_DEP_1) | instskip(NEXT) | instid1(VALU_DEP_1)
	v_add_f32_e32 v25, v26, v22
	v_dual_add_f32 v27, v23, v25 :: v_dual_sub_f32 v26, v25, v26
	s_delay_alu instid0(VALU_DEP_1) | instskip(NEXT) | instid1(VALU_DEP_2)
	v_sub_f32_e32 v30, v27, v23
	v_dual_sub_f32 v29, v23, v29 :: v_dual_sub_f32 v22, v22, v26
	s_delay_alu instid0(VALU_DEP_1) | instskip(SKIP_1) | instid1(VALU_DEP_2)
	v_dual_sub_f32 v31, v27, v30 :: v_dual_sub_f32 v28, v28, v29
	v_sub_f32_e32 v25, v25, v30
	v_dual_sub_f32 v23, v23, v31 :: v_dual_add_f32 v26, v28, v22
	s_delay_alu instid0(VALU_DEP_1) | instskip(NEXT) | instid1(VALU_DEP_2)
	v_add_f32_e32 v23, v25, v23
	v_sub_f32_e32 v25, v26, v28
	s_delay_alu instid0(VALU_DEP_2) | instskip(NEXT) | instid1(VALU_DEP_2)
	v_add_f32_e32 v23, v26, v23
	v_sub_f32_e32 v26, v26, v25
	s_delay_alu instid0(VALU_DEP_2) | instskip(NEXT) | instid1(VALU_DEP_1)
	v_dual_sub_f32 v22, v22, v25 :: v_dual_add_f32 v29, v27, v23
	v_dual_sub_f32 v26, v28, v26 :: v_dual_sub_f32 v25, v29, v27
	s_delay_alu instid0(VALU_DEP_1) | instskip(NEXT) | instid1(VALU_DEP_1)
	v_dual_add_f32 v22, v22, v26 :: v_dual_sub_f32 v23, v23, v25
	v_add_f32_e32 v22, v22, v23
	s_delay_alu instid0(VALU_DEP_1) | instskip(NEXT) | instid1(VALU_DEP_1)
	v_add_f32_e32 v22, v29, v22
	v_cndmask_b32_e32 v116, v22, v24, vcc_lo
.LBB151_94:                             ;   in Loop: Header=BB151_12 Depth=1
	s_or_b32 exec_lo, exec_lo, s29
	s_waitcnt lgkmcnt(2)
	v_add_f32_e32 v117, s69, v20
	s_delay_alu instid0(VALU_DEP_1) | instskip(SKIP_1) | instid1(SALU_CYCLE_1)
	v_cmp_ge_f32_e32 vcc_lo, 0x41a00000, v117
	s_and_b32 s28, s80, vcc_lo
	s_and_saveexec_b32 s29, s28
	s_cbranch_execz .LBB151_96
; %bb.95:                               ;   in Loop: Header=BB151_12 Depth=1
	v_mul_f32_e32 v20, 0x3fb8aa3b, v117
	v_cmp_ngt_f32_e32 vcc_lo, 0xc2ce8ed0, v117
	s_delay_alu instid0(VALU_DEP_2) | instskip(SKIP_1) | instid1(VALU_DEP_1)
	v_rndne_f32_e32 v22, v20
	v_fma_f32 v23, 0x3fb8aa3b, v117, -v20
	v_dual_sub_f32 v20, v20, v22 :: v_dual_fmac_f32 v23, 0x32a5705f, v117
	v_cvt_i32_f32_e32 v22, v22
	s_delay_alu instid0(VALU_DEP_2) | instskip(NEXT) | instid1(VALU_DEP_1)
	v_add_f32_e32 v20, v20, v23
	v_exp_f32_e32 v20, v20
	s_waitcnt_depctr 0xfff
	v_ldexp_f32 v20, v20, v22
	s_delay_alu instid0(VALU_DEP_1) | instskip(SKIP_1) | instid1(VALU_DEP_2)
	v_cndmask_b32_e32 v20, 0, v20, vcc_lo
	v_cmp_nlt_f32_e32 vcc_lo, 0x42b17218, v117
	v_cndmask_b32_e32 v20, 0x7f800000, v20, vcc_lo
	s_delay_alu instid0(VALU_DEP_1) | instskip(NEXT) | instid1(VALU_DEP_1)
	v_add_f32_e32 v24, 1.0, v20
	v_cvt_f64_f32_e32 v[22:23], v24
	s_delay_alu instid0(VALU_DEP_1) | instskip(SKIP_1) | instid1(VALU_DEP_1)
	v_frexp_exp_i32_f64_e32 v22, v[22:23]
	v_frexp_mant_f32_e32 v23, v24
	v_cmp_gt_f32_e32 vcc_lo, 0x3f2aaaab, v23
	v_add_f32_e32 v23, -1.0, v24
	s_delay_alu instid0(VALU_DEP_1) | instskip(SKIP_1) | instid1(VALU_DEP_1)
	v_dual_sub_f32 v26, v23, v24 :: v_dual_sub_f32 v23, v20, v23
	v_subrev_co_ci_u32_e32 v22, vcc_lo, 0, v22, vcc_lo
	v_sub_nc_u32_e32 v25, 0, v22
	v_cvt_f32_i32_e32 v22, v22
	s_delay_alu instid0(VALU_DEP_2) | instskip(NEXT) | instid1(VALU_DEP_1)
	v_ldexp_f32 v24, v24, v25
	v_dual_add_f32 v26, 1.0, v26 :: v_dual_add_f32 v27, 1.0, v24
	s_delay_alu instid0(VALU_DEP_1) | instskip(NEXT) | instid1(VALU_DEP_1)
	v_add_f32_e32 v23, v23, v26
	v_ldexp_f32 v23, v23, v25
	s_delay_alu instid0(VALU_DEP_3) | instskip(NEXT) | instid1(VALU_DEP_1)
	v_dual_add_f32 v25, -1.0, v24 :: v_dual_add_f32 v26, -1.0, v27
	v_add_f32_e32 v28, 1.0, v25
	s_delay_alu instid0(VALU_DEP_2) | instskip(NEXT) | instid1(VALU_DEP_2)
	v_sub_f32_e32 v26, v24, v26
	v_sub_f32_e32 v24, v24, v28
	s_delay_alu instid0(VALU_DEP_2) | instskip(NEXT) | instid1(VALU_DEP_2)
	v_add_f32_e32 v26, v23, v26
	v_add_f32_e32 v23, v23, v24
	s_delay_alu instid0(VALU_DEP_1) | instskip(SKIP_2) | instid1(VALU_DEP_3)
	v_dual_add_f32 v29, v25, v23 :: v_dual_add_f32 v28, v27, v26
	v_cmp_eq_f32_e32 vcc_lo, 0x7f800000, v20
	v_cmp_gt_f32_e64 s28, 0x33800000, v20
	v_sub_f32_e32 v25, v25, v29
	s_delay_alu instid0(VALU_DEP_4) | instskip(SKIP_1) | instid1(VALU_DEP_3)
	v_rcp_f32_e32 v24, v28
	v_sub_f32_e32 v27, v27, v28
	s_or_b32 vcc_lo, s28, vcc_lo
	s_delay_alu instid0(VALU_DEP_1) | instskip(SKIP_2) | instid1(VALU_DEP_1)
	v_dual_add_f32 v23, v23, v25 :: v_dual_add_f32 v26, v26, v27
	s_waitcnt_depctr 0xfff
	v_mul_f32_e32 v30, v29, v24
	v_mul_f32_e32 v31, v28, v30
	s_delay_alu instid0(VALU_DEP_1) | instskip(NEXT) | instid1(VALU_DEP_1)
	v_fma_f32 v27, v30, v28, -v31
	v_fmac_f32_e32 v27, v30, v26
	s_delay_alu instid0(VALU_DEP_1) | instskip(NEXT) | instid1(VALU_DEP_1)
	v_add_f32_e32 v33, v31, v27
	v_sub_f32_e32 v117, v29, v33
	s_delay_alu instid0(VALU_DEP_1) | instskip(SKIP_1) | instid1(VALU_DEP_2)
	v_sub_f32_e32 v29, v29, v117
	v_sub_f32_e32 v25, v33, v31
	;; [unrolled: 1-line block ×3, first 2 shown]
	s_delay_alu instid0(VALU_DEP_2) | instskip(NEXT) | instid1(VALU_DEP_2)
	v_sub_f32_e32 v25, v25, v27
	v_add_f32_e32 v23, v23, v29
	s_delay_alu instid0(VALU_DEP_1) | instskip(NEXT) | instid1(VALU_DEP_1)
	v_add_f32_e32 v23, v25, v23
	v_add_f32_e32 v25, v117, v23
	s_delay_alu instid0(VALU_DEP_1) | instskip(SKIP_1) | instid1(VALU_DEP_2)
	v_mul_f32_e32 v27, v24, v25
	v_sub_f32_e32 v33, v117, v25
	v_mul_f32_e32 v29, v28, v27
	s_delay_alu instid0(VALU_DEP_2) | instskip(NEXT) | instid1(VALU_DEP_2)
	v_add_f32_e32 v23, v23, v33
	v_fma_f32 v28, v27, v28, -v29
	s_delay_alu instid0(VALU_DEP_1) | instskip(NEXT) | instid1(VALU_DEP_1)
	v_fmac_f32_e32 v28, v27, v26
	v_add_f32_e32 v26, v29, v28
	s_delay_alu instid0(VALU_DEP_1) | instskip(SKIP_1) | instid1(VALU_DEP_2)
	v_sub_f32_e32 v31, v25, v26
	v_sub_f32_e32 v29, v26, v29
	;; [unrolled: 1-line block ×3, first 2 shown]
	s_delay_alu instid0(VALU_DEP_1) | instskip(NEXT) | instid1(VALU_DEP_1)
	v_sub_f32_e32 v25, v25, v26
	v_dual_sub_f32 v26, v29, v28 :: v_dual_add_f32 v23, v23, v25
	v_add_f32_e32 v25, v30, v27
	s_delay_alu instid0(VALU_DEP_1) | instskip(NEXT) | instid1(VALU_DEP_1)
	v_dual_add_f32 v23, v26, v23 :: v_dual_sub_f32 v26, v25, v30
	v_add_f32_e32 v23, v31, v23
	s_delay_alu instid0(VALU_DEP_1) | instskip(NEXT) | instid1(VALU_DEP_1)
	v_dual_sub_f32 v26, v27, v26 :: v_dual_mul_f32 v23, v24, v23
	v_add_f32_e32 v23, v26, v23
	s_delay_alu instid0(VALU_DEP_1) | instskip(NEXT) | instid1(VALU_DEP_1)
	v_add_f32_e32 v24, v25, v23
	v_mul_f32_e32 v26, v24, v24
	s_delay_alu instid0(VALU_DEP_1) | instskip(SKIP_1) | instid1(VALU_DEP_2)
	v_fmaak_f32 v27, s84, v26, 0x3ecc95a3
	v_mul_f32_e32 v28, v24, v26
	v_fmaak_f32 v26, v26, v27, 0x3f2aaada
	v_ldexp_f32 v27, v24, 1
	v_sub_f32_e32 v24, v24, v25
	s_delay_alu instid0(VALU_DEP_3) | instskip(NEXT) | instid1(VALU_DEP_2)
	v_mul_f32_e32 v26, v28, v26
	v_dual_mul_f32 v28, 0x3f317218, v22 :: v_dual_sub_f32 v23, v23, v24
	s_delay_alu instid0(VALU_DEP_2) | instskip(NEXT) | instid1(VALU_DEP_2)
	v_add_f32_e32 v25, v27, v26
	v_ldexp_f32 v23, v23, 1
	s_delay_alu instid0(VALU_DEP_2) | instskip(NEXT) | instid1(VALU_DEP_4)
	v_sub_f32_e32 v24, v25, v27
	v_fma_f32 v27, 0x3f317218, v22, -v28
	s_delay_alu instid0(VALU_DEP_1) | instskip(NEXT) | instid1(VALU_DEP_1)
	v_dual_sub_f32 v24, v26, v24 :: v_dual_fmac_f32 v27, 0xb102e308, v22
	v_dual_add_f32 v22, v23, v24 :: v_dual_add_f32 v23, v28, v27
	s_delay_alu instid0(VALU_DEP_1) | instskip(NEXT) | instid1(VALU_DEP_2)
	v_add_f32_e32 v24, v25, v22
	v_sub_f32_e32 v28, v23, v28
	s_delay_alu instid0(VALU_DEP_2) | instskip(NEXT) | instid1(VALU_DEP_2)
	v_dual_add_f32 v26, v23, v24 :: v_dual_sub_f32 v25, v24, v25
	v_sub_f32_e32 v27, v27, v28
	s_delay_alu instid0(VALU_DEP_2) | instskip(NEXT) | instid1(VALU_DEP_3)
	v_sub_f32_e32 v29, v26, v23
	v_sub_f32_e32 v22, v22, v25
	s_delay_alu instid0(VALU_DEP_2) | instskip(NEXT) | instid1(VALU_DEP_2)
	v_sub_f32_e32 v30, v26, v29
	v_dual_sub_f32 v24, v24, v29 :: v_dual_add_f32 v25, v27, v22
	s_delay_alu instid0(VALU_DEP_2) | instskip(NEXT) | instid1(VALU_DEP_1)
	v_sub_f32_e32 v23, v23, v30
	v_add_f32_e32 v23, v24, v23
	s_delay_alu instid0(VALU_DEP_3) | instskip(NEXT) | instid1(VALU_DEP_2)
	v_sub_f32_e32 v24, v25, v27
	v_add_f32_e32 v23, v25, v23
	s_delay_alu instid0(VALU_DEP_2) | instskip(SKIP_1) | instid1(VALU_DEP_2)
	v_sub_f32_e32 v25, v25, v24
	v_sub_f32_e32 v22, v22, v24
	v_dual_add_f32 v28, v26, v23 :: v_dual_sub_f32 v25, v27, v25
	s_delay_alu instid0(VALU_DEP_1) | instskip(NEXT) | instid1(VALU_DEP_1)
	v_sub_f32_e32 v24, v28, v26
	v_dual_add_f32 v22, v22, v25 :: v_dual_sub_f32 v23, v23, v24
	s_delay_alu instid0(VALU_DEP_1) | instskip(NEXT) | instid1(VALU_DEP_1)
	v_add_f32_e32 v22, v22, v23
	v_add_f32_e32 v22, v28, v22
	s_delay_alu instid0(VALU_DEP_1)
	v_cndmask_b32_e32 v117, v22, v20, vcc_lo
.LBB151_96:                             ;   in Loop: Header=BB151_12 Depth=1
	s_or_b32 exec_lo, exec_lo, s29
	v_add_f32_e32 v118, s69, v21
	s_delay_alu instid0(VALU_DEP_1) | instskip(SKIP_1) | instid1(SALU_CYCLE_1)
	v_cmp_ge_f32_e32 vcc_lo, 0x41a00000, v118
	s_and_b32 s28, s80, vcc_lo
	s_and_saveexec_b32 s29, s28
	s_cbranch_execz .LBB151_98
; %bb.97:                               ;   in Loop: Header=BB151_12 Depth=1
	v_mul_f32_e32 v20, 0x3fb8aa3b, v118
	v_cmp_ngt_f32_e32 vcc_lo, 0xc2ce8ed0, v118
	s_delay_alu instid0(VALU_DEP_2) | instskip(SKIP_1) | instid1(VALU_DEP_2)
	v_rndne_f32_e32 v21, v20
	v_fma_f32 v22, 0x3fb8aa3b, v118, -v20
	v_sub_f32_e32 v20, v20, v21
	s_delay_alu instid0(VALU_DEP_2) | instskip(SKIP_1) | instid1(VALU_DEP_2)
	v_fmac_f32_e32 v22, 0x32a5705f, v118
	v_cvt_i32_f32_e32 v21, v21
	v_add_f32_e32 v20, v20, v22
	s_delay_alu instid0(VALU_DEP_1) | instskip(SKIP_2) | instid1(VALU_DEP_1)
	v_exp_f32_e32 v20, v20
	s_waitcnt_depctr 0xfff
	v_ldexp_f32 v20, v20, v21
	v_cndmask_b32_e32 v20, 0, v20, vcc_lo
	v_cmp_nlt_f32_e32 vcc_lo, 0x42b17218, v118
	s_delay_alu instid0(VALU_DEP_2) | instskip(NEXT) | instid1(VALU_DEP_1)
	v_cndmask_b32_e32 v22, 0x7f800000, v20, vcc_lo
	v_add_f32_e32 v23, 1.0, v22
	s_delay_alu instid0(VALU_DEP_1) | instskip(NEXT) | instid1(VALU_DEP_1)
	v_cvt_f64_f32_e32 v[20:21], v23
	v_frexp_exp_i32_f64_e32 v20, v[20:21]
	v_frexp_mant_f32_e32 v21, v23
	s_delay_alu instid0(VALU_DEP_1) | instskip(SKIP_1) | instid1(VALU_DEP_1)
	v_cmp_gt_f32_e32 vcc_lo, 0x3f2aaaab, v21
	v_add_f32_e32 v21, -1.0, v23
	v_sub_f32_e32 v25, v21, v23
	v_sub_f32_e32 v21, v22, v21
	s_delay_alu instid0(VALU_DEP_2) | instskip(NEXT) | instid1(VALU_DEP_1)
	v_add_f32_e32 v25, 1.0, v25
	v_add_f32_e32 v21, v21, v25
	v_cmp_gt_f32_e64 s28, 0x33800000, v22
	v_subrev_co_ci_u32_e32 v20, vcc_lo, 0, v20, vcc_lo
	v_cmp_eq_f32_e32 vcc_lo, 0x7f800000, v22
	s_delay_alu instid0(VALU_DEP_2) | instskip(SKIP_2) | instid1(VALU_DEP_2)
	v_sub_nc_u32_e32 v24, 0, v20
	v_cvt_f32_i32_e32 v20, v20
	s_or_b32 vcc_lo, s28, vcc_lo
	v_ldexp_f32 v23, v23, v24
	v_ldexp_f32 v21, v21, v24
	s_delay_alu instid0(VALU_DEP_2) | instskip(NEXT) | instid1(VALU_DEP_1)
	v_add_f32_e32 v26, 1.0, v23
	v_dual_add_f32 v24, -1.0, v23 :: v_dual_add_f32 v25, -1.0, v26
	s_delay_alu instid0(VALU_DEP_1) | instskip(NEXT) | instid1(VALU_DEP_2)
	v_add_f32_e32 v27, 1.0, v24
	v_sub_f32_e32 v25, v23, v25
	s_delay_alu instid0(VALU_DEP_2) | instskip(NEXT) | instid1(VALU_DEP_2)
	v_sub_f32_e32 v23, v23, v27
	v_add_f32_e32 v25, v21, v25
	s_delay_alu instid0(VALU_DEP_2) | instskip(NEXT) | instid1(VALU_DEP_1)
	v_add_f32_e32 v21, v21, v23
	v_add_f32_e32 v28, v24, v21
	s_delay_alu instid0(VALU_DEP_1) | instskip(NEXT) | instid1(VALU_DEP_1)
	v_dual_add_f32 v27, v26, v25 :: v_dual_sub_f32 v24, v24, v28
	v_rcp_f32_e32 v23, v27
	v_sub_f32_e32 v26, v26, v27
	s_delay_alu instid0(VALU_DEP_1) | instskip(SKIP_2) | instid1(VALU_DEP_1)
	v_add_f32_e32 v25, v25, v26
	s_waitcnt_depctr 0xfff
	v_mul_f32_e32 v29, v28, v23
	v_mul_f32_e32 v30, v27, v29
	s_delay_alu instid0(VALU_DEP_1) | instskip(NEXT) | instid1(VALU_DEP_1)
	v_fma_f32 v26, v29, v27, -v30
	v_fmac_f32_e32 v26, v29, v25
	s_delay_alu instid0(VALU_DEP_1) | instskip(NEXT) | instid1(VALU_DEP_1)
	v_add_f32_e32 v31, v30, v26
	v_sub_f32_e32 v33, v28, v31
	s_delay_alu instid0(VALU_DEP_1) | instskip(SKIP_1) | instid1(VALU_DEP_2)
	v_dual_sub_f32 v28, v28, v33 :: v_dual_add_f32 v21, v21, v24
	v_sub_f32_e32 v24, v31, v30
	v_sub_f32_e32 v28, v28, v31
	s_delay_alu instid0(VALU_DEP_1) | instskip(NEXT) | instid1(VALU_DEP_1)
	v_dual_sub_f32 v24, v24, v26 :: v_dual_add_f32 v21, v21, v28
	v_add_f32_e32 v21, v24, v21
	s_delay_alu instid0(VALU_DEP_1) | instskip(NEXT) | instid1(VALU_DEP_1)
	v_add_f32_e32 v24, v33, v21
	v_mul_f32_e32 v26, v23, v24
	s_delay_alu instid0(VALU_DEP_1) | instskip(NEXT) | instid1(VALU_DEP_1)
	v_dual_sub_f32 v31, v33, v24 :: v_dual_mul_f32 v28, v27, v26
	v_fma_f32 v27, v26, v27, -v28
	s_delay_alu instid0(VALU_DEP_1) | instskip(NEXT) | instid1(VALU_DEP_1)
	v_fmac_f32_e32 v27, v26, v25
	v_add_f32_e32 v25, v28, v27
	s_delay_alu instid0(VALU_DEP_1) | instskip(NEXT) | instid1(VALU_DEP_1)
	v_sub_f32_e32 v30, v24, v25
	v_dual_sub_f32 v24, v24, v30 :: v_dual_add_f32 v21, v21, v31
	s_delay_alu instid0(VALU_DEP_1) | instskip(NEXT) | instid1(VALU_DEP_1)
	v_sub_f32_e32 v24, v24, v25
	v_add_f32_e32 v21, v21, v24
	v_add_f32_e32 v24, v29, v26
	v_sub_f32_e32 v28, v25, v28
	s_delay_alu instid0(VALU_DEP_1) | instskip(NEXT) | instid1(VALU_DEP_1)
	v_sub_f32_e32 v25, v28, v27
	v_add_f32_e32 v21, v25, v21
	s_delay_alu instid0(VALU_DEP_4) | instskip(NEXT) | instid1(VALU_DEP_2)
	v_sub_f32_e32 v25, v24, v29
	v_add_f32_e32 v21, v30, v21
	s_delay_alu instid0(VALU_DEP_2) | instskip(NEXT) | instid1(VALU_DEP_2)
	v_sub_f32_e32 v25, v26, v25
	v_mul_f32_e32 v21, v23, v21
	s_delay_alu instid0(VALU_DEP_1) | instskip(NEXT) | instid1(VALU_DEP_1)
	v_add_f32_e32 v21, v25, v21
	v_add_f32_e32 v23, v24, v21
	s_delay_alu instid0(VALU_DEP_1) | instskip(NEXT) | instid1(VALU_DEP_1)
	v_mul_f32_e32 v25, v23, v23
	v_fmaak_f32 v26, s84, v25, 0x3ecc95a3
	v_mul_f32_e32 v27, v23, v25
	s_delay_alu instid0(VALU_DEP_2) | instskip(SKIP_1) | instid1(VALU_DEP_2)
	v_fmaak_f32 v25, v25, v26, 0x3f2aaada
	v_ldexp_f32 v26, v23, 1
	v_mul_f32_e32 v25, v27, v25
	v_sub_f32_e32 v23, v23, v24
	s_delay_alu instid0(VALU_DEP_2) | instskip(NEXT) | instid1(VALU_DEP_2)
	v_dual_mul_f32 v27, 0x3f317218, v20 :: v_dual_add_f32 v24, v26, v25
	v_sub_f32_e32 v21, v21, v23
	s_delay_alu instid0(VALU_DEP_2) | instskip(NEXT) | instid1(VALU_DEP_3)
	v_sub_f32_e32 v23, v24, v26
	v_fma_f32 v26, 0x3f317218, v20, -v27
	s_delay_alu instid0(VALU_DEP_3) | instskip(NEXT) | instid1(VALU_DEP_2)
	v_ldexp_f32 v21, v21, 1
	v_dual_sub_f32 v23, v25, v23 :: v_dual_fmac_f32 v26, 0xb102e308, v20
	s_delay_alu instid0(VALU_DEP_1) | instskip(NEXT) | instid1(VALU_DEP_1)
	v_dual_add_f32 v20, v21, v23 :: v_dual_add_f32 v21, v27, v26
	v_add_f32_e32 v23, v24, v20
	s_delay_alu instid0(VALU_DEP_1) | instskip(NEXT) | instid1(VALU_DEP_1)
	v_dual_add_f32 v25, v21, v23 :: v_dual_sub_f32 v24, v23, v24
	v_sub_f32_e32 v28, v25, v21
	s_delay_alu instid0(VALU_DEP_2) | instskip(NEXT) | instid1(VALU_DEP_1)
	v_dual_sub_f32 v27, v21, v27 :: v_dual_sub_f32 v20, v20, v24
	v_dual_sub_f32 v29, v25, v28 :: v_dual_sub_f32 v26, v26, v27
	v_sub_f32_e32 v23, v23, v28
	s_delay_alu instid0(VALU_DEP_2) | instskip(NEXT) | instid1(VALU_DEP_1)
	v_dual_sub_f32 v21, v21, v29 :: v_dual_add_f32 v24, v26, v20
	v_add_f32_e32 v21, v23, v21
	s_delay_alu instid0(VALU_DEP_2) | instskip(NEXT) | instid1(VALU_DEP_2)
	v_sub_f32_e32 v23, v24, v26
	v_add_f32_e32 v21, v24, v21
	s_delay_alu instid0(VALU_DEP_2) | instskip(NEXT) | instid1(VALU_DEP_2)
	v_sub_f32_e32 v24, v24, v23
	v_dual_sub_f32 v20, v20, v23 :: v_dual_add_f32 v27, v25, v21
	s_delay_alu instid0(VALU_DEP_1) | instskip(NEXT) | instid1(VALU_DEP_1)
	v_dual_sub_f32 v24, v26, v24 :: v_dual_sub_f32 v23, v27, v25
	v_dual_add_f32 v20, v20, v24 :: v_dual_sub_f32 v21, v21, v23
	s_delay_alu instid0(VALU_DEP_1) | instskip(NEXT) | instid1(VALU_DEP_1)
	v_add_f32_e32 v20, v20, v21
	v_add_f32_e32 v20, v27, v20
	s_delay_alu instid0(VALU_DEP_1)
	v_cndmask_b32_e32 v118, v20, v22, vcc_lo
.LBB151_98:                             ;   in Loop: Header=BB151_12 Depth=1
	s_or_b32 exec_lo, exec_lo, s29
	s_waitcnt lgkmcnt(1)
	v_add_f32_e32 v119, s69, v18
	s_delay_alu instid0(VALU_DEP_1) | instskip(SKIP_1) | instid1(SALU_CYCLE_1)
	v_cmp_ge_f32_e32 vcc_lo, 0x41a00000, v119
	s_and_b32 s28, s80, vcc_lo
	s_and_saveexec_b32 s29, s28
	s_cbranch_execz .LBB151_100
; %bb.99:                               ;   in Loop: Header=BB151_12 Depth=1
	v_mul_f32_e32 v18, 0x3fb8aa3b, v119
	v_cmp_ngt_f32_e32 vcc_lo, 0xc2ce8ed0, v119
	s_delay_alu instid0(VALU_DEP_2) | instskip(SKIP_1) | instid1(VALU_DEP_1)
	v_rndne_f32_e32 v20, v18
	v_fma_f32 v21, 0x3fb8aa3b, v119, -v18
	v_dual_sub_f32 v18, v18, v20 :: v_dual_fmac_f32 v21, 0x32a5705f, v119
	v_cvt_i32_f32_e32 v20, v20
	s_delay_alu instid0(VALU_DEP_2) | instskip(NEXT) | instid1(VALU_DEP_1)
	v_add_f32_e32 v18, v18, v21
	v_exp_f32_e32 v18, v18
	s_waitcnt_depctr 0xfff
	v_ldexp_f32 v18, v18, v20
	s_delay_alu instid0(VALU_DEP_1) | instskip(SKIP_1) | instid1(VALU_DEP_2)
	v_cndmask_b32_e32 v18, 0, v18, vcc_lo
	v_cmp_nlt_f32_e32 vcc_lo, 0x42b17218, v119
	v_cndmask_b32_e32 v18, 0x7f800000, v18, vcc_lo
	s_delay_alu instid0(VALU_DEP_1) | instskip(NEXT) | instid1(VALU_DEP_1)
	v_add_f32_e32 v22, 1.0, v18
	v_cvt_f64_f32_e32 v[20:21], v22
	s_delay_alu instid0(VALU_DEP_1) | instskip(SKIP_1) | instid1(VALU_DEP_1)
	v_frexp_exp_i32_f64_e32 v20, v[20:21]
	v_frexp_mant_f32_e32 v21, v22
	v_cmp_gt_f32_e32 vcc_lo, 0x3f2aaaab, v21
	v_add_f32_e32 v21, -1.0, v22
	s_delay_alu instid0(VALU_DEP_1) | instskip(SKIP_1) | instid1(VALU_DEP_1)
	v_dual_sub_f32 v24, v21, v22 :: v_dual_sub_f32 v21, v18, v21
	v_subrev_co_ci_u32_e32 v20, vcc_lo, 0, v20, vcc_lo
	v_sub_nc_u32_e32 v23, 0, v20
	v_cvt_f32_i32_e32 v20, v20
	s_delay_alu instid0(VALU_DEP_2) | instskip(NEXT) | instid1(VALU_DEP_1)
	v_ldexp_f32 v22, v22, v23
	v_dual_add_f32 v24, 1.0, v24 :: v_dual_add_f32 v25, 1.0, v22
	s_delay_alu instid0(VALU_DEP_1) | instskip(NEXT) | instid1(VALU_DEP_1)
	v_add_f32_e32 v21, v21, v24
	v_ldexp_f32 v21, v21, v23
	s_delay_alu instid0(VALU_DEP_3) | instskip(NEXT) | instid1(VALU_DEP_1)
	v_dual_add_f32 v23, -1.0, v22 :: v_dual_add_f32 v24, -1.0, v25
	v_add_f32_e32 v26, 1.0, v23
	s_delay_alu instid0(VALU_DEP_2) | instskip(NEXT) | instid1(VALU_DEP_2)
	v_sub_f32_e32 v24, v22, v24
	v_sub_f32_e32 v22, v22, v26
	s_delay_alu instid0(VALU_DEP_2) | instskip(NEXT) | instid1(VALU_DEP_2)
	v_add_f32_e32 v24, v21, v24
	v_add_f32_e32 v21, v21, v22
	s_delay_alu instid0(VALU_DEP_1) | instskip(SKIP_2) | instid1(VALU_DEP_3)
	v_dual_add_f32 v27, v23, v21 :: v_dual_add_f32 v26, v25, v24
	v_cmp_eq_f32_e32 vcc_lo, 0x7f800000, v18
	v_cmp_gt_f32_e64 s28, 0x33800000, v18
	v_sub_f32_e32 v23, v23, v27
	s_delay_alu instid0(VALU_DEP_4) | instskip(SKIP_1) | instid1(VALU_DEP_3)
	v_rcp_f32_e32 v22, v26
	v_sub_f32_e32 v25, v25, v26
	s_or_b32 vcc_lo, s28, vcc_lo
	s_delay_alu instid0(VALU_DEP_1) | instskip(SKIP_2) | instid1(VALU_DEP_1)
	v_dual_add_f32 v21, v21, v23 :: v_dual_add_f32 v24, v24, v25
	s_waitcnt_depctr 0xfff
	v_mul_f32_e32 v28, v27, v22
	v_mul_f32_e32 v29, v26, v28
	s_delay_alu instid0(VALU_DEP_1) | instskip(NEXT) | instid1(VALU_DEP_1)
	v_fma_f32 v25, v28, v26, -v29
	v_fmac_f32_e32 v25, v28, v24
	s_delay_alu instid0(VALU_DEP_1) | instskip(NEXT) | instid1(VALU_DEP_1)
	v_add_f32_e32 v30, v29, v25
	v_sub_f32_e32 v31, v27, v30
	s_delay_alu instid0(VALU_DEP_1) | instskip(NEXT) | instid1(VALU_DEP_1)
	v_sub_f32_e32 v27, v27, v31
	v_sub_f32_e32 v27, v27, v30
	;; [unrolled: 1-line block ×3, first 2 shown]
	s_delay_alu instid0(VALU_DEP_2) | instskip(NEXT) | instid1(VALU_DEP_2)
	v_add_f32_e32 v21, v21, v27
	v_sub_f32_e32 v23, v23, v25
	s_delay_alu instid0(VALU_DEP_1) | instskip(NEXT) | instid1(VALU_DEP_1)
	v_add_f32_e32 v21, v23, v21
	v_add_f32_e32 v23, v31, v21
	s_delay_alu instid0(VALU_DEP_1) | instskip(NEXT) | instid1(VALU_DEP_1)
	v_mul_f32_e32 v25, v22, v23
	v_dual_sub_f32 v30, v31, v23 :: v_dual_mul_f32 v27, v26, v25
	s_delay_alu instid0(VALU_DEP_1) | instskip(NEXT) | instid1(VALU_DEP_2)
	v_add_f32_e32 v21, v21, v30
	v_fma_f32 v26, v25, v26, -v27
	s_delay_alu instid0(VALU_DEP_1) | instskip(NEXT) | instid1(VALU_DEP_1)
	v_fmac_f32_e32 v26, v25, v24
	v_add_f32_e32 v24, v27, v26
	s_delay_alu instid0(VALU_DEP_1) | instskip(NEXT) | instid1(VALU_DEP_1)
	v_sub_f32_e32 v29, v23, v24
	v_sub_f32_e32 v23, v23, v29
	s_delay_alu instid0(VALU_DEP_1) | instskip(NEXT) | instid1(VALU_DEP_1)
	v_sub_f32_e32 v23, v23, v24
	v_add_f32_e32 v21, v21, v23
	v_add_f32_e32 v23, v28, v25
	v_sub_f32_e32 v27, v24, v27
	s_delay_alu instid0(VALU_DEP_1) | instskip(NEXT) | instid1(VALU_DEP_1)
	v_sub_f32_e32 v24, v27, v26
	v_dual_add_f32 v21, v24, v21 :: v_dual_sub_f32 v24, v23, v28
	s_delay_alu instid0(VALU_DEP_1) | instskip(NEXT) | instid1(VALU_DEP_1)
	v_add_f32_e32 v21, v29, v21
	v_dual_sub_f32 v24, v25, v24 :: v_dual_mul_f32 v21, v22, v21
	s_delay_alu instid0(VALU_DEP_1) | instskip(NEXT) | instid1(VALU_DEP_1)
	v_add_f32_e32 v21, v24, v21
	v_add_f32_e32 v22, v23, v21
	s_delay_alu instid0(VALU_DEP_1) | instskip(NEXT) | instid1(VALU_DEP_1)
	v_mul_f32_e32 v24, v22, v22
	v_fmaak_f32 v25, s84, v24, 0x3ecc95a3
	v_mul_f32_e32 v26, v22, v24
	s_delay_alu instid0(VALU_DEP_2) | instskip(SKIP_2) | instid1(VALU_DEP_3)
	v_fmaak_f32 v24, v24, v25, 0x3f2aaada
	v_ldexp_f32 v25, v22, 1
	v_sub_f32_e32 v22, v22, v23
	v_mul_f32_e32 v24, v26, v24
	v_mul_f32_e32 v26, 0x3f317218, v20
	s_delay_alu instid0(VALU_DEP_2) | instskip(NEXT) | instid1(VALU_DEP_1)
	v_add_f32_e32 v23, v25, v24
	v_dual_sub_f32 v21, v21, v22 :: v_dual_sub_f32 v22, v23, v25
	s_delay_alu instid0(VALU_DEP_3) | instskip(NEXT) | instid1(VALU_DEP_2)
	v_fma_f32 v25, 0x3f317218, v20, -v26
	v_ldexp_f32 v21, v21, 1
	s_delay_alu instid0(VALU_DEP_2) | instskip(NEXT) | instid1(VALU_DEP_1)
	v_dual_sub_f32 v22, v24, v22 :: v_dual_fmac_f32 v25, 0xb102e308, v20
	v_dual_add_f32 v20, v21, v22 :: v_dual_add_f32 v21, v26, v25
	s_delay_alu instid0(VALU_DEP_1) | instskip(NEXT) | instid1(VALU_DEP_1)
	v_add_f32_e32 v22, v23, v20
	v_add_f32_e32 v24, v21, v22
	s_delay_alu instid0(VALU_DEP_1) | instskip(NEXT) | instid1(VALU_DEP_1)
	v_sub_f32_e32 v27, v24, v21
	v_sub_f32_e32 v28, v24, v27
	;; [unrolled: 1-line block ×4, first 2 shown]
	s_delay_alu instid0(VALU_DEP_2) | instskip(SKIP_1) | instid1(VALU_DEP_1)
	v_sub_f32_e32 v20, v20, v23
	v_sub_f32_e32 v26, v21, v26
	;; [unrolled: 1-line block ×3, first 2 shown]
	s_delay_alu instid0(VALU_DEP_1) | instskip(SKIP_1) | instid1(VALU_DEP_1)
	v_add_f32_e32 v23, v25, v20
	v_sub_f32_e32 v21, v21, v28
	v_add_f32_e32 v21, v22, v21
	s_delay_alu instid0(VALU_DEP_3) | instskip(NEXT) | instid1(VALU_DEP_1)
	v_sub_f32_e32 v22, v23, v25
	v_dual_sub_f32 v20, v20, v22 :: v_dual_add_f32 v21, v23, v21
	s_delay_alu instid0(VALU_DEP_1) | instskip(NEXT) | instid1(VALU_DEP_1)
	v_dual_sub_f32 v23, v23, v22 :: v_dual_add_f32 v26, v24, v21
	v_dual_sub_f32 v23, v25, v23 :: v_dual_sub_f32 v22, v26, v24
	s_delay_alu instid0(VALU_DEP_1) | instskip(NEXT) | instid1(VALU_DEP_1)
	v_dual_add_f32 v20, v20, v23 :: v_dual_sub_f32 v21, v21, v22
	v_add_f32_e32 v20, v20, v21
	s_delay_alu instid0(VALU_DEP_1) | instskip(NEXT) | instid1(VALU_DEP_1)
	v_add_f32_e32 v20, v26, v20
	v_cndmask_b32_e32 v119, v20, v18, vcc_lo
.LBB151_100:                            ;   in Loop: Header=BB151_12 Depth=1
	s_or_b32 exec_lo, exec_lo, s29
	v_add_f32_e32 v120, s69, v19
	s_delay_alu instid0(VALU_DEP_1) | instskip(SKIP_1) | instid1(SALU_CYCLE_1)
	v_cmp_ge_f32_e32 vcc_lo, 0x41a00000, v120
	s_and_b32 s28, s80, vcc_lo
	s_and_saveexec_b32 s29, s28
	s_cbranch_execz .LBB151_102
; %bb.101:                              ;   in Loop: Header=BB151_12 Depth=1
	v_mul_f32_e32 v18, 0x3fb8aa3b, v120
	v_cmp_ngt_f32_e32 vcc_lo, 0xc2ce8ed0, v120
	s_delay_alu instid0(VALU_DEP_2) | instskip(SKIP_1) | instid1(VALU_DEP_2)
	v_rndne_f32_e32 v19, v18
	v_fma_f32 v20, 0x3fb8aa3b, v120, -v18
	v_sub_f32_e32 v18, v18, v19
	s_delay_alu instid0(VALU_DEP_2) | instskip(SKIP_1) | instid1(VALU_DEP_2)
	v_fmac_f32_e32 v20, 0x32a5705f, v120
	v_cvt_i32_f32_e32 v19, v19
	v_add_f32_e32 v18, v18, v20
	s_delay_alu instid0(VALU_DEP_1) | instskip(SKIP_2) | instid1(VALU_DEP_1)
	v_exp_f32_e32 v18, v18
	s_waitcnt_depctr 0xfff
	v_ldexp_f32 v18, v18, v19
	v_cndmask_b32_e32 v18, 0, v18, vcc_lo
	v_cmp_nlt_f32_e32 vcc_lo, 0x42b17218, v120
	s_delay_alu instid0(VALU_DEP_2) | instskip(NEXT) | instid1(VALU_DEP_1)
	v_cndmask_b32_e32 v20, 0x7f800000, v18, vcc_lo
	v_add_f32_e32 v21, 1.0, v20
	s_delay_alu instid0(VALU_DEP_1) | instskip(NEXT) | instid1(VALU_DEP_1)
	v_cvt_f64_f32_e32 v[18:19], v21
	v_frexp_exp_i32_f64_e32 v18, v[18:19]
	v_frexp_mant_f32_e32 v19, v21
	s_delay_alu instid0(VALU_DEP_1) | instskip(SKIP_1) | instid1(VALU_DEP_1)
	v_cmp_gt_f32_e32 vcc_lo, 0x3f2aaaab, v19
	v_add_f32_e32 v19, -1.0, v21
	v_sub_f32_e32 v23, v19, v21
	v_sub_f32_e32 v19, v20, v19
	s_delay_alu instid0(VALU_DEP_2) | instskip(NEXT) | instid1(VALU_DEP_1)
	v_add_f32_e32 v23, 1.0, v23
	v_add_f32_e32 v19, v19, v23
	v_cmp_gt_f32_e64 s28, 0x33800000, v20
	v_subrev_co_ci_u32_e32 v18, vcc_lo, 0, v18, vcc_lo
	v_cmp_eq_f32_e32 vcc_lo, 0x7f800000, v20
	s_delay_alu instid0(VALU_DEP_2) | instskip(SKIP_2) | instid1(VALU_DEP_2)
	v_sub_nc_u32_e32 v22, 0, v18
	v_cvt_f32_i32_e32 v18, v18
	s_or_b32 vcc_lo, s28, vcc_lo
	v_ldexp_f32 v21, v21, v22
	v_ldexp_f32 v19, v19, v22
	s_delay_alu instid0(VALU_DEP_2) | instskip(NEXT) | instid1(VALU_DEP_1)
	v_add_f32_e32 v24, 1.0, v21
	v_dual_add_f32 v22, -1.0, v21 :: v_dual_add_f32 v23, -1.0, v24
	s_delay_alu instid0(VALU_DEP_1) | instskip(NEXT) | instid1(VALU_DEP_2)
	v_add_f32_e32 v25, 1.0, v22
	v_sub_f32_e32 v23, v21, v23
	s_delay_alu instid0(VALU_DEP_2) | instskip(NEXT) | instid1(VALU_DEP_2)
	v_sub_f32_e32 v21, v21, v25
	v_add_f32_e32 v23, v19, v23
	s_delay_alu instid0(VALU_DEP_2) | instskip(NEXT) | instid1(VALU_DEP_1)
	v_add_f32_e32 v19, v19, v21
	v_add_f32_e32 v26, v22, v19
	s_delay_alu instid0(VALU_DEP_1) | instskip(NEXT) | instid1(VALU_DEP_1)
	v_dual_add_f32 v25, v24, v23 :: v_dual_sub_f32 v22, v22, v26
	v_rcp_f32_e32 v21, v25
	v_sub_f32_e32 v24, v24, v25
	s_delay_alu instid0(VALU_DEP_1) | instskip(SKIP_2) | instid1(VALU_DEP_1)
	v_add_f32_e32 v23, v23, v24
	s_waitcnt_depctr 0xfff
	v_mul_f32_e32 v27, v26, v21
	v_mul_f32_e32 v28, v25, v27
	s_delay_alu instid0(VALU_DEP_1) | instskip(NEXT) | instid1(VALU_DEP_1)
	v_fma_f32 v24, v27, v25, -v28
	v_fmac_f32_e32 v24, v27, v23
	s_delay_alu instid0(VALU_DEP_1) | instskip(NEXT) | instid1(VALU_DEP_1)
	v_add_f32_e32 v29, v28, v24
	v_sub_f32_e32 v30, v26, v29
	s_delay_alu instid0(VALU_DEP_1) | instskip(SKIP_1) | instid1(VALU_DEP_2)
	v_sub_f32_e32 v26, v26, v30
	v_dual_add_f32 v19, v19, v22 :: v_dual_sub_f32 v22, v29, v28
	v_sub_f32_e32 v26, v26, v29
	s_delay_alu instid0(VALU_DEP_1) | instskip(NEXT) | instid1(VALU_DEP_1)
	v_dual_sub_f32 v22, v22, v24 :: v_dual_add_f32 v19, v19, v26
	v_add_f32_e32 v19, v22, v19
	s_delay_alu instid0(VALU_DEP_1) | instskip(NEXT) | instid1(VALU_DEP_1)
	v_add_f32_e32 v22, v30, v19
	v_mul_f32_e32 v24, v21, v22
	s_delay_alu instid0(VALU_DEP_1) | instskip(NEXT) | instid1(VALU_DEP_1)
	v_dual_sub_f32 v29, v30, v22 :: v_dual_mul_f32 v26, v25, v24
	v_add_f32_e32 v19, v19, v29
	s_delay_alu instid0(VALU_DEP_2) | instskip(NEXT) | instid1(VALU_DEP_1)
	v_fma_f32 v25, v24, v25, -v26
	v_fmac_f32_e32 v25, v24, v23
	s_delay_alu instid0(VALU_DEP_1) | instskip(NEXT) | instid1(VALU_DEP_1)
	v_add_f32_e32 v23, v26, v25
	v_sub_f32_e32 v28, v22, v23
	s_delay_alu instid0(VALU_DEP_1) | instskip(NEXT) | instid1(VALU_DEP_1)
	v_sub_f32_e32 v22, v22, v28
	v_sub_f32_e32 v22, v22, v23
	s_delay_alu instid0(VALU_DEP_1) | instskip(SKIP_2) | instid1(VALU_DEP_1)
	v_add_f32_e32 v19, v19, v22
	v_add_f32_e32 v22, v27, v24
	v_sub_f32_e32 v26, v23, v26
	v_sub_f32_e32 v23, v26, v25
	s_delay_alu instid0(VALU_DEP_1) | instskip(NEXT) | instid1(VALU_DEP_4)
	v_add_f32_e32 v19, v23, v19
	v_sub_f32_e32 v23, v22, v27
	s_delay_alu instid0(VALU_DEP_2) | instskip(NEXT) | instid1(VALU_DEP_2)
	v_add_f32_e32 v19, v28, v19
	v_sub_f32_e32 v23, v24, v23
	s_delay_alu instid0(VALU_DEP_2) | instskip(NEXT) | instid1(VALU_DEP_1)
	v_mul_f32_e32 v19, v21, v19
	v_add_f32_e32 v19, v23, v19
	s_delay_alu instid0(VALU_DEP_1) | instskip(NEXT) | instid1(VALU_DEP_1)
	v_add_f32_e32 v21, v22, v19
	v_mul_f32_e32 v23, v21, v21
	s_delay_alu instid0(VALU_DEP_1) | instskip(SKIP_1) | instid1(VALU_DEP_2)
	v_fmaak_f32 v24, s84, v23, 0x3ecc95a3
	v_mul_f32_e32 v25, v21, v23
	v_fmaak_f32 v23, v23, v24, 0x3f2aaada
	v_ldexp_f32 v24, v21, 1
	s_delay_alu instid0(VALU_DEP_2) | instskip(SKIP_1) | instid1(VALU_DEP_2)
	v_mul_f32_e32 v23, v25, v23
	v_sub_f32_e32 v21, v21, v22
	v_dual_mul_f32 v25, 0x3f317218, v18 :: v_dual_add_f32 v22, v24, v23
	s_delay_alu instid0(VALU_DEP_2) | instskip(NEXT) | instid1(VALU_DEP_2)
	v_sub_f32_e32 v19, v19, v21
	v_sub_f32_e32 v21, v22, v24
	s_delay_alu instid0(VALU_DEP_3) | instskip(NEXT) | instid1(VALU_DEP_3)
	v_fma_f32 v24, 0x3f317218, v18, -v25
	v_ldexp_f32 v19, v19, 1
	s_delay_alu instid0(VALU_DEP_2) | instskip(NEXT) | instid1(VALU_DEP_1)
	v_dual_sub_f32 v21, v23, v21 :: v_dual_fmac_f32 v24, 0xb102e308, v18
	v_dual_add_f32 v18, v19, v21 :: v_dual_add_f32 v19, v25, v24
	s_delay_alu instid0(VALU_DEP_1) | instskip(NEXT) | instid1(VALU_DEP_1)
	v_add_f32_e32 v21, v22, v18
	v_dual_add_f32 v23, v19, v21 :: v_dual_sub_f32 v22, v21, v22
	s_delay_alu instid0(VALU_DEP_1) | instskip(NEXT) | instid1(VALU_DEP_2)
	v_sub_f32_e32 v26, v23, v19
	v_dual_sub_f32 v25, v19, v25 :: v_dual_sub_f32 v18, v18, v22
	s_delay_alu instid0(VALU_DEP_1) | instskip(SKIP_1) | instid1(VALU_DEP_2)
	v_dual_sub_f32 v27, v23, v26 :: v_dual_sub_f32 v24, v24, v25
	v_sub_f32_e32 v21, v21, v26
	v_dual_sub_f32 v19, v19, v27 :: v_dual_add_f32 v22, v24, v18
	s_delay_alu instid0(VALU_DEP_1) | instskip(NEXT) | instid1(VALU_DEP_2)
	v_add_f32_e32 v19, v21, v19
	v_sub_f32_e32 v21, v22, v24
	s_delay_alu instid0(VALU_DEP_2) | instskip(NEXT) | instid1(VALU_DEP_2)
	v_add_f32_e32 v19, v22, v19
	v_sub_f32_e32 v22, v22, v21
	s_delay_alu instid0(VALU_DEP_2) | instskip(NEXT) | instid1(VALU_DEP_1)
	v_dual_sub_f32 v18, v18, v21 :: v_dual_add_f32 v25, v23, v19
	v_dual_sub_f32 v22, v24, v22 :: v_dual_sub_f32 v21, v25, v23
	s_delay_alu instid0(VALU_DEP_1) | instskip(NEXT) | instid1(VALU_DEP_1)
	v_dual_add_f32 v18, v18, v22 :: v_dual_sub_f32 v19, v19, v21
	v_add_f32_e32 v18, v18, v19
	s_delay_alu instid0(VALU_DEP_1) | instskip(NEXT) | instid1(VALU_DEP_1)
	v_add_f32_e32 v18, v25, v18
	v_cndmask_b32_e32 v120, v18, v20, vcc_lo
.LBB151_102:                            ;   in Loop: Header=BB151_12 Depth=1
	s_or_b32 exec_lo, exec_lo, s29
	s_waitcnt lgkmcnt(0)
	v_add_f32_e32 v121, s69, v16
	s_delay_alu instid0(VALU_DEP_1) | instskip(SKIP_1) | instid1(SALU_CYCLE_1)
	v_cmp_ge_f32_e32 vcc_lo, 0x41a00000, v121
	s_and_b32 s28, s80, vcc_lo
	s_and_saveexec_b32 s29, s28
	s_cbranch_execz .LBB151_104
; %bb.103:                              ;   in Loop: Header=BB151_12 Depth=1
	v_mul_f32_e32 v16, 0x3fb8aa3b, v121
	v_cmp_ngt_f32_e32 vcc_lo, 0xc2ce8ed0, v121
	s_delay_alu instid0(VALU_DEP_2) | instskip(SKIP_1) | instid1(VALU_DEP_1)
	v_rndne_f32_e32 v18, v16
	v_fma_f32 v19, 0x3fb8aa3b, v121, -v16
	v_dual_sub_f32 v16, v16, v18 :: v_dual_fmac_f32 v19, 0x32a5705f, v121
	v_cvt_i32_f32_e32 v18, v18
	s_delay_alu instid0(VALU_DEP_2) | instskip(NEXT) | instid1(VALU_DEP_1)
	v_add_f32_e32 v16, v16, v19
	v_exp_f32_e32 v16, v16
	s_waitcnt_depctr 0xfff
	v_ldexp_f32 v16, v16, v18
	s_delay_alu instid0(VALU_DEP_1) | instskip(SKIP_1) | instid1(VALU_DEP_2)
	v_cndmask_b32_e32 v16, 0, v16, vcc_lo
	v_cmp_nlt_f32_e32 vcc_lo, 0x42b17218, v121
	v_cndmask_b32_e32 v16, 0x7f800000, v16, vcc_lo
	s_delay_alu instid0(VALU_DEP_1) | instskip(NEXT) | instid1(VALU_DEP_1)
	v_add_f32_e32 v20, 1.0, v16
	v_cvt_f64_f32_e32 v[18:19], v20
	s_delay_alu instid0(VALU_DEP_1) | instskip(SKIP_1) | instid1(VALU_DEP_1)
	v_frexp_exp_i32_f64_e32 v18, v[18:19]
	v_frexp_mant_f32_e32 v19, v20
	v_cmp_gt_f32_e32 vcc_lo, 0x3f2aaaab, v19
	v_add_f32_e32 v19, -1.0, v20
	s_delay_alu instid0(VALU_DEP_1) | instskip(SKIP_1) | instid1(VALU_DEP_1)
	v_dual_sub_f32 v22, v19, v20 :: v_dual_sub_f32 v19, v16, v19
	v_subrev_co_ci_u32_e32 v18, vcc_lo, 0, v18, vcc_lo
	v_sub_nc_u32_e32 v21, 0, v18
	v_cvt_f32_i32_e32 v18, v18
	s_delay_alu instid0(VALU_DEP_2) | instskip(NEXT) | instid1(VALU_DEP_1)
	v_ldexp_f32 v20, v20, v21
	v_dual_add_f32 v22, 1.0, v22 :: v_dual_add_f32 v23, 1.0, v20
	s_delay_alu instid0(VALU_DEP_1) | instskip(NEXT) | instid1(VALU_DEP_1)
	v_add_f32_e32 v19, v19, v22
	v_ldexp_f32 v19, v19, v21
	s_delay_alu instid0(VALU_DEP_3) | instskip(NEXT) | instid1(VALU_DEP_1)
	v_dual_add_f32 v21, -1.0, v20 :: v_dual_add_f32 v22, -1.0, v23
	v_add_f32_e32 v24, 1.0, v21
	s_delay_alu instid0(VALU_DEP_2) | instskip(NEXT) | instid1(VALU_DEP_2)
	v_sub_f32_e32 v22, v20, v22
	v_sub_f32_e32 v20, v20, v24
	s_delay_alu instid0(VALU_DEP_2) | instskip(NEXT) | instid1(VALU_DEP_2)
	v_add_f32_e32 v22, v19, v22
	v_add_f32_e32 v19, v19, v20
	s_delay_alu instid0(VALU_DEP_1) | instskip(SKIP_2) | instid1(VALU_DEP_3)
	v_dual_add_f32 v25, v21, v19 :: v_dual_add_f32 v24, v23, v22
	v_cmp_eq_f32_e32 vcc_lo, 0x7f800000, v16
	v_cmp_gt_f32_e64 s28, 0x33800000, v16
	v_sub_f32_e32 v21, v21, v25
	s_delay_alu instid0(VALU_DEP_4) | instskip(SKIP_1) | instid1(VALU_DEP_3)
	v_rcp_f32_e32 v20, v24
	v_sub_f32_e32 v23, v23, v24
	s_or_b32 vcc_lo, s28, vcc_lo
	s_delay_alu instid0(VALU_DEP_1) | instskip(SKIP_2) | instid1(VALU_DEP_1)
	v_dual_add_f32 v19, v19, v21 :: v_dual_add_f32 v22, v22, v23
	s_waitcnt_depctr 0xfff
	v_mul_f32_e32 v26, v25, v20
	v_mul_f32_e32 v27, v24, v26
	s_delay_alu instid0(VALU_DEP_1) | instskip(NEXT) | instid1(VALU_DEP_1)
	v_fma_f32 v23, v26, v24, -v27
	v_fmac_f32_e32 v23, v26, v22
	s_delay_alu instid0(VALU_DEP_1) | instskip(NEXT) | instid1(VALU_DEP_1)
	v_add_f32_e32 v28, v27, v23
	v_sub_f32_e32 v29, v25, v28
	s_delay_alu instid0(VALU_DEP_1) | instskip(NEXT) | instid1(VALU_DEP_1)
	v_sub_f32_e32 v25, v25, v29
	v_sub_f32_e32 v25, v25, v28
	;; [unrolled: 1-line block ×3, first 2 shown]
	s_delay_alu instid0(VALU_DEP_2) | instskip(NEXT) | instid1(VALU_DEP_2)
	v_add_f32_e32 v19, v19, v25
	v_sub_f32_e32 v21, v21, v23
	s_delay_alu instid0(VALU_DEP_1) | instskip(NEXT) | instid1(VALU_DEP_1)
	v_add_f32_e32 v19, v21, v19
	v_add_f32_e32 v21, v29, v19
	s_delay_alu instid0(VALU_DEP_1) | instskip(NEXT) | instid1(VALU_DEP_1)
	v_mul_f32_e32 v23, v20, v21
	v_dual_sub_f32 v28, v29, v21 :: v_dual_mul_f32 v25, v24, v23
	s_delay_alu instid0(VALU_DEP_1) | instskip(NEXT) | instid1(VALU_DEP_2)
	v_add_f32_e32 v19, v19, v28
	v_fma_f32 v24, v23, v24, -v25
	s_delay_alu instid0(VALU_DEP_1) | instskip(NEXT) | instid1(VALU_DEP_1)
	v_fmac_f32_e32 v24, v23, v22
	v_add_f32_e32 v22, v25, v24
	s_delay_alu instid0(VALU_DEP_1) | instskip(NEXT) | instid1(VALU_DEP_1)
	v_sub_f32_e32 v27, v21, v22
	v_sub_f32_e32 v21, v21, v27
	s_delay_alu instid0(VALU_DEP_1) | instskip(NEXT) | instid1(VALU_DEP_1)
	v_sub_f32_e32 v21, v21, v22
	v_add_f32_e32 v19, v19, v21
	v_add_f32_e32 v21, v26, v23
	v_sub_f32_e32 v25, v22, v25
	s_delay_alu instid0(VALU_DEP_1) | instskip(NEXT) | instid1(VALU_DEP_1)
	v_sub_f32_e32 v22, v25, v24
	v_dual_add_f32 v19, v22, v19 :: v_dual_sub_f32 v22, v21, v26
	s_delay_alu instid0(VALU_DEP_1) | instskip(NEXT) | instid1(VALU_DEP_1)
	v_add_f32_e32 v19, v27, v19
	v_dual_sub_f32 v22, v23, v22 :: v_dual_mul_f32 v19, v20, v19
	s_delay_alu instid0(VALU_DEP_1) | instskip(NEXT) | instid1(VALU_DEP_1)
	v_add_f32_e32 v19, v22, v19
	v_add_f32_e32 v20, v21, v19
	s_delay_alu instid0(VALU_DEP_1) | instskip(NEXT) | instid1(VALU_DEP_1)
	v_mul_f32_e32 v22, v20, v20
	v_fmaak_f32 v23, s84, v22, 0x3ecc95a3
	v_mul_f32_e32 v24, v20, v22
	s_delay_alu instid0(VALU_DEP_2) | instskip(SKIP_2) | instid1(VALU_DEP_3)
	v_fmaak_f32 v22, v22, v23, 0x3f2aaada
	v_ldexp_f32 v23, v20, 1
	v_sub_f32_e32 v20, v20, v21
	v_mul_f32_e32 v22, v24, v22
	v_mul_f32_e32 v24, 0x3f317218, v18
	s_delay_alu instid0(VALU_DEP_2) | instskip(NEXT) | instid1(VALU_DEP_1)
	v_add_f32_e32 v21, v23, v22
	v_dual_sub_f32 v19, v19, v20 :: v_dual_sub_f32 v20, v21, v23
	s_delay_alu instid0(VALU_DEP_3) | instskip(NEXT) | instid1(VALU_DEP_2)
	v_fma_f32 v23, 0x3f317218, v18, -v24
	v_ldexp_f32 v19, v19, 1
	s_delay_alu instid0(VALU_DEP_2) | instskip(NEXT) | instid1(VALU_DEP_1)
	v_dual_sub_f32 v20, v22, v20 :: v_dual_fmac_f32 v23, 0xb102e308, v18
	v_dual_add_f32 v18, v19, v20 :: v_dual_add_f32 v19, v24, v23
	s_delay_alu instid0(VALU_DEP_1) | instskip(NEXT) | instid1(VALU_DEP_1)
	v_add_f32_e32 v20, v21, v18
	v_add_f32_e32 v22, v19, v20
	s_delay_alu instid0(VALU_DEP_1) | instskip(NEXT) | instid1(VALU_DEP_1)
	v_sub_f32_e32 v25, v22, v19
	v_sub_f32_e32 v26, v22, v25
	;; [unrolled: 1-line block ×4, first 2 shown]
	s_delay_alu instid0(VALU_DEP_2) | instskip(SKIP_1) | instid1(VALU_DEP_1)
	v_sub_f32_e32 v18, v18, v21
	v_sub_f32_e32 v24, v19, v24
	;; [unrolled: 1-line block ×3, first 2 shown]
	s_delay_alu instid0(VALU_DEP_1) | instskip(SKIP_1) | instid1(VALU_DEP_1)
	v_add_f32_e32 v21, v23, v18
	v_sub_f32_e32 v19, v19, v26
	v_add_f32_e32 v19, v20, v19
	s_delay_alu instid0(VALU_DEP_3) | instskip(NEXT) | instid1(VALU_DEP_1)
	v_sub_f32_e32 v20, v21, v23
	v_dual_sub_f32 v18, v18, v20 :: v_dual_add_f32 v19, v21, v19
	s_delay_alu instid0(VALU_DEP_1) | instskip(NEXT) | instid1(VALU_DEP_1)
	v_dual_sub_f32 v21, v21, v20 :: v_dual_add_f32 v24, v22, v19
	v_dual_sub_f32 v21, v23, v21 :: v_dual_sub_f32 v20, v24, v22
	s_delay_alu instid0(VALU_DEP_1) | instskip(NEXT) | instid1(VALU_DEP_1)
	v_dual_add_f32 v18, v18, v21 :: v_dual_sub_f32 v19, v19, v20
	v_add_f32_e32 v18, v18, v19
	s_delay_alu instid0(VALU_DEP_1) | instskip(NEXT) | instid1(VALU_DEP_1)
	v_add_f32_e32 v18, v24, v18
	v_cndmask_b32_e32 v121, v18, v16, vcc_lo
.LBB151_104:                            ;   in Loop: Header=BB151_12 Depth=1
	s_or_b32 exec_lo, exec_lo, s29
	v_add_f32_e32 v138, s69, v17
	s_delay_alu instid0(VALU_DEP_1) | instskip(SKIP_1) | instid1(SALU_CYCLE_1)
	v_cmp_ge_f32_e32 vcc_lo, 0x41a00000, v138
	s_and_b32 s28, s80, vcc_lo
	s_and_saveexec_b32 s29, s28
	s_cbranch_execz .LBB151_106
; %bb.105:                              ;   in Loop: Header=BB151_12 Depth=1
	v_mul_f32_e32 v16, 0x3fb8aa3b, v138
	v_cmp_ngt_f32_e32 vcc_lo, 0xc2ce8ed0, v138
	s_delay_alu instid0(VALU_DEP_2) | instskip(SKIP_1) | instid1(VALU_DEP_2)
	v_rndne_f32_e32 v17, v16
	v_fma_f32 v18, 0x3fb8aa3b, v138, -v16
	v_sub_f32_e32 v16, v16, v17
	s_delay_alu instid0(VALU_DEP_2) | instskip(SKIP_1) | instid1(VALU_DEP_2)
	v_fmac_f32_e32 v18, 0x32a5705f, v138
	v_cvt_i32_f32_e32 v17, v17
	v_add_f32_e32 v16, v16, v18
	s_delay_alu instid0(VALU_DEP_1) | instskip(SKIP_2) | instid1(VALU_DEP_1)
	v_exp_f32_e32 v16, v16
	s_waitcnt_depctr 0xfff
	v_ldexp_f32 v16, v16, v17
	v_cndmask_b32_e32 v16, 0, v16, vcc_lo
	v_cmp_nlt_f32_e32 vcc_lo, 0x42b17218, v138
	s_delay_alu instid0(VALU_DEP_2) | instskip(NEXT) | instid1(VALU_DEP_1)
	v_cndmask_b32_e32 v18, 0x7f800000, v16, vcc_lo
	v_add_f32_e32 v19, 1.0, v18
	s_delay_alu instid0(VALU_DEP_1) | instskip(NEXT) | instid1(VALU_DEP_1)
	v_cvt_f64_f32_e32 v[16:17], v19
	v_frexp_exp_i32_f64_e32 v16, v[16:17]
	v_frexp_mant_f32_e32 v17, v19
	s_delay_alu instid0(VALU_DEP_1) | instskip(SKIP_1) | instid1(VALU_DEP_1)
	v_cmp_gt_f32_e32 vcc_lo, 0x3f2aaaab, v17
	v_add_f32_e32 v17, -1.0, v19
	v_sub_f32_e32 v21, v17, v19
	v_sub_f32_e32 v17, v18, v17
	s_delay_alu instid0(VALU_DEP_2) | instskip(NEXT) | instid1(VALU_DEP_1)
	v_add_f32_e32 v21, 1.0, v21
	v_add_f32_e32 v17, v17, v21
	v_cmp_gt_f32_e64 s28, 0x33800000, v18
	v_subrev_co_ci_u32_e32 v16, vcc_lo, 0, v16, vcc_lo
	v_cmp_eq_f32_e32 vcc_lo, 0x7f800000, v18
	s_delay_alu instid0(VALU_DEP_2) | instskip(SKIP_2) | instid1(VALU_DEP_2)
	v_sub_nc_u32_e32 v20, 0, v16
	v_cvt_f32_i32_e32 v16, v16
	s_or_b32 vcc_lo, s28, vcc_lo
	v_ldexp_f32 v19, v19, v20
	v_ldexp_f32 v17, v17, v20
	s_delay_alu instid0(VALU_DEP_2) | instskip(NEXT) | instid1(VALU_DEP_1)
	v_add_f32_e32 v22, 1.0, v19
	v_dual_add_f32 v20, -1.0, v19 :: v_dual_add_f32 v21, -1.0, v22
	s_delay_alu instid0(VALU_DEP_1) | instskip(NEXT) | instid1(VALU_DEP_2)
	v_add_f32_e32 v23, 1.0, v20
	v_sub_f32_e32 v21, v19, v21
	s_delay_alu instid0(VALU_DEP_2) | instskip(NEXT) | instid1(VALU_DEP_2)
	v_sub_f32_e32 v19, v19, v23
	v_add_f32_e32 v21, v17, v21
	s_delay_alu instid0(VALU_DEP_2) | instskip(NEXT) | instid1(VALU_DEP_1)
	v_add_f32_e32 v17, v17, v19
	v_add_f32_e32 v24, v20, v17
	s_delay_alu instid0(VALU_DEP_1) | instskip(NEXT) | instid1(VALU_DEP_1)
	v_dual_add_f32 v23, v22, v21 :: v_dual_sub_f32 v20, v20, v24
	v_rcp_f32_e32 v19, v23
	v_sub_f32_e32 v22, v22, v23
	s_delay_alu instid0(VALU_DEP_1) | instskip(SKIP_2) | instid1(VALU_DEP_1)
	v_add_f32_e32 v21, v21, v22
	s_waitcnt_depctr 0xfff
	v_mul_f32_e32 v25, v24, v19
	v_mul_f32_e32 v26, v23, v25
	s_delay_alu instid0(VALU_DEP_1) | instskip(NEXT) | instid1(VALU_DEP_1)
	v_fma_f32 v22, v25, v23, -v26
	v_fmac_f32_e32 v22, v25, v21
	s_delay_alu instid0(VALU_DEP_1) | instskip(NEXT) | instid1(VALU_DEP_1)
	v_add_f32_e32 v27, v26, v22
	v_sub_f32_e32 v28, v24, v27
	s_delay_alu instid0(VALU_DEP_1) | instskip(SKIP_1) | instid1(VALU_DEP_2)
	v_sub_f32_e32 v24, v24, v28
	v_dual_add_f32 v17, v17, v20 :: v_dual_sub_f32 v20, v27, v26
	v_sub_f32_e32 v24, v24, v27
	s_delay_alu instid0(VALU_DEP_1) | instskip(NEXT) | instid1(VALU_DEP_1)
	v_dual_sub_f32 v20, v20, v22 :: v_dual_add_f32 v17, v17, v24
	v_add_f32_e32 v17, v20, v17
	s_delay_alu instid0(VALU_DEP_1) | instskip(NEXT) | instid1(VALU_DEP_1)
	v_add_f32_e32 v20, v28, v17
	v_mul_f32_e32 v22, v19, v20
	s_delay_alu instid0(VALU_DEP_1) | instskip(NEXT) | instid1(VALU_DEP_1)
	v_dual_sub_f32 v27, v28, v20 :: v_dual_mul_f32 v24, v23, v22
	v_add_f32_e32 v17, v17, v27
	s_delay_alu instid0(VALU_DEP_2) | instskip(NEXT) | instid1(VALU_DEP_1)
	v_fma_f32 v23, v22, v23, -v24
	v_fmac_f32_e32 v23, v22, v21
	s_delay_alu instid0(VALU_DEP_1) | instskip(NEXT) | instid1(VALU_DEP_1)
	v_add_f32_e32 v21, v24, v23
	v_sub_f32_e32 v26, v20, v21
	s_delay_alu instid0(VALU_DEP_1) | instskip(NEXT) | instid1(VALU_DEP_1)
	v_sub_f32_e32 v20, v20, v26
	v_sub_f32_e32 v20, v20, v21
	s_delay_alu instid0(VALU_DEP_1) | instskip(SKIP_2) | instid1(VALU_DEP_1)
	v_add_f32_e32 v17, v17, v20
	v_add_f32_e32 v20, v25, v22
	v_sub_f32_e32 v24, v21, v24
	v_sub_f32_e32 v21, v24, v23
	s_delay_alu instid0(VALU_DEP_1) | instskip(NEXT) | instid1(VALU_DEP_4)
	v_add_f32_e32 v17, v21, v17
	v_sub_f32_e32 v21, v20, v25
	s_delay_alu instid0(VALU_DEP_2) | instskip(NEXT) | instid1(VALU_DEP_2)
	v_add_f32_e32 v17, v26, v17
	v_sub_f32_e32 v21, v22, v21
	s_delay_alu instid0(VALU_DEP_2) | instskip(NEXT) | instid1(VALU_DEP_1)
	v_mul_f32_e32 v17, v19, v17
	v_add_f32_e32 v17, v21, v17
	s_delay_alu instid0(VALU_DEP_1) | instskip(NEXT) | instid1(VALU_DEP_1)
	v_add_f32_e32 v19, v20, v17
	v_mul_f32_e32 v21, v19, v19
	s_delay_alu instid0(VALU_DEP_1) | instskip(SKIP_1) | instid1(VALU_DEP_2)
	v_fmaak_f32 v22, s84, v21, 0x3ecc95a3
	v_mul_f32_e32 v23, v19, v21
	v_fmaak_f32 v21, v21, v22, 0x3f2aaada
	v_ldexp_f32 v22, v19, 1
	s_delay_alu instid0(VALU_DEP_2) | instskip(SKIP_1) | instid1(VALU_DEP_2)
	v_mul_f32_e32 v21, v23, v21
	v_sub_f32_e32 v19, v19, v20
	v_dual_mul_f32 v23, 0x3f317218, v16 :: v_dual_add_f32 v20, v22, v21
	s_delay_alu instid0(VALU_DEP_2) | instskip(NEXT) | instid1(VALU_DEP_2)
	v_sub_f32_e32 v17, v17, v19
	v_sub_f32_e32 v19, v20, v22
	s_delay_alu instid0(VALU_DEP_3) | instskip(NEXT) | instid1(VALU_DEP_3)
	v_fma_f32 v22, 0x3f317218, v16, -v23
	v_ldexp_f32 v17, v17, 1
	s_delay_alu instid0(VALU_DEP_2) | instskip(NEXT) | instid1(VALU_DEP_1)
	v_dual_sub_f32 v19, v21, v19 :: v_dual_fmac_f32 v22, 0xb102e308, v16
	v_dual_add_f32 v16, v17, v19 :: v_dual_add_f32 v17, v23, v22
	s_delay_alu instid0(VALU_DEP_1) | instskip(NEXT) | instid1(VALU_DEP_1)
	v_add_f32_e32 v19, v20, v16
	v_dual_add_f32 v21, v17, v19 :: v_dual_sub_f32 v20, v19, v20
	s_delay_alu instid0(VALU_DEP_1) | instskip(NEXT) | instid1(VALU_DEP_2)
	v_sub_f32_e32 v24, v21, v17
	v_dual_sub_f32 v23, v17, v23 :: v_dual_sub_f32 v16, v16, v20
	s_delay_alu instid0(VALU_DEP_1) | instskip(SKIP_1) | instid1(VALU_DEP_2)
	v_dual_sub_f32 v25, v21, v24 :: v_dual_sub_f32 v22, v22, v23
	v_sub_f32_e32 v19, v19, v24
	v_dual_sub_f32 v17, v17, v25 :: v_dual_add_f32 v20, v22, v16
	s_delay_alu instid0(VALU_DEP_1) | instskip(NEXT) | instid1(VALU_DEP_2)
	v_add_f32_e32 v17, v19, v17
	v_sub_f32_e32 v19, v20, v22
	s_delay_alu instid0(VALU_DEP_2) | instskip(NEXT) | instid1(VALU_DEP_2)
	v_add_f32_e32 v17, v20, v17
	v_sub_f32_e32 v20, v20, v19
	s_delay_alu instid0(VALU_DEP_2) | instskip(NEXT) | instid1(VALU_DEP_1)
	v_dual_sub_f32 v16, v16, v19 :: v_dual_add_f32 v23, v21, v17
	v_dual_sub_f32 v20, v22, v20 :: v_dual_sub_f32 v19, v23, v21
	s_delay_alu instid0(VALU_DEP_1) | instskip(NEXT) | instid1(VALU_DEP_1)
	v_dual_add_f32 v16, v16, v20 :: v_dual_sub_f32 v17, v17, v19
	v_add_f32_e32 v16, v16, v17
	s_delay_alu instid0(VALU_DEP_1) | instskip(NEXT) | instid1(VALU_DEP_1)
	v_add_f32_e32 v16, v23, v16
	v_cndmask_b32_e32 v138, v16, v18, vcc_lo
.LBB151_106:                            ;   in Loop: Header=BB151_12 Depth=1
	s_or_b32 exec_lo, exec_lo, s29
	v_dual_mul_f32 v122, s70, v14 :: v_dual_mul_f32 v123, s70, v13
	v_dual_mul_f32 v124, s70, v12 :: v_dual_mul_f32 v125, s70, v11
	;; [unrolled: 1-line block ×8, first 2 shown]
	s_and_b32 vcc_lo, exec_lo, s81
	s_barrier
	buffer_gl0_inv
	s_cbranch_vccz .LBB151_202
; %bb.107:                              ;   in Loop: Header=BB151_12 Depth=1
	v_dual_mul_f32 v139, v15, v138 :: v_dual_mul_f32 v144, v14, v121
	v_add_co_u32 v15, s28, s53, v32
	s_delay_alu instid0(VALU_DEP_1) | instskip(SKIP_1) | instid1(VALU_DEP_1)
	v_add_co_ci_u32_e64 v16, null, s75, 0, s28
	v_add_co_u32 v17, s28, s57, v32
	v_add_co_ci_u32_e64 v18, null, s76, 0, s28
	s_delay_alu instid0(VALU_DEP_4) | instskip(NEXT) | instid1(VALU_DEP_4)
	v_add_co_u32 v140, vcc_lo, v15, v106
	v_add_co_ci_u32_e32 v141, vcc_lo, 0, v16, vcc_lo
	s_delay_alu instid0(VALU_DEP_4) | instskip(NEXT) | instid1(VALU_DEP_4)
	v_add_co_u32 v142, vcc_lo, v17, v106
	v_add_co_ci_u32_e32 v143, vcc_lo, 0, v18, vcc_lo
	v_cmp_gt_u32_e32 vcc_lo, s40, v34
	s_cmp_lg_u32 s86, 0
	v_cmp_gt_u32_e64 s30, s40, v92
	s_cselect_b32 s51, -1, 0
	s_cmp_eq_u32 s86, s83
	v_cmp_gt_u32_e64 s31, s40, v93
	s_cselect_b32 s87, -1, 0
	s_or_b32 s28, s82, vcc_lo
	v_cmp_gt_u32_e32 vcc_lo, s40, v91
	v_cmp_gt_u32_e64 s33, s40, v94
	v_cmp_gt_u32_e64 s34, s40, v95
	;; [unrolled: 1-line block ×4, first 2 shown]
	s_or_b32 s29, s82, vcc_lo
	v_cmp_gt_u32_e32 vcc_lo, s40, v96
	v_cmp_gt_u32_e64 s38, s40, v99
	v_cmp_gt_u32_e64 s39, s40, v100
	;; [unrolled: 1-line block ×4, first 2 shown]
	s_or_b32 s35, s82, vcc_lo
	v_cmp_gt_u32_e32 vcc_lo, s40, v101
	v_cmp_gt_u32_e64 s43, s40, v104
	v_cmp_gt_u32_e64 s44, s40, v105
	v_dual_mul_f32 v145, v13, v120 :: v_dual_mul_f32 v146, v12, v119
	v_dual_mul_f32 v147, v11, v118 :: v_dual_mul_f32 v148, v10, v117
	;; [unrolled: 1-line block ×7, first 2 shown]
	s_mov_b32 s66, 0
	s_or_b32 s30, s82, s30
	s_or_b32 s31, s82, s31
	;; [unrolled: 1-line block ×8, first 2 shown]
	s_or_b32 s40, s82, vcc_lo
	s_or_b32 s41, s82, s41
	s_or_b32 s42, s82, s42
	s_or_b32 s43, s82, s43
	s_or_b32 s44, s82, s44
	s_mov_b32 s54, s66
	s_mov_b32 s58, s66
	;; [unrolled: 1-line block ×5, first 2 shown]
	s_branch .LBB151_109
.LBB151_108:                            ;   in Loop: Header=BB151_109 Depth=2
	s_or_b32 exec_lo, exec_lo, s45
	v_cndmask_b32_e64 v16, v180, v21, s11
	v_cndmask_b32_e64 v17, v179, v20, s11
	s_add_i32 s88, s88, -1
	s_add_i32 s89, s89, 8
	s_add_i32 s60, s60, s62
	v_fma_f32 v16, v16, v160, v33
	v_mul_f32_e32 v17, v17, v160
	s_add_i32 s58, s58, s56
	s_add_i32 s54, s54, s52
	;; [unrolled: 1-line block ×3, first 2 shown]
	v_cndmask_b32_e64 v16, v16, v33, s10
	v_cndmask_b32_e64 v17, v17, v160, s10
	s_cmp_eq_u32 s88, 0
	s_waitcnt lgkmcnt(0)
	s_delay_alu instid0(VALU_DEP_1) | instskip(NEXT) | instid1(VALU_DEP_1)
	v_fmac_f32_e32 v16, v18, v17
	v_fmac_f32_e32 v30, v16, v159
	s_delay_alu instid0(VALU_DEP_1) | instskip(NEXT) | instid1(VALU_DEP_1)
	v_fmac_f32_e32 v32, v30, v161
	v_fmac_f32_e32 v31, v32, v162
	s_delay_alu instid0(VALU_DEP_1) | instskip(NEXT) | instid1(VALU_DEP_1)
	v_dual_fmac_f32 v137, v14, v16 :: v_dual_fmac_f32 v28, v31, v163
	v_dual_fmac_f32 v134, v13, v31 :: v_dual_fmac_f32 v29, v28, v164
	;; [unrolled: 1-line block ×3, first 2 shown]
	s_delay_alu instid0(VALU_DEP_2) | instskip(SKIP_1) | instid1(VALU_DEP_2)
	v_fmac_f32_e32 v26, v29, v165
	v_fmac_f32_e32 v131, v11, v29
	;; [unrolled: 1-line block ×4, first 2 shown]
	s_delay_alu instid0(VALU_DEP_2) | instskip(SKIP_1) | instid1(VALU_DEP_2)
	v_fmac_f32_e32 v24, v27, v167
	v_fmac_f32_e32 v129, v9, v27
	;; [unrolled: 1-line block ×3, first 2 shown]
	s_delay_alu instid0(VALU_DEP_1) | instskip(SKIP_1) | instid1(VALU_DEP_2)
	v_fmac_f32_e32 v22, v25, v169
	v_fmac_f32_e32 v127, v7, v25
	;; [unrolled: 1-line block ×4, first 2 shown]
	s_delay_alu instid0(VALU_DEP_2) | instskip(NEXT) | instid1(VALU_DEP_1)
	v_dual_fmac_f32 v170, v23, v172 :: v_dual_fmac_f32 v125, v5, v23
	v_fmac_f32_e32 v124, v0, v170
	v_fmac_f32_e32 v171, v170, v174
	s_delay_alu instid0(VALU_DEP_1) | instskip(SKIP_1) | instid1(VALU_DEP_2)
	v_dual_fmac_f32 v130, v8, v26 :: v_dual_fmac_f32 v173, v171, v176
	v_dual_fmac_f32 v126, v4, v22 :: v_dual_fmac_f32 v123, v1, v171
	v_fmac_f32_e32 v122, v2, v173
	v_fmac_f32_e32 v175, v173, v177
	s_delay_alu instid0(VALU_DEP_1)
	v_fmac_f32_e32 v133, v3, v175
	s_cbranch_scc1 .LBB151_202
.LBB151_109:                            ;   Parent Loop BB151_12 Depth=1
                                        ; =>  This Inner Loop Header: Depth=2
	s_lshl_b64 s[46:47], s[66:67], 2
	s_mov_b32 s55, s67
	s_add_u32 s46, s74, s46
	s_addc_u32 s47, s63, s47
	v_dual_mov_b32 v2, 0 :: v_dual_mov_b32 v3, 0
	global_load_b32 v159, v37, s[46:47]
	s_lshl_b64 s[46:47], s[54:55], 2
	s_delay_alu instid0(SALU_CYCLE_1)
	v_add_co_u32 v0, vcc_lo, v140, s46
	v_add_co_ci_u32_e32 v1, vcc_lo, s47, v141, vcc_lo
	s_and_saveexec_b32 s45, s12
	s_cbranch_execz .LBB151_111
; %bb.110:                              ;   in Loop: Header=BB151_109 Depth=2
	global_load_b32 v3, v[0:1], off
.LBB151_111:                            ;   in Loop: Header=BB151_109 Depth=2
	s_or_b32 exec_lo, exec_lo, s45
	s_and_saveexec_b32 s45, s13
	s_cbranch_execz .LBB151_113
; %bb.112:                              ;   in Loop: Header=BB151_109 Depth=2
	global_load_b32 v2, v[0:1], off offset:128
.LBB151_113:                            ;   in Loop: Header=BB151_109 Depth=2
	s_or_b32 exec_lo, exec_lo, s45
	v_dual_mov_b32 v4, 0 :: v_dual_mov_b32 v5, 0
	s_and_saveexec_b32 s45, s14
	s_cbranch_execz .LBB151_115
; %bb.114:                              ;   in Loop: Header=BB151_109 Depth=2
	global_load_b32 v5, v[0:1], off offset:256
.LBB151_115:                            ;   in Loop: Header=BB151_109 Depth=2
	s_or_b32 exec_lo, exec_lo, s45
	s_and_saveexec_b32 s45, s15
	s_cbranch_execz .LBB151_117
; %bb.116:                              ;   in Loop: Header=BB151_109 Depth=2
	global_load_b32 v4, v[0:1], off offset:384
.LBB151_117:                            ;   in Loop: Header=BB151_109 Depth=2
	s_or_b32 exec_lo, exec_lo, s45
	v_dual_mov_b32 v6, 0 :: v_dual_mov_b32 v7, 0
	s_and_saveexec_b32 s45, s16
	s_cbranch_execz .LBB151_119
; %bb.118:                              ;   in Loop: Header=BB151_109 Depth=2
	global_load_b32 v7, v[0:1], off offset:512
.LBB151_119:                            ;   in Loop: Header=BB151_109 Depth=2
	;; [unrolled: 13-line block ×7, first 2 shown]
	s_or_b32 exec_lo, exec_lo, s45
	s_and_saveexec_b32 s45, s27
	s_cbranch_execz .LBB151_141
; %bb.140:                              ;   in Loop: Header=BB151_109 Depth=2
	global_load_b32 v16, v[0:1], off offset:1920
.LBB151_141:                            ;   in Loop: Header=BB151_109 Depth=2
	s_or_b32 exec_lo, exec_lo, s45
	s_waitcnt vmcnt(0)
	ds_store_b32 v53, v3
	ds_store_b32 v54, v2 offset:128
	ds_store_b32 v55, v5 offset:256
	;; [unrolled: 1-line block ×15, first 2 shown]
	; wave barrier
	ds_load_2addr_b32 v[32:33], v69 offset1:1
	ds_load_2addr_b32 v[30:31], v69 offset0:2 offset1:3
	ds_load_2addr_b32 v[28:29], v69 offset0:4 offset1:5
	;; [unrolled: 1-line block ×7, first 2 shown]
	s_mov_b32 s59, s67
	v_dual_mov_b32 v2, 0 :: v_dual_mov_b32 v3, 0
	s_lshl_b64 s[46:47], s[58:59], 2
	s_delay_alu instid0(SALU_CYCLE_1)
	v_add_co_u32 v0, vcc_lo, v142, s46
	v_add_co_ci_u32_e32 v1, vcc_lo, s47, v143, vcc_lo
	s_and_saveexec_b32 s45, s12
	s_cbranch_execz .LBB151_143
; %bb.142:                              ;   in Loop: Header=BB151_109 Depth=2
	global_load_b32 v3, v[0:1], off
.LBB151_143:                            ;   in Loop: Header=BB151_109 Depth=2
	s_or_b32 exec_lo, exec_lo, s45
	s_and_saveexec_b32 s45, s13
	s_cbranch_execz .LBB151_145
; %bb.144:                              ;   in Loop: Header=BB151_109 Depth=2
	global_load_b32 v2, v[0:1], off offset:128
.LBB151_145:                            ;   in Loop: Header=BB151_109 Depth=2
	s_or_b32 exec_lo, exec_lo, s45
	v_dual_mov_b32 v4, 0 :: v_dual_mov_b32 v5, 0
	s_and_saveexec_b32 s45, s14
	s_cbranch_execz .LBB151_147
; %bb.146:                              ;   in Loop: Header=BB151_109 Depth=2
	global_load_b32 v5, v[0:1], off offset:256
.LBB151_147:                            ;   in Loop: Header=BB151_109 Depth=2
	s_or_b32 exec_lo, exec_lo, s45
	s_and_saveexec_b32 s45, s15
	s_cbranch_execz .LBB151_149
; %bb.148:                              ;   in Loop: Header=BB151_109 Depth=2
	global_load_b32 v4, v[0:1], off offset:384
.LBB151_149:                            ;   in Loop: Header=BB151_109 Depth=2
	s_or_b32 exec_lo, exec_lo, s45
	v_dual_mov_b32 v6, 0 :: v_dual_mov_b32 v7, 0
	s_and_saveexec_b32 s45, s16
	s_cbranch_execz .LBB151_151
; %bb.150:                              ;   in Loop: Header=BB151_109 Depth=2
	global_load_b32 v7, v[0:1], off offset:512
.LBB151_151:                            ;   in Loop: Header=BB151_109 Depth=2
	;; [unrolled: 13-line block ×7, first 2 shown]
	s_or_b32 exec_lo, exec_lo, s45
	s_and_saveexec_b32 s45, s27
	s_cbranch_execz .LBB151_173
; %bb.172:                              ;   in Loop: Header=BB151_109 Depth=2
	global_load_b32 v16, v[0:1], off offset:1920
.LBB151_173:                            ;   in Loop: Header=BB151_109 Depth=2
	s_or_b32 exec_lo, exec_lo, s45
	s_waitcnt vmcnt(0)
	ds_store_b32 v53, v3 offset:4224
	ds_store_b32 v70, v2 offset:128
	;; [unrolled: 1-line block ×16, first 2 shown]
	v_add_nc_u32_e32 v2, 0x1080, v69
	; wave barrier
	ds_load_2addr_b32 v[12:13], v85 offset0:2 offset1:3
	ds_load_2addr_b32 v[10:11], v85 offset0:4 offset1:5
	ds_load_2addr_b32 v[8:9], v85 offset0:6 offset1:7
	ds_load_2addr_b32 v[6:7], v85 offset0:8 offset1:9
	ds_load_2addr_b32 v[4:5], v85 offset0:10 offset1:11
	ds_load_2addr_b32 v[0:1], v85 offset0:12 offset1:13
	ds_load_2addr_b32 v[14:15], v2 offset1:1
	ds_load_2addr_b32 v[2:3], v85 offset0:14 offset1:15
	s_and_not1_b32 vcc_lo, exec_lo, s51
	s_cbranch_vccnz .LBB151_175
; %bb.174:                              ;   in Loop: Header=BB151_109 Depth=2
	v_mov_b32_e32 v16, s89
	ds_load_b64 v[16:17], v16
	s_cbranch_execz .LBB151_176
	s_branch .LBB151_179
.LBB151_175:                            ;   in Loop: Header=BB151_109 Depth=2
                                        ; implicit-def: $vgpr16
.LBB151_176:                            ;   in Loop: Header=BB151_109 Depth=2
	s_waitcnt lgkmcnt(0)
	v_mov_b32_e32 v17, 0
	s_and_not1_b32 vcc_lo, exec_lo, s68
	s_cbranch_vccnz .LBB151_178
; %bb.177:                              ;   in Loop: Header=BB151_109 Depth=2
	s_mov_b32 s61, s67
	s_delay_alu instid0(SALU_CYCLE_1) | instskip(NEXT) | instid1(SALU_CYCLE_1)
	s_lshl_b64 s[46:47], s[60:61], 2
	s_add_u32 s46, s77, s46
	s_addc_u32 s47, s78, s47
	global_load_b32 v17, v37, s[46:47]
.LBB151_178:                            ;   in Loop: Header=BB151_109 Depth=2
	v_mov_b32_e32 v16, 1.0
.LBB151_179:                            ;   in Loop: Header=BB151_109 Depth=2
	s_waitcnt lgkmcnt(31)
	v_dual_mul_f32 v173, 0x3fb8aa3b, v159 :: v_dual_mul_f32 v32, v32, v158
	s_waitcnt lgkmcnt(29)
	v_dual_mul_f32 v161, v33, v157 :: v_dual_mul_f32 v28, v28, v154
	s_delay_alu instid0(VALU_DEP_2) | instskip(NEXT) | instid1(VALU_DEP_3)
	v_dual_mul_f32 v162, v30, v156 :: v_dual_mul_f32 v159, v173, v107
	v_cndmask_b32_e64 v33, 0, v32, s28
	v_mul_f32_e32 v32, v173, v110
	s_waitcnt lgkmcnt(26)
	v_dual_mul_f32 v167, v173, v114 :: v_dual_mul_f32 v22, v22, v148
	v_cmp_gt_f32_e32 vcc_lo, 0xc2fc0000, v159
	v_mul_f32_e32 v174, v173, v119
	v_cmp_gt_f32_e64 s47, 0xc2fc0000, v32
	v_cndmask_b32_e64 v28, 0, v28, s33
	s_waitcnt lgkmcnt(24)
	v_dual_mul_f32 v177, v173, v138 :: v_dual_mul_f32 v18, v18, v144
	v_cndmask_b32_e64 v30, 0, 0x42800000, vcc_lo
	v_cndmask_b32_e64 v32, 0, 0x42800000, s47
	v_cndmask_b32_e64 v22, 0, v22, s39
	v_dual_mul_f32 v31, v31, v155 :: v_dual_mul_f32 v26, v26, v152
	s_delay_alu instid0(VALU_DEP_4) | instskip(SKIP_2) | instid1(VALU_DEP_4)
	v_fmac_f32_e32 v30, v173, v107
	v_mul_f32_e32 v27, v27, v151
	v_mul_f32_e32 v23, v23, v147
	v_cndmask_b32_e64 v31, 0, v31, s31
	v_cndmask_b32_e64 v26, 0, v26, s35
	v_exp_f32_e32 v163, v30
	v_cndmask_b32_e64 v30, 0, v161, s29
	v_cndmask_b32_e64 v161, 1.0, 0x1f800000, vcc_lo
	v_mul_f32_e32 v160, v173, v108
	v_cndmask_b32_e64 v27, 0, v27, s36
	v_cndmask_b32_e64 v23, 0, v23, s40
	v_mul_f32_e32 v24, v24, v150
	v_dual_mul_f32 v20, v20, v146 :: v_dual_mul_f32 v19, v19, v139
	v_mul_f32_e32 v21, v21, v145
	s_delay_alu instid0(TRANS32_DEP_1) | instskip(SKIP_2) | instid1(VALU_DEP_2)
	v_mul_f32_e32 v161, v163, v161
	v_cmp_gt_f32_e64 s45, 0xc2fc0000, v160
	v_cndmask_b32_e64 v24, 0, v24, s37
	v_cndmask_b32_e64 v159, 0, 0x42800000, s45
	v_cndmask_b32_e64 v164, 1.0, 0x1f800000, s45
	s_delay_alu instid0(VALU_DEP_2) | instskip(NEXT) | instid1(VALU_DEP_1)
	v_fmac_f32_e32 v159, v173, v108
	v_exp_f32_e32 v159, v159
	s_waitcnt_depctr 0xfff
	v_dual_mul_f32 v160, v173, v109 :: v_dual_mul_f32 v159, v159, v164
	s_delay_alu instid0(VALU_DEP_1) | instskip(NEXT) | instid1(VALU_DEP_2)
	v_cmp_gt_f32_e64 s46, 0xc2fc0000, v160
	v_cndmask_b32_e64 v159, 1.0, v159, s29
	s_delay_alu instid0(VALU_DEP_2) | instskip(SKIP_2) | instid1(VALU_DEP_3)
	v_cndmask_b32_e64 v160, 0, 0x42800000, s46
	v_cndmask_b32_e64 v166, 1.0, 0x1f800000, s46
	v_cmp_gt_f32_e64 s46, 0xc2fc0000, v167
	v_fmac_f32_e32 v160, v173, v109
	s_delay_alu instid0(VALU_DEP_1) | instskip(SKIP_1) | instid1(VALU_DEP_1)
	v_exp_f32_e32 v165, v160
	v_mul_f32_e32 v160, v173, v111
	v_cmp_gt_f32_e32 vcc_lo, 0xc2fc0000, v160
	v_cndmask_b32_e64 v160, 1.0, v161, s28
	s_waitcnt_depctr 0xfff
	v_mul_f32_e32 v161, v165, v166
	v_cndmask_b32_e64 v164, 0, 0x42800000, vcc_lo
	v_cndmask_b32_e64 v165, 1.0, 0x1f800000, s47
	v_mul_f32_e32 v166, v173, v113
	s_delay_alu instid0(VALU_DEP_4) | instskip(NEXT) | instid1(VALU_DEP_4)
	v_cndmask_b32_e64 v161, 1.0, v161, s30
	v_fmac_f32_e32 v164, v173, v111
	s_delay_alu instid0(VALU_DEP_1) | instskip(SKIP_1) | instid1(VALU_DEP_1)
	v_exp_f32_e32 v164, v164
	v_fmac_f32_e32 v32, v173, v110
	v_exp_f32_e32 v163, v32
	v_cndmask_b32_e64 v32, 0, v162, s30
	v_mul_f32_e32 v162, v173, v112
	s_delay_alu instid0(VALU_DEP_1) | instskip(SKIP_4) | instid1(VALU_DEP_3)
	v_cmp_gt_f32_e64 s45, 0xc2fc0000, v162
	s_waitcnt_depctr 0xfff
	v_mul_f32_e32 v163, v163, v165
	v_cndmask_b32_e64 v165, 0, 0x42800000, s45
	v_cndmask_b32_e64 v167, 1.0, 0x1f800000, s45
	v_cndmask_b32_e64 v162, 1.0, v163, s31
	v_cndmask_b32_e64 v163, 1.0, 0x1f800000, vcc_lo
	v_cmp_gt_f32_e32 vcc_lo, 0xc2fc0000, v166
	s_delay_alu instid0(VALU_DEP_2) | instskip(SKIP_1) | instid1(VALU_DEP_2)
	v_mul_f32_e32 v163, v164, v163
	v_cndmask_b32_e64 v166, 0, 0x42800000, vcc_lo
	v_cndmask_b32_e64 v163, 1.0, v163, s33
	s_delay_alu instid0(VALU_DEP_2) | instskip(NEXT) | instid1(VALU_DEP_1)
	v_fmac_f32_e32 v166, v173, v113
	v_exp_f32_e32 v166, v166
	v_fmac_f32_e32 v165, v173, v112
	s_delay_alu instid0(VALU_DEP_1) | instskip(SKIP_4) | instid1(VALU_DEP_2)
	v_exp_f32_e32 v164, v165
	v_cndmask_b32_e64 v165, 0, 0x42800000, s46
	s_waitcnt_depctr 0xfff
	v_dual_fmac_f32 v165, v173, v114 :: v_dual_mul_f32 v164, v164, v167
	v_cndmask_b32_e64 v167, 1.0, 0x1f800000, vcc_lo
	v_exp_f32_e32 v168, v165
	v_mul_f32_e32 v165, v173, v115
	s_delay_alu instid0(VALU_DEP_3) | instskip(NEXT) | instid1(VALU_DEP_3)
	v_cndmask_b32_e64 v164, 1.0, v164, s34
	v_mul_f32_e32 v166, v166, v167
	v_cndmask_b32_e64 v167, 1.0, 0x1f800000, s46
	s_delay_alu instid0(VALU_DEP_4) | instskip(SKIP_1) | instid1(VALU_DEP_4)
	v_cmp_gt_f32_e32 vcc_lo, 0xc2fc0000, v165
	v_mul_f32_e32 v29, v29, v153
	v_cndmask_b32_e64 v165, 1.0, v166, s35
	s_delay_alu instid0(TRANS32_DEP_1) | instid1(VALU_DEP_4)
	v_mul_f32_e32 v166, v168, v167
	v_cndmask_b32_e64 v169, 0, 0x42800000, vcc_lo
	v_mul_f32_e32 v167, v173, v116
	v_cndmask_b32_e64 v171, 1.0, 0x1f800000, vcc_lo
	v_cndmask_b32_e64 v29, 0, v29, s34
	v_cndmask_b32_e64 v166, 1.0, v166, s36
	v_fmac_f32_e32 v169, v173, v115
	v_cmp_gt_f32_e64 s45, 0xc2fc0000, v167
	v_mul_f32_e32 v168, v173, v117
	s_delay_alu instid0(VALU_DEP_3) | instskip(NEXT) | instid1(VALU_DEP_2)
	v_exp_f32_e32 v169, v169
	v_cndmask_b32_e64 v167, 0, 0x42800000, s45
	s_delay_alu instid0(VALU_DEP_2) | instskip(NEXT) | instid1(VALU_DEP_2)
	v_cmp_gt_f32_e64 s46, 0xc2fc0000, v168
	v_fmac_f32_e32 v167, v173, v116
	s_delay_alu instid0(VALU_DEP_2) | instskip(NEXT) | instid1(VALU_DEP_2)
	v_cndmask_b32_e64 v168, 0, 0x42800000, s46
	v_exp_f32_e32 v172, v167
	s_waitcnt_depctr 0xfff
	v_mul_f32_e32 v167, v169, v171
	v_fmac_f32_e32 v168, v173, v117
	v_cndmask_b32_e64 v169, 1.0, 0x1f800000, s45
	v_cndmask_b32_e64 v171, 1.0, 0x1f800000, s46
	s_delay_alu instid0(VALU_DEP_4) | instskip(SKIP_3) | instid1(VALU_DEP_2)
	v_cndmask_b32_e64 v167, 1.0, v167, s37
	v_mul_f32_e32 v170, v173, v118
	v_exp_f32_e32 v168, v168
	v_mul_f32_e32 v169, v172, v169
	v_cmp_gt_f32_e32 vcc_lo, 0xc2fc0000, v170
	v_cndmask_b32_e64 v170, 0, 0x42800000, vcc_lo
	v_cndmask_b32_e64 v172, 1.0, 0x1f800000, vcc_lo
	s_waitcnt_depctr 0xfff
	v_mul_f32_e32 v171, v168, v171
	v_cmp_gt_f32_e32 vcc_lo, 0xc2fc0000, v174
	v_cndmask_b32_e64 v168, 1.0, v169, s38
	v_fmac_f32_e32 v170, v173, v118
	v_fma_f32 v174, v159, v33, v30
	v_cndmask_b32_e64 v169, 1.0, v171, s39
	v_cndmask_b32_e64 v171, 0, 0x42800000, vcc_lo
	s_delay_alu instid0(VALU_DEP_4) | instskip(NEXT) | instid1(VALU_DEP_3)
	v_exp_f32_e32 v170, v170
	v_fma_f32 v174, v174, v161, v32
	s_delay_alu instid0(VALU_DEP_1) | instskip(SKIP_4) | instid1(VALU_DEP_3)
	v_fma_f32 v174, v174, v162, v31
	s_waitcnt_depctr 0xfff
	v_mul_f32_e32 v170, v170, v172
	v_mul_f32_e32 v172, v159, v160
	v_fma_f32 v174, v174, v163, v28
	v_cndmask_b32_e64 v178, 1.0, v170, s40
	s_delay_alu instid0(VALU_DEP_3) | instskip(SKIP_3) | instid1(VALU_DEP_4)
	v_mul_f32_e32 v172, v172, v161
	v_cndmask_b32_e64 v170, 1.0, 0x1f800000, vcc_lo
	v_mul_f32_e32 v175, v173, v120
	v_fma_f32 v174, v174, v164, v29
	v_dual_mul_f32 v172, v172, v162 :: v_dual_mul_f32 v25, v25, v149
	s_delay_alu instid0(VALU_DEP_3) | instskip(NEXT) | instid1(VALU_DEP_3)
	v_cmp_gt_f32_e64 s45, 0xc2fc0000, v175
	v_fma_f32 v174, v174, v165, v26
	s_delay_alu instid0(VALU_DEP_3) | instskip(SKIP_1) | instid1(VALU_DEP_4)
	v_mul_f32_e32 v172, v172, v163
	v_fmac_f32_e32 v171, v173, v119
	v_cndmask_b32_e64 v175, 0, 0x42800000, s45
	s_delay_alu instid0(VALU_DEP_4) | instskip(SKIP_3) | instid1(VALU_DEP_3)
	v_fma_f32 v174, v174, v166, v27
	v_cndmask_b32_e64 v25, 0, v25, s38
	v_mul_f32_e32 v176, v172, v164
	v_exp_f32_e32 v171, v171
	v_fma_f32 v174, v174, v167, v24
	s_waitcnt_depctr 0xfff
	v_mul_f32_e32 v171, v171, v170
	v_cndmask_b32_e64 v170, 0, v20, s41
	v_cndmask_b32_e64 v20, 1.0, 0x1f800000, s45
	v_cmp_gt_f32_e64 s45, 0xc2fc0000, v177
	v_fma_f32 v177, v174, v168, v25
	v_cndmask_b32_e64 v172, 1.0, v171, s41
	v_mul_f32_e32 v171, v176, v165
	v_mul_f32_e32 v176, v173, v121
	s_delay_alu instid0(VALU_DEP_1) | instskip(SKIP_1) | instid1(VALU_DEP_1)
	v_cmp_gt_f32_e32 vcc_lo, 0xc2fc0000, v176
	v_cndmask_b32_e64 v176, 0, 0x42800000, vcc_lo
	v_fmac_f32_e32 v176, v173, v121
	s_delay_alu instid0(VALU_DEP_1) | instskip(SKIP_1) | instid1(VALU_DEP_1)
	v_exp_f32_e32 v176, v176
	v_fmac_f32_e32 v175, v173, v120
	v_exp_f32_e32 v175, v175
	s_waitcnt_depctr 0xfff
	v_mul_f32_e32 v20, v175, v20
	v_mul_f32_e32 v175, v171, v166
	v_cndmask_b32_e64 v171, 0, v21, s42
	s_delay_alu instid0(VALU_DEP_3) | instskip(NEXT) | instid1(VALU_DEP_3)
	v_cndmask_b32_e64 v174, 1.0, v20, s42
	v_mul_f32_e32 v21, v175, v167
	v_cndmask_b32_e64 v175, 0, 0x42800000, s45
	s_delay_alu instid0(VALU_DEP_1) | instskip(SKIP_1) | instid1(VALU_DEP_2)
	v_fmac_f32_e32 v175, v173, v138
	v_cndmask_b32_e64 v173, 1.0, 0x1f800000, vcc_lo
	v_exp_f32_e32 v175, v175
	s_delay_alu instid0(VALU_DEP_1) | instskip(SKIP_3) | instid1(VALU_DEP_4)
	v_mul_f32_e32 v176, v176, v173
	v_cndmask_b32_e64 v173, 0, v18, s43
	v_cndmask_b32_e64 v18, 1.0, 0x1f800000, s45
	v_mul_f32_e32 v21, v21, v168
	v_cndmask_b32_e64 v176, 1.0, v176, s43
	s_waitcnt_depctr 0xfff
	v_mul_f32_e32 v18, v175, v18
	v_mul_f32_e32 v20, v21, v169
	v_fma_f32 v21, v177, v169, v22
	v_cndmask_b32_e64 v175, 0, v19, s44
	s_delay_alu instid0(VALU_DEP_4) | instskip(NEXT) | instid1(VALU_DEP_4)
	v_cndmask_b32_e64 v177, 1.0, v18, s44
	v_mul_f32_e32 v20, v20, v178
	s_delay_alu instid0(VALU_DEP_4) | instskip(NEXT) | instid1(VALU_DEP_2)
	v_fma_f32 v21, v21, v178, v23
	v_mul_f32_e32 v20, v20, v172
	s_delay_alu instid0(VALU_DEP_2) | instskip(NEXT) | instid1(VALU_DEP_2)
	v_fma_f32 v21, v21, v172, v170
	v_mul_f32_e32 v20, v20, v174
	s_delay_alu instid0(VALU_DEP_2) | instskip(NEXT) | instid1(VALU_DEP_2)
	;; [unrolled: 3-line block ×4, first 2 shown]
	v_fma_f32 v19, v19, v177, v175
	v_mov_b32_dpp v21, v18 row_shr:1 row_mask:0xf bank_mask:0xf
	s_delay_alu instid0(VALU_DEP_2)
	v_mov_b32_dpp v20, v19 row_shr:1 row_mask:0xf bank_mask:0xf
	s_and_saveexec_b32 s45, s0
; %bb.180:                              ;   in Loop: Header=BB151_109 Depth=2
	s_delay_alu instid0(VALU_DEP_2) | instskip(NEXT) | instid1(VALU_DEP_1)
	v_mul_f32_e32 v21, v18, v21
	v_dual_fmac_f32 v19, v18, v20 :: v_dual_mov_b32 v18, v21
; %bb.181:                              ;   in Loop: Header=BB151_109 Depth=2
	s_or_b32 exec_lo, exec_lo, s45
	s_delay_alu instid0(VALU_DEP_1) | instskip(NEXT) | instid1(VALU_DEP_2)
	v_mov_b32_dpp v20, v18 row_shr:2 row_mask:0xf bank_mask:0xf
	v_mov_b32_dpp v21, v19 row_shr:2 row_mask:0xf bank_mask:0xf
	s_and_saveexec_b32 s45, s1
; %bb.182:                              ;   in Loop: Header=BB151_109 Depth=2
	s_delay_alu instid0(VALU_DEP_1) | instskip(NEXT) | instid1(VALU_DEP_3)
	v_fmac_f32_e32 v19, v18, v21
	v_mul_f32_e32 v18, v18, v20
; %bb.183:                              ;   in Loop: Header=BB151_109 Depth=2
	s_or_b32 exec_lo, exec_lo, s45
	s_delay_alu instid0(VALU_DEP_1) | instskip(NEXT) | instid1(VALU_DEP_3)
	v_mov_b32_dpp v20, v18 row_shr:4 row_mask:0xf bank_mask:0xf
	v_mov_b32_dpp v21, v19 row_shr:4 row_mask:0xf bank_mask:0xf
	s_and_saveexec_b32 s45, s2
; %bb.184:                              ;   in Loop: Header=BB151_109 Depth=2
	s_delay_alu instid0(VALU_DEP_1) | instskip(NEXT) | instid1(VALU_DEP_3)
	v_fmac_f32_e32 v19, v18, v21
	v_mul_f32_e32 v18, v18, v20
; %bb.185:                              ;   in Loop: Header=BB151_109 Depth=2
	s_or_b32 exec_lo, exec_lo, s45
	s_delay_alu instid0(VALU_DEP_1) | instskip(NEXT) | instid1(VALU_DEP_3)
	v_mov_b32_dpp v20, v18 row_shr:8 row_mask:0xf bank_mask:0xf
	v_mov_b32_dpp v21, v19 row_shr:8 row_mask:0xf bank_mask:0xf
	s_and_saveexec_b32 s45, s3
; %bb.186:                              ;   in Loop: Header=BB151_109 Depth=2
	s_delay_alu instid0(VALU_DEP_1) | instskip(NEXT) | instid1(VALU_DEP_3)
	v_fmac_f32_e32 v19, v18, v21
	v_mul_f32_e32 v18, v18, v20
; %bb.187:                              ;   in Loop: Header=BB151_109 Depth=2
	s_or_b32 exec_lo, exec_lo, s45
	ds_swizzle_b32 v21, v18 offset:swizzle(BROADCAST,32,15)
	ds_swizzle_b32 v20, v19 offset:swizzle(BROADCAST,32,15)
	s_and_saveexec_b32 s45, s4
	s_cbranch_execz .LBB151_189
; %bb.188:                              ;   in Loop: Header=BB151_109 Depth=2
	s_waitcnt lgkmcnt(1)
	v_mul_f32_e32 v21, v18, v21
	s_waitcnt lgkmcnt(0)
	s_delay_alu instid0(VALU_DEP_1)
	v_dual_fmac_f32 v19, v18, v20 :: v_dual_mov_b32 v18, v21
.LBB151_189:                            ;   in Loop: Header=BB151_109 Depth=2
	s_or_b32 exec_lo, exec_lo, s45
	s_and_saveexec_b32 s45, s5
	s_cbranch_execz .LBB151_191
; %bb.190:                              ;   in Loop: Header=BB151_109 Depth=2
	ds_store_b64 v86, v[18:19] offset:8448
.LBB151_191:                            ;   in Loop: Header=BB151_109 Depth=2
	s_or_b32 exec_lo, exec_lo, s45
	s_waitcnt vmcnt(0) lgkmcnt(0)
	s_waitcnt_vscnt null, 0x0
	s_barrier
	buffer_gl0_inv
	s_and_saveexec_b32 s45, s6
	s_cbranch_execz .LBB151_193
; %bb.192:                              ;   in Loop: Header=BB151_109 Depth=2
	ds_load_b64 v[20:21], v87 offset:8448
	s_waitcnt lgkmcnt(0)
	v_mov_b32_dpp v179, v20 row_shr:1 row_mask:0xf bank_mask:0xf
	v_mov_b32_dpp v180, v21 row_shr:1 row_mask:0xf bank_mask:0xf
	s_delay_alu instid0(VALU_DEP_2) | instskip(NEXT) | instid1(VALU_DEP_2)
	v_mul_f32_e32 v179, v20, v179
	v_fma_f32 v180, v20, v180, v21
	s_delay_alu instid0(VALU_DEP_2) | instskip(NEXT) | instid1(VALU_DEP_2)
	v_cndmask_b32_e64 v20, v179, v20, s7
	v_cndmask_b32_e64 v21, v180, v21, s7
	ds_store_b64 v87, v[20:21] offset:8448
.LBB151_193:                            ;   in Loop: Header=BB151_109 Depth=2
	s_or_b32 exec_lo, exec_lo, s45
	s_waitcnt lgkmcnt(0)
	s_barrier
	buffer_gl0_inv
                                        ; implicit-def: $vgpr21
	s_and_saveexec_b32 s45, s9
	s_cbranch_execz .LBB151_195
; %bb.194:                              ;   in Loop: Header=BB151_109 Depth=2
	ds_load_b64 v[20:21], v86 offset:8440
	s_waitcnt lgkmcnt(0)
	v_mul_f32_e32 v179, v18, v20
	s_delay_alu instid0(VALU_DEP_1)
	v_dual_fmac_f32 v19, v18, v21 :: v_dual_mov_b32 v18, v179
.LBB151_195:                            ;   in Loop: Header=BB151_109 Depth=2
	s_or_b32 exec_lo, exec_lo, s45
	ds_bpermute_b32 v179, v88, v18
	ds_bpermute_b32 v180, v88, v19
	s_and_saveexec_b32 s45, s8
	s_cbranch_execz .LBB151_199
; %bb.196:                              ;   in Loop: Header=BB151_109 Depth=2
	ds_load_b64 v[18:19], v37 offset:8456
	s_and_saveexec_b32 s46, s10
	s_cbranch_execz .LBB151_198
; %bb.197:                              ;   in Loop: Header=BB151_109 Depth=2
	ds_store_b64 v37, v[16:17] offset:8456
.LBB151_198:                            ;   in Loop: Header=BB151_109 Depth=2
	s_or_b32 exec_lo, exec_lo, s46
	s_waitcnt lgkmcnt(0)
	v_fmac_f32_e32 v19, v17, v18
	s_delay_alu instid0(VALU_DEP_1)
	v_dual_mul_f32 v16, v16, v18 :: v_dual_mov_b32 v17, v19
.LBB151_199:                            ;   in Loop: Header=BB151_109 Depth=2
	s_or_b32 exec_lo, exec_lo, s45
	s_waitcnt lgkmcnt(0)
	s_barrier
	buffer_gl0_inv
	ds_load_b32 v18, v37 offset:8460
	s_and_saveexec_b32 s45, s10
	s_cbranch_execz .LBB151_108
; %bb.200:                              ;   in Loop: Header=BB151_109 Depth=2
	v_mov_b32_e32 v19, s89
	s_and_not1_b32 vcc_lo, exec_lo, s87
	ds_store_b64 v19, v[16:17]
	s_cbranch_vccnz .LBB151_108
; %bb.201:                              ;   in Loop: Header=BB151_109 Depth=2
	s_mov_b32 s61, s67
	s_delay_alu instid0(SALU_CYCLE_1) | instskip(NEXT) | instid1(SALU_CYCLE_1)
	s_lshl_b64 s[46:47], s[60:61], 2
	s_add_u32 s46, s77, s46
	s_addc_u32 s47, s78, s47
	global_store_b32 v37, v17, s[46:47]
	s_branch .LBB151_108
.LBB151_202:                            ;   in Loop: Header=BB151_12 Depth=1
	s_waitcnt_vscnt null, 0x0
	s_barrier
	buffer_gl0_inv
	ds_store_2addr_b32 v69, v137, v136 offset1:1
	ds_store_2addr_b32 v69, v135, v134 offset0:2 offset1:3
	ds_store_2addr_b32 v69, v132, v131 offset0:4 offset1:5
	;; [unrolled: 1-line block ×7, first 2 shown]
	; wave barrier
	ds_load_b32 v16, v54 offset:128
	ds_load_b32 v15, v55 offset:256
	;; [unrolled: 1-line block ×15, first 2 shown]
	s_mov_b32 s51, s67
	s_delay_alu instid0(SALU_CYCLE_1) | instskip(NEXT) | instid1(SALU_CYCLE_1)
	s_lshl_b64 s[28:29], s[50:51], 2
	v_add_co_u32 v0, vcc_lo, v89, s28
	v_add_co_ci_u32_e32 v1, vcc_lo, s29, v90, vcc_lo
	s_and_saveexec_b32 s28, s12
	s_cbranch_execnz .LBB151_220
; %bb.203:                              ;   in Loop: Header=BB151_12 Depth=1
	s_or_b32 exec_lo, exec_lo, s28
	s_and_saveexec_b32 s12, s13
	s_cbranch_execnz .LBB151_221
.LBB151_204:                            ;   in Loop: Header=BB151_12 Depth=1
	s_or_b32 exec_lo, exec_lo, s12
	s_and_saveexec_b32 s12, s14
	s_cbranch_execnz .LBB151_222
.LBB151_205:                            ;   in Loop: Header=BB151_12 Depth=1
	s_or_b32 exec_lo, exec_lo, s12
	s_and_saveexec_b32 s12, s15
	s_cbranch_execnz .LBB151_223
.LBB151_206:                            ;   in Loop: Header=BB151_12 Depth=1
	s_or_b32 exec_lo, exec_lo, s12
	s_and_saveexec_b32 s12, s16
	s_cbranch_execnz .LBB151_224
.LBB151_207:                            ;   in Loop: Header=BB151_12 Depth=1
	s_or_b32 exec_lo, exec_lo, s12
	s_and_saveexec_b32 s12, s17
	s_cbranch_execnz .LBB151_225
.LBB151_208:                            ;   in Loop: Header=BB151_12 Depth=1
	s_or_b32 exec_lo, exec_lo, s12
	s_and_saveexec_b32 s12, s18
	s_cbranch_execnz .LBB151_226
.LBB151_209:                            ;   in Loop: Header=BB151_12 Depth=1
	s_or_b32 exec_lo, exec_lo, s12
	s_and_saveexec_b32 s12, s19
	s_cbranch_execnz .LBB151_227
.LBB151_210:                            ;   in Loop: Header=BB151_12 Depth=1
	s_or_b32 exec_lo, exec_lo, s12
	s_and_saveexec_b32 s12, s20
	s_cbranch_execnz .LBB151_228
.LBB151_211:                            ;   in Loop: Header=BB151_12 Depth=1
	s_or_b32 exec_lo, exec_lo, s12
	s_and_saveexec_b32 s12, s21
	s_cbranch_execnz .LBB151_229
.LBB151_212:                            ;   in Loop: Header=BB151_12 Depth=1
	s_or_b32 exec_lo, exec_lo, s12
	s_and_saveexec_b32 s12, s22
	s_cbranch_execnz .LBB151_230
.LBB151_213:                            ;   in Loop: Header=BB151_12 Depth=1
	s_or_b32 exec_lo, exec_lo, s12
	s_and_saveexec_b32 s12, s23
	s_cbranch_execnz .LBB151_231
.LBB151_214:                            ;   in Loop: Header=BB151_12 Depth=1
	s_or_b32 exec_lo, exec_lo, s12
	s_and_saveexec_b32 s12, s24
	s_cbranch_execnz .LBB151_232
.LBB151_215:                            ;   in Loop: Header=BB151_12 Depth=1
	s_or_b32 exec_lo, exec_lo, s12
	s_and_saveexec_b32 s12, s25
	s_cbranch_execnz .LBB151_233
.LBB151_216:                            ;   in Loop: Header=BB151_12 Depth=1
	s_or_b32 exec_lo, exec_lo, s12
	s_and_saveexec_b32 s12, s26
	s_cbranch_execnz .LBB151_234
.LBB151_217:                            ;   in Loop: Header=BB151_12 Depth=1
	s_or_b32 exec_lo, exec_lo, s12
	s_and_saveexec_b32 s12, s27
	s_cbranch_execz .LBB151_11
	s_branch .LBB151_235
.LBB151_218:                            ;   in Loop: Header=BB151_12 Depth=1
	global_load_b32 v33, v[16:17], off offset:1664
	s_or_b32 exec_lo, exec_lo, s28
	s_and_saveexec_b32 s28, s26
	s_cbranch_execz .LBB151_72
.LBB151_219:                            ;   in Loop: Header=BB151_12 Depth=1
	global_load_b32 v31, v[16:17], off offset:1792
	s_or_b32 exec_lo, exec_lo, s28
	v_mov_b32_e32 v107, 0
	s_and_saveexec_b32 s28, s27
	s_cbranch_execnz .LBB151_73
	s_branch .LBB151_74
.LBB151_220:                            ;   in Loop: Header=BB151_12 Depth=1
	ds_load_b32 v17, v53
	s_waitcnt lgkmcnt(0)
	global_store_b32 v[0:1], v17, off
	s_or_b32 exec_lo, exec_lo, s28
	s_and_saveexec_b32 s12, s13
	s_cbranch_execz .LBB151_204
.LBB151_221:                            ;   in Loop: Header=BB151_12 Depth=1
	s_waitcnt lgkmcnt(14)
	global_store_b32 v[0:1], v16, off offset:128
	s_or_b32 exec_lo, exec_lo, s12
	s_and_saveexec_b32 s12, s14
	s_cbranch_execz .LBB151_205
.LBB151_222:                            ;   in Loop: Header=BB151_12 Depth=1
	s_waitcnt lgkmcnt(13)
	global_store_b32 v[0:1], v15, off offset:256
	s_or_b32 exec_lo, exec_lo, s12
	s_and_saveexec_b32 s12, s15
	s_cbranch_execz .LBB151_206
.LBB151_223:                            ;   in Loop: Header=BB151_12 Depth=1
	s_waitcnt lgkmcnt(12)
	global_store_b32 v[0:1], v14, off offset:384
	s_or_b32 exec_lo, exec_lo, s12
	s_and_saveexec_b32 s12, s16
	s_cbranch_execz .LBB151_207
.LBB151_224:                            ;   in Loop: Header=BB151_12 Depth=1
	s_waitcnt lgkmcnt(11)
	global_store_b32 v[0:1], v13, off offset:512
	s_or_b32 exec_lo, exec_lo, s12
	s_and_saveexec_b32 s12, s17
	s_cbranch_execz .LBB151_208
.LBB151_225:                            ;   in Loop: Header=BB151_12 Depth=1
	s_waitcnt lgkmcnt(10)
	global_store_b32 v[0:1], v12, off offset:640
	s_or_b32 exec_lo, exec_lo, s12
	s_and_saveexec_b32 s12, s18
	s_cbranch_execz .LBB151_209
.LBB151_226:                            ;   in Loop: Header=BB151_12 Depth=1
	s_waitcnt lgkmcnt(9)
	global_store_b32 v[0:1], v11, off offset:768
	s_or_b32 exec_lo, exec_lo, s12
	s_and_saveexec_b32 s12, s19
	s_cbranch_execz .LBB151_210
.LBB151_227:                            ;   in Loop: Header=BB151_12 Depth=1
	s_waitcnt lgkmcnt(8)
	global_store_b32 v[0:1], v10, off offset:896
	s_or_b32 exec_lo, exec_lo, s12
	s_and_saveexec_b32 s12, s20
	s_cbranch_execz .LBB151_211
.LBB151_228:                            ;   in Loop: Header=BB151_12 Depth=1
	s_waitcnt lgkmcnt(7)
	global_store_b32 v[0:1], v9, off offset:1024
	s_or_b32 exec_lo, exec_lo, s12
	s_and_saveexec_b32 s12, s21
	s_cbranch_execz .LBB151_212
.LBB151_229:                            ;   in Loop: Header=BB151_12 Depth=1
	s_waitcnt lgkmcnt(6)
	global_store_b32 v[0:1], v8, off offset:1152
	s_or_b32 exec_lo, exec_lo, s12
	s_and_saveexec_b32 s12, s22
	s_cbranch_execz .LBB151_213
.LBB151_230:                            ;   in Loop: Header=BB151_12 Depth=1
	s_waitcnt lgkmcnt(5)
	global_store_b32 v[0:1], v7, off offset:1280
	s_or_b32 exec_lo, exec_lo, s12
	s_and_saveexec_b32 s12, s23
	s_cbranch_execz .LBB151_214
.LBB151_231:                            ;   in Loop: Header=BB151_12 Depth=1
	s_waitcnt lgkmcnt(4)
	global_store_b32 v[0:1], v6, off offset:1408
	s_or_b32 exec_lo, exec_lo, s12
	s_and_saveexec_b32 s12, s24
	s_cbranch_execz .LBB151_215
.LBB151_232:                            ;   in Loop: Header=BB151_12 Depth=1
	s_waitcnt lgkmcnt(3)
	global_store_b32 v[0:1], v5, off offset:1536
	s_or_b32 exec_lo, exec_lo, s12
	s_and_saveexec_b32 s12, s25
	s_cbranch_execz .LBB151_216
.LBB151_233:                            ;   in Loop: Header=BB151_12 Depth=1
	s_waitcnt lgkmcnt(2)
	global_store_b32 v[0:1], v4, off offset:1664
	s_or_b32 exec_lo, exec_lo, s12
	s_and_saveexec_b32 s12, s26
	s_cbranch_execz .LBB151_217
.LBB151_234:                            ;   in Loop: Header=BB151_12 Depth=1
	s_waitcnt lgkmcnt(1)
	global_store_b32 v[0:1], v3, off offset:1792
	s_or_b32 exec_lo, exec_lo, s12
	s_and_saveexec_b32 s12, s27
	s_cbranch_execz .LBB151_11
.LBB151_235:                            ;   in Loop: Header=BB151_12 Depth=1
	s_waitcnt lgkmcnt(0)
	global_store_b32 v[0:1], v2, off offset:1920
	s_branch .LBB151_11
.LBB151_236:
	s_nop 0
	s_sendmsg sendmsg(MSG_DEALLOC_VGPRS)
	s_endpgm
	.section	.rodata,"a",@progbits
	.p2align	6, 0x0
	.amdhsa_kernel _Z25selective_scan_fwd_kernelI32Selective_Scan_fwd_kernel_traitsILi64ELi16ELi1ELb0ELb1ELb1ELb0ELb0EfffEEv13SSMParamsBase
		.amdhsa_group_segment_fixed_size 0
		.amdhsa_private_segment_fixed_size 0
		.amdhsa_kernarg_size 248
		.amdhsa_user_sgpr_count 14
		.amdhsa_user_sgpr_dispatch_ptr 0
		.amdhsa_user_sgpr_queue_ptr 0
		.amdhsa_user_sgpr_kernarg_segment_ptr 1
		.amdhsa_user_sgpr_dispatch_id 0
		.amdhsa_user_sgpr_private_segment_size 0
		.amdhsa_wavefront_size32 1
		.amdhsa_uses_dynamic_stack 0
		.amdhsa_enable_private_segment 0
		.amdhsa_system_sgpr_workgroup_id_x 1
		.amdhsa_system_sgpr_workgroup_id_y 1
		.amdhsa_system_sgpr_workgroup_id_z 0
		.amdhsa_system_sgpr_workgroup_info 0
		.amdhsa_system_vgpr_workitem_id 0
		.amdhsa_next_free_vgpr 181
		.amdhsa_next_free_sgpr 90
		.amdhsa_reserve_vcc 1
		.amdhsa_float_round_mode_32 0
		.amdhsa_float_round_mode_16_64 0
		.amdhsa_float_denorm_mode_32 3
		.amdhsa_float_denorm_mode_16_64 3
		.amdhsa_dx10_clamp 1
		.amdhsa_ieee_mode 1
		.amdhsa_fp16_overflow 0
		.amdhsa_workgroup_processor_mode 1
		.amdhsa_memory_ordered 1
		.amdhsa_forward_progress 0
		.amdhsa_shared_vgpr_count 0
		.amdhsa_exception_fp_ieee_invalid_op 0
		.amdhsa_exception_fp_denorm_src 0
		.amdhsa_exception_fp_ieee_div_zero 0
		.amdhsa_exception_fp_ieee_overflow 0
		.amdhsa_exception_fp_ieee_underflow 0
		.amdhsa_exception_fp_ieee_inexact 0
		.amdhsa_exception_int_div_zero 0
	.end_amdhsa_kernel
	.section	.text._Z25selective_scan_fwd_kernelI32Selective_Scan_fwd_kernel_traitsILi64ELi16ELi1ELb0ELb1ELb1ELb0ELb0EfffEEv13SSMParamsBase,"axG",@progbits,_Z25selective_scan_fwd_kernelI32Selective_Scan_fwd_kernel_traitsILi64ELi16ELi1ELb0ELb1ELb1ELb0ELb0EfffEEv13SSMParamsBase,comdat
.Lfunc_end151:
	.size	_Z25selective_scan_fwd_kernelI32Selective_Scan_fwd_kernel_traitsILi64ELi16ELi1ELb0ELb1ELb1ELb0ELb0EfffEEv13SSMParamsBase, .Lfunc_end151-_Z25selective_scan_fwd_kernelI32Selective_Scan_fwd_kernel_traitsILi64ELi16ELi1ELb0ELb1ELb1ELb0ELb0EfffEEv13SSMParamsBase
                                        ; -- End function
	.section	.AMDGPU.csdata,"",@progbits
; Kernel info:
; codeLenInByte = 20568
; NumSgprs: 92
; NumVgprs: 181
; ScratchSize: 0
; MemoryBound: 0
; FloatMode: 240
; IeeeMode: 1
; LDSByteSize: 0 bytes/workgroup (compile time only)
; SGPRBlocks: 11
; VGPRBlocks: 22
; NumSGPRsForWavesPerEU: 92
; NumVGPRsForWavesPerEU: 181
; Occupancy: 8
; WaveLimiterHint : 0
; COMPUTE_PGM_RSRC2:SCRATCH_EN: 0
; COMPUTE_PGM_RSRC2:USER_SGPR: 14
; COMPUTE_PGM_RSRC2:TRAP_HANDLER: 0
; COMPUTE_PGM_RSRC2:TGID_X_EN: 1
; COMPUTE_PGM_RSRC2:TGID_Y_EN: 1
; COMPUTE_PGM_RSRC2:TGID_Z_EN: 0
; COMPUTE_PGM_RSRC2:TIDIG_COMP_CNT: 0
	.section	.text._Z25selective_scan_fwd_kernelI32Selective_Scan_fwd_kernel_traitsILi128ELi16ELi1ELb1ELb1ELb1ELb1ELb1EfffEEv13SSMParamsBase,"axG",@progbits,_Z25selective_scan_fwd_kernelI32Selective_Scan_fwd_kernel_traitsILi128ELi16ELi1ELb1ELb1ELb1ELb1ELb1EfffEEv13SSMParamsBase,comdat
	.protected	_Z25selective_scan_fwd_kernelI32Selective_Scan_fwd_kernel_traitsILi128ELi16ELi1ELb1ELb1ELb1ELb1ELb1EfffEEv13SSMParamsBase ; -- Begin function _Z25selective_scan_fwd_kernelI32Selective_Scan_fwd_kernel_traitsILi128ELi16ELi1ELb1ELb1ELb1ELb1ELb1EfffEEv13SSMParamsBase
	.globl	_Z25selective_scan_fwd_kernelI32Selective_Scan_fwd_kernel_traitsILi128ELi16ELi1ELb1ELb1ELb1ELb1ELb1EfffEEv13SSMParamsBase
	.p2align	8
	.type	_Z25selective_scan_fwd_kernelI32Selective_Scan_fwd_kernel_traitsILi128ELi16ELi1ELb1ELb1ELb1ELb1ELb1EfffEEv13SSMParamsBase,@function
_Z25selective_scan_fwd_kernelI32Selective_Scan_fwd_kernel_traitsILi128ELi16ELi1ELb1ELb1ELb1ELb1ELb1EfffEEv13SSMParamsBase: ; @_Z25selective_scan_fwd_kernelI32Selective_Scan_fwd_kernel_traitsILi128ELi16ELi1ELb1ELb1ELb1ELb1ELb1EfffEEv13SSMParamsBase
; %bb.0:
	s_clause 0x2
	s_load_b32 s11, s[0:1], 0x18
	s_load_b256 s[36:43], s[0:1], 0xc8
	s_load_b128 s[4:7], s[0:1], 0xe8
	s_mov_b32 s34, s15
	s_ashr_i32 s15, s14, 31
	s_mov_b32 s84, 0
	s_lshl_b64 s[8:9], s[14:15], 2
	s_waitcnt lgkmcnt(0)
	s_abs_i32 s10, s11
	s_add_u32 s2, s42, s8
	v_cvt_f32_u32_e32 v1, s10
	s_addc_u32 s3, s43, s9
	s_cmp_eq_u64 s[6:7], 0
	s_delay_alu instid0(VALU_DEP_1) | instskip(SKIP_2) | instid1(VALU_DEP_1)
	v_rcp_iflag_f32_e32 v1, v1
	s_waitcnt_depctr 0xfff
	v_mul_f32_e32 v1, 0x4f7ffffe, v1
	v_cvt_u32_f32_e32 v1, v1
	s_delay_alu instid0(VALU_DEP_1)
	v_readfirstlane_b32 s12, v1
	s_cbranch_scc1 .LBB152_2
; %bb.1:
	v_mov_b32_e32 v1, 0
	s_add_u32 s6, s6, s14
	s_addc_u32 s7, s7, s15
	global_load_u8 v1, v1, s[6:7]
	s_waitcnt vmcnt(0)
	v_and_b32_e32 v1, 1, v1
	s_delay_alu instid0(VALU_DEP_1)
	v_cmp_eq_u32_e64 s84, 1, v1
.LBB152_2:
	s_load_b64 s[6:7], s[0:1], 0x20
	s_cmp_eq_u64 s[4:5], 0
	s_cbranch_scc1 .LBB152_4
; %bb.3:
	s_add_u32 s4, s4, s8
	s_addc_u32 s5, s5, s9
	s_load_b32 s14, s[4:5], 0x0
	s_waitcnt lgkmcnt(0)
	s_ashr_i32 s15, s14, 31
.LBB152_4:
	s_waitcnt lgkmcnt(0)
	s_cmp_eq_u64 s[6:7], s[14:15]
	s_cbranch_scc1 .LBB152_302
; %bb.5:
	s_load_b512 s[16:31], s[0:1], 0x88
	s_load_b64 s[42:43], s[2:3], 0x0
	s_mov_b32 s85, 0
	s_mov_b32 s86, 0
	s_waitcnt lgkmcnt(0)
	s_cmp_eq_u64 s[22:23], 0
	s_cbranch_scc1 .LBB152_7
; %bb.6:
	s_ashr_i32 s35, s34, 31
	s_delay_alu instid0(SALU_CYCLE_1) | instskip(NEXT) | instid1(SALU_CYCLE_1)
	s_lshl_b64 s[2:3], s[34:35], 2
	s_add_u32 s2, s22, s2
	s_addc_u32 s3, s23, s3
	s_load_b32 s86, s[2:3], 0x0
.LBB152_7:
	s_cmp_eq_u64 s[28:29], 0
	s_cbranch_scc1 .LBB152_9
; %bb.8:
	s_ashr_i32 s35, s34, 31
	s_delay_alu instid0(SALU_CYCLE_1) | instskip(NEXT) | instid1(SALU_CYCLE_1)
	s_lshl_b64 s[2:3], s[34:35], 2
	s_add_u32 s2, s28, s2
	s_addc_u32 s3, s29, s3
	s_load_b32 s85, s[2:3], 0x0
.LBB152_9:
	s_sub_i32 s87, s43, s42
	s_delay_alu instid0(SALU_CYCLE_1)
	s_cmp_lt_i32 s87, 1
	s_cbranch_scc1 .LBB152_302
; %bb.10:
	s_sub_i32 s2, 0, s10
	s_load_b256 s[68:75], s[0:1], 0x4c
	s_mul_i32 s2, s2, s12
	s_abs_i32 s3, s34
	s_mul_hi_u32 s2, s12, s2
	s_ashr_i32 s5, s11, 31
	s_add_i32 s12, s12, s2
	s_ashr_i32 s2, s34, 31
	s_mul_hi_u32 s4, s3, s12
	s_xor_b32 s5, s2, s5
	s_mul_i32 s6, s4, s10
	s_load_b256 s[76:83], s[0:1], 0x2c
	s_sub_i32 s2, s3, s6
	s_add_i32 s3, s4, 1
	s_sub_i32 s6, s2, s10
	s_cmp_ge_u32 s2, s10
	s_mov_b32 s53, 0
	s_cselect_b32 s3, s3, s4
	s_cselect_b32 s2, s6, s2
	s_add_i32 s4, s3, 1
	s_cmp_ge_u32 s2, s10
	s_waitcnt lgkmcnt(0)
	s_mul_i32 s52, s42, s70
	s_cselect_b32 s4, s4, s3
	s_lshl_b64 s[2:3], s[52:53], 2
	s_xor_b32 s4, s4, s5
	s_mul_i32 s52, s71, s34
	s_sub_i32 s6, s4, s5
	s_add_u32 s4, s24, s2
	s_addc_u32 s5, s25, s3
	s_lshl_b64 s[2:3], s[52:53], 2
	s_mul_i32 s52, s42, s72
	s_add_u32 s70, s4, s2
	s_addc_u32 s71, s5, s3
	s_lshl_b64 s[2:3], s[52:53], 2
	s_mul_i32 s52, s73, s34
	;; [unrolled: 4-line block ×3, first 2 shown]
	s_add_u32 s72, s4, s2
	s_addc_u32 s73, s5, s3
	s_load_b64 s[4:5], s[0:1], 0x7c
	s_lshl_b64 s[2:3], s[52:53], 2
	s_mul_i32 s52, s42, s78
	s_add_u32 s76, s16, s2
	v_dual_mov_b32 v1, 0 :: v_dual_lshlrev_b32 v36, 4, v0
	s_addc_u32 s78, s17, s3
	s_lshl_b64 s[2:3], s[52:53], 2
	s_mul_i32 s52, s6, s81
	s_add_u32 s7, s18, s2
	s_addc_u32 s8, s19, s3
	s_clause 0x3
	s_load_b128 s[16:19], s[0:1], 0x6c
	s_load_b32 s83, s[0:1], 0x84
	s_load_b32 s90, s[0:1], 0xc
	;; [unrolled: 1-line block ×3, first 2 shown]
	v_mbcnt_lo_u32_b32 v37, -1, 0
	v_and_b32_e32 v2, 0x600, v36
	s_lshl_b64 s[2:3], s[52:53], 2
	s_mul_i32 s52, s42, s82
	s_add_u32 s79, s7, s2
	s_addc_u32 s81, s8, s3
	s_lshl_b64 s[2:3], s[52:53], 2
	s_mul_i32 s52, s6, s69
	v_or_b32_e32 v38, v37, v2
	s_add_u32 s7, s20, s2
	s_addc_u32 s6, s21, s3
	s_lshl_b64 s[2:3], s[52:53], 2
	s_waitcnt lgkmcnt(0)
	s_mul_i32 s52, s14, s4
	s_add_u32 s69, s7, s2
	s_addc_u32 s82, s6, s3
	s_lshl_b64 s[2:3], s[52:53], 2
	v_or_b32_e32 v39, 32, v38
	v_lshrrev_b32_e32 v3, 5, v2
	v_and_b32_e32 v15, 0x60, v0
	s_mul_i32 s52, s5, s34
	s_add_u32 s4, s36, s2
	s_addc_u32 s5, s37, s3
	s_lshl_b64 s[2:3], s[52:53], 2
	v_or_b32_e32 v40, 64, v38
	s_add_u32 s88, s4, s2
	v_or_b32_e32 v41, 0x60, v38
	v_or_b32_e32 v42, 0x80, v38
	;; [unrolled: 1-line block ×11, first 2 shown]
	v_add_nc_u32_e32 v3, v3, v38
	v_lshrrev_b32_e32 v4, 5, v39
	v_or_b32_e32 v52, 0x1c0, v38
	v_or_b32_e32 v53, 0x1e0, v38
	;; [unrolled: 1-line block ×3, first 2 shown]
	s_addc_u32 s89, s5, s3
	s_add_i32 s2, s87, 0x7ff
	v_lshrrev_b32_e32 v5, 5, v40
	s_lshr_b32 s91, s2, 11
	s_bitcmp1_b32 s0, 0
	v_lshl_add_u32 v54, v3, 2, 0
	v_add_lshl_u32 v3, v4, v38, 2
	v_lshrrev_b32_e32 v4, 5, v41
	v_lshrrev_b32_e32 v6, 5, v42
	;; [unrolled: 1-line block ×13, first 2 shown]
	v_lshlrev_b32_e32 v20, 4, v18
	v_bfe_u32 v18, v18, 1, 27
	s_cselect_b32 s92, -1, 0
	s_cmp_gt_i32 s90, 0
	v_add_lshl_u32 v5, v5, v38, 2
	s_cselect_b32 s93, -1, 0
	s_add_i32 s0, 0, 0x2100
	v_add_nc_u32_e32 v55, 0, v3
	v_add_lshl_u32 v4, v4, v38, 2
	v_add_lshl_u32 v6, v6, v38, 2
	;; [unrolled: 1-line block ×14, first 2 shown]
	v_add_nc_u32_e32 v71, s0, v3
	v_and_b32_e32 v3, 15, v37
	s_and_b32 s1, s87, 0x7ff
	v_add_nc_u32_e32 v72, s0, v5
	v_add_nc_u32_e32 v73, s0, v4
	;; [unrolled: 1-line block ×14, first 2 shown]
	s_cmp_eq_u32 s1, 0
	v_add_nc_u32_e32 v86, s0, v18
	v_cmp_ne_u32_e64 s0, 0, v3
	v_cmp_lt_u32_e64 s1, 1, v3
	v_cmp_lt_u32_e64 s2, 3, v3
	;; [unrolled: 1-line block ×3, first 2 shown]
	v_add_nc_u32_e32 v3, -1, v37
	v_add_nc_u32_e32 v57, 0, v4
	v_lshrrev_b32_e32 v4, 2, v0
	s_mul_i32 s52, s42, s16
	s_cselect_b32 s94, -1, 0
	v_cmp_gt_i32_e32 vcc_lo, 0, v3
	s_lshl_b64 s[12:13], s[52:53], 2
	v_and_b32_e32 v4, 24, v4
	s_add_i32 s95, s91, -1
	s_mul_i32 s52, s17, s34
	v_cndmask_b32_e32 v3, v3, v37, vcc_lo
	s_add_u32 s16, s30, s12
	s_addc_u32 s13, s31, s13
	s_lshl_b64 s[14:15], s[52:53], 2
	v_add_nc_u32_e32 v56, 0, v5
	v_add_nc_u32_e32 v58, 0, v6
	v_and_b32_e32 v5, 16, v37
	v_or_b32_e32 v6, 31, v15
	v_lshlrev_b32_e32 v89, 2, v3
	s_mul_i32 s52, s42, s74
	v_lshlrev_b32_e32 v3, 2, v37
	s_add_u32 s16, s16, s14
	v_add_nc_u32_e32 v87, 0, v4
	v_and_b32_e32 v4, 3, v37
	s_addc_u32 s13, s13, s15
	s_lshl_b64 s[14:15], s[52:53], 2
	s_mul_i32 s52, s75, s34
	s_add_u32 s17, s38, s14
	v_cmp_ne_u32_e64 s4, 0, v5
	v_cmp_eq_u32_e64 s5, v6, v0
	v_cmp_gt_u32_e64 s6, 4, v0
	v_lshl_add_u32 v88, v0, 3, 0
	v_cmp_gt_u32_e64 s9, 32, v0
	v_cmp_lt_u32_e64 s10, 31, v0
	v_cmp_eq_u32_e64 s11, 0, v0
	s_addc_u32 s20, s39, s15
	s_lshl_b64 s[14:15], s[52:53], 2
	v_add_co_u32 v0, s16, s16, v3
	v_lshlrev_b32_e32 v5, 2, v2
	s_mul_i32 s52, s42, s18
	v_cmp_ne_u32_e64 s7, 0, v4
	v_cmp_lt_u32_e64 s8, 1, v4
	v_add_co_ci_u32_e64 v4, null, s13, 0, s16
	s_add_u32 s13, s17, s14
	s_addc_u32 s16, s20, s15
	s_lshl_b64 s[14:15], s[52:53], 2
	s_mul_i32 s52, s19, s34
	s_add_u32 s17, s40, s14
	v_add_co_u32 v0, vcc_lo, v0, v5
	s_addc_u32 s18, s41, s15
	s_lshl_b64 s[14:15], s[52:53], 2
	v_add_co_ci_u32_e32 v90, vcc_lo, 0, v4, vcc_lo
	v_add_co_u32 v4, s13, s13, v3
	s_add_u32 s14, s17, s14
	v_add_co_ci_u32_e64 v6, null, s16, 0, s13
	s_addc_u32 s15, s18, s15
	v_add_co_u32 v3, s13, s14, v3
	v_add_nc_u32_e32 v59, 0, v7
	v_add_co_ci_u32_e64 v7, null, s15, 0, s13
	v_add_co_u32 v91, vcc_lo, v4, v5
	v_add_co_ci_u32_e32 v92, vcc_lo, 0, v6, vcc_lo
	v_add_co_u32 v93, vcc_lo, v3, v5
	v_add_nc_u32_e32 v60, 0, v8
	v_add_nc_u32_e32 v61, 0, v9
	;; [unrolled: 1-line block ×11, first 2 shown]
	v_cmp_eq_u32_e64 s12, 0, v37
	v_add_co_ci_u32_e32 v94, vcc_lo, 0, v7, vcc_lo
	v_or_b32_e32 v95, 1, v36
	v_or_b32_e32 v96, 2, v36
	;; [unrolled: 1-line block ×15, first 2 shown]
	v_lshlrev_b32_e32 v110, 2, v2
	s_mov_b32 s74, 0x3e9b6dac
	s_add_i32 s75, 0, 0x4220
	s_mov_b32 s96, 0
	s_branch .LBB152_12
.LBB152_11:                             ;   in Loop: Header=BB152_12 Depth=1
	s_or_b32 exec_lo, exec_lo, s13
	s_add_u32 s72, s72, 0x2000
	s_addc_u32 s73, s73, 0
	s_add_u32 s70, s70, 0x2000
	s_addc_u32 s71, s71, 0
	;; [unrolled: 2-line block ×4, first 2 shown]
	s_add_i32 s96, s96, 1
	s_delay_alu instid0(SALU_CYCLE_1)
	s_cmp_lg_u32 s96, s91
	s_cbranch_scc0 .LBB152_302
.LBB152_12:                             ; =>This Loop Header: Depth=1
                                        ;     Child Loop BB152_109 Depth 2
	v_lshlrev_b32_e32 v34, 2, v37
	s_lshl_b32 s50, s96, 11
	s_waitcnt lgkmcnt(0)
	v_mov_b32_e32 v4, 0
	s_sub_i32 s41, s87, s50
	v_add_co_u32 v2, s13, s70, v34
	s_delay_alu instid0(VALU_DEP_1) | instskip(SKIP_1) | instid1(VALU_DEP_3)
	v_add_co_ci_u32_e64 v3, null, s71, 0, s13
	v_cmp_gt_u32_e64 s13, s41, v38
	v_add_co_u32 v2, vcc_lo, v2, v110
	s_delay_alu instid0(VALU_DEP_3)
	v_add_co_ci_u32_e32 v3, vcc_lo, 0, v3, vcc_lo
	s_waitcnt_vscnt null, 0x0
	s_barrier
	buffer_gl0_inv
	s_and_saveexec_b32 s14, s13
	s_cbranch_execz .LBB152_14
; %bb.13:                               ;   in Loop: Header=BB152_12 Depth=1
	global_load_b32 v4, v[2:3], off
.LBB152_14:                             ;   in Loop: Header=BB152_12 Depth=1
	s_or_b32 exec_lo, exec_lo, s14
	v_cmp_gt_u32_e64 s14, s41, v39
	v_dual_mov_b32 v5, 0 :: v_dual_mov_b32 v6, 0
	s_delay_alu instid0(VALU_DEP_2)
	s_and_saveexec_b32 s15, s14
	s_cbranch_execz .LBB152_16
; %bb.15:                               ;   in Loop: Header=BB152_12 Depth=1
	global_load_b32 v6, v[2:3], off offset:128
.LBB152_16:                             ;   in Loop: Header=BB152_12 Depth=1
	s_or_b32 exec_lo, exec_lo, s15
	v_cmp_gt_u32_e64 s15, s41, v40
	s_delay_alu instid0(VALU_DEP_1)
	s_and_saveexec_b32 s16, s15
	s_cbranch_execz .LBB152_18
; %bb.17:                               ;   in Loop: Header=BB152_12 Depth=1
	global_load_b32 v5, v[2:3], off offset:256
.LBB152_18:                             ;   in Loop: Header=BB152_12 Depth=1
	s_or_b32 exec_lo, exec_lo, s16
	v_cmp_gt_u32_e64 s16, s41, v41
	v_dual_mov_b32 v7, 0 :: v_dual_mov_b32 v8, 0
	s_delay_alu instid0(VALU_DEP_2)
	s_and_saveexec_b32 s17, s16
	s_cbranch_execz .LBB152_20
; %bb.19:                               ;   in Loop: Header=BB152_12 Depth=1
	global_load_b32 v8, v[2:3], off offset:384
.LBB152_20:                             ;   in Loop: Header=BB152_12 Depth=1
	s_or_b32 exec_lo, exec_lo, s17
	v_cmp_gt_u32_e64 s17, s41, v42
	s_delay_alu instid0(VALU_DEP_1)
	s_and_saveexec_b32 s18, s17
	s_cbranch_execz .LBB152_22
; %bb.21:                               ;   in Loop: Header=BB152_12 Depth=1
	global_load_b32 v7, v[2:3], off offset:512
.LBB152_22:                             ;   in Loop: Header=BB152_12 Depth=1
	;; [unrolled: 17-line block ×7, first 2 shown]
	s_or_b32 exec_lo, exec_lo, s28
	v_cmp_gt_u32_e64 s28, s41, v53
	v_dual_mov_b32 v20, 0 :: v_dual_mov_b32 v19, 0
	s_delay_alu instid0(VALU_DEP_2)
	s_and_saveexec_b32 s29, s28
	s_cbranch_execz .LBB152_44
; %bb.43:                               ;   in Loop: Header=BB152_12 Depth=1
	global_load_b32 v19, v[2:3], off offset:1920
.LBB152_44:                             ;   in Loop: Header=BB152_12 Depth=1
	s_or_b32 exec_lo, exec_lo, s29
	s_waitcnt vmcnt(0)
	ds_store_b32 v54, v4
	ds_store_b32 v55, v6 offset:128
	ds_store_b32 v56, v5 offset:256
	;; [unrolled: 1-line block ×15, first 2 shown]
	; wave barrier
	ds_load_2addr_b32 v[2:3], v70 offset1:1
	ds_load_2addr_b32 v[4:5], v70 offset0:2 offset1:3
	ds_load_2addr_b32 v[6:7], v70 offset0:4 offset1:5
	;; [unrolled: 1-line block ×7, first 2 shown]
	v_add_co_u32 v18, s29, s72, v34
	s_delay_alu instid0(VALU_DEP_1) | instskip(SKIP_1) | instid1(VALU_DEP_2)
	v_add_co_ci_u32_e64 v19, null, s73, 0, s29
	s_waitcnt lgkmcnt(0)
	v_add_co_u32 v18, vcc_lo, v18, v110
	s_delay_alu instid0(VALU_DEP_2)
	v_add_co_ci_u32_e32 v19, vcc_lo, 0, v19, vcc_lo
	s_barrier
	buffer_gl0_inv
	s_and_saveexec_b32 s29, s13
	s_cbranch_execz .LBB152_46
; %bb.45:                               ;   in Loop: Header=BB152_12 Depth=1
	global_load_b32 v20, v[18:19], off
.LBB152_46:                             ;   in Loop: Header=BB152_12 Depth=1
	s_or_b32 exec_lo, exec_lo, s29
	v_dual_mov_b32 v21, 0 :: v_dual_mov_b32 v22, 0
	s_and_saveexec_b32 s29, s14
	s_cbranch_execz .LBB152_48
; %bb.47:                               ;   in Loop: Header=BB152_12 Depth=1
	global_load_b32 v22, v[18:19], off offset:128
.LBB152_48:                             ;   in Loop: Header=BB152_12 Depth=1
	s_or_b32 exec_lo, exec_lo, s29
	s_and_saveexec_b32 s29, s15
	s_cbranch_execz .LBB152_50
; %bb.49:                               ;   in Loop: Header=BB152_12 Depth=1
	global_load_b32 v21, v[18:19], off offset:256
.LBB152_50:                             ;   in Loop: Header=BB152_12 Depth=1
	s_or_b32 exec_lo, exec_lo, s29
	v_dual_mov_b32 v23, 0 :: v_dual_mov_b32 v24, 0
	s_and_saveexec_b32 s29, s16
	s_cbranch_execz .LBB152_52
; %bb.51:                               ;   in Loop: Header=BB152_12 Depth=1
	global_load_b32 v24, v[18:19], off offset:384
.LBB152_52:                             ;   in Loop: Header=BB152_12 Depth=1
	s_or_b32 exec_lo, exec_lo, s29
	s_and_saveexec_b32 s29, s17
	s_cbranch_execz .LBB152_54
; %bb.53:                               ;   in Loop: Header=BB152_12 Depth=1
	global_load_b32 v23, v[18:19], off offset:512
.LBB152_54:                             ;   in Loop: Header=BB152_12 Depth=1
	;; [unrolled: 13-line block ×6, first 2 shown]
	s_or_b32 exec_lo, exec_lo, s29
	v_mov_b32_e32 v33, 0
	v_mov_b32_e32 v35, 0
	s_and_saveexec_b32 s29, s26
	s_cbranch_execnz .LBB152_254
; %bb.71:                               ;   in Loop: Header=BB152_12 Depth=1
	s_or_b32 exec_lo, exec_lo, s29
	s_and_saveexec_b32 s29, s27
	s_cbranch_execnz .LBB152_255
.LBB152_72:                             ;   in Loop: Header=BB152_12 Depth=1
	s_or_b32 exec_lo, exec_lo, s29
	v_mov_b32_e32 v111, 0
	s_and_saveexec_b32 s29, s28
	s_cbranch_execz .LBB152_74
.LBB152_73:                             ;   in Loop: Header=BB152_12 Depth=1
	global_load_b32 v111, v[18:19], off offset:1920
.LBB152_74:                             ;   in Loop: Header=BB152_12 Depth=1
	s_or_b32 exec_lo, exec_lo, s29
	s_waitcnt vmcnt(0)
	ds_store_b32 v54, v20
	ds_store_b32 v55, v22 offset:128
	ds_store_b32 v56, v21 offset:256
	;; [unrolled: 1-line block ×15, first 2 shown]
	; wave barrier
	ds_load_2addr_b32 v[32:33], v70 offset1:1
	ds_load_2addr_b32 v[30:31], v70 offset0:2 offset1:3
	ds_load_2addr_b32 v[28:29], v70 offset0:4 offset1:5
	;; [unrolled: 1-line block ×7, first 2 shown]
	s_waitcnt lgkmcnt(7)
	v_add_f32_e32 v111, s85, v32
	s_delay_alu instid0(VALU_DEP_1) | instskip(SKIP_1) | instid1(SALU_CYCLE_1)
	v_cmp_ge_f32_e32 vcc_lo, 0x41a00000, v111
	s_and_b32 s29, s92, vcc_lo
	s_and_saveexec_b32 s30, s29
	s_cbranch_execz .LBB152_76
; %bb.75:                               ;   in Loop: Header=BB152_12 Depth=1
	v_mul_f32_e32 v32, 0x3fb8aa3b, v111
	v_cmp_ngt_f32_e32 vcc_lo, 0xc2ce8ed0, v111
	s_delay_alu instid0(VALU_DEP_2) | instskip(SKIP_1) | instid1(VALU_DEP_2)
	v_rndne_f32_e32 v35, v32
	v_fma_f32 v112, 0x3fb8aa3b, v111, -v32
	v_sub_f32_e32 v32, v32, v35
	s_delay_alu instid0(VALU_DEP_2) | instskip(SKIP_1) | instid1(VALU_DEP_2)
	v_fmac_f32_e32 v112, 0x32a5705f, v111
	v_cvt_i32_f32_e32 v35, v35
	v_add_f32_e32 v32, v32, v112
	s_delay_alu instid0(VALU_DEP_1) | instskip(SKIP_2) | instid1(VALU_DEP_1)
	v_exp_f32_e32 v32, v32
	s_waitcnt_depctr 0xfff
	v_ldexp_f32 v32, v32, v35
	v_cndmask_b32_e32 v32, 0, v32, vcc_lo
	v_cmp_nlt_f32_e32 vcc_lo, 0x42b17218, v111
	s_delay_alu instid0(VALU_DEP_2) | instskip(NEXT) | instid1(VALU_DEP_1)
	v_cndmask_b32_e32 v32, 0x7f800000, v32, vcc_lo
	v_add_f32_e32 v35, 1.0, v32
	s_delay_alu instid0(VALU_DEP_1) | instskip(NEXT) | instid1(VALU_DEP_1)
	v_cvt_f64_f32_e32 v[111:112], v35
	v_frexp_exp_i32_f64_e32 v111, v[111:112]
	v_frexp_mant_f32_e32 v112, v35
	s_delay_alu instid0(VALU_DEP_1) | instskip(SKIP_1) | instid1(VALU_DEP_1)
	v_cmp_gt_f32_e32 vcc_lo, 0x3f2aaaab, v112
	v_add_f32_e32 v112, -1.0, v35
	v_sub_f32_e32 v114, v112, v35
	v_sub_f32_e32 v112, v32, v112
	s_delay_alu instid0(VALU_DEP_2) | instskip(NEXT) | instid1(VALU_DEP_1)
	v_add_f32_e32 v114, 1.0, v114
	v_add_f32_e32 v112, v112, v114
	v_subrev_co_ci_u32_e32 v111, vcc_lo, 0, v111, vcc_lo
	s_delay_alu instid0(VALU_DEP_1) | instskip(SKIP_1) | instid1(VALU_DEP_2)
	v_sub_nc_u32_e32 v113, 0, v111
	v_cvt_f32_i32_e32 v111, v111
	v_ldexp_f32 v35, v35, v113
	v_ldexp_f32 v112, v112, v113
	s_delay_alu instid0(VALU_DEP_2) | instskip(SKIP_1) | instid1(VALU_DEP_2)
	v_add_f32_e32 v115, 1.0, v35
	v_add_f32_e32 v113, -1.0, v35
	v_add_f32_e32 v114, -1.0, v115
	s_delay_alu instid0(VALU_DEP_2) | instskip(NEXT) | instid1(VALU_DEP_2)
	v_add_f32_e32 v116, 1.0, v113
	v_sub_f32_e32 v114, v35, v114
	s_delay_alu instid0(VALU_DEP_1) | instskip(NEXT) | instid1(VALU_DEP_1)
	v_dual_sub_f32 v35, v35, v116 :: v_dual_add_f32 v114, v112, v114
	v_add_f32_e32 v35, v112, v35
	v_cmp_eq_f32_e32 vcc_lo, 0x7f800000, v32
	v_cmp_gt_f32_e64 s29, 0x33800000, v32
	s_delay_alu instid0(VALU_DEP_3) | instskip(NEXT) | instid1(VALU_DEP_2)
	v_dual_add_f32 v116, v115, v114 :: v_dual_add_f32 v117, v113, v35
	s_or_b32 vcc_lo, s29, vcc_lo
	s_delay_alu instid0(VALU_DEP_1) | instskip(NEXT) | instid1(VALU_DEP_1)
	v_rcp_f32_e32 v112, v116
	v_sub_f32_e32 v113, v113, v117
	v_sub_f32_e32 v115, v115, v116
	s_delay_alu instid0(VALU_DEP_1) | instskip(SKIP_2) | instid1(VALU_DEP_1)
	v_dual_add_f32 v35, v35, v113 :: v_dual_add_f32 v114, v114, v115
	s_waitcnt_depctr 0xfff
	v_mul_f32_e32 v118, v117, v112
	v_mul_f32_e32 v119, v116, v118
	s_delay_alu instid0(VALU_DEP_1) | instskip(NEXT) | instid1(VALU_DEP_1)
	v_fma_f32 v115, v118, v116, -v119
	v_fmac_f32_e32 v115, v118, v114
	s_delay_alu instid0(VALU_DEP_1) | instskip(NEXT) | instid1(VALU_DEP_1)
	v_add_f32_e32 v120, v119, v115
	v_sub_f32_e32 v121, v117, v120
	v_sub_f32_e32 v113, v120, v119
	s_delay_alu instid0(VALU_DEP_2) | instskip(NEXT) | instid1(VALU_DEP_2)
	v_sub_f32_e32 v117, v117, v121
	v_sub_f32_e32 v113, v113, v115
	s_delay_alu instid0(VALU_DEP_2) | instskip(NEXT) | instid1(VALU_DEP_1)
	v_sub_f32_e32 v117, v117, v120
	v_add_f32_e32 v35, v35, v117
	s_delay_alu instid0(VALU_DEP_1) | instskip(NEXT) | instid1(VALU_DEP_1)
	v_add_f32_e32 v35, v113, v35
	v_add_f32_e32 v113, v121, v35
	s_delay_alu instid0(VALU_DEP_1) | instskip(NEXT) | instid1(VALU_DEP_1)
	v_mul_f32_e32 v115, v112, v113
	v_dual_sub_f32 v120, v121, v113 :: v_dual_mul_f32 v117, v116, v115
	s_delay_alu instid0(VALU_DEP_1) | instskip(NEXT) | instid1(VALU_DEP_1)
	v_fma_f32 v116, v115, v116, -v117
	v_fmac_f32_e32 v116, v115, v114
	s_delay_alu instid0(VALU_DEP_3) | instskip(NEXT) | instid1(VALU_DEP_2)
	v_add_f32_e32 v35, v35, v120
	v_add_f32_e32 v114, v117, v116
	s_delay_alu instid0(VALU_DEP_1) | instskip(NEXT) | instid1(VALU_DEP_1)
	v_sub_f32_e32 v119, v113, v114
	v_sub_f32_e32 v113, v113, v119
	s_delay_alu instid0(VALU_DEP_1) | instskip(NEXT) | instid1(VALU_DEP_1)
	v_sub_f32_e32 v113, v113, v114
	v_add_f32_e32 v35, v35, v113
	v_add_f32_e32 v113, v118, v115
	v_sub_f32_e32 v117, v114, v117
	s_delay_alu instid0(VALU_DEP_1) | instskip(NEXT) | instid1(VALU_DEP_1)
	v_sub_f32_e32 v114, v117, v116
	v_dual_add_f32 v35, v114, v35 :: v_dual_sub_f32 v114, v113, v118
	s_delay_alu instid0(VALU_DEP_1) | instskip(NEXT) | instid1(VALU_DEP_1)
	v_add_f32_e32 v35, v119, v35
	v_dual_sub_f32 v114, v115, v114 :: v_dual_mul_f32 v35, v112, v35
	s_delay_alu instid0(VALU_DEP_1) | instskip(NEXT) | instid1(VALU_DEP_1)
	v_add_f32_e32 v35, v114, v35
	v_add_f32_e32 v112, v113, v35
	s_delay_alu instid0(VALU_DEP_1) | instskip(NEXT) | instid1(VALU_DEP_1)
	v_mul_f32_e32 v114, v112, v112
	v_fmaak_f32 v115, s74, v114, 0x3ecc95a3
	v_mul_f32_e32 v116, v112, v114
	s_delay_alu instid0(VALU_DEP_2) | instskip(SKIP_2) | instid1(VALU_DEP_3)
	v_fmaak_f32 v114, v114, v115, 0x3f2aaada
	v_ldexp_f32 v115, v112, 1
	v_sub_f32_e32 v112, v112, v113
	v_mul_f32_e32 v114, v116, v114
	s_delay_alu instid0(VALU_DEP_1) | instskip(NEXT) | instid1(VALU_DEP_1)
	v_dual_mul_f32 v116, 0x3f317218, v111 :: v_dual_add_f32 v113, v115, v114
	v_dual_sub_f32 v35, v35, v112 :: v_dual_sub_f32 v112, v113, v115
	s_delay_alu instid0(VALU_DEP_1) | instskip(NEXT) | instid1(VALU_DEP_3)
	v_ldexp_f32 v35, v35, 1
	v_fma_f32 v115, 0x3f317218, v111, -v116
	s_delay_alu instid0(VALU_DEP_3) | instskip(NEXT) | instid1(VALU_DEP_1)
	v_sub_f32_e32 v112, v114, v112
	v_add_f32_e32 v35, v35, v112
	s_delay_alu instid0(VALU_DEP_1) | instskip(NEXT) | instid1(VALU_DEP_4)
	v_add_f32_e32 v112, v113, v35
	v_fmac_f32_e32 v115, 0xb102e308, v111
	s_delay_alu instid0(VALU_DEP_1) | instskip(NEXT) | instid1(VALU_DEP_1)
	v_add_f32_e32 v111, v116, v115
	v_add_f32_e32 v114, v111, v112
	v_dual_sub_f32 v116, v111, v116 :: v_dual_sub_f32 v113, v112, v113
	s_delay_alu instid0(VALU_DEP_2) | instskip(NEXT) | instid1(VALU_DEP_1)
	v_sub_f32_e32 v117, v114, v111
	v_dual_sub_f32 v115, v115, v116 :: v_dual_sub_f32 v112, v112, v117
	v_sub_f32_e32 v118, v114, v117
	s_delay_alu instid0(VALU_DEP_4) | instskip(NEXT) | instid1(VALU_DEP_2)
	v_sub_f32_e32 v35, v35, v113
	v_sub_f32_e32 v111, v111, v118
	s_delay_alu instid0(VALU_DEP_2) | instskip(NEXT) | instid1(VALU_DEP_2)
	v_add_f32_e32 v113, v115, v35
	v_add_f32_e32 v111, v112, v111
	s_delay_alu instid0(VALU_DEP_2) | instskip(NEXT) | instid1(VALU_DEP_2)
	v_sub_f32_e32 v112, v113, v115
	v_add_f32_e32 v111, v113, v111
	s_delay_alu instid0(VALU_DEP_2) | instskip(NEXT) | instid1(VALU_DEP_2)
	v_sub_f32_e32 v113, v113, v112
	v_dual_sub_f32 v35, v35, v112 :: v_dual_add_f32 v116, v114, v111
	s_delay_alu instid0(VALU_DEP_1) | instskip(NEXT) | instid1(VALU_DEP_1)
	v_dual_sub_f32 v113, v115, v113 :: v_dual_sub_f32 v112, v116, v114
	v_add_f32_e32 v35, v35, v113
	s_delay_alu instid0(VALU_DEP_2) | instskip(NEXT) | instid1(VALU_DEP_1)
	v_sub_f32_e32 v111, v111, v112
	v_add_f32_e32 v35, v35, v111
	s_delay_alu instid0(VALU_DEP_1) | instskip(NEXT) | instid1(VALU_DEP_1)
	v_add_f32_e32 v35, v116, v35
	v_cndmask_b32_e32 v111, v35, v32, vcc_lo
.LBB152_76:                             ;   in Loop: Header=BB152_12 Depth=1
	s_or_b32 exec_lo, exec_lo, s30
	v_add_f32_e32 v112, s85, v33
	s_delay_alu instid0(VALU_DEP_1) | instskip(SKIP_1) | instid1(SALU_CYCLE_1)
	v_cmp_ge_f32_e32 vcc_lo, 0x41a00000, v112
	s_and_b32 s29, s92, vcc_lo
	s_and_saveexec_b32 s30, s29
	s_cbranch_execz .LBB152_78
; %bb.77:                               ;   in Loop: Header=BB152_12 Depth=1
	v_mul_f32_e32 v32, 0x3fb8aa3b, v112
	v_cmp_ngt_f32_e32 vcc_lo, 0xc2ce8ed0, v112
	s_delay_alu instid0(VALU_DEP_2) | instskip(SKIP_1) | instid1(VALU_DEP_1)
	v_rndne_f32_e32 v33, v32
	v_fma_f32 v35, 0x3fb8aa3b, v112, -v32
	v_dual_sub_f32 v32, v32, v33 :: v_dual_fmac_f32 v35, 0x32a5705f, v112
	v_cvt_i32_f32_e32 v33, v33
	s_delay_alu instid0(VALU_DEP_2) | instskip(NEXT) | instid1(VALU_DEP_1)
	v_add_f32_e32 v32, v32, v35
	v_exp_f32_e32 v32, v32
	s_waitcnt_depctr 0xfff
	v_ldexp_f32 v32, v32, v33
	s_delay_alu instid0(VALU_DEP_1) | instskip(SKIP_1) | instid1(VALU_DEP_2)
	v_cndmask_b32_e32 v32, 0, v32, vcc_lo
	v_cmp_nlt_f32_e32 vcc_lo, 0x42b17218, v112
	v_cndmask_b32_e32 v35, 0x7f800000, v32, vcc_lo
	s_delay_alu instid0(VALU_DEP_1) | instskip(NEXT) | instid1(VALU_DEP_1)
	v_add_f32_e32 v112, 1.0, v35
	v_cvt_f64_f32_e32 v[32:33], v112
	s_delay_alu instid0(VALU_DEP_1) | instskip(SKIP_1) | instid1(VALU_DEP_1)
	v_frexp_exp_i32_f64_e32 v32, v[32:33]
	v_frexp_mant_f32_e32 v33, v112
	v_cmp_gt_f32_e32 vcc_lo, 0x3f2aaaab, v33
	v_add_f32_e32 v33, -1.0, v112
	s_delay_alu instid0(VALU_DEP_1) | instskip(NEXT) | instid1(VALU_DEP_1)
	v_sub_f32_e32 v114, v33, v112
	v_dual_add_f32 v114, 1.0, v114 :: v_dual_sub_f32 v33, v35, v33
	v_cmp_gt_f32_e64 s29, 0x33800000, v35
	s_delay_alu instid0(VALU_DEP_2) | instskip(SKIP_2) | instid1(VALU_DEP_2)
	v_add_f32_e32 v33, v33, v114
	v_subrev_co_ci_u32_e32 v32, vcc_lo, 0, v32, vcc_lo
	v_cmp_eq_f32_e32 vcc_lo, 0x7f800000, v35
	v_sub_nc_u32_e32 v113, 0, v32
	v_cvt_f32_i32_e32 v32, v32
	s_or_b32 vcc_lo, s29, vcc_lo
	s_delay_alu instid0(VALU_DEP_2) | instskip(SKIP_1) | instid1(VALU_DEP_2)
	v_ldexp_f32 v112, v112, v113
	v_ldexp_f32 v33, v33, v113
	v_add_f32_e32 v115, 1.0, v112
	s_delay_alu instid0(VALU_DEP_1) | instskip(NEXT) | instid1(VALU_DEP_1)
	v_dual_add_f32 v113, -1.0, v112 :: v_dual_add_f32 v114, -1.0, v115
	v_add_f32_e32 v116, 1.0, v113
	s_delay_alu instid0(VALU_DEP_2) | instskip(NEXT) | instid1(VALU_DEP_2)
	v_sub_f32_e32 v114, v112, v114
	v_sub_f32_e32 v112, v112, v116
	s_delay_alu instid0(VALU_DEP_2) | instskip(NEXT) | instid1(VALU_DEP_2)
	v_add_f32_e32 v114, v33, v114
	v_add_f32_e32 v33, v33, v112
	s_delay_alu instid0(VALU_DEP_1) | instskip(NEXT) | instid1(VALU_DEP_1)
	v_dual_add_f32 v117, v113, v33 :: v_dual_add_f32 v116, v115, v114
	v_sub_f32_e32 v113, v113, v117
	s_delay_alu instid0(VALU_DEP_2) | instskip(SKIP_1) | instid1(VALU_DEP_1)
	v_rcp_f32_e32 v112, v116
	v_sub_f32_e32 v115, v115, v116
	v_dual_add_f32 v114, v114, v115 :: v_dual_add_f32 v33, v33, v113
	s_waitcnt_depctr 0xfff
	v_mul_f32_e32 v118, v117, v112
	s_delay_alu instid0(VALU_DEP_1) | instskip(NEXT) | instid1(VALU_DEP_1)
	v_mul_f32_e32 v119, v116, v118
	v_fma_f32 v115, v118, v116, -v119
	s_delay_alu instid0(VALU_DEP_1) | instskip(NEXT) | instid1(VALU_DEP_1)
	v_fmac_f32_e32 v115, v118, v114
	v_add_f32_e32 v120, v119, v115
	s_delay_alu instid0(VALU_DEP_1) | instskip(NEXT) | instid1(VALU_DEP_1)
	v_sub_f32_e32 v121, v117, v120
	v_sub_f32_e32 v117, v117, v121
	;; [unrolled: 1-line block ×3, first 2 shown]
	s_delay_alu instid0(VALU_DEP_2) | instskip(NEXT) | instid1(VALU_DEP_2)
	v_sub_f32_e32 v117, v117, v120
	v_sub_f32_e32 v113, v113, v115
	s_delay_alu instid0(VALU_DEP_2) | instskip(NEXT) | instid1(VALU_DEP_1)
	v_add_f32_e32 v33, v33, v117
	v_add_f32_e32 v33, v113, v33
	s_delay_alu instid0(VALU_DEP_1) | instskip(NEXT) | instid1(VALU_DEP_1)
	v_add_f32_e32 v113, v121, v33
	v_mul_f32_e32 v115, v112, v113
	s_delay_alu instid0(VALU_DEP_1) | instskip(NEXT) | instid1(VALU_DEP_1)
	v_dual_sub_f32 v120, v121, v113 :: v_dual_mul_f32 v117, v116, v115
	v_add_f32_e32 v33, v33, v120
	s_delay_alu instid0(VALU_DEP_2) | instskip(NEXT) | instid1(VALU_DEP_1)
	v_fma_f32 v116, v115, v116, -v117
	v_fmac_f32_e32 v116, v115, v114
	s_delay_alu instid0(VALU_DEP_1) | instskip(NEXT) | instid1(VALU_DEP_1)
	v_add_f32_e32 v114, v117, v116
	v_sub_f32_e32 v119, v113, v114
	s_delay_alu instid0(VALU_DEP_1) | instskip(NEXT) | instid1(VALU_DEP_1)
	v_sub_f32_e32 v113, v113, v119
	v_sub_f32_e32 v113, v113, v114
	s_delay_alu instid0(VALU_DEP_1) | instskip(SKIP_2) | instid1(VALU_DEP_1)
	v_add_f32_e32 v33, v33, v113
	v_add_f32_e32 v113, v118, v115
	v_sub_f32_e32 v117, v114, v117
	v_sub_f32_e32 v114, v117, v116
	s_delay_alu instid0(VALU_DEP_1) | instskip(NEXT) | instid1(VALU_DEP_1)
	v_dual_add_f32 v33, v114, v33 :: v_dual_sub_f32 v114, v113, v118
	v_add_f32_e32 v33, v119, v33
	s_delay_alu instid0(VALU_DEP_1) | instskip(NEXT) | instid1(VALU_DEP_1)
	v_dual_sub_f32 v114, v115, v114 :: v_dual_mul_f32 v33, v112, v33
	v_add_f32_e32 v33, v114, v33
	s_delay_alu instid0(VALU_DEP_1) | instskip(NEXT) | instid1(VALU_DEP_1)
	v_add_f32_e32 v112, v113, v33
	v_mul_f32_e32 v114, v112, v112
	s_delay_alu instid0(VALU_DEP_1) | instskip(SKIP_1) | instid1(VALU_DEP_2)
	v_fmaak_f32 v115, s74, v114, 0x3ecc95a3
	v_mul_f32_e32 v116, v112, v114
	v_fmaak_f32 v114, v114, v115, 0x3f2aaada
	v_ldexp_f32 v115, v112, 1
	v_sub_f32_e32 v112, v112, v113
	s_delay_alu instid0(VALU_DEP_3) | instskip(SKIP_1) | instid1(VALU_DEP_3)
	v_mul_f32_e32 v114, v116, v114
	v_mul_f32_e32 v116, 0x3f317218, v32
	v_sub_f32_e32 v33, v33, v112
	s_delay_alu instid0(VALU_DEP_3) | instskip(NEXT) | instid1(VALU_DEP_2)
	v_add_f32_e32 v113, v115, v114
	v_ldexp_f32 v33, v33, 1
	s_delay_alu instid0(VALU_DEP_2) | instskip(SKIP_1) | instid1(VALU_DEP_2)
	v_sub_f32_e32 v112, v113, v115
	v_fma_f32 v115, 0x3f317218, v32, -v116
	v_sub_f32_e32 v112, v114, v112
	s_delay_alu instid0(VALU_DEP_2) | instskip(NEXT) | instid1(VALU_DEP_1)
	v_fmac_f32_e32 v115, 0xb102e308, v32
	v_dual_add_f32 v32, v33, v112 :: v_dual_add_f32 v33, v116, v115
	s_delay_alu instid0(VALU_DEP_1) | instskip(NEXT) | instid1(VALU_DEP_2)
	v_add_f32_e32 v112, v113, v32
	v_sub_f32_e32 v116, v33, v116
	s_delay_alu instid0(VALU_DEP_2) | instskip(NEXT) | instid1(VALU_DEP_1)
	v_dual_add_f32 v114, v33, v112 :: v_dual_sub_f32 v113, v112, v113
	v_sub_f32_e32 v117, v114, v33
	s_delay_alu instid0(VALU_DEP_2) | instskip(NEXT) | instid1(VALU_DEP_2)
	v_sub_f32_e32 v32, v32, v113
	v_sub_f32_e32 v118, v114, v117
	v_dual_sub_f32 v112, v112, v117 :: v_dual_sub_f32 v115, v115, v116
	s_delay_alu instid0(VALU_DEP_2) | instskip(NEXT) | instid1(VALU_DEP_2)
	v_sub_f32_e32 v33, v33, v118
	v_add_f32_e32 v113, v115, v32
	s_delay_alu instid0(VALU_DEP_2) | instskip(NEXT) | instid1(VALU_DEP_1)
	v_add_f32_e32 v33, v112, v33
	v_add_f32_e32 v33, v113, v33
	s_delay_alu instid0(VALU_DEP_1) | instskip(SKIP_1) | instid1(VALU_DEP_1)
	v_add_f32_e32 v116, v114, v33
	v_sub_f32_e32 v112, v113, v115
	v_sub_f32_e32 v113, v113, v112
	;; [unrolled: 1-line block ×3, first 2 shown]
	s_delay_alu instid0(VALU_DEP_2) | instskip(NEXT) | instid1(VALU_DEP_1)
	v_dual_sub_f32 v112, v116, v114 :: v_dual_sub_f32 v113, v115, v113
	v_dual_sub_f32 v33, v33, v112 :: v_dual_add_f32 v32, v32, v113
	s_delay_alu instid0(VALU_DEP_1) | instskip(NEXT) | instid1(VALU_DEP_1)
	v_add_f32_e32 v32, v32, v33
	v_add_f32_e32 v32, v116, v32
	s_delay_alu instid0(VALU_DEP_1)
	v_cndmask_b32_e32 v112, v32, v35, vcc_lo
.LBB152_78:                             ;   in Loop: Header=BB152_12 Depth=1
	s_or_b32 exec_lo, exec_lo, s30
	s_waitcnt lgkmcnt(6)
	v_add_f32_e32 v113, s85, v30
	s_delay_alu instid0(VALU_DEP_1) | instskip(SKIP_1) | instid1(SALU_CYCLE_1)
	v_cmp_ge_f32_e32 vcc_lo, 0x41a00000, v113
	s_and_b32 s29, s92, vcc_lo
	s_and_saveexec_b32 s30, s29
	s_cbranch_execz .LBB152_80
; %bb.79:                               ;   in Loop: Header=BB152_12 Depth=1
	v_mul_f32_e32 v30, 0x3fb8aa3b, v113
	v_cmp_ngt_f32_e32 vcc_lo, 0xc2ce8ed0, v113
	s_delay_alu instid0(VALU_DEP_2) | instskip(SKIP_1) | instid1(VALU_DEP_1)
	v_rndne_f32_e32 v32, v30
	v_fma_f32 v33, 0x3fb8aa3b, v113, -v30
	v_dual_sub_f32 v30, v30, v32 :: v_dual_fmac_f32 v33, 0x32a5705f, v113
	v_cvt_i32_f32_e32 v32, v32
	s_delay_alu instid0(VALU_DEP_2) | instskip(NEXT) | instid1(VALU_DEP_1)
	v_add_f32_e32 v30, v30, v33
	v_exp_f32_e32 v30, v30
	s_waitcnt_depctr 0xfff
	v_ldexp_f32 v30, v30, v32
	s_delay_alu instid0(VALU_DEP_1) | instskip(SKIP_1) | instid1(VALU_DEP_2)
	v_cndmask_b32_e32 v30, 0, v30, vcc_lo
	v_cmp_nlt_f32_e32 vcc_lo, 0x42b17218, v113
	v_cndmask_b32_e32 v30, 0x7f800000, v30, vcc_lo
	s_delay_alu instid0(VALU_DEP_1) | instskip(NEXT) | instid1(VALU_DEP_1)
	v_add_f32_e32 v35, 1.0, v30
	v_cvt_f64_f32_e32 v[32:33], v35
	s_delay_alu instid0(VALU_DEP_1) | instskip(SKIP_1) | instid1(VALU_DEP_1)
	v_frexp_exp_i32_f64_e32 v32, v[32:33]
	v_frexp_mant_f32_e32 v33, v35
	v_cmp_gt_f32_e32 vcc_lo, 0x3f2aaaab, v33
	v_add_f32_e32 v33, -1.0, v35
	s_delay_alu instid0(VALU_DEP_1) | instskip(NEXT) | instid1(VALU_DEP_1)
	v_dual_sub_f32 v114, v33, v35 :: v_dual_sub_f32 v33, v30, v33
	v_add_f32_e32 v114, 1.0, v114
	s_delay_alu instid0(VALU_DEP_1) | instskip(SKIP_1) | instid1(VALU_DEP_1)
	v_add_f32_e32 v33, v33, v114
	v_subrev_co_ci_u32_e32 v32, vcc_lo, 0, v32, vcc_lo
	v_sub_nc_u32_e32 v113, 0, v32
	v_cvt_f32_i32_e32 v32, v32
	s_delay_alu instid0(VALU_DEP_2) | instskip(SKIP_1) | instid1(VALU_DEP_2)
	v_ldexp_f32 v35, v35, v113
	v_ldexp_f32 v33, v33, v113
	v_add_f32_e32 v115, 1.0, v35
	v_add_f32_e32 v113, -1.0, v35
	s_delay_alu instid0(VALU_DEP_2) | instskip(NEXT) | instid1(VALU_DEP_2)
	v_add_f32_e32 v114, -1.0, v115
	v_add_f32_e32 v116, 1.0, v113
	s_delay_alu instid0(VALU_DEP_2) | instskip(NEXT) | instid1(VALU_DEP_2)
	v_sub_f32_e32 v114, v35, v114
	v_sub_f32_e32 v35, v35, v116
	v_cmp_eq_f32_e32 vcc_lo, 0x7f800000, v30
	v_cmp_gt_f32_e64 s29, 0x33800000, v30
	s_delay_alu instid0(VALU_DEP_4) | instskip(NEXT) | instid1(VALU_DEP_4)
	v_add_f32_e32 v114, v33, v114
	v_add_f32_e32 v33, v33, v35
	s_delay_alu instid0(VALU_DEP_3) | instskip(NEXT) | instid1(VALU_DEP_1)
	s_or_b32 vcc_lo, s29, vcc_lo
	v_dual_add_f32 v117, v113, v33 :: v_dual_add_f32 v116, v115, v114
	s_delay_alu instid0(VALU_DEP_1) | instskip(NEXT) | instid1(VALU_DEP_2)
	v_sub_f32_e32 v113, v113, v117
	v_rcp_f32_e32 v35, v116
	v_sub_f32_e32 v115, v115, v116
	s_delay_alu instid0(VALU_DEP_1) | instskip(SKIP_2) | instid1(VALU_DEP_1)
	v_dual_add_f32 v33, v33, v113 :: v_dual_add_f32 v114, v114, v115
	s_waitcnt_depctr 0xfff
	v_mul_f32_e32 v118, v117, v35
	v_mul_f32_e32 v119, v116, v118
	s_delay_alu instid0(VALU_DEP_1) | instskip(NEXT) | instid1(VALU_DEP_1)
	v_fma_f32 v115, v118, v116, -v119
	v_fmac_f32_e32 v115, v118, v114
	s_delay_alu instid0(VALU_DEP_1) | instskip(NEXT) | instid1(VALU_DEP_1)
	v_add_f32_e32 v120, v119, v115
	v_sub_f32_e32 v121, v117, v120
	v_sub_f32_e32 v113, v120, v119
	s_delay_alu instid0(VALU_DEP_2) | instskip(NEXT) | instid1(VALU_DEP_2)
	v_sub_f32_e32 v117, v117, v121
	v_sub_f32_e32 v113, v113, v115
	s_delay_alu instid0(VALU_DEP_2) | instskip(NEXT) | instid1(VALU_DEP_1)
	v_sub_f32_e32 v117, v117, v120
	v_add_f32_e32 v33, v33, v117
	s_delay_alu instid0(VALU_DEP_1) | instskip(NEXT) | instid1(VALU_DEP_1)
	v_add_f32_e32 v33, v113, v33
	v_add_f32_e32 v113, v121, v33
	s_delay_alu instid0(VALU_DEP_1) | instskip(NEXT) | instid1(VALU_DEP_1)
	v_mul_f32_e32 v115, v35, v113
	v_dual_sub_f32 v120, v121, v113 :: v_dual_mul_f32 v117, v116, v115
	s_delay_alu instid0(VALU_DEP_1) | instskip(NEXT) | instid1(VALU_DEP_2)
	v_add_f32_e32 v33, v33, v120
	v_fma_f32 v116, v115, v116, -v117
	s_delay_alu instid0(VALU_DEP_1) | instskip(NEXT) | instid1(VALU_DEP_1)
	v_fmac_f32_e32 v116, v115, v114
	v_add_f32_e32 v114, v117, v116
	s_delay_alu instid0(VALU_DEP_1) | instskip(NEXT) | instid1(VALU_DEP_1)
	v_sub_f32_e32 v119, v113, v114
	v_sub_f32_e32 v113, v113, v119
	s_delay_alu instid0(VALU_DEP_1) | instskip(NEXT) | instid1(VALU_DEP_1)
	v_sub_f32_e32 v113, v113, v114
	v_add_f32_e32 v33, v33, v113
	v_add_f32_e32 v113, v118, v115
	v_sub_f32_e32 v117, v114, v117
	s_delay_alu instid0(VALU_DEP_1) | instskip(NEXT) | instid1(VALU_DEP_1)
	v_sub_f32_e32 v114, v117, v116
	v_dual_add_f32 v33, v114, v33 :: v_dual_sub_f32 v114, v113, v118
	s_delay_alu instid0(VALU_DEP_1) | instskip(NEXT) | instid1(VALU_DEP_2)
	v_add_f32_e32 v33, v119, v33
	v_sub_f32_e32 v114, v115, v114
	s_delay_alu instid0(VALU_DEP_2) | instskip(NEXT) | instid1(VALU_DEP_1)
	v_mul_f32_e32 v33, v35, v33
	v_add_f32_e32 v33, v114, v33
	s_delay_alu instid0(VALU_DEP_1) | instskip(NEXT) | instid1(VALU_DEP_1)
	v_add_f32_e32 v35, v113, v33
	v_mul_f32_e32 v114, v35, v35
	s_delay_alu instid0(VALU_DEP_1) | instskip(SKIP_1) | instid1(VALU_DEP_2)
	v_fmaak_f32 v115, s74, v114, 0x3ecc95a3
	v_mul_f32_e32 v116, v35, v114
	v_fmaak_f32 v114, v114, v115, 0x3f2aaada
	v_ldexp_f32 v115, v35, 1
	s_delay_alu instid0(VALU_DEP_2) | instskip(NEXT) | instid1(VALU_DEP_1)
	v_dual_sub_f32 v35, v35, v113 :: v_dual_mul_f32 v114, v116, v114
	v_dual_mul_f32 v116, 0x3f317218, v32 :: v_dual_sub_f32 v33, v33, v35
	s_delay_alu instid0(VALU_DEP_2) | instskip(NEXT) | instid1(VALU_DEP_2)
	v_add_f32_e32 v113, v115, v114
	v_ldexp_f32 v33, v33, 1
	s_delay_alu instid0(VALU_DEP_2) | instskip(NEXT) | instid1(VALU_DEP_4)
	v_sub_f32_e32 v35, v113, v115
	v_fma_f32 v115, 0x3f317218, v32, -v116
	s_delay_alu instid0(VALU_DEP_2) | instskip(NEXT) | instid1(VALU_DEP_1)
	v_sub_f32_e32 v35, v114, v35
	v_dual_fmac_f32 v115, 0xb102e308, v32 :: v_dual_add_f32 v32, v33, v35
	s_delay_alu instid0(VALU_DEP_1) | instskip(NEXT) | instid1(VALU_DEP_2)
	v_add_f32_e32 v33, v116, v115
	v_add_f32_e32 v35, v113, v32
	s_delay_alu instid0(VALU_DEP_2) | instskip(NEXT) | instid1(VALU_DEP_2)
	v_sub_f32_e32 v116, v33, v116
	v_dual_add_f32 v114, v33, v35 :: v_dual_sub_f32 v113, v35, v113
	s_delay_alu instid0(VALU_DEP_2) | instskip(NEXT) | instid1(VALU_DEP_2)
	v_sub_f32_e32 v115, v115, v116
	v_sub_f32_e32 v117, v114, v33
	s_delay_alu instid0(VALU_DEP_3) | instskip(NEXT) | instid1(VALU_DEP_2)
	v_sub_f32_e32 v32, v32, v113
	v_sub_f32_e32 v118, v114, v117
	;; [unrolled: 1-line block ×3, first 2 shown]
	s_delay_alu instid0(VALU_DEP_3) | instskip(NEXT) | instid1(VALU_DEP_3)
	v_add_f32_e32 v113, v115, v32
	v_sub_f32_e32 v33, v33, v118
	s_delay_alu instid0(VALU_DEP_1) | instskip(NEXT) | instid1(VALU_DEP_3)
	v_add_f32_e32 v33, v35, v33
	v_sub_f32_e32 v35, v113, v115
	s_delay_alu instid0(VALU_DEP_2) | instskip(NEXT) | instid1(VALU_DEP_2)
	v_add_f32_e32 v33, v113, v33
	v_sub_f32_e32 v113, v113, v35
	v_sub_f32_e32 v32, v32, v35
	s_delay_alu instid0(VALU_DEP_3) | instskip(NEXT) | instid1(VALU_DEP_3)
	v_add_f32_e32 v116, v114, v33
	v_sub_f32_e32 v113, v115, v113
	s_delay_alu instid0(VALU_DEP_2) | instskip(NEXT) | instid1(VALU_DEP_1)
	v_sub_f32_e32 v35, v116, v114
	v_dual_add_f32 v32, v32, v113 :: v_dual_sub_f32 v33, v33, v35
	s_delay_alu instid0(VALU_DEP_1) | instskip(NEXT) | instid1(VALU_DEP_1)
	v_add_f32_e32 v32, v32, v33
	v_add_f32_e32 v32, v116, v32
	s_delay_alu instid0(VALU_DEP_1)
	v_cndmask_b32_e32 v113, v32, v30, vcc_lo
.LBB152_80:                             ;   in Loop: Header=BB152_12 Depth=1
	s_or_b32 exec_lo, exec_lo, s30
	v_add_f32_e32 v114, s85, v31
	s_delay_alu instid0(VALU_DEP_1) | instskip(SKIP_1) | instid1(SALU_CYCLE_1)
	v_cmp_ge_f32_e32 vcc_lo, 0x41a00000, v114
	s_and_b32 s29, s92, vcc_lo
	s_and_saveexec_b32 s30, s29
	s_cbranch_execz .LBB152_82
; %bb.81:                               ;   in Loop: Header=BB152_12 Depth=1
	v_mul_f32_e32 v30, 0x3fb8aa3b, v114
	v_cmp_ngt_f32_e32 vcc_lo, 0xc2ce8ed0, v114
	s_delay_alu instid0(VALU_DEP_2) | instskip(SKIP_1) | instid1(VALU_DEP_2)
	v_rndne_f32_e32 v31, v30
	v_fma_f32 v32, 0x3fb8aa3b, v114, -v30
	v_sub_f32_e32 v30, v30, v31
	s_delay_alu instid0(VALU_DEP_2) | instskip(SKIP_1) | instid1(VALU_DEP_2)
	v_fmac_f32_e32 v32, 0x32a5705f, v114
	v_cvt_i32_f32_e32 v31, v31
	v_add_f32_e32 v30, v30, v32
	s_delay_alu instid0(VALU_DEP_1) | instskip(SKIP_2) | instid1(VALU_DEP_1)
	v_exp_f32_e32 v30, v30
	s_waitcnt_depctr 0xfff
	v_ldexp_f32 v30, v30, v31
	v_cndmask_b32_e32 v30, 0, v30, vcc_lo
	v_cmp_nlt_f32_e32 vcc_lo, 0x42b17218, v114
	s_delay_alu instid0(VALU_DEP_2) | instskip(NEXT) | instid1(VALU_DEP_1)
	v_cndmask_b32_e32 v32, 0x7f800000, v30, vcc_lo
	v_add_f32_e32 v33, 1.0, v32
	s_delay_alu instid0(VALU_DEP_1) | instskip(NEXT) | instid1(VALU_DEP_1)
	v_cvt_f64_f32_e32 v[30:31], v33
	v_frexp_exp_i32_f64_e32 v30, v[30:31]
	v_frexp_mant_f32_e32 v31, v33
	s_delay_alu instid0(VALU_DEP_1) | instskip(SKIP_1) | instid1(VALU_DEP_1)
	v_cmp_gt_f32_e32 vcc_lo, 0x3f2aaaab, v31
	v_add_f32_e32 v31, -1.0, v33
	v_dual_sub_f32 v114, v31, v33 :: v_dual_sub_f32 v31, v32, v31
	s_delay_alu instid0(VALU_DEP_1) | instskip(SKIP_1) | instid1(VALU_DEP_1)
	v_add_f32_e32 v114, 1.0, v114
	v_subrev_co_ci_u32_e32 v30, vcc_lo, 0, v30, vcc_lo
	v_sub_nc_u32_e32 v35, 0, v30
	v_cvt_f32_i32_e32 v30, v30
	s_delay_alu instid0(VALU_DEP_2) | instskip(NEXT) | instid1(VALU_DEP_1)
	v_ldexp_f32 v33, v33, v35
	v_add_f32_e32 v115, 1.0, v33
	s_delay_alu instid0(VALU_DEP_1) | instskip(NEXT) | instid1(VALU_DEP_1)
	v_dual_add_f32 v31, v31, v114 :: v_dual_add_f32 v114, -1.0, v115
	v_ldexp_f32 v31, v31, v35
	s_delay_alu instid0(VALU_DEP_2) | instskip(NEXT) | instid1(VALU_DEP_1)
	v_dual_add_f32 v35, -1.0, v33 :: v_dual_sub_f32 v114, v33, v114
	v_add_f32_e32 v116, 1.0, v35
	s_delay_alu instid0(VALU_DEP_1) | instskip(SKIP_2) | instid1(VALU_DEP_3)
	v_dual_add_f32 v114, v31, v114 :: v_dual_sub_f32 v33, v33, v116
	v_cmp_eq_f32_e32 vcc_lo, 0x7f800000, v32
	v_cmp_gt_f32_e64 s29, 0x33800000, v32
	v_add_f32_e32 v31, v31, v33
	s_delay_alu instid0(VALU_DEP_2) | instskip(NEXT) | instid1(VALU_DEP_1)
	s_or_b32 vcc_lo, s29, vcc_lo
	v_add_f32_e32 v117, v35, v31
	v_add_f32_e32 v116, v115, v114
	s_delay_alu instid0(VALU_DEP_2) | instskip(NEXT) | instid1(VALU_DEP_2)
	v_sub_f32_e32 v35, v35, v117
	v_rcp_f32_e32 v33, v116
	v_sub_f32_e32 v115, v115, v116
	s_delay_alu instid0(VALU_DEP_2) | instskip(NEXT) | instid1(VALU_DEP_2)
	v_add_f32_e32 v31, v31, v35
	v_add_f32_e32 v114, v114, v115
	s_waitcnt_depctr 0xfff
	v_mul_f32_e32 v118, v117, v33
	s_delay_alu instid0(VALU_DEP_1) | instskip(NEXT) | instid1(VALU_DEP_1)
	v_mul_f32_e32 v119, v116, v118
	v_fma_f32 v115, v118, v116, -v119
	s_delay_alu instid0(VALU_DEP_1) | instskip(NEXT) | instid1(VALU_DEP_1)
	v_fmac_f32_e32 v115, v118, v114
	v_add_f32_e32 v120, v119, v115
	s_delay_alu instid0(VALU_DEP_1) | instskip(SKIP_1) | instid1(VALU_DEP_2)
	v_sub_f32_e32 v121, v117, v120
	v_sub_f32_e32 v35, v120, v119
	;; [unrolled: 1-line block ×3, first 2 shown]
	s_delay_alu instid0(VALU_DEP_2) | instskip(NEXT) | instid1(VALU_DEP_2)
	v_sub_f32_e32 v35, v35, v115
	v_sub_f32_e32 v117, v117, v120
	s_delay_alu instid0(VALU_DEP_1) | instskip(NEXT) | instid1(VALU_DEP_1)
	v_add_f32_e32 v31, v31, v117
	v_add_f32_e32 v31, v35, v31
	s_delay_alu instid0(VALU_DEP_1) | instskip(NEXT) | instid1(VALU_DEP_1)
	v_add_f32_e32 v35, v121, v31
	v_mul_f32_e32 v115, v33, v35
	v_sub_f32_e32 v120, v121, v35
	s_delay_alu instid0(VALU_DEP_2) | instskip(NEXT) | instid1(VALU_DEP_2)
	v_mul_f32_e32 v117, v116, v115
	v_add_f32_e32 v31, v31, v120
	s_delay_alu instid0(VALU_DEP_2) | instskip(NEXT) | instid1(VALU_DEP_1)
	v_fma_f32 v116, v115, v116, -v117
	v_fmac_f32_e32 v116, v115, v114
	s_delay_alu instid0(VALU_DEP_1) | instskip(NEXT) | instid1(VALU_DEP_1)
	v_add_f32_e32 v114, v117, v116
	v_sub_f32_e32 v119, v35, v114
	v_sub_f32_e32 v117, v114, v117
	s_delay_alu instid0(VALU_DEP_2) | instskip(NEXT) | instid1(VALU_DEP_1)
	v_sub_f32_e32 v35, v35, v119
	v_dual_sub_f32 v35, v35, v114 :: v_dual_sub_f32 v114, v117, v116
	s_delay_alu instid0(VALU_DEP_1) | instskip(SKIP_1) | instid1(VALU_DEP_1)
	v_add_f32_e32 v31, v31, v35
	v_add_f32_e32 v35, v118, v115
	v_dual_add_f32 v31, v114, v31 :: v_dual_sub_f32 v114, v35, v118
	s_delay_alu instid0(VALU_DEP_1) | instskip(NEXT) | instid1(VALU_DEP_1)
	v_add_f32_e32 v31, v119, v31
	v_dual_sub_f32 v114, v115, v114 :: v_dual_mul_f32 v31, v33, v31
	s_delay_alu instid0(VALU_DEP_1) | instskip(NEXT) | instid1(VALU_DEP_1)
	v_add_f32_e32 v31, v114, v31
	v_add_f32_e32 v33, v35, v31
	s_delay_alu instid0(VALU_DEP_1) | instskip(NEXT) | instid1(VALU_DEP_1)
	v_mul_f32_e32 v114, v33, v33
	v_fmaak_f32 v115, s74, v114, 0x3ecc95a3
	v_mul_f32_e32 v116, v33, v114
	s_delay_alu instid0(VALU_DEP_2) | instskip(SKIP_1) | instid1(VALU_DEP_2)
	v_fmaak_f32 v114, v114, v115, 0x3f2aaada
	v_ldexp_f32 v115, v33, 1
	v_mul_f32_e32 v114, v116, v114
	v_dual_mul_f32 v116, 0x3f317218, v30 :: v_dual_sub_f32 v33, v33, v35
	s_delay_alu instid0(VALU_DEP_2) | instskip(NEXT) | instid1(VALU_DEP_2)
	v_add_f32_e32 v35, v115, v114
	v_sub_f32_e32 v31, v31, v33
	s_delay_alu instid0(VALU_DEP_2) | instskip(NEXT) | instid1(VALU_DEP_4)
	v_sub_f32_e32 v33, v35, v115
	v_fma_f32 v115, 0x3f317218, v30, -v116
	s_delay_alu instid0(VALU_DEP_3) | instskip(NEXT) | instid1(VALU_DEP_3)
	v_ldexp_f32 v31, v31, 1
	v_sub_f32_e32 v33, v114, v33
	s_delay_alu instid0(VALU_DEP_1) | instskip(NEXT) | instid1(VALU_DEP_1)
	v_dual_fmac_f32 v115, 0xb102e308, v30 :: v_dual_add_f32 v30, v31, v33
	v_add_f32_e32 v31, v116, v115
	s_delay_alu instid0(VALU_DEP_2) | instskip(NEXT) | instid1(VALU_DEP_2)
	v_add_f32_e32 v33, v35, v30
	v_sub_f32_e32 v116, v31, v116
	s_delay_alu instid0(VALU_DEP_2) | instskip(NEXT) | instid1(VALU_DEP_2)
	v_dual_add_f32 v114, v31, v33 :: v_dual_sub_f32 v35, v33, v35
	v_sub_f32_e32 v115, v115, v116
	s_delay_alu instid0(VALU_DEP_2) | instskip(NEXT) | instid1(VALU_DEP_3)
	v_sub_f32_e32 v117, v114, v31
	v_sub_f32_e32 v30, v30, v35
	s_delay_alu instid0(VALU_DEP_2) | instskip(SKIP_1) | instid1(VALU_DEP_3)
	v_sub_f32_e32 v118, v114, v117
	v_sub_f32_e32 v33, v33, v117
	v_add_f32_e32 v35, v115, v30
	s_delay_alu instid0(VALU_DEP_3) | instskip(NEXT) | instid1(VALU_DEP_1)
	v_sub_f32_e32 v31, v31, v118
	v_add_f32_e32 v31, v33, v31
	s_delay_alu instid0(VALU_DEP_3) | instskip(NEXT) | instid1(VALU_DEP_2)
	v_sub_f32_e32 v33, v35, v115
	v_add_f32_e32 v31, v35, v31
	s_delay_alu instid0(VALU_DEP_2) | instskip(SKIP_1) | instid1(VALU_DEP_3)
	v_sub_f32_e32 v35, v35, v33
	v_sub_f32_e32 v30, v30, v33
	v_add_f32_e32 v116, v114, v31
	s_delay_alu instid0(VALU_DEP_3) | instskip(NEXT) | instid1(VALU_DEP_1)
	v_sub_f32_e32 v35, v115, v35
	v_dual_sub_f32 v33, v116, v114 :: v_dual_add_f32 v30, v30, v35
	s_delay_alu instid0(VALU_DEP_1) | instskip(NEXT) | instid1(VALU_DEP_1)
	v_sub_f32_e32 v31, v31, v33
	v_add_f32_e32 v30, v30, v31
	s_delay_alu instid0(VALU_DEP_1) | instskip(NEXT) | instid1(VALU_DEP_1)
	v_add_f32_e32 v30, v116, v30
	v_cndmask_b32_e32 v114, v30, v32, vcc_lo
.LBB152_82:                             ;   in Loop: Header=BB152_12 Depth=1
	s_or_b32 exec_lo, exec_lo, s30
	s_waitcnt lgkmcnt(5)
	v_add_f32_e32 v115, s85, v28
	s_delay_alu instid0(VALU_DEP_1) | instskip(SKIP_1) | instid1(SALU_CYCLE_1)
	v_cmp_ge_f32_e32 vcc_lo, 0x41a00000, v115
	s_and_b32 s29, s92, vcc_lo
	s_and_saveexec_b32 s30, s29
	s_cbranch_execz .LBB152_84
; %bb.83:                               ;   in Loop: Header=BB152_12 Depth=1
	v_mul_f32_e32 v28, 0x3fb8aa3b, v115
	v_cmp_ngt_f32_e32 vcc_lo, 0xc2ce8ed0, v115
	s_delay_alu instid0(VALU_DEP_2) | instskip(SKIP_1) | instid1(VALU_DEP_1)
	v_rndne_f32_e32 v30, v28
	v_fma_f32 v31, 0x3fb8aa3b, v115, -v28
	v_dual_sub_f32 v28, v28, v30 :: v_dual_fmac_f32 v31, 0x32a5705f, v115
	v_cvt_i32_f32_e32 v30, v30
	s_delay_alu instid0(VALU_DEP_2) | instskip(NEXT) | instid1(VALU_DEP_1)
	v_add_f32_e32 v28, v28, v31
	v_exp_f32_e32 v28, v28
	s_waitcnt_depctr 0xfff
	v_ldexp_f32 v28, v28, v30
	s_delay_alu instid0(VALU_DEP_1) | instskip(SKIP_1) | instid1(VALU_DEP_2)
	v_cndmask_b32_e32 v28, 0, v28, vcc_lo
	v_cmp_nlt_f32_e32 vcc_lo, 0x42b17218, v115
	v_cndmask_b32_e32 v28, 0x7f800000, v28, vcc_lo
	s_delay_alu instid0(VALU_DEP_1) | instskip(NEXT) | instid1(VALU_DEP_1)
	v_add_f32_e32 v32, 1.0, v28
	v_cvt_f64_f32_e32 v[30:31], v32
	s_delay_alu instid0(VALU_DEP_1) | instskip(SKIP_1) | instid1(VALU_DEP_1)
	v_frexp_exp_i32_f64_e32 v30, v[30:31]
	v_frexp_mant_f32_e32 v31, v32
	v_cmp_gt_f32_e32 vcc_lo, 0x3f2aaaab, v31
	v_add_f32_e32 v31, -1.0, v32
	s_delay_alu instid0(VALU_DEP_1) | instskip(SKIP_1) | instid1(VALU_DEP_2)
	v_sub_f32_e32 v35, v31, v32
	v_sub_f32_e32 v31, v28, v31
	v_add_f32_e32 v35, 1.0, v35
	s_delay_alu instid0(VALU_DEP_1) | instskip(SKIP_3) | instid1(VALU_DEP_2)
	v_add_f32_e32 v31, v31, v35
	v_cmp_gt_f32_e64 s29, 0x33800000, v28
	v_subrev_co_ci_u32_e32 v30, vcc_lo, 0, v30, vcc_lo
	v_cmp_eq_f32_e32 vcc_lo, 0x7f800000, v28
	v_sub_nc_u32_e32 v33, 0, v30
	v_cvt_f32_i32_e32 v30, v30
	s_or_b32 vcc_lo, s29, vcc_lo
	s_delay_alu instid0(VALU_DEP_2) | instskip(SKIP_1) | instid1(VALU_DEP_2)
	v_ldexp_f32 v32, v32, v33
	v_ldexp_f32 v31, v31, v33
	v_add_f32_e32 v33, -1.0, v32
	s_delay_alu instid0(VALU_DEP_1) | instskip(NEXT) | instid1(VALU_DEP_1)
	v_dual_add_f32 v115, 1.0, v32 :: v_dual_add_f32 v116, 1.0, v33
	v_add_f32_e32 v35, -1.0, v115
	s_delay_alu instid0(VALU_DEP_1) | instskip(NEXT) | instid1(VALU_DEP_1)
	v_sub_f32_e32 v35, v32, v35
	v_dual_sub_f32 v32, v32, v116 :: v_dual_add_f32 v35, v31, v35
	s_delay_alu instid0(VALU_DEP_1) | instskip(NEXT) | instid1(VALU_DEP_2)
	v_add_f32_e32 v31, v31, v32
	v_add_f32_e32 v116, v115, v35
	s_delay_alu instid0(VALU_DEP_2) | instskip(NEXT) | instid1(VALU_DEP_2)
	v_add_f32_e32 v117, v33, v31
	v_rcp_f32_e32 v32, v116
	v_sub_f32_e32 v115, v115, v116
	s_delay_alu instid0(VALU_DEP_2) | instskip(NEXT) | instid1(VALU_DEP_2)
	v_sub_f32_e32 v33, v33, v117
	v_add_f32_e32 v35, v35, v115
	s_waitcnt_depctr 0xfff
	v_dual_add_f32 v31, v31, v33 :: v_dual_mul_f32 v118, v117, v32
	s_delay_alu instid0(VALU_DEP_1) | instskip(NEXT) | instid1(VALU_DEP_1)
	v_mul_f32_e32 v119, v116, v118
	v_fma_f32 v115, v118, v116, -v119
	s_delay_alu instid0(VALU_DEP_1) | instskip(NEXT) | instid1(VALU_DEP_1)
	v_fmac_f32_e32 v115, v118, v35
	v_add_f32_e32 v120, v119, v115
	s_delay_alu instid0(VALU_DEP_1) | instskip(SKIP_1) | instid1(VALU_DEP_2)
	v_sub_f32_e32 v121, v117, v120
	v_sub_f32_e32 v33, v120, v119
	;; [unrolled: 1-line block ×3, first 2 shown]
	s_delay_alu instid0(VALU_DEP_2) | instskip(NEXT) | instid1(VALU_DEP_2)
	v_sub_f32_e32 v33, v33, v115
	v_sub_f32_e32 v117, v117, v120
	s_delay_alu instid0(VALU_DEP_1) | instskip(NEXT) | instid1(VALU_DEP_1)
	v_add_f32_e32 v31, v31, v117
	v_add_f32_e32 v31, v33, v31
	s_delay_alu instid0(VALU_DEP_1) | instskip(NEXT) | instid1(VALU_DEP_1)
	v_add_f32_e32 v33, v121, v31
	v_mul_f32_e32 v115, v32, v33
	s_delay_alu instid0(VALU_DEP_1) | instskip(NEXT) | instid1(VALU_DEP_1)
	v_dual_sub_f32 v120, v121, v33 :: v_dual_mul_f32 v117, v116, v115
	v_add_f32_e32 v31, v31, v120
	s_delay_alu instid0(VALU_DEP_2) | instskip(NEXT) | instid1(VALU_DEP_1)
	v_fma_f32 v116, v115, v116, -v117
	v_fmac_f32_e32 v116, v115, v35
	s_delay_alu instid0(VALU_DEP_1) | instskip(NEXT) | instid1(VALU_DEP_1)
	v_add_f32_e32 v35, v117, v116
	v_sub_f32_e32 v119, v33, v35
	v_sub_f32_e32 v117, v35, v117
	s_delay_alu instid0(VALU_DEP_2) | instskip(NEXT) | instid1(VALU_DEP_1)
	v_sub_f32_e32 v33, v33, v119
	v_sub_f32_e32 v33, v33, v35
	s_delay_alu instid0(VALU_DEP_3) | instskip(NEXT) | instid1(VALU_DEP_2)
	v_sub_f32_e32 v35, v117, v116
	v_add_f32_e32 v31, v31, v33
	v_add_f32_e32 v33, v118, v115
	s_delay_alu instid0(VALU_DEP_2) | instskip(NEXT) | instid1(VALU_DEP_2)
	v_add_f32_e32 v31, v35, v31
	v_sub_f32_e32 v35, v33, v118
	s_delay_alu instid0(VALU_DEP_2) | instskip(NEXT) | instid1(VALU_DEP_2)
	v_add_f32_e32 v31, v119, v31
	v_sub_f32_e32 v35, v115, v35
	s_delay_alu instid0(VALU_DEP_2) | instskip(NEXT) | instid1(VALU_DEP_1)
	v_mul_f32_e32 v31, v32, v31
	v_add_f32_e32 v31, v35, v31
	s_delay_alu instid0(VALU_DEP_1) | instskip(NEXT) | instid1(VALU_DEP_1)
	v_add_f32_e32 v32, v33, v31
	v_mul_f32_e32 v35, v32, v32
	s_delay_alu instid0(VALU_DEP_1) | instskip(SKIP_1) | instid1(VALU_DEP_2)
	v_fmaak_f32 v115, s74, v35, 0x3ecc95a3
	v_mul_f32_e32 v116, v32, v35
	v_fmaak_f32 v35, v35, v115, 0x3f2aaada
	v_ldexp_f32 v115, v32, 1
	v_sub_f32_e32 v32, v32, v33
	s_delay_alu instid0(VALU_DEP_3) | instskip(NEXT) | instid1(VALU_DEP_2)
	v_dual_mul_f32 v35, v116, v35 :: v_dual_mul_f32 v116, 0x3f317218, v30
	v_sub_f32_e32 v31, v31, v32
	s_delay_alu instid0(VALU_DEP_2) | instskip(NEXT) | instid1(VALU_DEP_2)
	v_add_f32_e32 v33, v115, v35
	v_ldexp_f32 v31, v31, 1
	s_delay_alu instid0(VALU_DEP_2) | instskip(SKIP_1) | instid1(VALU_DEP_1)
	v_sub_f32_e32 v32, v33, v115
	v_fma_f32 v115, 0x3f317218, v30, -v116
	v_dual_sub_f32 v32, v35, v32 :: v_dual_fmac_f32 v115, 0xb102e308, v30
	s_delay_alu instid0(VALU_DEP_1) | instskip(NEXT) | instid1(VALU_DEP_1)
	v_dual_add_f32 v30, v31, v32 :: v_dual_add_f32 v31, v116, v115
	v_add_f32_e32 v32, v33, v30
	s_delay_alu instid0(VALU_DEP_2) | instskip(NEXT) | instid1(VALU_DEP_2)
	v_sub_f32_e32 v116, v31, v116
	v_add_f32_e32 v35, v31, v32
	v_sub_f32_e32 v33, v32, v33
	s_delay_alu instid0(VALU_DEP_3) | instskip(NEXT) | instid1(VALU_DEP_2)
	v_sub_f32_e32 v115, v115, v116
	v_dual_sub_f32 v117, v35, v31 :: v_dual_sub_f32 v30, v30, v33
	s_delay_alu instid0(VALU_DEP_1) | instskip(NEXT) | instid1(VALU_DEP_2)
	v_sub_f32_e32 v118, v35, v117
	v_dual_sub_f32 v32, v32, v117 :: v_dual_add_f32 v33, v115, v30
	s_delay_alu instid0(VALU_DEP_2) | instskip(NEXT) | instid1(VALU_DEP_1)
	v_sub_f32_e32 v31, v31, v118
	v_add_f32_e32 v31, v32, v31
	s_delay_alu instid0(VALU_DEP_3) | instskip(NEXT) | instid1(VALU_DEP_2)
	v_sub_f32_e32 v32, v33, v115
	v_add_f32_e32 v31, v33, v31
	s_delay_alu instid0(VALU_DEP_2) | instskip(SKIP_1) | instid1(VALU_DEP_3)
	v_sub_f32_e32 v33, v33, v32
	v_sub_f32_e32 v30, v30, v32
	v_add_f32_e32 v116, v35, v31
	s_delay_alu instid0(VALU_DEP_1) | instskip(NEXT) | instid1(VALU_DEP_1)
	v_dual_sub_f32 v33, v115, v33 :: v_dual_sub_f32 v32, v116, v35
	v_dual_add_f32 v30, v30, v33 :: v_dual_sub_f32 v31, v31, v32
	s_delay_alu instid0(VALU_DEP_1) | instskip(NEXT) | instid1(VALU_DEP_1)
	v_add_f32_e32 v30, v30, v31
	v_add_f32_e32 v30, v116, v30
	s_delay_alu instid0(VALU_DEP_1)
	v_cndmask_b32_e32 v115, v30, v28, vcc_lo
.LBB152_84:                             ;   in Loop: Header=BB152_12 Depth=1
	s_or_b32 exec_lo, exec_lo, s30
	v_add_f32_e32 v116, s85, v29
	s_delay_alu instid0(VALU_DEP_1) | instskip(SKIP_1) | instid1(SALU_CYCLE_1)
	v_cmp_ge_f32_e32 vcc_lo, 0x41a00000, v116
	s_and_b32 s29, s92, vcc_lo
	s_and_saveexec_b32 s30, s29
	s_cbranch_execz .LBB152_86
; %bb.85:                               ;   in Loop: Header=BB152_12 Depth=1
	v_mul_f32_e32 v28, 0x3fb8aa3b, v116
	v_cmp_ngt_f32_e32 vcc_lo, 0xc2ce8ed0, v116
	s_delay_alu instid0(VALU_DEP_2) | instskip(SKIP_1) | instid1(VALU_DEP_2)
	v_rndne_f32_e32 v29, v28
	v_fma_f32 v30, 0x3fb8aa3b, v116, -v28
	v_sub_f32_e32 v28, v28, v29
	s_delay_alu instid0(VALU_DEP_2) | instskip(SKIP_1) | instid1(VALU_DEP_2)
	v_fmac_f32_e32 v30, 0x32a5705f, v116
	v_cvt_i32_f32_e32 v29, v29
	v_add_f32_e32 v28, v28, v30
	s_delay_alu instid0(VALU_DEP_1) | instskip(SKIP_2) | instid1(VALU_DEP_1)
	v_exp_f32_e32 v28, v28
	s_waitcnt_depctr 0xfff
	v_ldexp_f32 v28, v28, v29
	v_cndmask_b32_e32 v28, 0, v28, vcc_lo
	v_cmp_nlt_f32_e32 vcc_lo, 0x42b17218, v116
	s_delay_alu instid0(VALU_DEP_2) | instskip(NEXT) | instid1(VALU_DEP_1)
	v_cndmask_b32_e32 v30, 0x7f800000, v28, vcc_lo
	v_add_f32_e32 v31, 1.0, v30
	s_delay_alu instid0(VALU_DEP_1) | instskip(NEXT) | instid1(VALU_DEP_1)
	v_cvt_f64_f32_e32 v[28:29], v31
	v_frexp_exp_i32_f64_e32 v28, v[28:29]
	v_frexp_mant_f32_e32 v29, v31
	s_delay_alu instid0(VALU_DEP_1) | instskip(SKIP_1) | instid1(VALU_DEP_1)
	v_cmp_gt_f32_e32 vcc_lo, 0x3f2aaaab, v29
	v_add_f32_e32 v29, -1.0, v31
	v_sub_f32_e32 v33, v29, v31
	s_delay_alu instid0(VALU_DEP_1) | instskip(SKIP_1) | instid1(VALU_DEP_1)
	v_add_f32_e32 v33, 1.0, v33
	v_subrev_co_ci_u32_e32 v28, vcc_lo, 0, v28, vcc_lo
	v_sub_nc_u32_e32 v32, 0, v28
	v_cvt_f32_i32_e32 v28, v28
	s_delay_alu instid0(VALU_DEP_2) | instskip(NEXT) | instid1(VALU_DEP_1)
	v_ldexp_f32 v31, v31, v32
	v_add_f32_e32 v35, 1.0, v31
	v_sub_f32_e32 v29, v30, v29
	v_cmp_eq_f32_e32 vcc_lo, 0x7f800000, v30
	v_cmp_gt_f32_e64 s29, 0x33800000, v30
	s_delay_alu instid0(VALU_DEP_3) | instskip(NEXT) | instid1(VALU_DEP_2)
	v_add_f32_e32 v29, v29, v33
	s_or_b32 vcc_lo, s29, vcc_lo
	s_delay_alu instid0(VALU_DEP_1) | instskip(SKIP_1) | instid1(VALU_DEP_1)
	v_ldexp_f32 v29, v29, v32
	v_add_f32_e32 v32, -1.0, v31
	v_dual_add_f32 v33, -1.0, v35 :: v_dual_add_f32 v116, 1.0, v32
	s_delay_alu instid0(VALU_DEP_1) | instskip(NEXT) | instid1(VALU_DEP_2)
	v_sub_f32_e32 v33, v31, v33
	v_sub_f32_e32 v31, v31, v116
	s_delay_alu instid0(VALU_DEP_2) | instskip(NEXT) | instid1(VALU_DEP_1)
	v_add_f32_e32 v33, v29, v33
	v_dual_add_f32 v29, v29, v31 :: v_dual_add_f32 v116, v35, v33
	s_delay_alu instid0(VALU_DEP_1) | instskip(NEXT) | instid1(VALU_DEP_2)
	v_add_f32_e32 v117, v32, v29
	v_rcp_f32_e32 v31, v116
	s_delay_alu instid0(VALU_DEP_1) | instskip(SKIP_2) | instid1(VALU_DEP_1)
	v_sub_f32_e32 v32, v32, v117
	s_waitcnt_depctr 0xfff
	v_mul_f32_e32 v118, v117, v31
	v_mul_f32_e32 v119, v116, v118
	v_sub_f32_e32 v35, v35, v116
	s_delay_alu instid0(VALU_DEP_1) | instskip(NEXT) | instid1(VALU_DEP_3)
	v_add_f32_e32 v33, v33, v35
	v_fma_f32 v35, v118, v116, -v119
	v_add_f32_e32 v29, v29, v32
	s_delay_alu instid0(VALU_DEP_2) | instskip(NEXT) | instid1(VALU_DEP_1)
	v_fmac_f32_e32 v35, v118, v33
	v_add_f32_e32 v120, v119, v35
	s_delay_alu instid0(VALU_DEP_1) | instskip(NEXT) | instid1(VALU_DEP_1)
	v_dual_sub_f32 v32, v120, v119 :: v_dual_sub_f32 v121, v117, v120
	v_dual_sub_f32 v32, v32, v35 :: v_dual_sub_f32 v117, v117, v121
	s_delay_alu instid0(VALU_DEP_1) | instskip(NEXT) | instid1(VALU_DEP_1)
	v_sub_f32_e32 v117, v117, v120
	v_add_f32_e32 v29, v29, v117
	s_delay_alu instid0(VALU_DEP_1) | instskip(NEXT) | instid1(VALU_DEP_1)
	v_add_f32_e32 v29, v32, v29
	v_add_f32_e32 v32, v121, v29
	s_delay_alu instid0(VALU_DEP_1) | instskip(NEXT) | instid1(VALU_DEP_1)
	v_mul_f32_e32 v35, v31, v32
	v_dual_sub_f32 v120, v121, v32 :: v_dual_mul_f32 v117, v116, v35
	s_delay_alu instid0(VALU_DEP_1) | instskip(NEXT) | instid1(VALU_DEP_2)
	v_add_f32_e32 v29, v29, v120
	v_fma_f32 v116, v35, v116, -v117
	s_delay_alu instid0(VALU_DEP_1) | instskip(NEXT) | instid1(VALU_DEP_1)
	v_fmac_f32_e32 v116, v35, v33
	v_add_f32_e32 v33, v117, v116
	s_delay_alu instid0(VALU_DEP_1) | instskip(NEXT) | instid1(VALU_DEP_1)
	v_sub_f32_e32 v119, v32, v33
	v_dual_sub_f32 v117, v33, v117 :: v_dual_sub_f32 v32, v32, v119
	s_delay_alu instid0(VALU_DEP_1) | instskip(NEXT) | instid1(VALU_DEP_1)
	v_dual_sub_f32 v32, v32, v33 :: v_dual_sub_f32 v33, v117, v116
	v_dual_add_f32 v29, v29, v32 :: v_dual_add_f32 v32, v118, v35
	s_delay_alu instid0(VALU_DEP_1) | instskip(NEXT) | instid1(VALU_DEP_2)
	v_add_f32_e32 v29, v33, v29
	v_sub_f32_e32 v33, v32, v118
	s_delay_alu instid0(VALU_DEP_2) | instskip(NEXT) | instid1(VALU_DEP_2)
	v_add_f32_e32 v29, v119, v29
	v_sub_f32_e32 v33, v35, v33
	s_delay_alu instid0(VALU_DEP_2) | instskip(NEXT) | instid1(VALU_DEP_1)
	v_mul_f32_e32 v29, v31, v29
	v_add_f32_e32 v29, v33, v29
	s_delay_alu instid0(VALU_DEP_1) | instskip(NEXT) | instid1(VALU_DEP_1)
	v_add_f32_e32 v31, v32, v29
	v_mul_f32_e32 v33, v31, v31
	s_delay_alu instid0(VALU_DEP_1) | instskip(NEXT) | instid1(VALU_DEP_1)
	v_fmaak_f32 v35, s74, v33, 0x3ecc95a3
	v_dual_mul_f32 v116, v31, v33 :: v_dual_fmaak_f32 v33, v33, v35, 0x3f2aaada
	v_ldexp_f32 v35, v31, 1
	v_sub_f32_e32 v31, v31, v32
	s_delay_alu instid0(VALU_DEP_3) | instskip(NEXT) | instid1(VALU_DEP_1)
	v_dual_mul_f32 v33, v116, v33 :: v_dual_mul_f32 v116, 0x3f317218, v28
	v_dual_sub_f32 v29, v29, v31 :: v_dual_add_f32 v32, v35, v33
	s_delay_alu instid0(VALU_DEP_1) | instskip(NEXT) | instid1(VALU_DEP_2)
	v_ldexp_f32 v29, v29, 1
	v_sub_f32_e32 v31, v32, v35
	s_delay_alu instid0(VALU_DEP_4) | instskip(NEXT) | instid1(VALU_DEP_2)
	v_fma_f32 v35, 0x3f317218, v28, -v116
	v_sub_f32_e32 v31, v33, v31
	s_delay_alu instid0(VALU_DEP_1) | instskip(NEXT) | instid1(VALU_DEP_1)
	v_dual_fmac_f32 v35, 0xb102e308, v28 :: v_dual_add_f32 v28, v29, v31
	v_add_f32_e32 v29, v116, v35
	s_delay_alu instid0(VALU_DEP_2) | instskip(NEXT) | instid1(VALU_DEP_2)
	v_add_f32_e32 v31, v32, v28
	v_sub_f32_e32 v116, v29, v116
	s_delay_alu instid0(VALU_DEP_2) | instskip(NEXT) | instid1(VALU_DEP_2)
	v_dual_add_f32 v33, v29, v31 :: v_dual_sub_f32 v32, v31, v32
	v_sub_f32_e32 v35, v35, v116
	s_delay_alu instid0(VALU_DEP_2) | instskip(NEXT) | instid1(VALU_DEP_1)
	v_dual_sub_f32 v117, v33, v29 :: v_dual_sub_f32 v28, v28, v32
	v_sub_f32_e32 v118, v33, v117
	v_sub_f32_e32 v31, v31, v117
	s_delay_alu instid0(VALU_DEP_2) | instskip(NEXT) | instid1(VALU_DEP_1)
	v_dual_add_f32 v32, v35, v28 :: v_dual_sub_f32 v29, v29, v118
	v_add_f32_e32 v29, v31, v29
	s_delay_alu instid0(VALU_DEP_2) | instskip(NEXT) | instid1(VALU_DEP_2)
	v_sub_f32_e32 v31, v32, v35
	v_add_f32_e32 v29, v32, v29
	s_delay_alu instid0(VALU_DEP_2) | instskip(SKIP_1) | instid1(VALU_DEP_3)
	v_sub_f32_e32 v32, v32, v31
	v_sub_f32_e32 v28, v28, v31
	v_add_f32_e32 v116, v33, v29
	s_delay_alu instid0(VALU_DEP_1) | instskip(NEXT) | instid1(VALU_DEP_1)
	v_dual_sub_f32 v32, v35, v32 :: v_dual_sub_f32 v31, v116, v33
	v_dual_add_f32 v28, v28, v32 :: v_dual_sub_f32 v29, v29, v31
	s_delay_alu instid0(VALU_DEP_1) | instskip(NEXT) | instid1(VALU_DEP_1)
	v_add_f32_e32 v28, v28, v29
	v_add_f32_e32 v28, v116, v28
	s_delay_alu instid0(VALU_DEP_1)
	v_cndmask_b32_e32 v116, v28, v30, vcc_lo
.LBB152_86:                             ;   in Loop: Header=BB152_12 Depth=1
	s_or_b32 exec_lo, exec_lo, s30
	s_waitcnt lgkmcnt(4)
	v_add_f32_e32 v117, s85, v26
	s_delay_alu instid0(VALU_DEP_1) | instskip(SKIP_1) | instid1(SALU_CYCLE_1)
	v_cmp_ge_f32_e32 vcc_lo, 0x41a00000, v117
	s_and_b32 s29, s92, vcc_lo
	s_and_saveexec_b32 s30, s29
	s_cbranch_execz .LBB152_88
; %bb.87:                               ;   in Loop: Header=BB152_12 Depth=1
	v_mul_f32_e32 v26, 0x3fb8aa3b, v117
	v_cmp_ngt_f32_e32 vcc_lo, 0xc2ce8ed0, v117
	s_delay_alu instid0(VALU_DEP_2) | instskip(SKIP_1) | instid1(VALU_DEP_1)
	v_rndne_f32_e32 v28, v26
	v_fma_f32 v29, 0x3fb8aa3b, v117, -v26
	v_dual_sub_f32 v26, v26, v28 :: v_dual_fmac_f32 v29, 0x32a5705f, v117
	v_cvt_i32_f32_e32 v28, v28
	s_delay_alu instid0(VALU_DEP_2) | instskip(NEXT) | instid1(VALU_DEP_1)
	v_add_f32_e32 v26, v26, v29
	v_exp_f32_e32 v26, v26
	s_waitcnt_depctr 0xfff
	v_ldexp_f32 v26, v26, v28
	s_delay_alu instid0(VALU_DEP_1) | instskip(SKIP_1) | instid1(VALU_DEP_2)
	v_cndmask_b32_e32 v26, 0, v26, vcc_lo
	v_cmp_nlt_f32_e32 vcc_lo, 0x42b17218, v117
	v_cndmask_b32_e32 v26, 0x7f800000, v26, vcc_lo
	s_delay_alu instid0(VALU_DEP_1) | instskip(NEXT) | instid1(VALU_DEP_1)
	v_add_f32_e32 v30, 1.0, v26
	v_cvt_f64_f32_e32 v[28:29], v30
	s_delay_alu instid0(VALU_DEP_1) | instskip(SKIP_1) | instid1(VALU_DEP_1)
	v_frexp_exp_i32_f64_e32 v28, v[28:29]
	v_frexp_mant_f32_e32 v29, v30
	v_cmp_gt_f32_e32 vcc_lo, 0x3f2aaaab, v29
	v_add_f32_e32 v29, -1.0, v30
	s_delay_alu instid0(VALU_DEP_1) | instskip(SKIP_1) | instid1(VALU_DEP_1)
	v_dual_sub_f32 v32, v29, v30 :: v_dual_sub_f32 v29, v26, v29
	v_subrev_co_ci_u32_e32 v28, vcc_lo, 0, v28, vcc_lo
	v_sub_nc_u32_e32 v31, 0, v28
	v_cvt_f32_i32_e32 v28, v28
	s_delay_alu instid0(VALU_DEP_2) | instskip(NEXT) | instid1(VALU_DEP_1)
	v_ldexp_f32 v30, v30, v31
	v_dual_add_f32 v32, 1.0, v32 :: v_dual_add_f32 v33, 1.0, v30
	s_delay_alu instid0(VALU_DEP_1) | instskip(NEXT) | instid1(VALU_DEP_1)
	v_add_f32_e32 v29, v29, v32
	v_ldexp_f32 v29, v29, v31
	s_delay_alu instid0(VALU_DEP_3) | instskip(NEXT) | instid1(VALU_DEP_1)
	v_dual_add_f32 v31, -1.0, v30 :: v_dual_add_f32 v32, -1.0, v33
	v_dual_add_f32 v35, 1.0, v31 :: v_dual_sub_f32 v32, v30, v32
	v_cmp_eq_f32_e32 vcc_lo, 0x7f800000, v26
	v_cmp_gt_f32_e64 s29, 0x33800000, v26
	s_delay_alu instid0(VALU_DEP_3) | instskip(NEXT) | instid1(VALU_DEP_4)
	v_add_f32_e32 v32, v29, v32
	v_sub_f32_e32 v30, v30, v35
	s_delay_alu instid0(VALU_DEP_3) | instskip(NEXT) | instid1(VALU_DEP_2)
	s_or_b32 vcc_lo, s29, vcc_lo
	v_add_f32_e32 v35, v33, v32
	s_delay_alu instid0(VALU_DEP_2) | instskip(NEXT) | instid1(VALU_DEP_2)
	v_add_f32_e32 v29, v29, v30
	v_rcp_f32_e32 v30, v35
	s_delay_alu instid0(VALU_DEP_1) | instskip(SKIP_3) | instid1(VALU_DEP_1)
	v_add_f32_e32 v117, v31, v29
	v_sub_f32_e32 v33, v33, v35
	s_waitcnt_depctr 0xfff
	v_dual_sub_f32 v31, v31, v117 :: v_dual_mul_f32 v118, v117, v30
	v_add_f32_e32 v29, v29, v31
	s_delay_alu instid0(VALU_DEP_2) | instskip(NEXT) | instid1(VALU_DEP_1)
	v_dual_mul_f32 v119, v35, v118 :: v_dual_add_f32 v32, v32, v33
	v_fma_f32 v33, v118, v35, -v119
	s_delay_alu instid0(VALU_DEP_1) | instskip(NEXT) | instid1(VALU_DEP_1)
	v_fmac_f32_e32 v33, v118, v32
	v_add_f32_e32 v120, v119, v33
	s_delay_alu instid0(VALU_DEP_1) | instskip(SKIP_1) | instid1(VALU_DEP_2)
	v_sub_f32_e32 v121, v117, v120
	v_sub_f32_e32 v31, v120, v119
	v_sub_f32_e32 v117, v117, v121
	s_delay_alu instid0(VALU_DEP_2) | instskip(NEXT) | instid1(VALU_DEP_2)
	v_sub_f32_e32 v31, v31, v33
	v_sub_f32_e32 v117, v117, v120
	s_delay_alu instid0(VALU_DEP_1) | instskip(NEXT) | instid1(VALU_DEP_1)
	v_add_f32_e32 v29, v29, v117
	v_add_f32_e32 v29, v31, v29
	s_delay_alu instid0(VALU_DEP_1) | instskip(NEXT) | instid1(VALU_DEP_1)
	v_add_f32_e32 v31, v121, v29
	v_mul_f32_e32 v33, v30, v31
	s_delay_alu instid0(VALU_DEP_1) | instskip(NEXT) | instid1(VALU_DEP_1)
	v_dual_sub_f32 v120, v121, v31 :: v_dual_mul_f32 v117, v35, v33
	v_add_f32_e32 v29, v29, v120
	s_delay_alu instid0(VALU_DEP_2) | instskip(NEXT) | instid1(VALU_DEP_1)
	v_fma_f32 v35, v33, v35, -v117
	v_fmac_f32_e32 v35, v33, v32
	s_delay_alu instid0(VALU_DEP_1) | instskip(NEXT) | instid1(VALU_DEP_1)
	v_add_f32_e32 v32, v117, v35
	v_sub_f32_e32 v119, v31, v32
	v_sub_f32_e32 v117, v32, v117
	s_delay_alu instid0(VALU_DEP_2) | instskip(NEXT) | instid1(VALU_DEP_1)
	v_sub_f32_e32 v31, v31, v119
	v_dual_sub_f32 v31, v31, v32 :: v_dual_sub_f32 v32, v117, v35
	s_delay_alu instid0(VALU_DEP_1) | instskip(SKIP_1) | instid1(VALU_DEP_1)
	v_add_f32_e32 v29, v29, v31
	v_add_f32_e32 v31, v118, v33
	v_dual_add_f32 v29, v32, v29 :: v_dual_sub_f32 v32, v31, v118
	s_delay_alu instid0(VALU_DEP_1) | instskip(NEXT) | instid1(VALU_DEP_1)
	v_dual_add_f32 v29, v119, v29 :: v_dual_sub_f32 v32, v33, v32
	v_mul_f32_e32 v29, v30, v29
	s_delay_alu instid0(VALU_DEP_1) | instskip(NEXT) | instid1(VALU_DEP_1)
	v_add_f32_e32 v29, v32, v29
	v_add_f32_e32 v30, v31, v29
	s_delay_alu instid0(VALU_DEP_1) | instskip(NEXT) | instid1(VALU_DEP_1)
	v_mul_f32_e32 v32, v30, v30
	v_fmaak_f32 v33, s74, v32, 0x3ecc95a3
	s_delay_alu instid0(VALU_DEP_1) | instskip(SKIP_2) | instid1(VALU_DEP_3)
	v_dual_mul_f32 v35, v30, v32 :: v_dual_fmaak_f32 v32, v32, v33, 0x3f2aaada
	v_ldexp_f32 v33, v30, 1
	v_sub_f32_e32 v30, v30, v31
	v_mul_f32_e32 v32, v35, v32
	v_mul_f32_e32 v35, 0x3f317218, v28
	s_delay_alu instid0(VALU_DEP_3) | instskip(NEXT) | instid1(VALU_DEP_3)
	v_sub_f32_e32 v29, v29, v30
	v_add_f32_e32 v31, v33, v32
	s_delay_alu instid0(VALU_DEP_2) | instskip(NEXT) | instid1(VALU_DEP_2)
	v_ldexp_f32 v29, v29, 1
	v_sub_f32_e32 v30, v31, v33
	v_fma_f32 v33, 0x3f317218, v28, -v35
	s_delay_alu instid0(VALU_DEP_1) | instskip(NEXT) | instid1(VALU_DEP_1)
	v_dual_sub_f32 v30, v32, v30 :: v_dual_fmac_f32 v33, 0xb102e308, v28
	v_dual_add_f32 v28, v29, v30 :: v_dual_add_f32 v29, v35, v33
	s_delay_alu instid0(VALU_DEP_1) | instskip(NEXT) | instid1(VALU_DEP_1)
	v_dual_add_f32 v30, v31, v28 :: v_dual_sub_f32 v35, v29, v35
	v_dual_add_f32 v32, v29, v30 :: v_dual_sub_f32 v31, v30, v31
	s_delay_alu instid0(VALU_DEP_2) | instskip(NEXT) | instid1(VALU_DEP_2)
	v_sub_f32_e32 v33, v33, v35
	v_sub_f32_e32 v117, v32, v29
	s_delay_alu instid0(VALU_DEP_3) | instskip(NEXT) | instid1(VALU_DEP_2)
	v_sub_f32_e32 v28, v28, v31
	v_sub_f32_e32 v118, v32, v117
	s_delay_alu instid0(VALU_DEP_2) | instskip(NEXT) | instid1(VALU_DEP_2)
	v_dual_sub_f32 v30, v30, v117 :: v_dual_add_f32 v31, v33, v28
	v_sub_f32_e32 v29, v29, v118
	s_delay_alu instid0(VALU_DEP_1) | instskip(NEXT) | instid1(VALU_DEP_3)
	v_add_f32_e32 v29, v30, v29
	v_sub_f32_e32 v30, v31, v33
	s_delay_alu instid0(VALU_DEP_2) | instskip(NEXT) | instid1(VALU_DEP_2)
	v_add_f32_e32 v29, v31, v29
	v_sub_f32_e32 v31, v31, v30
	v_sub_f32_e32 v28, v28, v30
	s_delay_alu instid0(VALU_DEP_3) | instskip(NEXT) | instid1(VALU_DEP_1)
	v_add_f32_e32 v35, v32, v29
	v_dual_sub_f32 v31, v33, v31 :: v_dual_sub_f32 v30, v35, v32
	s_delay_alu instid0(VALU_DEP_1) | instskip(NEXT) | instid1(VALU_DEP_1)
	v_dual_add_f32 v28, v28, v31 :: v_dual_sub_f32 v29, v29, v30
	v_add_f32_e32 v28, v28, v29
	s_delay_alu instid0(VALU_DEP_1) | instskip(NEXT) | instid1(VALU_DEP_1)
	v_add_f32_e32 v28, v35, v28
	v_cndmask_b32_e32 v117, v28, v26, vcc_lo
.LBB152_88:                             ;   in Loop: Header=BB152_12 Depth=1
	s_or_b32 exec_lo, exec_lo, s30
	v_add_f32_e32 v118, s85, v27
	s_delay_alu instid0(VALU_DEP_1) | instskip(SKIP_1) | instid1(SALU_CYCLE_1)
	v_cmp_ge_f32_e32 vcc_lo, 0x41a00000, v118
	s_and_b32 s29, s92, vcc_lo
	s_and_saveexec_b32 s30, s29
	s_cbranch_execz .LBB152_90
; %bb.89:                               ;   in Loop: Header=BB152_12 Depth=1
	v_mul_f32_e32 v26, 0x3fb8aa3b, v118
	v_cmp_ngt_f32_e32 vcc_lo, 0xc2ce8ed0, v118
	s_delay_alu instid0(VALU_DEP_2) | instskip(SKIP_1) | instid1(VALU_DEP_2)
	v_rndne_f32_e32 v27, v26
	v_fma_f32 v28, 0x3fb8aa3b, v118, -v26
	v_sub_f32_e32 v26, v26, v27
	s_delay_alu instid0(VALU_DEP_2) | instskip(SKIP_1) | instid1(VALU_DEP_2)
	v_fmac_f32_e32 v28, 0x32a5705f, v118
	v_cvt_i32_f32_e32 v27, v27
	v_add_f32_e32 v26, v26, v28
	s_delay_alu instid0(VALU_DEP_1) | instskip(SKIP_2) | instid1(VALU_DEP_1)
	v_exp_f32_e32 v26, v26
	s_waitcnt_depctr 0xfff
	v_ldexp_f32 v26, v26, v27
	v_cndmask_b32_e32 v26, 0, v26, vcc_lo
	v_cmp_nlt_f32_e32 vcc_lo, 0x42b17218, v118
	s_delay_alu instid0(VALU_DEP_2) | instskip(NEXT) | instid1(VALU_DEP_1)
	v_cndmask_b32_e32 v28, 0x7f800000, v26, vcc_lo
	v_add_f32_e32 v29, 1.0, v28
	s_delay_alu instid0(VALU_DEP_1) | instskip(NEXT) | instid1(VALU_DEP_1)
	v_cvt_f64_f32_e32 v[26:27], v29
	v_frexp_exp_i32_f64_e32 v26, v[26:27]
	v_frexp_mant_f32_e32 v27, v29
	s_delay_alu instid0(VALU_DEP_1) | instskip(SKIP_1) | instid1(VALU_DEP_1)
	v_cmp_gt_f32_e32 vcc_lo, 0x3f2aaaab, v27
	v_add_f32_e32 v27, -1.0, v29
	v_sub_f32_e32 v31, v27, v29
	v_sub_f32_e32 v27, v28, v27
	s_delay_alu instid0(VALU_DEP_2) | instskip(NEXT) | instid1(VALU_DEP_1)
	v_add_f32_e32 v31, 1.0, v31
	v_add_f32_e32 v27, v27, v31
	v_cmp_gt_f32_e64 s29, 0x33800000, v28
	v_subrev_co_ci_u32_e32 v26, vcc_lo, 0, v26, vcc_lo
	v_cmp_eq_f32_e32 vcc_lo, 0x7f800000, v28
	s_delay_alu instid0(VALU_DEP_2) | instskip(SKIP_2) | instid1(VALU_DEP_2)
	v_sub_nc_u32_e32 v30, 0, v26
	v_cvt_f32_i32_e32 v26, v26
	s_or_b32 vcc_lo, s29, vcc_lo
	v_ldexp_f32 v29, v29, v30
	v_ldexp_f32 v27, v27, v30
	s_delay_alu instid0(VALU_DEP_2) | instskip(NEXT) | instid1(VALU_DEP_1)
	v_add_f32_e32 v32, 1.0, v29
	v_dual_add_f32 v30, -1.0, v29 :: v_dual_add_f32 v31, -1.0, v32
	s_delay_alu instid0(VALU_DEP_1) | instskip(NEXT) | instid1(VALU_DEP_2)
	v_add_f32_e32 v33, 1.0, v30
	v_sub_f32_e32 v31, v29, v31
	s_delay_alu instid0(VALU_DEP_2) | instskip(NEXT) | instid1(VALU_DEP_2)
	v_sub_f32_e32 v29, v29, v33
	v_add_f32_e32 v31, v27, v31
	s_delay_alu instid0(VALU_DEP_2) | instskip(NEXT) | instid1(VALU_DEP_2)
	v_add_f32_e32 v27, v27, v29
	v_add_f32_e32 v33, v32, v31
	s_delay_alu instid0(VALU_DEP_1) | instskip(NEXT) | instid1(VALU_DEP_2)
	v_rcp_f32_e32 v29, v33
	v_dual_add_f32 v35, v30, v27 :: v_dual_sub_f32 v32, v32, v33
	s_delay_alu instid0(VALU_DEP_1) | instskip(SKIP_3) | instid1(VALU_DEP_2)
	v_sub_f32_e32 v30, v30, v35
	s_waitcnt_depctr 0xfff
	v_mul_f32_e32 v118, v35, v29
	v_add_f32_e32 v27, v27, v30
	v_mul_f32_e32 v119, v33, v118
	v_add_f32_e32 v31, v31, v32
	s_delay_alu instid0(VALU_DEP_2) | instskip(NEXT) | instid1(VALU_DEP_1)
	v_fma_f32 v32, v118, v33, -v119
	v_fmac_f32_e32 v32, v118, v31
	s_delay_alu instid0(VALU_DEP_1) | instskip(NEXT) | instid1(VALU_DEP_1)
	v_add_f32_e32 v120, v119, v32
	v_dual_sub_f32 v30, v120, v119 :: v_dual_sub_f32 v121, v35, v120
	s_delay_alu instid0(VALU_DEP_1) | instskip(NEXT) | instid1(VALU_DEP_1)
	v_dual_sub_f32 v30, v30, v32 :: v_dual_sub_f32 v35, v35, v121
	v_sub_f32_e32 v35, v35, v120
	s_delay_alu instid0(VALU_DEP_1) | instskip(NEXT) | instid1(VALU_DEP_1)
	v_add_f32_e32 v27, v27, v35
	v_add_f32_e32 v27, v30, v27
	s_delay_alu instid0(VALU_DEP_1) | instskip(NEXT) | instid1(VALU_DEP_1)
	v_add_f32_e32 v30, v121, v27
	v_mul_f32_e32 v32, v29, v30
	v_sub_f32_e32 v120, v121, v30
	s_delay_alu instid0(VALU_DEP_2) | instskip(NEXT) | instid1(VALU_DEP_2)
	v_mul_f32_e32 v35, v33, v32
	v_add_f32_e32 v27, v27, v120
	s_delay_alu instid0(VALU_DEP_2) | instskip(NEXT) | instid1(VALU_DEP_1)
	v_fma_f32 v33, v32, v33, -v35
	v_fmac_f32_e32 v33, v32, v31
	s_delay_alu instid0(VALU_DEP_1) | instskip(NEXT) | instid1(VALU_DEP_1)
	v_add_f32_e32 v31, v35, v33
	v_sub_f32_e32 v119, v30, v31
	v_sub_f32_e32 v35, v31, v35
	s_delay_alu instid0(VALU_DEP_2) | instskip(NEXT) | instid1(VALU_DEP_1)
	v_sub_f32_e32 v30, v30, v119
	v_dual_sub_f32 v30, v30, v31 :: v_dual_sub_f32 v31, v35, v33
	s_delay_alu instid0(VALU_DEP_1) | instskip(NEXT) | instid1(VALU_DEP_1)
	v_dual_add_f32 v27, v27, v30 :: v_dual_add_f32 v30, v118, v32
	v_add_f32_e32 v27, v31, v27
	s_delay_alu instid0(VALU_DEP_2) | instskip(NEXT) | instid1(VALU_DEP_2)
	v_sub_f32_e32 v31, v30, v118
	v_add_f32_e32 v27, v119, v27
	s_delay_alu instid0(VALU_DEP_2) | instskip(NEXT) | instid1(VALU_DEP_2)
	v_sub_f32_e32 v31, v32, v31
	v_mul_f32_e32 v27, v29, v27
	s_delay_alu instid0(VALU_DEP_1) | instskip(NEXT) | instid1(VALU_DEP_1)
	v_add_f32_e32 v27, v31, v27
	v_add_f32_e32 v29, v30, v27
	s_delay_alu instid0(VALU_DEP_1) | instskip(NEXT) | instid1(VALU_DEP_1)
	v_mul_f32_e32 v31, v29, v29
	v_fmaak_f32 v32, s74, v31, 0x3ecc95a3
	v_mul_f32_e32 v33, v29, v31
	s_delay_alu instid0(VALU_DEP_2) | instskip(SKIP_2) | instid1(VALU_DEP_3)
	v_fmaak_f32 v31, v31, v32, 0x3f2aaada
	v_ldexp_f32 v32, v29, 1
	v_sub_f32_e32 v29, v29, v30
	v_mul_f32_e32 v31, v33, v31
	v_mul_f32_e32 v33, 0x3f317218, v26
	s_delay_alu instid0(VALU_DEP_2) | instskip(NEXT) | instid1(VALU_DEP_1)
	v_dual_sub_f32 v27, v27, v29 :: v_dual_add_f32 v30, v32, v31
	v_ldexp_f32 v27, v27, 1
	s_delay_alu instid0(VALU_DEP_2) | instskip(NEXT) | instid1(VALU_DEP_4)
	v_sub_f32_e32 v29, v30, v32
	v_fma_f32 v32, 0x3f317218, v26, -v33
	s_delay_alu instid0(VALU_DEP_1) | instskip(NEXT) | instid1(VALU_DEP_1)
	v_dual_sub_f32 v29, v31, v29 :: v_dual_fmac_f32 v32, 0xb102e308, v26
	v_dual_add_f32 v26, v27, v29 :: v_dual_add_f32 v27, v33, v32
	s_delay_alu instid0(VALU_DEP_1) | instskip(NEXT) | instid1(VALU_DEP_2)
	v_add_f32_e32 v29, v30, v26
	v_sub_f32_e32 v33, v27, v33
	s_delay_alu instid0(VALU_DEP_2) | instskip(NEXT) | instid1(VALU_DEP_1)
	v_dual_add_f32 v31, v27, v29 :: v_dual_sub_f32 v30, v29, v30
	v_dual_sub_f32 v32, v32, v33 :: v_dual_sub_f32 v35, v31, v27
	s_delay_alu instid0(VALU_DEP_2) | instskip(NEXT) | instid1(VALU_DEP_2)
	v_sub_f32_e32 v26, v26, v30
	v_sub_f32_e32 v118, v31, v35
	s_delay_alu instid0(VALU_DEP_2) | instskip(NEXT) | instid1(VALU_DEP_2)
	v_dual_sub_f32 v29, v29, v35 :: v_dual_add_f32 v30, v32, v26
	v_sub_f32_e32 v27, v27, v118
	s_delay_alu instid0(VALU_DEP_1) | instskip(NEXT) | instid1(VALU_DEP_3)
	v_add_f32_e32 v27, v29, v27
	v_sub_f32_e32 v29, v30, v32
	s_delay_alu instid0(VALU_DEP_2) | instskip(NEXT) | instid1(VALU_DEP_2)
	v_add_f32_e32 v27, v30, v27
	v_sub_f32_e32 v30, v30, v29
	s_delay_alu instid0(VALU_DEP_2) | instskip(NEXT) | instid1(VALU_DEP_1)
	v_dual_sub_f32 v26, v26, v29 :: v_dual_add_f32 v33, v31, v27
	v_dual_sub_f32 v30, v32, v30 :: v_dual_sub_f32 v29, v33, v31
	s_delay_alu instid0(VALU_DEP_1) | instskip(NEXT) | instid1(VALU_DEP_1)
	v_dual_add_f32 v26, v26, v30 :: v_dual_sub_f32 v27, v27, v29
	v_add_f32_e32 v26, v26, v27
	s_delay_alu instid0(VALU_DEP_1) | instskip(NEXT) | instid1(VALU_DEP_1)
	v_add_f32_e32 v26, v33, v26
	v_cndmask_b32_e32 v118, v26, v28, vcc_lo
.LBB152_90:                             ;   in Loop: Header=BB152_12 Depth=1
	s_or_b32 exec_lo, exec_lo, s30
	s_waitcnt lgkmcnt(3)
	v_add_f32_e32 v119, s85, v24
	s_delay_alu instid0(VALU_DEP_1) | instskip(SKIP_1) | instid1(SALU_CYCLE_1)
	v_cmp_ge_f32_e32 vcc_lo, 0x41a00000, v119
	s_and_b32 s29, s92, vcc_lo
	s_and_saveexec_b32 s30, s29
	s_cbranch_execz .LBB152_92
; %bb.91:                               ;   in Loop: Header=BB152_12 Depth=1
	v_mul_f32_e32 v24, 0x3fb8aa3b, v119
	v_cmp_ngt_f32_e32 vcc_lo, 0xc2ce8ed0, v119
	s_delay_alu instid0(VALU_DEP_2) | instskip(SKIP_1) | instid1(VALU_DEP_1)
	v_rndne_f32_e32 v26, v24
	v_fma_f32 v27, 0x3fb8aa3b, v119, -v24
	v_dual_sub_f32 v24, v24, v26 :: v_dual_fmac_f32 v27, 0x32a5705f, v119
	v_cvt_i32_f32_e32 v26, v26
	s_delay_alu instid0(VALU_DEP_2) | instskip(NEXT) | instid1(VALU_DEP_1)
	v_add_f32_e32 v24, v24, v27
	v_exp_f32_e32 v24, v24
	s_waitcnt_depctr 0xfff
	v_ldexp_f32 v24, v24, v26
	s_delay_alu instid0(VALU_DEP_1) | instskip(SKIP_1) | instid1(VALU_DEP_2)
	v_cndmask_b32_e32 v24, 0, v24, vcc_lo
	v_cmp_nlt_f32_e32 vcc_lo, 0x42b17218, v119
	v_cndmask_b32_e32 v24, 0x7f800000, v24, vcc_lo
	s_delay_alu instid0(VALU_DEP_1) | instskip(NEXT) | instid1(VALU_DEP_1)
	v_add_f32_e32 v28, 1.0, v24
	v_cvt_f64_f32_e32 v[26:27], v28
	s_delay_alu instid0(VALU_DEP_1) | instskip(SKIP_1) | instid1(VALU_DEP_1)
	v_frexp_exp_i32_f64_e32 v26, v[26:27]
	v_frexp_mant_f32_e32 v27, v28
	v_cmp_gt_f32_e32 vcc_lo, 0x3f2aaaab, v27
	v_add_f32_e32 v27, -1.0, v28
	s_delay_alu instid0(VALU_DEP_1) | instskip(SKIP_1) | instid1(VALU_DEP_1)
	v_dual_sub_f32 v30, v27, v28 :: v_dual_sub_f32 v27, v24, v27
	v_subrev_co_ci_u32_e32 v26, vcc_lo, 0, v26, vcc_lo
	v_sub_nc_u32_e32 v29, 0, v26
	v_cvt_f32_i32_e32 v26, v26
	s_delay_alu instid0(VALU_DEP_2) | instskip(NEXT) | instid1(VALU_DEP_1)
	v_ldexp_f32 v28, v28, v29
	v_dual_add_f32 v30, 1.0, v30 :: v_dual_add_f32 v31, 1.0, v28
	s_delay_alu instid0(VALU_DEP_1) | instskip(NEXT) | instid1(VALU_DEP_1)
	v_add_f32_e32 v27, v27, v30
	v_ldexp_f32 v27, v27, v29
	s_delay_alu instid0(VALU_DEP_3) | instskip(NEXT) | instid1(VALU_DEP_1)
	v_dual_add_f32 v29, -1.0, v28 :: v_dual_add_f32 v30, -1.0, v31
	v_add_f32_e32 v32, 1.0, v29
	s_delay_alu instid0(VALU_DEP_2) | instskip(NEXT) | instid1(VALU_DEP_2)
	v_sub_f32_e32 v30, v28, v30
	v_sub_f32_e32 v28, v28, v32
	s_delay_alu instid0(VALU_DEP_2) | instskip(NEXT) | instid1(VALU_DEP_2)
	v_add_f32_e32 v30, v27, v30
	v_add_f32_e32 v27, v27, v28
	s_delay_alu instid0(VALU_DEP_1) | instskip(SKIP_2) | instid1(VALU_DEP_3)
	v_dual_add_f32 v33, v29, v27 :: v_dual_add_f32 v32, v31, v30
	v_cmp_eq_f32_e32 vcc_lo, 0x7f800000, v24
	v_cmp_gt_f32_e64 s29, 0x33800000, v24
	v_sub_f32_e32 v29, v29, v33
	s_delay_alu instid0(VALU_DEP_4) | instskip(SKIP_1) | instid1(VALU_DEP_3)
	v_rcp_f32_e32 v28, v32
	v_sub_f32_e32 v31, v31, v32
	s_or_b32 vcc_lo, s29, vcc_lo
	s_delay_alu instid0(VALU_DEP_1) | instskip(SKIP_2) | instid1(VALU_DEP_1)
	v_dual_add_f32 v27, v27, v29 :: v_dual_add_f32 v30, v30, v31
	s_waitcnt_depctr 0xfff
	v_mul_f32_e32 v35, v33, v28
	v_mul_f32_e32 v119, v32, v35
	s_delay_alu instid0(VALU_DEP_1) | instskip(NEXT) | instid1(VALU_DEP_1)
	v_fma_f32 v31, v35, v32, -v119
	v_fmac_f32_e32 v31, v35, v30
	s_delay_alu instid0(VALU_DEP_1) | instskip(NEXT) | instid1(VALU_DEP_1)
	v_add_f32_e32 v120, v119, v31
	v_sub_f32_e32 v121, v33, v120
	v_sub_f32_e32 v29, v120, v119
	s_delay_alu instid0(VALU_DEP_2) | instskip(NEXT) | instid1(VALU_DEP_2)
	v_sub_f32_e32 v33, v33, v121
	v_sub_f32_e32 v29, v29, v31
	s_delay_alu instid0(VALU_DEP_2) | instskip(NEXT) | instid1(VALU_DEP_1)
	v_sub_f32_e32 v33, v33, v120
	v_add_f32_e32 v27, v27, v33
	s_delay_alu instid0(VALU_DEP_1) | instskip(NEXT) | instid1(VALU_DEP_1)
	v_add_f32_e32 v27, v29, v27
	v_add_f32_e32 v29, v121, v27
	s_delay_alu instid0(VALU_DEP_1) | instskip(NEXT) | instid1(VALU_DEP_1)
	v_mul_f32_e32 v31, v28, v29
	v_dual_sub_f32 v120, v121, v29 :: v_dual_mul_f32 v33, v32, v31
	s_delay_alu instid0(VALU_DEP_1) | instskip(NEXT) | instid1(VALU_DEP_2)
	v_add_f32_e32 v27, v27, v120
	v_fma_f32 v32, v31, v32, -v33
	s_delay_alu instid0(VALU_DEP_1) | instskip(NEXT) | instid1(VALU_DEP_1)
	v_fmac_f32_e32 v32, v31, v30
	v_add_f32_e32 v30, v33, v32
	s_delay_alu instid0(VALU_DEP_1) | instskip(NEXT) | instid1(VALU_DEP_1)
	v_sub_f32_e32 v119, v29, v30
	v_sub_f32_e32 v29, v29, v119
	s_delay_alu instid0(VALU_DEP_1) | instskip(NEXT) | instid1(VALU_DEP_1)
	v_sub_f32_e32 v29, v29, v30
	v_add_f32_e32 v27, v27, v29
	v_add_f32_e32 v29, v35, v31
	v_sub_f32_e32 v33, v30, v33
	s_delay_alu instid0(VALU_DEP_1) | instskip(NEXT) | instid1(VALU_DEP_1)
	v_sub_f32_e32 v30, v33, v32
	v_add_f32_e32 v27, v30, v27
	s_delay_alu instid0(VALU_DEP_4) | instskip(NEXT) | instid1(VALU_DEP_2)
	v_sub_f32_e32 v30, v29, v35
	v_add_f32_e32 v27, v119, v27
	s_delay_alu instid0(VALU_DEP_1) | instskip(NEXT) | instid1(VALU_DEP_1)
	v_dual_sub_f32 v30, v31, v30 :: v_dual_mul_f32 v27, v28, v27
	v_add_f32_e32 v27, v30, v27
	s_delay_alu instid0(VALU_DEP_1) | instskip(NEXT) | instid1(VALU_DEP_1)
	v_add_f32_e32 v28, v29, v27
	v_mul_f32_e32 v30, v28, v28
	s_delay_alu instid0(VALU_DEP_1) | instskip(SKIP_1) | instid1(VALU_DEP_2)
	v_fmaak_f32 v31, s74, v30, 0x3ecc95a3
	v_mul_f32_e32 v32, v28, v30
	v_fmaak_f32 v30, v30, v31, 0x3f2aaada
	v_ldexp_f32 v31, v28, 1
	v_sub_f32_e32 v28, v28, v29
	s_delay_alu instid0(VALU_DEP_3) | instskip(NEXT) | instid1(VALU_DEP_2)
	v_mul_f32_e32 v30, v32, v30
	v_dual_mul_f32 v32, 0x3f317218, v26 :: v_dual_sub_f32 v27, v27, v28
	s_delay_alu instid0(VALU_DEP_2) | instskip(NEXT) | instid1(VALU_DEP_2)
	v_add_f32_e32 v29, v31, v30
	v_ldexp_f32 v27, v27, 1
	s_delay_alu instid0(VALU_DEP_2) | instskip(NEXT) | instid1(VALU_DEP_4)
	v_sub_f32_e32 v28, v29, v31
	v_fma_f32 v31, 0x3f317218, v26, -v32
	s_delay_alu instid0(VALU_DEP_1) | instskip(NEXT) | instid1(VALU_DEP_1)
	v_dual_sub_f32 v28, v30, v28 :: v_dual_fmac_f32 v31, 0xb102e308, v26
	v_add_f32_e32 v26, v27, v28
	s_delay_alu instid0(VALU_DEP_1) | instskip(NEXT) | instid1(VALU_DEP_1)
	v_add_f32_e32 v28, v29, v26
	v_sub_f32_e32 v29, v28, v29
	s_delay_alu instid0(VALU_DEP_1) | instskip(NEXT) | instid1(VALU_DEP_1)
	v_dual_sub_f32 v26, v26, v29 :: v_dual_add_f32 v27, v32, v31
	v_add_f32_e32 v30, v27, v28
	s_delay_alu instid0(VALU_DEP_1) | instskip(NEXT) | instid1(VALU_DEP_1)
	v_dual_sub_f32 v32, v27, v32 :: v_dual_sub_f32 v33, v30, v27
	v_dual_sub_f32 v31, v31, v32 :: v_dual_sub_f32 v28, v28, v33
	s_delay_alu instid0(VALU_DEP_1) | instskip(SKIP_1) | instid1(VALU_DEP_1)
	v_add_f32_e32 v29, v31, v26
	v_sub_f32_e32 v35, v30, v33
	v_sub_f32_e32 v27, v27, v35
	s_delay_alu instid0(VALU_DEP_1) | instskip(NEXT) | instid1(VALU_DEP_4)
	v_add_f32_e32 v27, v28, v27
	v_sub_f32_e32 v28, v29, v31
	s_delay_alu instid0(VALU_DEP_2) | instskip(NEXT) | instid1(VALU_DEP_2)
	v_add_f32_e32 v27, v29, v27
	v_sub_f32_e32 v29, v29, v28
	v_sub_f32_e32 v26, v26, v28
	s_delay_alu instid0(VALU_DEP_2) | instskip(NEXT) | instid1(VALU_DEP_1)
	v_dual_add_f32 v32, v30, v27 :: v_dual_sub_f32 v29, v31, v29
	v_sub_f32_e32 v28, v32, v30
	s_delay_alu instid0(VALU_DEP_1) | instskip(NEXT) | instid1(VALU_DEP_1)
	v_dual_add_f32 v26, v26, v29 :: v_dual_sub_f32 v27, v27, v28
	v_add_f32_e32 v26, v26, v27
	s_delay_alu instid0(VALU_DEP_1) | instskip(NEXT) | instid1(VALU_DEP_1)
	v_add_f32_e32 v26, v32, v26
	v_cndmask_b32_e32 v119, v26, v24, vcc_lo
.LBB152_92:                             ;   in Loop: Header=BB152_12 Depth=1
	s_or_b32 exec_lo, exec_lo, s30
	v_add_f32_e32 v128, s85, v25
	s_delay_alu instid0(VALU_DEP_1) | instskip(SKIP_1) | instid1(SALU_CYCLE_1)
	v_cmp_ge_f32_e32 vcc_lo, 0x41a00000, v128
	s_and_b32 s29, s92, vcc_lo
	s_and_saveexec_b32 s30, s29
	s_cbranch_execz .LBB152_94
; %bb.93:                               ;   in Loop: Header=BB152_12 Depth=1
	v_mul_f32_e32 v24, 0x3fb8aa3b, v128
	v_cmp_ngt_f32_e32 vcc_lo, 0xc2ce8ed0, v128
	s_delay_alu instid0(VALU_DEP_2) | instskip(SKIP_1) | instid1(VALU_DEP_2)
	v_rndne_f32_e32 v25, v24
	v_fma_f32 v26, 0x3fb8aa3b, v128, -v24
	v_sub_f32_e32 v24, v24, v25
	s_delay_alu instid0(VALU_DEP_2) | instskip(SKIP_1) | instid1(VALU_DEP_2)
	v_fmac_f32_e32 v26, 0x32a5705f, v128
	v_cvt_i32_f32_e32 v25, v25
	v_add_f32_e32 v24, v24, v26
	s_delay_alu instid0(VALU_DEP_1) | instskip(SKIP_2) | instid1(VALU_DEP_1)
	v_exp_f32_e32 v24, v24
	s_waitcnt_depctr 0xfff
	v_ldexp_f32 v24, v24, v25
	v_cndmask_b32_e32 v24, 0, v24, vcc_lo
	v_cmp_nlt_f32_e32 vcc_lo, 0x42b17218, v128
	s_delay_alu instid0(VALU_DEP_2) | instskip(NEXT) | instid1(VALU_DEP_1)
	v_cndmask_b32_e32 v26, 0x7f800000, v24, vcc_lo
	v_add_f32_e32 v27, 1.0, v26
	s_delay_alu instid0(VALU_DEP_1) | instskip(NEXT) | instid1(VALU_DEP_1)
	v_cvt_f64_f32_e32 v[24:25], v27
	v_frexp_exp_i32_f64_e32 v24, v[24:25]
	v_frexp_mant_f32_e32 v25, v27
	s_delay_alu instid0(VALU_DEP_1) | instskip(SKIP_1) | instid1(VALU_DEP_1)
	v_cmp_gt_f32_e32 vcc_lo, 0x3f2aaaab, v25
	v_add_f32_e32 v25, -1.0, v27
	v_sub_f32_e32 v29, v25, v27
	v_sub_f32_e32 v25, v26, v25
	s_delay_alu instid0(VALU_DEP_2) | instskip(NEXT) | instid1(VALU_DEP_1)
	v_add_f32_e32 v29, 1.0, v29
	v_add_f32_e32 v25, v25, v29
	v_cmp_gt_f32_e64 s29, 0x33800000, v26
	v_subrev_co_ci_u32_e32 v24, vcc_lo, 0, v24, vcc_lo
	v_cmp_eq_f32_e32 vcc_lo, 0x7f800000, v26
	s_delay_alu instid0(VALU_DEP_2) | instskip(SKIP_2) | instid1(VALU_DEP_2)
	v_sub_nc_u32_e32 v28, 0, v24
	v_cvt_f32_i32_e32 v24, v24
	s_or_b32 vcc_lo, s29, vcc_lo
	v_ldexp_f32 v27, v27, v28
	v_ldexp_f32 v25, v25, v28
	s_delay_alu instid0(VALU_DEP_2) | instskip(NEXT) | instid1(VALU_DEP_1)
	v_add_f32_e32 v30, 1.0, v27
	v_dual_add_f32 v28, -1.0, v27 :: v_dual_add_f32 v29, -1.0, v30
	s_delay_alu instid0(VALU_DEP_1) | instskip(NEXT) | instid1(VALU_DEP_2)
	v_add_f32_e32 v31, 1.0, v28
	v_sub_f32_e32 v29, v27, v29
	s_delay_alu instid0(VALU_DEP_2) | instskip(NEXT) | instid1(VALU_DEP_2)
	v_sub_f32_e32 v27, v27, v31
	v_add_f32_e32 v29, v25, v29
	s_delay_alu instid0(VALU_DEP_2) | instskip(NEXT) | instid1(VALU_DEP_2)
	v_add_f32_e32 v25, v25, v27
	v_add_f32_e32 v31, v30, v29
	s_delay_alu instid0(VALU_DEP_2) | instskip(NEXT) | instid1(VALU_DEP_2)
	v_add_f32_e32 v32, v28, v25
	v_rcp_f32_e32 v27, v31
	v_sub_f32_e32 v30, v30, v31
	s_delay_alu instid0(VALU_DEP_1) | instskip(SKIP_2) | instid1(VALU_DEP_1)
	v_dual_sub_f32 v28, v28, v32 :: v_dual_add_f32 v29, v29, v30
	s_waitcnt_depctr 0xfff
	v_mul_f32_e32 v33, v32, v27
	v_mul_f32_e32 v35, v31, v33
	s_delay_alu instid0(VALU_DEP_1) | instskip(NEXT) | instid1(VALU_DEP_1)
	v_fma_f32 v30, v33, v31, -v35
	v_fmac_f32_e32 v30, v33, v29
	s_delay_alu instid0(VALU_DEP_1) | instskip(NEXT) | instid1(VALU_DEP_1)
	v_add_f32_e32 v120, v35, v30
	v_sub_f32_e32 v121, v32, v120
	s_delay_alu instid0(VALU_DEP_1) | instskip(NEXT) | instid1(VALU_DEP_1)
	v_sub_f32_e32 v32, v32, v121
	v_sub_f32_e32 v32, v32, v120
	v_dual_add_f32 v25, v25, v28 :: v_dual_sub_f32 v28, v120, v35
	s_delay_alu instid0(VALU_DEP_1) | instskip(NEXT) | instid1(VALU_DEP_1)
	v_dual_add_f32 v25, v25, v32 :: v_dual_sub_f32 v28, v28, v30
	v_add_f32_e32 v25, v28, v25
	s_delay_alu instid0(VALU_DEP_1) | instskip(NEXT) | instid1(VALU_DEP_1)
	v_add_f32_e32 v28, v121, v25
	v_mul_f32_e32 v30, v27, v28
	s_delay_alu instid0(VALU_DEP_1) | instskip(SKIP_1) | instid1(VALU_DEP_2)
	v_mul_f32_e32 v32, v31, v30
	v_sub_f32_e32 v120, v121, v28
	v_fma_f32 v31, v30, v31, -v32
	s_delay_alu instid0(VALU_DEP_2) | instskip(NEXT) | instid1(VALU_DEP_2)
	v_add_f32_e32 v25, v25, v120
	v_fmac_f32_e32 v31, v30, v29
	s_delay_alu instid0(VALU_DEP_1) | instskip(NEXT) | instid1(VALU_DEP_1)
	v_add_f32_e32 v29, v32, v31
	v_sub_f32_e32 v35, v28, v29
	s_delay_alu instid0(VALU_DEP_1) | instskip(NEXT) | instid1(VALU_DEP_1)
	v_sub_f32_e32 v28, v28, v35
	v_sub_f32_e32 v28, v28, v29
	s_delay_alu instid0(VALU_DEP_1) | instskip(SKIP_2) | instid1(VALU_DEP_1)
	v_add_f32_e32 v25, v25, v28
	v_add_f32_e32 v28, v33, v30
	v_sub_f32_e32 v32, v29, v32
	v_sub_f32_e32 v29, v32, v31
	s_delay_alu instid0(VALU_DEP_1) | instskip(NEXT) | instid1(VALU_DEP_4)
	v_add_f32_e32 v25, v29, v25
	v_sub_f32_e32 v29, v28, v33
	s_delay_alu instid0(VALU_DEP_2) | instskip(NEXT) | instid1(VALU_DEP_2)
	v_add_f32_e32 v25, v35, v25
	v_sub_f32_e32 v29, v30, v29
	s_delay_alu instid0(VALU_DEP_2) | instskip(NEXT) | instid1(VALU_DEP_1)
	v_mul_f32_e32 v25, v27, v25
	v_add_f32_e32 v25, v29, v25
	s_delay_alu instid0(VALU_DEP_1) | instskip(NEXT) | instid1(VALU_DEP_1)
	v_add_f32_e32 v27, v28, v25
	v_mul_f32_e32 v29, v27, v27
	s_delay_alu instid0(VALU_DEP_1) | instskip(SKIP_1) | instid1(VALU_DEP_2)
	v_fmaak_f32 v30, s74, v29, 0x3ecc95a3
	v_mul_f32_e32 v31, v27, v29
	v_fmaak_f32 v29, v29, v30, 0x3f2aaada
	v_ldexp_f32 v30, v27, 1
	s_delay_alu instid0(VALU_DEP_2) | instskip(SKIP_1) | instid1(VALU_DEP_2)
	v_mul_f32_e32 v29, v31, v29
	v_sub_f32_e32 v27, v27, v28
	v_dual_mul_f32 v31, 0x3f317218, v24 :: v_dual_add_f32 v28, v30, v29
	s_delay_alu instid0(VALU_DEP_2) | instskip(NEXT) | instid1(VALU_DEP_2)
	v_sub_f32_e32 v25, v25, v27
	v_sub_f32_e32 v27, v28, v30
	s_delay_alu instid0(VALU_DEP_3) | instskip(NEXT) | instid1(VALU_DEP_3)
	v_fma_f32 v30, 0x3f317218, v24, -v31
	v_ldexp_f32 v25, v25, 1
	s_delay_alu instid0(VALU_DEP_2) | instskip(NEXT) | instid1(VALU_DEP_1)
	v_dual_sub_f32 v27, v29, v27 :: v_dual_fmac_f32 v30, 0xb102e308, v24
	v_dual_add_f32 v24, v25, v27 :: v_dual_add_f32 v25, v31, v30
	s_delay_alu instid0(VALU_DEP_1) | instskip(NEXT) | instid1(VALU_DEP_1)
	v_add_f32_e32 v27, v28, v24
	v_dual_add_f32 v29, v25, v27 :: v_dual_sub_f32 v28, v27, v28
	s_delay_alu instid0(VALU_DEP_1) | instskip(NEXT) | instid1(VALU_DEP_2)
	v_sub_f32_e32 v32, v29, v25
	v_dual_sub_f32 v31, v25, v31 :: v_dual_sub_f32 v24, v24, v28
	s_delay_alu instid0(VALU_DEP_1) | instskip(SKIP_1) | instid1(VALU_DEP_2)
	v_dual_sub_f32 v33, v29, v32 :: v_dual_sub_f32 v30, v30, v31
	v_sub_f32_e32 v27, v27, v32
	v_dual_sub_f32 v25, v25, v33 :: v_dual_add_f32 v28, v30, v24
	s_delay_alu instid0(VALU_DEP_1) | instskip(NEXT) | instid1(VALU_DEP_2)
	v_add_f32_e32 v25, v27, v25
	v_sub_f32_e32 v27, v28, v30
	s_delay_alu instid0(VALU_DEP_2) | instskip(NEXT) | instid1(VALU_DEP_2)
	v_add_f32_e32 v25, v28, v25
	v_sub_f32_e32 v28, v28, v27
	s_delay_alu instid0(VALU_DEP_2) | instskip(NEXT) | instid1(VALU_DEP_1)
	v_dual_sub_f32 v24, v24, v27 :: v_dual_add_f32 v31, v29, v25
	v_dual_sub_f32 v28, v30, v28 :: v_dual_sub_f32 v27, v31, v29
	s_delay_alu instid0(VALU_DEP_1) | instskip(NEXT) | instid1(VALU_DEP_1)
	v_dual_add_f32 v24, v24, v28 :: v_dual_sub_f32 v25, v25, v27
	v_add_f32_e32 v24, v24, v25
	s_delay_alu instid0(VALU_DEP_1) | instskip(NEXT) | instid1(VALU_DEP_1)
	v_add_f32_e32 v24, v31, v24
	v_cndmask_b32_e32 v128, v24, v26, vcc_lo
.LBB152_94:                             ;   in Loop: Header=BB152_12 Depth=1
	s_or_b32 exec_lo, exec_lo, s30
	s_waitcnt lgkmcnt(2)
	v_add_f32_e32 v131, s85, v22
	s_delay_alu instid0(VALU_DEP_1) | instskip(SKIP_1) | instid1(SALU_CYCLE_1)
	v_cmp_ge_f32_e32 vcc_lo, 0x41a00000, v131
	s_and_b32 s29, s92, vcc_lo
	s_and_saveexec_b32 s30, s29
	s_cbranch_execz .LBB152_96
; %bb.95:                               ;   in Loop: Header=BB152_12 Depth=1
	v_mul_f32_e32 v22, 0x3fb8aa3b, v131
	v_cmp_ngt_f32_e32 vcc_lo, 0xc2ce8ed0, v131
	s_delay_alu instid0(VALU_DEP_2) | instskip(SKIP_1) | instid1(VALU_DEP_1)
	v_rndne_f32_e32 v24, v22
	v_fma_f32 v25, 0x3fb8aa3b, v131, -v22
	v_dual_sub_f32 v22, v22, v24 :: v_dual_fmac_f32 v25, 0x32a5705f, v131
	v_cvt_i32_f32_e32 v24, v24
	s_delay_alu instid0(VALU_DEP_2) | instskip(NEXT) | instid1(VALU_DEP_1)
	v_add_f32_e32 v22, v22, v25
	v_exp_f32_e32 v22, v22
	s_waitcnt_depctr 0xfff
	v_ldexp_f32 v22, v22, v24
	s_delay_alu instid0(VALU_DEP_1) | instskip(SKIP_1) | instid1(VALU_DEP_2)
	v_cndmask_b32_e32 v22, 0, v22, vcc_lo
	v_cmp_nlt_f32_e32 vcc_lo, 0x42b17218, v131
	v_cndmask_b32_e32 v22, 0x7f800000, v22, vcc_lo
	s_delay_alu instid0(VALU_DEP_1) | instskip(NEXT) | instid1(VALU_DEP_1)
	v_add_f32_e32 v26, 1.0, v22
	v_cvt_f64_f32_e32 v[24:25], v26
	s_delay_alu instid0(VALU_DEP_1) | instskip(SKIP_1) | instid1(VALU_DEP_1)
	v_frexp_exp_i32_f64_e32 v24, v[24:25]
	v_frexp_mant_f32_e32 v25, v26
	v_cmp_gt_f32_e32 vcc_lo, 0x3f2aaaab, v25
	v_add_f32_e32 v25, -1.0, v26
	s_delay_alu instid0(VALU_DEP_1) | instskip(SKIP_1) | instid1(VALU_DEP_1)
	v_dual_sub_f32 v28, v25, v26 :: v_dual_sub_f32 v25, v22, v25
	v_subrev_co_ci_u32_e32 v24, vcc_lo, 0, v24, vcc_lo
	v_sub_nc_u32_e32 v27, 0, v24
	v_cvt_f32_i32_e32 v24, v24
	s_delay_alu instid0(VALU_DEP_2) | instskip(NEXT) | instid1(VALU_DEP_1)
	v_ldexp_f32 v26, v26, v27
	v_dual_add_f32 v28, 1.0, v28 :: v_dual_add_f32 v29, 1.0, v26
	s_delay_alu instid0(VALU_DEP_1) | instskip(NEXT) | instid1(VALU_DEP_1)
	v_add_f32_e32 v25, v25, v28
	v_ldexp_f32 v25, v25, v27
	s_delay_alu instid0(VALU_DEP_3) | instskip(NEXT) | instid1(VALU_DEP_1)
	v_dual_add_f32 v27, -1.0, v26 :: v_dual_add_f32 v28, -1.0, v29
	v_add_f32_e32 v30, 1.0, v27
	s_delay_alu instid0(VALU_DEP_2) | instskip(NEXT) | instid1(VALU_DEP_2)
	v_sub_f32_e32 v28, v26, v28
	v_sub_f32_e32 v26, v26, v30
	s_delay_alu instid0(VALU_DEP_2) | instskip(NEXT) | instid1(VALU_DEP_2)
	v_add_f32_e32 v28, v25, v28
	v_add_f32_e32 v25, v25, v26
	s_delay_alu instid0(VALU_DEP_1) | instskip(SKIP_2) | instid1(VALU_DEP_3)
	v_add_f32_e32 v31, v27, v25
	v_cmp_eq_f32_e32 vcc_lo, 0x7f800000, v22
	v_cmp_gt_f32_e64 s29, 0x33800000, v22
	v_dual_sub_f32 v27, v27, v31 :: v_dual_add_f32 v30, v29, v28
	s_delay_alu instid0(VALU_DEP_2) | instskip(NEXT) | instid1(VALU_DEP_1)
	s_or_b32 vcc_lo, s29, vcc_lo
	v_add_f32_e32 v25, v25, v27
	s_delay_alu instid0(VALU_DEP_2) | instskip(SKIP_1) | instid1(VALU_DEP_1)
	v_rcp_f32_e32 v26, v30
	v_sub_f32_e32 v29, v29, v30
	v_add_f32_e32 v28, v28, v29
	s_waitcnt_depctr 0xfff
	v_mul_f32_e32 v32, v31, v26
	s_delay_alu instid0(VALU_DEP_1) | instskip(NEXT) | instid1(VALU_DEP_1)
	v_mul_f32_e32 v33, v30, v32
	v_fma_f32 v29, v32, v30, -v33
	s_delay_alu instid0(VALU_DEP_1) | instskip(NEXT) | instid1(VALU_DEP_1)
	v_fmac_f32_e32 v29, v32, v28
	v_add_f32_e32 v35, v33, v29
	s_delay_alu instid0(VALU_DEP_1) | instskip(SKIP_1) | instid1(VALU_DEP_2)
	v_sub_f32_e32 v27, v35, v33
	v_sub_f32_e32 v120, v31, v35
	;; [unrolled: 1-line block ×3, first 2 shown]
	s_delay_alu instid0(VALU_DEP_2) | instskip(NEXT) | instid1(VALU_DEP_1)
	v_sub_f32_e32 v31, v31, v120
	v_sub_f32_e32 v31, v31, v35
	s_delay_alu instid0(VALU_DEP_1) | instskip(NEXT) | instid1(VALU_DEP_1)
	v_add_f32_e32 v25, v25, v31
	v_add_f32_e32 v25, v27, v25
	s_delay_alu instid0(VALU_DEP_1) | instskip(NEXT) | instid1(VALU_DEP_1)
	v_add_f32_e32 v27, v120, v25
	v_mul_f32_e32 v29, v26, v27
	s_delay_alu instid0(VALU_DEP_1) | instskip(SKIP_1) | instid1(VALU_DEP_2)
	v_mul_f32_e32 v31, v30, v29
	v_sub_f32_e32 v35, v120, v27
	v_fma_f32 v30, v29, v30, -v31
	s_delay_alu instid0(VALU_DEP_2) | instskip(NEXT) | instid1(VALU_DEP_2)
	v_add_f32_e32 v25, v25, v35
	v_fmac_f32_e32 v30, v29, v28
	s_delay_alu instid0(VALU_DEP_1) | instskip(NEXT) | instid1(VALU_DEP_1)
	v_add_f32_e32 v28, v31, v30
	v_sub_f32_e32 v33, v27, v28
	v_sub_f32_e32 v31, v28, v31
	s_delay_alu instid0(VALU_DEP_2) | instskip(NEXT) | instid1(VALU_DEP_1)
	v_sub_f32_e32 v27, v27, v33
	v_sub_f32_e32 v27, v27, v28
	s_delay_alu instid0(VALU_DEP_1) | instskip(SKIP_1) | instid1(VALU_DEP_1)
	v_dual_sub_f32 v28, v31, v30 :: v_dual_add_f32 v25, v25, v27
	v_add_f32_e32 v27, v32, v29
	v_dual_add_f32 v25, v28, v25 :: v_dual_sub_f32 v28, v27, v32
	s_delay_alu instid0(VALU_DEP_1) | instskip(NEXT) | instid1(VALU_DEP_1)
	v_add_f32_e32 v25, v33, v25
	v_dual_sub_f32 v28, v29, v28 :: v_dual_mul_f32 v25, v26, v25
	s_delay_alu instid0(VALU_DEP_1) | instskip(NEXT) | instid1(VALU_DEP_1)
	v_add_f32_e32 v25, v28, v25
	v_add_f32_e32 v26, v27, v25
	s_delay_alu instid0(VALU_DEP_1) | instskip(NEXT) | instid1(VALU_DEP_1)
	v_mul_f32_e32 v28, v26, v26
	v_fmaak_f32 v29, s74, v28, 0x3ecc95a3
	v_mul_f32_e32 v30, v26, v28
	s_delay_alu instid0(VALU_DEP_2) | instskip(SKIP_2) | instid1(VALU_DEP_3)
	v_fmaak_f32 v28, v28, v29, 0x3f2aaada
	v_ldexp_f32 v29, v26, 1
	v_sub_f32_e32 v26, v26, v27
	v_mul_f32_e32 v28, v30, v28
	s_delay_alu instid0(VALU_DEP_2) | instskip(NEXT) | instid1(VALU_DEP_2)
	v_dual_mul_f32 v30, 0x3f317218, v24 :: v_dual_sub_f32 v25, v25, v26
	v_add_f32_e32 v27, v29, v28
	s_delay_alu instid0(VALU_DEP_2) | instskip(NEXT) | instid1(VALU_DEP_2)
	v_ldexp_f32 v25, v25, 1
	v_sub_f32_e32 v26, v27, v29
	s_delay_alu instid0(VALU_DEP_4) | instskip(NEXT) | instid1(VALU_DEP_1)
	v_fma_f32 v29, 0x3f317218, v24, -v30
	v_dual_sub_f32 v26, v28, v26 :: v_dual_fmac_f32 v29, 0xb102e308, v24
	s_delay_alu instid0(VALU_DEP_1) | instskip(NEXT) | instid1(VALU_DEP_1)
	v_add_f32_e32 v24, v25, v26
	v_add_f32_e32 v26, v27, v24
	s_delay_alu instid0(VALU_DEP_1) | instskip(NEXT) | instid1(VALU_DEP_1)
	v_sub_f32_e32 v27, v26, v27
	v_dual_sub_f32 v24, v24, v27 :: v_dual_add_f32 v25, v30, v29
	s_delay_alu instid0(VALU_DEP_1) | instskip(NEXT) | instid1(VALU_DEP_1)
	v_add_f32_e32 v28, v25, v26
	v_dual_sub_f32 v30, v25, v30 :: v_dual_sub_f32 v31, v28, v25
	s_delay_alu instid0(VALU_DEP_1) | instskip(NEXT) | instid1(VALU_DEP_1)
	v_dual_sub_f32 v29, v29, v30 :: v_dual_sub_f32 v32, v28, v31
	v_dual_sub_f32 v26, v26, v31 :: v_dual_add_f32 v27, v29, v24
	s_delay_alu instid0(VALU_DEP_2) | instskip(NEXT) | instid1(VALU_DEP_1)
	v_sub_f32_e32 v25, v25, v32
	v_add_f32_e32 v25, v26, v25
	s_delay_alu instid0(VALU_DEP_3) | instskip(NEXT) | instid1(VALU_DEP_2)
	v_sub_f32_e32 v26, v27, v29
	v_add_f32_e32 v25, v27, v25
	s_delay_alu instid0(VALU_DEP_2) | instskip(SKIP_1) | instid1(VALU_DEP_2)
	v_sub_f32_e32 v27, v27, v26
	v_sub_f32_e32 v24, v24, v26
	v_dual_add_f32 v30, v28, v25 :: v_dual_sub_f32 v27, v29, v27
	s_delay_alu instid0(VALU_DEP_1) | instskip(NEXT) | instid1(VALU_DEP_1)
	v_sub_f32_e32 v26, v30, v28
	v_dual_add_f32 v24, v24, v27 :: v_dual_sub_f32 v25, v25, v26
	s_delay_alu instid0(VALU_DEP_1) | instskip(NEXT) | instid1(VALU_DEP_1)
	v_add_f32_e32 v24, v24, v25
	v_add_f32_e32 v24, v30, v24
	s_delay_alu instid0(VALU_DEP_1)
	v_cndmask_b32_e32 v131, v24, v22, vcc_lo
.LBB152_96:                             ;   in Loop: Header=BB152_12 Depth=1
	s_or_b32 exec_lo, exec_lo, s30
	v_add_f32_e32 v137, s85, v23
	s_delay_alu instid0(VALU_DEP_1) | instskip(SKIP_1) | instid1(SALU_CYCLE_1)
	v_cmp_ge_f32_e32 vcc_lo, 0x41a00000, v137
	s_and_b32 s29, s92, vcc_lo
	s_and_saveexec_b32 s30, s29
	s_cbranch_execz .LBB152_98
; %bb.97:                               ;   in Loop: Header=BB152_12 Depth=1
	v_mul_f32_e32 v22, 0x3fb8aa3b, v137
	v_cmp_ngt_f32_e32 vcc_lo, 0xc2ce8ed0, v137
	s_delay_alu instid0(VALU_DEP_2) | instskip(SKIP_1) | instid1(VALU_DEP_2)
	v_rndne_f32_e32 v23, v22
	v_fma_f32 v24, 0x3fb8aa3b, v137, -v22
	v_sub_f32_e32 v22, v22, v23
	s_delay_alu instid0(VALU_DEP_2) | instskip(SKIP_1) | instid1(VALU_DEP_2)
	v_fmac_f32_e32 v24, 0x32a5705f, v137
	v_cvt_i32_f32_e32 v23, v23
	v_add_f32_e32 v22, v22, v24
	s_delay_alu instid0(VALU_DEP_1) | instskip(SKIP_2) | instid1(VALU_DEP_1)
	v_exp_f32_e32 v22, v22
	s_waitcnt_depctr 0xfff
	v_ldexp_f32 v22, v22, v23
	v_cndmask_b32_e32 v22, 0, v22, vcc_lo
	v_cmp_nlt_f32_e32 vcc_lo, 0x42b17218, v137
	s_delay_alu instid0(VALU_DEP_2) | instskip(NEXT) | instid1(VALU_DEP_1)
	v_cndmask_b32_e32 v24, 0x7f800000, v22, vcc_lo
	v_add_f32_e32 v25, 1.0, v24
	s_delay_alu instid0(VALU_DEP_1) | instskip(NEXT) | instid1(VALU_DEP_1)
	v_cvt_f64_f32_e32 v[22:23], v25
	v_frexp_exp_i32_f64_e32 v22, v[22:23]
	v_frexp_mant_f32_e32 v23, v25
	s_delay_alu instid0(VALU_DEP_1) | instskip(SKIP_1) | instid1(VALU_DEP_1)
	v_cmp_gt_f32_e32 vcc_lo, 0x3f2aaaab, v23
	v_add_f32_e32 v23, -1.0, v25
	v_sub_f32_e32 v27, v23, v25
	v_sub_f32_e32 v23, v24, v23
	s_delay_alu instid0(VALU_DEP_2) | instskip(NEXT) | instid1(VALU_DEP_1)
	v_add_f32_e32 v27, 1.0, v27
	v_add_f32_e32 v23, v23, v27
	v_cmp_gt_f32_e64 s29, 0x33800000, v24
	v_subrev_co_ci_u32_e32 v22, vcc_lo, 0, v22, vcc_lo
	v_cmp_eq_f32_e32 vcc_lo, 0x7f800000, v24
	s_delay_alu instid0(VALU_DEP_2) | instskip(SKIP_2) | instid1(VALU_DEP_2)
	v_sub_nc_u32_e32 v26, 0, v22
	v_cvt_f32_i32_e32 v22, v22
	s_or_b32 vcc_lo, s29, vcc_lo
	v_ldexp_f32 v25, v25, v26
	v_ldexp_f32 v23, v23, v26
	s_delay_alu instid0(VALU_DEP_2) | instskip(NEXT) | instid1(VALU_DEP_1)
	v_add_f32_e32 v28, 1.0, v25
	v_dual_add_f32 v26, -1.0, v25 :: v_dual_add_f32 v27, -1.0, v28
	s_delay_alu instid0(VALU_DEP_1) | instskip(NEXT) | instid1(VALU_DEP_2)
	v_add_f32_e32 v29, 1.0, v26
	v_sub_f32_e32 v27, v25, v27
	s_delay_alu instid0(VALU_DEP_2) | instskip(NEXT) | instid1(VALU_DEP_2)
	v_sub_f32_e32 v25, v25, v29
	v_add_f32_e32 v27, v23, v27
	s_delay_alu instid0(VALU_DEP_2) | instskip(NEXT) | instid1(VALU_DEP_1)
	v_add_f32_e32 v23, v23, v25
	v_add_f32_e32 v30, v26, v23
	s_delay_alu instid0(VALU_DEP_1) | instskip(NEXT) | instid1(VALU_DEP_1)
	v_dual_add_f32 v29, v28, v27 :: v_dual_sub_f32 v26, v26, v30
	v_rcp_f32_e32 v25, v29
	v_sub_f32_e32 v28, v28, v29
	s_delay_alu instid0(VALU_DEP_1) | instskip(SKIP_2) | instid1(VALU_DEP_1)
	v_add_f32_e32 v27, v27, v28
	s_waitcnt_depctr 0xfff
	v_mul_f32_e32 v31, v30, v25
	v_mul_f32_e32 v32, v29, v31
	s_delay_alu instid0(VALU_DEP_1) | instskip(NEXT) | instid1(VALU_DEP_1)
	v_fma_f32 v28, v31, v29, -v32
	v_fmac_f32_e32 v28, v31, v27
	s_delay_alu instid0(VALU_DEP_1) | instskip(NEXT) | instid1(VALU_DEP_1)
	v_add_f32_e32 v33, v32, v28
	v_sub_f32_e32 v35, v30, v33
	s_delay_alu instid0(VALU_DEP_1) | instskip(SKIP_1) | instid1(VALU_DEP_2)
	v_dual_sub_f32 v30, v30, v35 :: v_dual_add_f32 v23, v23, v26
	v_sub_f32_e32 v26, v33, v32
	v_sub_f32_e32 v30, v30, v33
	s_delay_alu instid0(VALU_DEP_1) | instskip(NEXT) | instid1(VALU_DEP_1)
	v_dual_sub_f32 v26, v26, v28 :: v_dual_add_f32 v23, v23, v30
	v_add_f32_e32 v23, v26, v23
	s_delay_alu instid0(VALU_DEP_1) | instskip(NEXT) | instid1(VALU_DEP_1)
	v_add_f32_e32 v26, v35, v23
	v_mul_f32_e32 v28, v25, v26
	s_delay_alu instid0(VALU_DEP_1) | instskip(NEXT) | instid1(VALU_DEP_1)
	v_dual_sub_f32 v33, v35, v26 :: v_dual_mul_f32 v30, v29, v28
	v_fma_f32 v29, v28, v29, -v30
	s_delay_alu instid0(VALU_DEP_1) | instskip(NEXT) | instid1(VALU_DEP_1)
	v_fmac_f32_e32 v29, v28, v27
	v_add_f32_e32 v27, v30, v29
	s_delay_alu instid0(VALU_DEP_1) | instskip(NEXT) | instid1(VALU_DEP_1)
	v_sub_f32_e32 v32, v26, v27
	v_dual_sub_f32 v26, v26, v32 :: v_dual_add_f32 v23, v23, v33
	s_delay_alu instid0(VALU_DEP_1) | instskip(NEXT) | instid1(VALU_DEP_1)
	v_sub_f32_e32 v26, v26, v27
	v_add_f32_e32 v23, v23, v26
	v_add_f32_e32 v26, v31, v28
	v_sub_f32_e32 v30, v27, v30
	s_delay_alu instid0(VALU_DEP_1) | instskip(NEXT) | instid1(VALU_DEP_1)
	v_sub_f32_e32 v27, v30, v29
	v_add_f32_e32 v23, v27, v23
	s_delay_alu instid0(VALU_DEP_4) | instskip(NEXT) | instid1(VALU_DEP_2)
	v_sub_f32_e32 v27, v26, v31
	v_add_f32_e32 v23, v32, v23
	s_delay_alu instid0(VALU_DEP_2) | instskip(NEXT) | instid1(VALU_DEP_2)
	v_sub_f32_e32 v27, v28, v27
	v_mul_f32_e32 v23, v25, v23
	s_delay_alu instid0(VALU_DEP_1) | instskip(NEXT) | instid1(VALU_DEP_1)
	v_add_f32_e32 v23, v27, v23
	v_add_f32_e32 v25, v26, v23
	s_delay_alu instid0(VALU_DEP_1) | instskip(NEXT) | instid1(VALU_DEP_1)
	v_mul_f32_e32 v27, v25, v25
	v_fmaak_f32 v28, s74, v27, 0x3ecc95a3
	v_mul_f32_e32 v29, v25, v27
	s_delay_alu instid0(VALU_DEP_2) | instskip(SKIP_1) | instid1(VALU_DEP_2)
	v_fmaak_f32 v27, v27, v28, 0x3f2aaada
	v_ldexp_f32 v28, v25, 1
	v_mul_f32_e32 v27, v29, v27
	v_sub_f32_e32 v25, v25, v26
	s_delay_alu instid0(VALU_DEP_2) | instskip(NEXT) | instid1(VALU_DEP_2)
	v_dual_mul_f32 v29, 0x3f317218, v22 :: v_dual_add_f32 v26, v28, v27
	v_sub_f32_e32 v23, v23, v25
	s_delay_alu instid0(VALU_DEP_2) | instskip(NEXT) | instid1(VALU_DEP_3)
	v_sub_f32_e32 v25, v26, v28
	v_fma_f32 v28, 0x3f317218, v22, -v29
	s_delay_alu instid0(VALU_DEP_3) | instskip(NEXT) | instid1(VALU_DEP_2)
	v_ldexp_f32 v23, v23, 1
	v_dual_sub_f32 v25, v27, v25 :: v_dual_fmac_f32 v28, 0xb102e308, v22
	s_delay_alu instid0(VALU_DEP_1) | instskip(NEXT) | instid1(VALU_DEP_1)
	v_dual_add_f32 v22, v23, v25 :: v_dual_add_f32 v23, v29, v28
	v_add_f32_e32 v25, v26, v22
	s_delay_alu instid0(VALU_DEP_1) | instskip(NEXT) | instid1(VALU_DEP_1)
	v_dual_add_f32 v27, v23, v25 :: v_dual_sub_f32 v26, v25, v26
	v_sub_f32_e32 v30, v27, v23
	s_delay_alu instid0(VALU_DEP_2) | instskip(NEXT) | instid1(VALU_DEP_1)
	v_dual_sub_f32 v29, v23, v29 :: v_dual_sub_f32 v22, v22, v26
	v_dual_sub_f32 v31, v27, v30 :: v_dual_sub_f32 v28, v28, v29
	v_sub_f32_e32 v25, v25, v30
	s_delay_alu instid0(VALU_DEP_2) | instskip(NEXT) | instid1(VALU_DEP_1)
	v_dual_sub_f32 v23, v23, v31 :: v_dual_add_f32 v26, v28, v22
	v_add_f32_e32 v23, v25, v23
	s_delay_alu instid0(VALU_DEP_2) | instskip(NEXT) | instid1(VALU_DEP_2)
	v_sub_f32_e32 v25, v26, v28
	v_add_f32_e32 v23, v26, v23
	s_delay_alu instid0(VALU_DEP_2) | instskip(NEXT) | instid1(VALU_DEP_2)
	v_sub_f32_e32 v26, v26, v25
	v_dual_sub_f32 v22, v22, v25 :: v_dual_add_f32 v29, v27, v23
	s_delay_alu instid0(VALU_DEP_1) | instskip(NEXT) | instid1(VALU_DEP_1)
	v_dual_sub_f32 v26, v28, v26 :: v_dual_sub_f32 v25, v29, v27
	v_dual_add_f32 v22, v22, v26 :: v_dual_sub_f32 v23, v23, v25
	s_delay_alu instid0(VALU_DEP_1) | instskip(NEXT) | instid1(VALU_DEP_1)
	v_add_f32_e32 v22, v22, v23
	v_add_f32_e32 v22, v29, v22
	s_delay_alu instid0(VALU_DEP_1)
	v_cndmask_b32_e32 v137, v22, v24, vcc_lo
.LBB152_98:                             ;   in Loop: Header=BB152_12 Depth=1
	s_or_b32 exec_lo, exec_lo, s30
	s_waitcnt lgkmcnt(1)
	v_add_f32_e32 v139, s85, v20
	s_delay_alu instid0(VALU_DEP_1) | instskip(SKIP_1) | instid1(SALU_CYCLE_1)
	v_cmp_ge_f32_e32 vcc_lo, 0x41a00000, v139
	s_and_b32 s29, s92, vcc_lo
	s_and_saveexec_b32 s30, s29
	s_cbranch_execz .LBB152_100
; %bb.99:                               ;   in Loop: Header=BB152_12 Depth=1
	v_mul_f32_e32 v20, 0x3fb8aa3b, v139
	v_cmp_ngt_f32_e32 vcc_lo, 0xc2ce8ed0, v139
	s_delay_alu instid0(VALU_DEP_2) | instskip(SKIP_1) | instid1(VALU_DEP_1)
	v_rndne_f32_e32 v22, v20
	v_fma_f32 v23, 0x3fb8aa3b, v139, -v20
	v_dual_sub_f32 v20, v20, v22 :: v_dual_fmac_f32 v23, 0x32a5705f, v139
	v_cvt_i32_f32_e32 v22, v22
	s_delay_alu instid0(VALU_DEP_2) | instskip(NEXT) | instid1(VALU_DEP_1)
	v_add_f32_e32 v20, v20, v23
	v_exp_f32_e32 v20, v20
	s_waitcnt_depctr 0xfff
	v_ldexp_f32 v20, v20, v22
	s_delay_alu instid0(VALU_DEP_1) | instskip(SKIP_1) | instid1(VALU_DEP_2)
	v_cndmask_b32_e32 v20, 0, v20, vcc_lo
	v_cmp_nlt_f32_e32 vcc_lo, 0x42b17218, v139
	v_cndmask_b32_e32 v20, 0x7f800000, v20, vcc_lo
	s_delay_alu instid0(VALU_DEP_1) | instskip(NEXT) | instid1(VALU_DEP_1)
	v_add_f32_e32 v24, 1.0, v20
	v_cvt_f64_f32_e32 v[22:23], v24
	s_delay_alu instid0(VALU_DEP_1) | instskip(SKIP_1) | instid1(VALU_DEP_1)
	v_frexp_exp_i32_f64_e32 v22, v[22:23]
	v_frexp_mant_f32_e32 v23, v24
	v_cmp_gt_f32_e32 vcc_lo, 0x3f2aaaab, v23
	v_add_f32_e32 v23, -1.0, v24
	s_delay_alu instid0(VALU_DEP_1) | instskip(SKIP_1) | instid1(VALU_DEP_1)
	v_dual_sub_f32 v26, v23, v24 :: v_dual_sub_f32 v23, v20, v23
	v_subrev_co_ci_u32_e32 v22, vcc_lo, 0, v22, vcc_lo
	v_sub_nc_u32_e32 v25, 0, v22
	v_cvt_f32_i32_e32 v22, v22
	s_delay_alu instid0(VALU_DEP_2) | instskip(NEXT) | instid1(VALU_DEP_1)
	v_ldexp_f32 v24, v24, v25
	v_dual_add_f32 v26, 1.0, v26 :: v_dual_add_f32 v27, 1.0, v24
	s_delay_alu instid0(VALU_DEP_1) | instskip(NEXT) | instid1(VALU_DEP_1)
	v_add_f32_e32 v23, v23, v26
	v_ldexp_f32 v23, v23, v25
	s_delay_alu instid0(VALU_DEP_3) | instskip(NEXT) | instid1(VALU_DEP_1)
	v_dual_add_f32 v25, -1.0, v24 :: v_dual_add_f32 v26, -1.0, v27
	v_add_f32_e32 v28, 1.0, v25
	s_delay_alu instid0(VALU_DEP_2) | instskip(NEXT) | instid1(VALU_DEP_2)
	v_sub_f32_e32 v26, v24, v26
	v_sub_f32_e32 v24, v24, v28
	s_delay_alu instid0(VALU_DEP_2) | instskip(NEXT) | instid1(VALU_DEP_2)
	v_add_f32_e32 v26, v23, v26
	v_add_f32_e32 v23, v23, v24
	s_delay_alu instid0(VALU_DEP_1) | instskip(SKIP_2) | instid1(VALU_DEP_3)
	v_dual_add_f32 v29, v25, v23 :: v_dual_add_f32 v28, v27, v26
	v_cmp_eq_f32_e32 vcc_lo, 0x7f800000, v20
	v_cmp_gt_f32_e64 s29, 0x33800000, v20
	v_sub_f32_e32 v25, v25, v29
	s_delay_alu instid0(VALU_DEP_4) | instskip(SKIP_1) | instid1(VALU_DEP_3)
	v_rcp_f32_e32 v24, v28
	v_sub_f32_e32 v27, v27, v28
	s_or_b32 vcc_lo, s29, vcc_lo
	s_delay_alu instid0(VALU_DEP_1) | instskip(SKIP_2) | instid1(VALU_DEP_1)
	v_dual_add_f32 v23, v23, v25 :: v_dual_add_f32 v26, v26, v27
	s_waitcnt_depctr 0xfff
	v_mul_f32_e32 v30, v29, v24
	v_mul_f32_e32 v31, v28, v30
	s_delay_alu instid0(VALU_DEP_1) | instskip(NEXT) | instid1(VALU_DEP_1)
	v_fma_f32 v27, v30, v28, -v31
	v_fmac_f32_e32 v27, v30, v26
	s_delay_alu instid0(VALU_DEP_1) | instskip(NEXT) | instid1(VALU_DEP_1)
	v_add_f32_e32 v32, v31, v27
	v_sub_f32_e32 v33, v29, v32
	s_delay_alu instid0(VALU_DEP_1) | instskip(NEXT) | instid1(VALU_DEP_1)
	v_sub_f32_e32 v29, v29, v33
	v_sub_f32_e32 v29, v29, v32
	;; [unrolled: 1-line block ×3, first 2 shown]
	s_delay_alu instid0(VALU_DEP_2) | instskip(NEXT) | instid1(VALU_DEP_2)
	v_add_f32_e32 v23, v23, v29
	v_sub_f32_e32 v25, v25, v27
	s_delay_alu instid0(VALU_DEP_1) | instskip(NEXT) | instid1(VALU_DEP_1)
	v_add_f32_e32 v23, v25, v23
	v_add_f32_e32 v25, v33, v23
	s_delay_alu instid0(VALU_DEP_1) | instskip(NEXT) | instid1(VALU_DEP_1)
	v_mul_f32_e32 v27, v24, v25
	v_dual_sub_f32 v32, v33, v25 :: v_dual_mul_f32 v29, v28, v27
	s_delay_alu instid0(VALU_DEP_1) | instskip(NEXT) | instid1(VALU_DEP_2)
	v_add_f32_e32 v23, v23, v32
	v_fma_f32 v28, v27, v28, -v29
	s_delay_alu instid0(VALU_DEP_1) | instskip(NEXT) | instid1(VALU_DEP_1)
	v_fmac_f32_e32 v28, v27, v26
	v_add_f32_e32 v26, v29, v28
	s_delay_alu instid0(VALU_DEP_1) | instskip(NEXT) | instid1(VALU_DEP_1)
	v_sub_f32_e32 v31, v25, v26
	v_sub_f32_e32 v25, v25, v31
	s_delay_alu instid0(VALU_DEP_1) | instskip(NEXT) | instid1(VALU_DEP_1)
	v_sub_f32_e32 v25, v25, v26
	v_add_f32_e32 v23, v23, v25
	v_add_f32_e32 v25, v30, v27
	v_sub_f32_e32 v29, v26, v29
	s_delay_alu instid0(VALU_DEP_1) | instskip(NEXT) | instid1(VALU_DEP_1)
	v_sub_f32_e32 v26, v29, v28
	v_dual_add_f32 v23, v26, v23 :: v_dual_sub_f32 v26, v25, v30
	s_delay_alu instid0(VALU_DEP_1) | instskip(NEXT) | instid1(VALU_DEP_1)
	v_add_f32_e32 v23, v31, v23
	v_dual_sub_f32 v26, v27, v26 :: v_dual_mul_f32 v23, v24, v23
	s_delay_alu instid0(VALU_DEP_1) | instskip(NEXT) | instid1(VALU_DEP_1)
	v_add_f32_e32 v23, v26, v23
	v_add_f32_e32 v24, v25, v23
	s_delay_alu instid0(VALU_DEP_1) | instskip(NEXT) | instid1(VALU_DEP_1)
	v_mul_f32_e32 v26, v24, v24
	v_fmaak_f32 v27, s74, v26, 0x3ecc95a3
	v_mul_f32_e32 v28, v24, v26
	s_delay_alu instid0(VALU_DEP_2) | instskip(SKIP_2) | instid1(VALU_DEP_3)
	v_fmaak_f32 v26, v26, v27, 0x3f2aaada
	v_ldexp_f32 v27, v24, 1
	v_sub_f32_e32 v24, v24, v25
	v_mul_f32_e32 v26, v28, v26
	v_mul_f32_e32 v28, 0x3f317218, v22
	s_delay_alu instid0(VALU_DEP_2) | instskip(NEXT) | instid1(VALU_DEP_1)
	v_add_f32_e32 v25, v27, v26
	v_dual_sub_f32 v23, v23, v24 :: v_dual_sub_f32 v24, v25, v27
	s_delay_alu instid0(VALU_DEP_3) | instskip(NEXT) | instid1(VALU_DEP_2)
	v_fma_f32 v27, 0x3f317218, v22, -v28
	v_ldexp_f32 v23, v23, 1
	s_delay_alu instid0(VALU_DEP_2) | instskip(NEXT) | instid1(VALU_DEP_1)
	v_dual_sub_f32 v24, v26, v24 :: v_dual_fmac_f32 v27, 0xb102e308, v22
	v_dual_add_f32 v22, v23, v24 :: v_dual_add_f32 v23, v28, v27
	s_delay_alu instid0(VALU_DEP_1) | instskip(NEXT) | instid1(VALU_DEP_1)
	v_add_f32_e32 v24, v25, v22
	v_add_f32_e32 v26, v23, v24
	s_delay_alu instid0(VALU_DEP_1) | instskip(NEXT) | instid1(VALU_DEP_1)
	v_sub_f32_e32 v29, v26, v23
	v_sub_f32_e32 v30, v26, v29
	;; [unrolled: 1-line block ×4, first 2 shown]
	s_delay_alu instid0(VALU_DEP_2) | instskip(SKIP_1) | instid1(VALU_DEP_1)
	v_sub_f32_e32 v22, v22, v25
	v_sub_f32_e32 v28, v23, v28
	;; [unrolled: 1-line block ×3, first 2 shown]
	s_delay_alu instid0(VALU_DEP_1) | instskip(SKIP_1) | instid1(VALU_DEP_1)
	v_add_f32_e32 v25, v27, v22
	v_sub_f32_e32 v23, v23, v30
	v_add_f32_e32 v23, v24, v23
	s_delay_alu instid0(VALU_DEP_3) | instskip(NEXT) | instid1(VALU_DEP_1)
	v_sub_f32_e32 v24, v25, v27
	v_dual_sub_f32 v22, v22, v24 :: v_dual_add_f32 v23, v25, v23
	s_delay_alu instid0(VALU_DEP_1) | instskip(NEXT) | instid1(VALU_DEP_1)
	v_dual_sub_f32 v25, v25, v24 :: v_dual_add_f32 v28, v26, v23
	v_dual_sub_f32 v25, v27, v25 :: v_dual_sub_f32 v24, v28, v26
	s_delay_alu instid0(VALU_DEP_1) | instskip(NEXT) | instid1(VALU_DEP_1)
	v_dual_add_f32 v22, v22, v25 :: v_dual_sub_f32 v23, v23, v24
	v_add_f32_e32 v22, v22, v23
	s_delay_alu instid0(VALU_DEP_1) | instskip(NEXT) | instid1(VALU_DEP_1)
	v_add_f32_e32 v22, v28, v22
	v_cndmask_b32_e32 v139, v22, v20, vcc_lo
.LBB152_100:                            ;   in Loop: Header=BB152_12 Depth=1
	s_or_b32 exec_lo, exec_lo, s30
	v_add_f32_e32 v140, s85, v21
	s_delay_alu instid0(VALU_DEP_1) | instskip(SKIP_1) | instid1(SALU_CYCLE_1)
	v_cmp_ge_f32_e32 vcc_lo, 0x41a00000, v140
	s_and_b32 s29, s92, vcc_lo
	s_and_saveexec_b32 s30, s29
	s_cbranch_execz .LBB152_102
; %bb.101:                              ;   in Loop: Header=BB152_12 Depth=1
	v_mul_f32_e32 v20, 0x3fb8aa3b, v140
	v_cmp_ngt_f32_e32 vcc_lo, 0xc2ce8ed0, v140
	s_delay_alu instid0(VALU_DEP_2) | instskip(SKIP_1) | instid1(VALU_DEP_2)
	v_rndne_f32_e32 v21, v20
	v_fma_f32 v22, 0x3fb8aa3b, v140, -v20
	v_sub_f32_e32 v20, v20, v21
	s_delay_alu instid0(VALU_DEP_2) | instskip(SKIP_1) | instid1(VALU_DEP_2)
	v_fmac_f32_e32 v22, 0x32a5705f, v140
	v_cvt_i32_f32_e32 v21, v21
	v_add_f32_e32 v20, v20, v22
	s_delay_alu instid0(VALU_DEP_1) | instskip(SKIP_2) | instid1(VALU_DEP_1)
	v_exp_f32_e32 v20, v20
	s_waitcnt_depctr 0xfff
	v_ldexp_f32 v20, v20, v21
	v_cndmask_b32_e32 v20, 0, v20, vcc_lo
	v_cmp_nlt_f32_e32 vcc_lo, 0x42b17218, v140
	s_delay_alu instid0(VALU_DEP_2) | instskip(NEXT) | instid1(VALU_DEP_1)
	v_cndmask_b32_e32 v22, 0x7f800000, v20, vcc_lo
	v_add_f32_e32 v23, 1.0, v22
	s_delay_alu instid0(VALU_DEP_1) | instskip(NEXT) | instid1(VALU_DEP_1)
	v_cvt_f64_f32_e32 v[20:21], v23
	v_frexp_exp_i32_f64_e32 v20, v[20:21]
	v_frexp_mant_f32_e32 v21, v23
	s_delay_alu instid0(VALU_DEP_1) | instskip(SKIP_1) | instid1(VALU_DEP_1)
	v_cmp_gt_f32_e32 vcc_lo, 0x3f2aaaab, v21
	v_add_f32_e32 v21, -1.0, v23
	v_sub_f32_e32 v25, v21, v23
	v_sub_f32_e32 v21, v22, v21
	s_delay_alu instid0(VALU_DEP_2) | instskip(NEXT) | instid1(VALU_DEP_1)
	v_add_f32_e32 v25, 1.0, v25
	v_add_f32_e32 v21, v21, v25
	v_cmp_gt_f32_e64 s29, 0x33800000, v22
	v_subrev_co_ci_u32_e32 v20, vcc_lo, 0, v20, vcc_lo
	v_cmp_eq_f32_e32 vcc_lo, 0x7f800000, v22
	s_delay_alu instid0(VALU_DEP_2) | instskip(SKIP_2) | instid1(VALU_DEP_2)
	v_sub_nc_u32_e32 v24, 0, v20
	v_cvt_f32_i32_e32 v20, v20
	s_or_b32 vcc_lo, s29, vcc_lo
	v_ldexp_f32 v23, v23, v24
	v_ldexp_f32 v21, v21, v24
	s_delay_alu instid0(VALU_DEP_2) | instskip(NEXT) | instid1(VALU_DEP_1)
	v_add_f32_e32 v26, 1.0, v23
	v_dual_add_f32 v24, -1.0, v23 :: v_dual_add_f32 v25, -1.0, v26
	s_delay_alu instid0(VALU_DEP_1) | instskip(NEXT) | instid1(VALU_DEP_2)
	v_add_f32_e32 v27, 1.0, v24
	v_sub_f32_e32 v25, v23, v25
	s_delay_alu instid0(VALU_DEP_2) | instskip(NEXT) | instid1(VALU_DEP_2)
	v_sub_f32_e32 v23, v23, v27
	v_add_f32_e32 v25, v21, v25
	s_delay_alu instid0(VALU_DEP_2) | instskip(NEXT) | instid1(VALU_DEP_1)
	v_add_f32_e32 v21, v21, v23
	v_add_f32_e32 v28, v24, v21
	s_delay_alu instid0(VALU_DEP_1) | instskip(NEXT) | instid1(VALU_DEP_1)
	v_dual_add_f32 v27, v26, v25 :: v_dual_sub_f32 v24, v24, v28
	v_rcp_f32_e32 v23, v27
	v_sub_f32_e32 v26, v26, v27
	s_delay_alu instid0(VALU_DEP_1) | instskip(SKIP_2) | instid1(VALU_DEP_1)
	v_add_f32_e32 v25, v25, v26
	s_waitcnt_depctr 0xfff
	v_mul_f32_e32 v29, v28, v23
	v_mul_f32_e32 v30, v27, v29
	s_delay_alu instid0(VALU_DEP_1) | instskip(NEXT) | instid1(VALU_DEP_1)
	v_fma_f32 v26, v29, v27, -v30
	v_fmac_f32_e32 v26, v29, v25
	s_delay_alu instid0(VALU_DEP_1) | instskip(NEXT) | instid1(VALU_DEP_1)
	v_add_f32_e32 v31, v30, v26
	v_sub_f32_e32 v32, v28, v31
	s_delay_alu instid0(VALU_DEP_1) | instskip(SKIP_1) | instid1(VALU_DEP_2)
	v_sub_f32_e32 v28, v28, v32
	v_dual_add_f32 v21, v21, v24 :: v_dual_sub_f32 v24, v31, v30
	v_sub_f32_e32 v28, v28, v31
	s_delay_alu instid0(VALU_DEP_1) | instskip(NEXT) | instid1(VALU_DEP_1)
	v_dual_sub_f32 v24, v24, v26 :: v_dual_add_f32 v21, v21, v28
	v_add_f32_e32 v21, v24, v21
	s_delay_alu instid0(VALU_DEP_1) | instskip(NEXT) | instid1(VALU_DEP_1)
	v_add_f32_e32 v24, v32, v21
	v_mul_f32_e32 v26, v23, v24
	s_delay_alu instid0(VALU_DEP_1) | instskip(NEXT) | instid1(VALU_DEP_1)
	v_dual_sub_f32 v31, v32, v24 :: v_dual_mul_f32 v28, v27, v26
	v_add_f32_e32 v21, v21, v31
	s_delay_alu instid0(VALU_DEP_2) | instskip(NEXT) | instid1(VALU_DEP_1)
	v_fma_f32 v27, v26, v27, -v28
	v_fmac_f32_e32 v27, v26, v25
	s_delay_alu instid0(VALU_DEP_1) | instskip(NEXT) | instid1(VALU_DEP_1)
	v_add_f32_e32 v25, v28, v27
	v_sub_f32_e32 v30, v24, v25
	s_delay_alu instid0(VALU_DEP_1) | instskip(NEXT) | instid1(VALU_DEP_1)
	v_sub_f32_e32 v24, v24, v30
	v_sub_f32_e32 v24, v24, v25
	s_delay_alu instid0(VALU_DEP_1) | instskip(SKIP_2) | instid1(VALU_DEP_1)
	v_add_f32_e32 v21, v21, v24
	v_add_f32_e32 v24, v29, v26
	v_sub_f32_e32 v28, v25, v28
	v_sub_f32_e32 v25, v28, v27
	s_delay_alu instid0(VALU_DEP_1) | instskip(NEXT) | instid1(VALU_DEP_4)
	v_add_f32_e32 v21, v25, v21
	v_sub_f32_e32 v25, v24, v29
	s_delay_alu instid0(VALU_DEP_2) | instskip(NEXT) | instid1(VALU_DEP_2)
	v_add_f32_e32 v21, v30, v21
	v_sub_f32_e32 v25, v26, v25
	s_delay_alu instid0(VALU_DEP_2) | instskip(NEXT) | instid1(VALU_DEP_1)
	v_mul_f32_e32 v21, v23, v21
	v_add_f32_e32 v21, v25, v21
	s_delay_alu instid0(VALU_DEP_1) | instskip(NEXT) | instid1(VALU_DEP_1)
	v_add_f32_e32 v23, v24, v21
	v_mul_f32_e32 v25, v23, v23
	s_delay_alu instid0(VALU_DEP_1) | instskip(SKIP_1) | instid1(VALU_DEP_2)
	v_fmaak_f32 v26, s74, v25, 0x3ecc95a3
	v_mul_f32_e32 v27, v23, v25
	v_fmaak_f32 v25, v25, v26, 0x3f2aaada
	v_ldexp_f32 v26, v23, 1
	s_delay_alu instid0(VALU_DEP_2) | instskip(SKIP_1) | instid1(VALU_DEP_2)
	v_mul_f32_e32 v25, v27, v25
	v_sub_f32_e32 v23, v23, v24
	v_dual_mul_f32 v27, 0x3f317218, v20 :: v_dual_add_f32 v24, v26, v25
	s_delay_alu instid0(VALU_DEP_2) | instskip(NEXT) | instid1(VALU_DEP_2)
	v_sub_f32_e32 v21, v21, v23
	v_sub_f32_e32 v23, v24, v26
	s_delay_alu instid0(VALU_DEP_3) | instskip(NEXT) | instid1(VALU_DEP_3)
	v_fma_f32 v26, 0x3f317218, v20, -v27
	v_ldexp_f32 v21, v21, 1
	s_delay_alu instid0(VALU_DEP_2) | instskip(NEXT) | instid1(VALU_DEP_1)
	v_dual_sub_f32 v23, v25, v23 :: v_dual_fmac_f32 v26, 0xb102e308, v20
	v_dual_add_f32 v20, v21, v23 :: v_dual_add_f32 v21, v27, v26
	s_delay_alu instid0(VALU_DEP_1) | instskip(NEXT) | instid1(VALU_DEP_1)
	v_add_f32_e32 v23, v24, v20
	v_dual_add_f32 v25, v21, v23 :: v_dual_sub_f32 v24, v23, v24
	s_delay_alu instid0(VALU_DEP_1) | instskip(NEXT) | instid1(VALU_DEP_2)
	v_sub_f32_e32 v28, v25, v21
	v_dual_sub_f32 v27, v21, v27 :: v_dual_sub_f32 v20, v20, v24
	s_delay_alu instid0(VALU_DEP_1) | instskip(SKIP_1) | instid1(VALU_DEP_2)
	v_dual_sub_f32 v29, v25, v28 :: v_dual_sub_f32 v26, v26, v27
	v_sub_f32_e32 v23, v23, v28
	v_dual_sub_f32 v21, v21, v29 :: v_dual_add_f32 v24, v26, v20
	s_delay_alu instid0(VALU_DEP_1) | instskip(NEXT) | instid1(VALU_DEP_2)
	v_add_f32_e32 v21, v23, v21
	v_sub_f32_e32 v23, v24, v26
	s_delay_alu instid0(VALU_DEP_2) | instskip(NEXT) | instid1(VALU_DEP_2)
	v_add_f32_e32 v21, v24, v21
	v_sub_f32_e32 v24, v24, v23
	s_delay_alu instid0(VALU_DEP_2) | instskip(NEXT) | instid1(VALU_DEP_1)
	v_dual_sub_f32 v20, v20, v23 :: v_dual_add_f32 v27, v25, v21
	v_dual_sub_f32 v24, v26, v24 :: v_dual_sub_f32 v23, v27, v25
	s_delay_alu instid0(VALU_DEP_1) | instskip(NEXT) | instid1(VALU_DEP_1)
	v_dual_add_f32 v20, v20, v24 :: v_dual_sub_f32 v21, v21, v23
	v_add_f32_e32 v20, v20, v21
	s_delay_alu instid0(VALU_DEP_1) | instskip(NEXT) | instid1(VALU_DEP_1)
	v_add_f32_e32 v20, v27, v20
	v_cndmask_b32_e32 v140, v20, v22, vcc_lo
.LBB152_102:                            ;   in Loop: Header=BB152_12 Depth=1
	s_or_b32 exec_lo, exec_lo, s30
	s_waitcnt lgkmcnt(0)
	v_add_f32_e32 v141, s85, v18
	s_delay_alu instid0(VALU_DEP_1) | instskip(SKIP_1) | instid1(SALU_CYCLE_1)
	v_cmp_ge_f32_e32 vcc_lo, 0x41a00000, v141
	s_and_b32 s29, s92, vcc_lo
	s_and_saveexec_b32 s30, s29
	s_cbranch_execz .LBB152_104
; %bb.103:                              ;   in Loop: Header=BB152_12 Depth=1
	v_mul_f32_e32 v18, 0x3fb8aa3b, v141
	v_cmp_ngt_f32_e32 vcc_lo, 0xc2ce8ed0, v141
	s_delay_alu instid0(VALU_DEP_2) | instskip(SKIP_1) | instid1(VALU_DEP_1)
	v_rndne_f32_e32 v20, v18
	v_fma_f32 v21, 0x3fb8aa3b, v141, -v18
	v_dual_sub_f32 v18, v18, v20 :: v_dual_fmac_f32 v21, 0x32a5705f, v141
	v_cvt_i32_f32_e32 v20, v20
	s_delay_alu instid0(VALU_DEP_2) | instskip(NEXT) | instid1(VALU_DEP_1)
	v_add_f32_e32 v18, v18, v21
	v_exp_f32_e32 v18, v18
	s_waitcnt_depctr 0xfff
	v_ldexp_f32 v18, v18, v20
	s_delay_alu instid0(VALU_DEP_1) | instskip(SKIP_1) | instid1(VALU_DEP_2)
	v_cndmask_b32_e32 v18, 0, v18, vcc_lo
	v_cmp_nlt_f32_e32 vcc_lo, 0x42b17218, v141
	v_cndmask_b32_e32 v18, 0x7f800000, v18, vcc_lo
	s_delay_alu instid0(VALU_DEP_1) | instskip(NEXT) | instid1(VALU_DEP_1)
	v_add_f32_e32 v22, 1.0, v18
	v_cvt_f64_f32_e32 v[20:21], v22
	s_delay_alu instid0(VALU_DEP_1) | instskip(SKIP_1) | instid1(VALU_DEP_1)
	v_frexp_exp_i32_f64_e32 v20, v[20:21]
	v_frexp_mant_f32_e32 v21, v22
	v_cmp_gt_f32_e32 vcc_lo, 0x3f2aaaab, v21
	v_add_f32_e32 v21, -1.0, v22
	s_delay_alu instid0(VALU_DEP_1) | instskip(SKIP_1) | instid1(VALU_DEP_1)
	v_dual_sub_f32 v24, v21, v22 :: v_dual_sub_f32 v21, v18, v21
	v_subrev_co_ci_u32_e32 v20, vcc_lo, 0, v20, vcc_lo
	v_sub_nc_u32_e32 v23, 0, v20
	v_cvt_f32_i32_e32 v20, v20
	s_delay_alu instid0(VALU_DEP_2) | instskip(NEXT) | instid1(VALU_DEP_1)
	v_ldexp_f32 v22, v22, v23
	v_dual_add_f32 v24, 1.0, v24 :: v_dual_add_f32 v25, 1.0, v22
	s_delay_alu instid0(VALU_DEP_1) | instskip(NEXT) | instid1(VALU_DEP_1)
	v_add_f32_e32 v21, v21, v24
	v_ldexp_f32 v21, v21, v23
	s_delay_alu instid0(VALU_DEP_3) | instskip(NEXT) | instid1(VALU_DEP_1)
	v_dual_add_f32 v23, -1.0, v22 :: v_dual_add_f32 v24, -1.0, v25
	v_add_f32_e32 v26, 1.0, v23
	s_delay_alu instid0(VALU_DEP_2) | instskip(NEXT) | instid1(VALU_DEP_2)
	v_sub_f32_e32 v24, v22, v24
	v_sub_f32_e32 v22, v22, v26
	s_delay_alu instid0(VALU_DEP_2) | instskip(NEXT) | instid1(VALU_DEP_2)
	v_add_f32_e32 v24, v21, v24
	v_add_f32_e32 v21, v21, v22
	s_delay_alu instid0(VALU_DEP_1) | instskip(SKIP_2) | instid1(VALU_DEP_3)
	v_dual_add_f32 v27, v23, v21 :: v_dual_add_f32 v26, v25, v24
	v_cmp_eq_f32_e32 vcc_lo, 0x7f800000, v18
	v_cmp_gt_f32_e64 s29, 0x33800000, v18
	v_sub_f32_e32 v23, v23, v27
	s_delay_alu instid0(VALU_DEP_4) | instskip(SKIP_1) | instid1(VALU_DEP_3)
	v_rcp_f32_e32 v22, v26
	v_sub_f32_e32 v25, v25, v26
	s_or_b32 vcc_lo, s29, vcc_lo
	s_delay_alu instid0(VALU_DEP_1) | instskip(SKIP_2) | instid1(VALU_DEP_1)
	v_dual_add_f32 v21, v21, v23 :: v_dual_add_f32 v24, v24, v25
	s_waitcnt_depctr 0xfff
	v_mul_f32_e32 v28, v27, v22
	v_mul_f32_e32 v29, v26, v28
	s_delay_alu instid0(VALU_DEP_1) | instskip(NEXT) | instid1(VALU_DEP_1)
	v_fma_f32 v25, v28, v26, -v29
	v_fmac_f32_e32 v25, v28, v24
	s_delay_alu instid0(VALU_DEP_1) | instskip(NEXT) | instid1(VALU_DEP_1)
	v_add_f32_e32 v30, v29, v25
	v_sub_f32_e32 v31, v27, v30
	s_delay_alu instid0(VALU_DEP_1) | instskip(NEXT) | instid1(VALU_DEP_1)
	v_sub_f32_e32 v27, v27, v31
	v_sub_f32_e32 v27, v27, v30
	v_sub_f32_e32 v23, v30, v29
	s_delay_alu instid0(VALU_DEP_2) | instskip(NEXT) | instid1(VALU_DEP_2)
	v_add_f32_e32 v21, v21, v27
	v_sub_f32_e32 v23, v23, v25
	s_delay_alu instid0(VALU_DEP_1) | instskip(NEXT) | instid1(VALU_DEP_1)
	v_add_f32_e32 v21, v23, v21
	v_add_f32_e32 v23, v31, v21
	s_delay_alu instid0(VALU_DEP_1) | instskip(NEXT) | instid1(VALU_DEP_1)
	v_mul_f32_e32 v25, v22, v23
	v_dual_sub_f32 v30, v31, v23 :: v_dual_mul_f32 v27, v26, v25
	s_delay_alu instid0(VALU_DEP_1) | instskip(NEXT) | instid1(VALU_DEP_2)
	v_add_f32_e32 v21, v21, v30
	v_fma_f32 v26, v25, v26, -v27
	s_delay_alu instid0(VALU_DEP_1) | instskip(NEXT) | instid1(VALU_DEP_1)
	v_fmac_f32_e32 v26, v25, v24
	v_add_f32_e32 v24, v27, v26
	s_delay_alu instid0(VALU_DEP_1) | instskip(NEXT) | instid1(VALU_DEP_1)
	v_sub_f32_e32 v29, v23, v24
	v_sub_f32_e32 v23, v23, v29
	s_delay_alu instid0(VALU_DEP_1) | instskip(NEXT) | instid1(VALU_DEP_1)
	v_sub_f32_e32 v23, v23, v24
	v_add_f32_e32 v21, v21, v23
	v_add_f32_e32 v23, v28, v25
	v_sub_f32_e32 v27, v24, v27
	s_delay_alu instid0(VALU_DEP_1) | instskip(NEXT) | instid1(VALU_DEP_1)
	v_sub_f32_e32 v24, v27, v26
	v_dual_add_f32 v21, v24, v21 :: v_dual_sub_f32 v24, v23, v28
	s_delay_alu instid0(VALU_DEP_1) | instskip(NEXT) | instid1(VALU_DEP_1)
	v_add_f32_e32 v21, v29, v21
	v_dual_sub_f32 v24, v25, v24 :: v_dual_mul_f32 v21, v22, v21
	s_delay_alu instid0(VALU_DEP_1) | instskip(NEXT) | instid1(VALU_DEP_1)
	v_add_f32_e32 v21, v24, v21
	v_add_f32_e32 v22, v23, v21
	s_delay_alu instid0(VALU_DEP_1) | instskip(NEXT) | instid1(VALU_DEP_1)
	v_mul_f32_e32 v24, v22, v22
	v_fmaak_f32 v25, s74, v24, 0x3ecc95a3
	v_mul_f32_e32 v26, v22, v24
	s_delay_alu instid0(VALU_DEP_2) | instskip(SKIP_2) | instid1(VALU_DEP_3)
	v_fmaak_f32 v24, v24, v25, 0x3f2aaada
	v_ldexp_f32 v25, v22, 1
	v_sub_f32_e32 v22, v22, v23
	v_mul_f32_e32 v24, v26, v24
	v_mul_f32_e32 v26, 0x3f317218, v20
	s_delay_alu instid0(VALU_DEP_2) | instskip(NEXT) | instid1(VALU_DEP_1)
	v_add_f32_e32 v23, v25, v24
	v_dual_sub_f32 v21, v21, v22 :: v_dual_sub_f32 v22, v23, v25
	s_delay_alu instid0(VALU_DEP_3) | instskip(NEXT) | instid1(VALU_DEP_2)
	v_fma_f32 v25, 0x3f317218, v20, -v26
	v_ldexp_f32 v21, v21, 1
	s_delay_alu instid0(VALU_DEP_2) | instskip(NEXT) | instid1(VALU_DEP_1)
	v_dual_sub_f32 v22, v24, v22 :: v_dual_fmac_f32 v25, 0xb102e308, v20
	v_dual_add_f32 v20, v21, v22 :: v_dual_add_f32 v21, v26, v25
	s_delay_alu instid0(VALU_DEP_1) | instskip(NEXT) | instid1(VALU_DEP_1)
	v_add_f32_e32 v22, v23, v20
	v_add_f32_e32 v24, v21, v22
	s_delay_alu instid0(VALU_DEP_1) | instskip(NEXT) | instid1(VALU_DEP_1)
	v_sub_f32_e32 v27, v24, v21
	v_sub_f32_e32 v28, v24, v27
	;; [unrolled: 1-line block ×4, first 2 shown]
	s_delay_alu instid0(VALU_DEP_2) | instskip(SKIP_1) | instid1(VALU_DEP_1)
	v_sub_f32_e32 v20, v20, v23
	v_sub_f32_e32 v26, v21, v26
	;; [unrolled: 1-line block ×3, first 2 shown]
	s_delay_alu instid0(VALU_DEP_1) | instskip(SKIP_1) | instid1(VALU_DEP_1)
	v_add_f32_e32 v23, v25, v20
	v_sub_f32_e32 v21, v21, v28
	v_add_f32_e32 v21, v22, v21
	s_delay_alu instid0(VALU_DEP_3) | instskip(NEXT) | instid1(VALU_DEP_1)
	v_sub_f32_e32 v22, v23, v25
	v_dual_sub_f32 v20, v20, v22 :: v_dual_add_f32 v21, v23, v21
	s_delay_alu instid0(VALU_DEP_1) | instskip(NEXT) | instid1(VALU_DEP_1)
	v_dual_sub_f32 v23, v23, v22 :: v_dual_add_f32 v26, v24, v21
	v_dual_sub_f32 v23, v25, v23 :: v_dual_sub_f32 v22, v26, v24
	s_delay_alu instid0(VALU_DEP_1) | instskip(NEXT) | instid1(VALU_DEP_1)
	v_dual_add_f32 v20, v20, v23 :: v_dual_sub_f32 v21, v21, v22
	v_add_f32_e32 v20, v20, v21
	s_delay_alu instid0(VALU_DEP_1) | instskip(NEXT) | instid1(VALU_DEP_1)
	v_add_f32_e32 v20, v26, v20
	v_cndmask_b32_e32 v141, v20, v18, vcc_lo
.LBB152_104:                            ;   in Loop: Header=BB152_12 Depth=1
	s_or_b32 exec_lo, exec_lo, s30
	v_add_f32_e32 v142, s85, v19
	s_delay_alu instid0(VALU_DEP_1) | instskip(SKIP_1) | instid1(SALU_CYCLE_1)
	v_cmp_ge_f32_e32 vcc_lo, 0x41a00000, v142
	s_and_b32 s29, s92, vcc_lo
	s_and_saveexec_b32 s30, s29
	s_cbranch_execz .LBB152_106
; %bb.105:                              ;   in Loop: Header=BB152_12 Depth=1
	v_mul_f32_e32 v18, 0x3fb8aa3b, v142
	v_cmp_ngt_f32_e32 vcc_lo, 0xc2ce8ed0, v142
	s_delay_alu instid0(VALU_DEP_2) | instskip(SKIP_1) | instid1(VALU_DEP_2)
	v_rndne_f32_e32 v19, v18
	v_fma_f32 v20, 0x3fb8aa3b, v142, -v18
	v_sub_f32_e32 v18, v18, v19
	s_delay_alu instid0(VALU_DEP_2) | instskip(SKIP_1) | instid1(VALU_DEP_2)
	v_fmac_f32_e32 v20, 0x32a5705f, v142
	v_cvt_i32_f32_e32 v19, v19
	v_add_f32_e32 v18, v18, v20
	s_delay_alu instid0(VALU_DEP_1) | instskip(SKIP_2) | instid1(VALU_DEP_1)
	v_exp_f32_e32 v18, v18
	s_waitcnt_depctr 0xfff
	v_ldexp_f32 v18, v18, v19
	v_cndmask_b32_e32 v18, 0, v18, vcc_lo
	v_cmp_nlt_f32_e32 vcc_lo, 0x42b17218, v142
	s_delay_alu instid0(VALU_DEP_2) | instskip(NEXT) | instid1(VALU_DEP_1)
	v_cndmask_b32_e32 v20, 0x7f800000, v18, vcc_lo
	v_add_f32_e32 v21, 1.0, v20
	s_delay_alu instid0(VALU_DEP_1) | instskip(NEXT) | instid1(VALU_DEP_1)
	v_cvt_f64_f32_e32 v[18:19], v21
	v_frexp_exp_i32_f64_e32 v18, v[18:19]
	v_frexp_mant_f32_e32 v19, v21
	s_delay_alu instid0(VALU_DEP_1) | instskip(SKIP_1) | instid1(VALU_DEP_1)
	v_cmp_gt_f32_e32 vcc_lo, 0x3f2aaaab, v19
	v_add_f32_e32 v19, -1.0, v21
	v_sub_f32_e32 v23, v19, v21
	v_sub_f32_e32 v19, v20, v19
	s_delay_alu instid0(VALU_DEP_2) | instskip(NEXT) | instid1(VALU_DEP_1)
	v_add_f32_e32 v23, 1.0, v23
	v_add_f32_e32 v19, v19, v23
	v_cmp_gt_f32_e64 s29, 0x33800000, v20
	v_subrev_co_ci_u32_e32 v18, vcc_lo, 0, v18, vcc_lo
	v_cmp_eq_f32_e32 vcc_lo, 0x7f800000, v20
	s_delay_alu instid0(VALU_DEP_2) | instskip(SKIP_2) | instid1(VALU_DEP_2)
	v_sub_nc_u32_e32 v22, 0, v18
	v_cvt_f32_i32_e32 v18, v18
	s_or_b32 vcc_lo, s29, vcc_lo
	v_ldexp_f32 v21, v21, v22
	v_ldexp_f32 v19, v19, v22
	s_delay_alu instid0(VALU_DEP_2) | instskip(NEXT) | instid1(VALU_DEP_1)
	v_add_f32_e32 v24, 1.0, v21
	v_dual_add_f32 v22, -1.0, v21 :: v_dual_add_f32 v23, -1.0, v24
	s_delay_alu instid0(VALU_DEP_1) | instskip(NEXT) | instid1(VALU_DEP_2)
	v_add_f32_e32 v25, 1.0, v22
	v_sub_f32_e32 v23, v21, v23
	s_delay_alu instid0(VALU_DEP_2) | instskip(NEXT) | instid1(VALU_DEP_2)
	v_sub_f32_e32 v21, v21, v25
	v_add_f32_e32 v23, v19, v23
	s_delay_alu instid0(VALU_DEP_2) | instskip(NEXT) | instid1(VALU_DEP_1)
	v_add_f32_e32 v19, v19, v21
	v_add_f32_e32 v26, v22, v19
	s_delay_alu instid0(VALU_DEP_1) | instskip(NEXT) | instid1(VALU_DEP_1)
	v_dual_add_f32 v25, v24, v23 :: v_dual_sub_f32 v22, v22, v26
	v_rcp_f32_e32 v21, v25
	v_sub_f32_e32 v24, v24, v25
	s_delay_alu instid0(VALU_DEP_1) | instskip(SKIP_2) | instid1(VALU_DEP_1)
	v_add_f32_e32 v23, v23, v24
	s_waitcnt_depctr 0xfff
	v_mul_f32_e32 v27, v26, v21
	v_mul_f32_e32 v28, v25, v27
	s_delay_alu instid0(VALU_DEP_1) | instskip(NEXT) | instid1(VALU_DEP_1)
	v_fma_f32 v24, v27, v25, -v28
	v_fmac_f32_e32 v24, v27, v23
	s_delay_alu instid0(VALU_DEP_1) | instskip(NEXT) | instid1(VALU_DEP_1)
	v_add_f32_e32 v29, v28, v24
	v_sub_f32_e32 v30, v26, v29
	s_delay_alu instid0(VALU_DEP_1) | instskip(SKIP_1) | instid1(VALU_DEP_2)
	v_sub_f32_e32 v26, v26, v30
	v_dual_add_f32 v19, v19, v22 :: v_dual_sub_f32 v22, v29, v28
	v_sub_f32_e32 v26, v26, v29
	s_delay_alu instid0(VALU_DEP_1) | instskip(NEXT) | instid1(VALU_DEP_1)
	v_dual_sub_f32 v22, v22, v24 :: v_dual_add_f32 v19, v19, v26
	v_add_f32_e32 v19, v22, v19
	s_delay_alu instid0(VALU_DEP_1) | instskip(NEXT) | instid1(VALU_DEP_1)
	v_add_f32_e32 v22, v30, v19
	v_mul_f32_e32 v24, v21, v22
	s_delay_alu instid0(VALU_DEP_1) | instskip(NEXT) | instid1(VALU_DEP_1)
	v_dual_sub_f32 v29, v30, v22 :: v_dual_mul_f32 v26, v25, v24
	v_add_f32_e32 v19, v19, v29
	s_delay_alu instid0(VALU_DEP_2) | instskip(NEXT) | instid1(VALU_DEP_1)
	v_fma_f32 v25, v24, v25, -v26
	v_fmac_f32_e32 v25, v24, v23
	s_delay_alu instid0(VALU_DEP_1) | instskip(NEXT) | instid1(VALU_DEP_1)
	v_add_f32_e32 v23, v26, v25
	v_sub_f32_e32 v28, v22, v23
	s_delay_alu instid0(VALU_DEP_1) | instskip(NEXT) | instid1(VALU_DEP_1)
	v_sub_f32_e32 v22, v22, v28
	v_sub_f32_e32 v22, v22, v23
	s_delay_alu instid0(VALU_DEP_1) | instskip(SKIP_2) | instid1(VALU_DEP_1)
	v_add_f32_e32 v19, v19, v22
	v_add_f32_e32 v22, v27, v24
	v_sub_f32_e32 v26, v23, v26
	v_sub_f32_e32 v23, v26, v25
	s_delay_alu instid0(VALU_DEP_1) | instskip(NEXT) | instid1(VALU_DEP_4)
	v_add_f32_e32 v19, v23, v19
	v_sub_f32_e32 v23, v22, v27
	s_delay_alu instid0(VALU_DEP_2) | instskip(NEXT) | instid1(VALU_DEP_2)
	v_add_f32_e32 v19, v28, v19
	v_sub_f32_e32 v23, v24, v23
	s_delay_alu instid0(VALU_DEP_2) | instskip(NEXT) | instid1(VALU_DEP_1)
	v_mul_f32_e32 v19, v21, v19
	v_add_f32_e32 v19, v23, v19
	s_delay_alu instid0(VALU_DEP_1) | instskip(NEXT) | instid1(VALU_DEP_1)
	v_add_f32_e32 v21, v22, v19
	v_mul_f32_e32 v23, v21, v21
	s_delay_alu instid0(VALU_DEP_1) | instskip(SKIP_1) | instid1(VALU_DEP_2)
	v_fmaak_f32 v24, s74, v23, 0x3ecc95a3
	v_mul_f32_e32 v25, v21, v23
	v_fmaak_f32 v23, v23, v24, 0x3f2aaada
	v_ldexp_f32 v24, v21, 1
	s_delay_alu instid0(VALU_DEP_2) | instskip(SKIP_1) | instid1(VALU_DEP_2)
	v_mul_f32_e32 v23, v25, v23
	v_sub_f32_e32 v21, v21, v22
	v_dual_mul_f32 v25, 0x3f317218, v18 :: v_dual_add_f32 v22, v24, v23
	s_delay_alu instid0(VALU_DEP_2) | instskip(NEXT) | instid1(VALU_DEP_2)
	v_sub_f32_e32 v19, v19, v21
	v_sub_f32_e32 v21, v22, v24
	s_delay_alu instid0(VALU_DEP_3) | instskip(NEXT) | instid1(VALU_DEP_3)
	v_fma_f32 v24, 0x3f317218, v18, -v25
	v_ldexp_f32 v19, v19, 1
	s_delay_alu instid0(VALU_DEP_2) | instskip(NEXT) | instid1(VALU_DEP_1)
	v_dual_sub_f32 v21, v23, v21 :: v_dual_fmac_f32 v24, 0xb102e308, v18
	v_dual_add_f32 v18, v19, v21 :: v_dual_add_f32 v19, v25, v24
	s_delay_alu instid0(VALU_DEP_1) | instskip(NEXT) | instid1(VALU_DEP_1)
	v_add_f32_e32 v21, v22, v18
	v_dual_add_f32 v23, v19, v21 :: v_dual_sub_f32 v22, v21, v22
	s_delay_alu instid0(VALU_DEP_1) | instskip(NEXT) | instid1(VALU_DEP_2)
	v_sub_f32_e32 v26, v23, v19
	v_dual_sub_f32 v25, v19, v25 :: v_dual_sub_f32 v18, v18, v22
	s_delay_alu instid0(VALU_DEP_1) | instskip(SKIP_1) | instid1(VALU_DEP_2)
	v_dual_sub_f32 v27, v23, v26 :: v_dual_sub_f32 v24, v24, v25
	v_sub_f32_e32 v21, v21, v26
	v_dual_sub_f32 v19, v19, v27 :: v_dual_add_f32 v22, v24, v18
	s_delay_alu instid0(VALU_DEP_1) | instskip(NEXT) | instid1(VALU_DEP_2)
	v_add_f32_e32 v19, v21, v19
	v_sub_f32_e32 v21, v22, v24
	s_delay_alu instid0(VALU_DEP_2) | instskip(NEXT) | instid1(VALU_DEP_2)
	v_add_f32_e32 v19, v22, v19
	v_sub_f32_e32 v22, v22, v21
	s_delay_alu instid0(VALU_DEP_2) | instskip(NEXT) | instid1(VALU_DEP_1)
	v_dual_sub_f32 v18, v18, v21 :: v_dual_add_f32 v25, v23, v19
	v_dual_sub_f32 v22, v24, v22 :: v_dual_sub_f32 v21, v25, v23
	s_delay_alu instid0(VALU_DEP_1) | instskip(NEXT) | instid1(VALU_DEP_1)
	v_dual_add_f32 v18, v18, v22 :: v_dual_sub_f32 v19, v19, v21
	v_add_f32_e32 v18, v18, v19
	s_delay_alu instid0(VALU_DEP_1) | instskip(NEXT) | instid1(VALU_DEP_1)
	v_add_f32_e32 v18, v25, v18
	v_cndmask_b32_e32 v142, v18, v20, vcc_lo
.LBB152_106:                            ;   in Loop: Header=BB152_12 Depth=1
	s_or_b32 exec_lo, exec_lo, s30
	v_dual_mul_f32 v120, s86, v16 :: v_dual_mul_f32 v121, s86, v15
	v_dual_mul_f32 v122, s86, v14 :: v_dual_mul_f32 v123, s86, v13
	;; [unrolled: 1-line block ×7, first 2 shown]
	v_mul_f32_e32 v138, s86, v2
	v_mul_f32_e32 v124, s86, v17
	s_and_b32 vcc_lo, exec_lo, s93
	s_barrier
	buffer_gl0_inv
	s_cbranch_vccz .LBB152_204
; %bb.107:                              ;   in Loop: Header=BB152_12 Depth=1
	v_dual_mul_f32 v143, v17, v142 :: v_dual_mul_f32 v148, v16, v141
	v_add_co_u32 v17, s29, s79, v34
	s_delay_alu instid0(VALU_DEP_1) | instskip(SKIP_1) | instid1(VALU_DEP_1)
	v_add_co_ci_u32_e64 v18, null, s81, 0, s29
	v_add_co_u32 v19, s29, s69, v34
	v_add_co_ci_u32_e64 v20, null, s82, 0, s29
	s_delay_alu instid0(VALU_DEP_4) | instskip(NEXT) | instid1(VALU_DEP_4)
	v_add_co_u32 v144, vcc_lo, v17, v110
	v_add_co_ci_u32_e32 v145, vcc_lo, 0, v18, vcc_lo
	s_delay_alu instid0(VALU_DEP_4) | instskip(NEXT) | instid1(VALU_DEP_4)
	v_add_co_u32 v146, vcc_lo, v19, v110
	v_add_co_ci_u32_e32 v147, vcc_lo, 0, v20, vcc_lo
	v_cmp_gt_u32_e32 vcc_lo, s41, v36
	s_cmp_lg_u32 s96, 0
	v_cmp_gt_u32_e64 s31, s41, v96
	s_cselect_b32 s51, -1, 0
	s_cmp_eq_u32 s96, s95
	v_cmp_gt_u32_e64 s33, s41, v97
	s_cselect_b32 s60, -1, 0
	s_or_b32 s29, s94, vcc_lo
	v_cmp_gt_u32_e32 vcc_lo, s41, v95
	v_cmp_gt_u32_e64 s34, s41, v98
	v_cmp_gt_u32_e64 s35, s41, v99
	;; [unrolled: 1-line block ×4, first 2 shown]
	s_or_b32 s30, s94, vcc_lo
	v_cmp_gt_u32_e32 vcc_lo, s41, v100
	v_cmp_gt_u32_e64 s39, s41, v103
	v_cmp_gt_u32_e64 s40, s41, v104
	;; [unrolled: 1-line block ×4, first 2 shown]
	s_or_b32 s36, s94, vcc_lo
	v_cmp_gt_u32_e32 vcc_lo, s41, v105
	v_cmp_gt_u32_e64 s44, s41, v108
	v_cmp_gt_u32_e64 s45, s41, v109
	v_dual_mul_f32 v149, v15, v140 :: v_dual_mul_f32 v150, v14, v139
	v_dual_mul_f32 v151, v13, v137 :: v_dual_mul_f32 v152, v12, v131
	;; [unrolled: 1-line block ×7, first 2 shown]
	s_mov_b32 s52, 0
	s_or_b32 s31, s94, s31
	s_or_b32 s33, s94, s33
	;; [unrolled: 1-line block ×8, first 2 shown]
	s_or_b32 s41, s94, vcc_lo
	s_or_b32 s42, s94, s42
	s_or_b32 s43, s94, s43
	;; [unrolled: 1-line block ×4, first 2 shown]
	s_mov_b32 s54, s52
	s_mov_b32 s56, s52
	;; [unrolled: 1-line block ×5, first 2 shown]
	s_branch .LBB152_109
.LBB152_108:                            ;   in Loop: Header=BB152_109 Depth=2
	s_or_b32 exec_lo, exec_lo, s46
	v_cndmask_b32_e64 v18, v184, v23, s12
	v_cndmask_b32_e64 v19, v183, v22, s12
	s_add_i32 s61, s61, -1
	s_add_i32 s62, s62, 8
	s_add_i32 s58, s58, s83
	v_fma_f32 v18, v18, v165, v35
	v_mul_f32_e32 v19, v19, v165
	s_add_i32 s56, s56, s68
	s_add_i32 s54, s54, s80
	;; [unrolled: 1-line block ×3, first 2 shown]
	v_cndmask_b32_e64 v18, v18, v35, s11
	v_cndmask_b32_e64 v19, v19, v165, s11
	s_cmp_eq_u32 s61, 0
	s_waitcnt lgkmcnt(0)
	s_delay_alu instid0(VALU_DEP_1) | instskip(NEXT) | instid1(VALU_DEP_1)
	v_fmac_f32_e32 v18, v20, v19
	v_fmac_f32_e32 v32, v18, v164
	s_delay_alu instid0(VALU_DEP_1) | instskip(NEXT) | instid1(VALU_DEP_1)
	v_fmac_f32_e32 v34, v32, v163
	v_dual_fmac_f32 v136, v17, v32 :: v_dual_fmac_f32 v33, v34, v166
	s_delay_alu instid0(VALU_DEP_1) | instskip(NEXT) | instid1(VALU_DEP_1)
	v_fmac_f32_e32 v30, v33, v167
	v_fmac_f32_e32 v31, v30, v168
	s_delay_alu instid0(VALU_DEP_1) | instskip(NEXT) | instid1(VALU_DEP_1)
	v_dual_fmac_f32 v135, v14, v34 :: v_dual_fmac_f32 v28, v31, v169
	v_fmac_f32_e32 v29, v28, v170
	v_fmac_f32_e32 v133, v12, v30
	s_delay_alu instid0(VALU_DEP_2) | instskip(SKIP_1) | instid1(VALU_DEP_1)
	v_dual_fmac_f32 v138, v16, v18 :: v_dual_fmac_f32 v129, v11, v29
	v_fmac_f32_e32 v26, v29, v171
	v_dual_fmac_f32 v134, v15, v33 :: v_dual_fmac_f32 v127, v8, v26
	v_fmac_f32_e32 v27, v26, v172
	v_fmac_f32_e32 v130, v10, v28
	s_delay_alu instid0(VALU_DEP_2) | instskip(NEXT) | instid1(VALU_DEP_1)
	v_fmac_f32_e32 v24, v27, v173
	v_dual_fmac_f32 v132, v13, v31 :: v_dual_fmac_f32 v125, v6, v24
	v_fmac_f32_e32 v25, v24, v179
	s_delay_alu instid0(VALU_DEP_1) | instskip(NEXT) | instid1(VALU_DEP_1)
	v_dual_fmac_f32 v174, v25, v175 :: v_dual_fmac_f32 v123, v7, v25
	v_fmac_f32_e32 v176, v174, v178
	s_delay_alu instid0(VALU_DEP_1) | instskip(SKIP_1) | instid1(VALU_DEP_1)
	v_dual_fmac_f32 v126, v9, v27 :: v_dual_fmac_f32 v121, v3, v176
	v_dual_fmac_f32 v177, v176, v181 :: v_dual_fmac_f32 v122, v2, v174
	v_fmac_f32_e32 v180, v177, v182
	v_fmac_f32_e32 v120, v4, v177
	s_delay_alu instid0(VALU_DEP_2)
	v_fmac_f32_e32 v124, v5, v180
	s_cbranch_scc1 .LBB152_204
.LBB152_109:                            ;   Parent Loop BB152_12 Depth=1
                                        ; =>  This Inner Loop Header: Depth=2
	s_lshl_b64 s[46:47], s[52:53], 2
	s_mov_b32 s55, s53
	s_add_u32 s46, s76, s46
	s_addc_u32 s47, s78, s47
	v_dual_mov_b32 v4, 0 :: v_dual_mov_b32 v5, 0
	global_load_b32 v163, v1, s[46:47]
	s_lshl_b64 s[46:47], s[54:55], 2
	s_delay_alu instid0(SALU_CYCLE_1)
	v_add_co_u32 v2, vcc_lo, v144, s46
	v_add_co_ci_u32_e32 v3, vcc_lo, s47, v145, vcc_lo
	s_and_saveexec_b32 s46, s13
	s_cbranch_execz .LBB152_111
; %bb.110:                              ;   in Loop: Header=BB152_109 Depth=2
	global_load_b32 v5, v[2:3], off
.LBB152_111:                            ;   in Loop: Header=BB152_109 Depth=2
	s_or_b32 exec_lo, exec_lo, s46
	s_and_saveexec_b32 s46, s14
	s_cbranch_execz .LBB152_113
; %bb.112:                              ;   in Loop: Header=BB152_109 Depth=2
	global_load_b32 v4, v[2:3], off offset:128
.LBB152_113:                            ;   in Loop: Header=BB152_109 Depth=2
	s_or_b32 exec_lo, exec_lo, s46
	v_dual_mov_b32 v6, 0 :: v_dual_mov_b32 v7, 0
	s_and_saveexec_b32 s46, s15
	s_cbranch_execz .LBB152_115
; %bb.114:                              ;   in Loop: Header=BB152_109 Depth=2
	global_load_b32 v7, v[2:3], off offset:256
.LBB152_115:                            ;   in Loop: Header=BB152_109 Depth=2
	s_or_b32 exec_lo, exec_lo, s46
	s_and_saveexec_b32 s46, s16
	s_cbranch_execz .LBB152_117
; %bb.116:                              ;   in Loop: Header=BB152_109 Depth=2
	global_load_b32 v6, v[2:3], off offset:384
.LBB152_117:                            ;   in Loop: Header=BB152_109 Depth=2
	s_or_b32 exec_lo, exec_lo, s46
	v_dual_mov_b32 v8, 0 :: v_dual_mov_b32 v9, 0
	s_and_saveexec_b32 s46, s17
	s_cbranch_execz .LBB152_119
; %bb.118:                              ;   in Loop: Header=BB152_109 Depth=2
	global_load_b32 v9, v[2:3], off offset:512
.LBB152_119:                            ;   in Loop: Header=BB152_109 Depth=2
	;; [unrolled: 13-line block ×7, first 2 shown]
	s_or_b32 exec_lo, exec_lo, s46
	s_and_saveexec_b32 s46, s28
	s_cbranch_execz .LBB152_141
; %bb.140:                              ;   in Loop: Header=BB152_109 Depth=2
	global_load_b32 v18, v[2:3], off offset:1920
.LBB152_141:                            ;   in Loop: Header=BB152_109 Depth=2
	s_or_b32 exec_lo, exec_lo, s46
	s_waitcnt vmcnt(0)
	ds_store_b32 v54, v5
	ds_store_b32 v55, v4 offset:128
	ds_store_b32 v56, v7 offset:256
	;; [unrolled: 1-line block ×15, first 2 shown]
	; wave barrier
	ds_load_2addr_b32 v[34:35], v70 offset1:1
	ds_load_2addr_b32 v[32:33], v70 offset0:2 offset1:3
	ds_load_2addr_b32 v[30:31], v70 offset0:4 offset1:5
	ds_load_2addr_b32 v[28:29], v70 offset0:6 offset1:7
	ds_load_2addr_b32 v[26:27], v70 offset0:8 offset1:9
	ds_load_2addr_b32 v[24:25], v70 offset0:10 offset1:11
	ds_load_2addr_b32 v[22:23], v70 offset0:12 offset1:13
	ds_load_2addr_b32 v[20:21], v70 offset0:14 offset1:15
	s_mov_b32 s57, s53
	v_dual_mov_b32 v4, 0 :: v_dual_mov_b32 v5, 0
	s_lshl_b64 s[46:47], s[56:57], 2
	s_delay_alu instid0(SALU_CYCLE_1)
	v_add_co_u32 v2, vcc_lo, v146, s46
	v_add_co_ci_u32_e32 v3, vcc_lo, s47, v147, vcc_lo
	s_and_saveexec_b32 s46, s13
	s_cbranch_execz .LBB152_143
; %bb.142:                              ;   in Loop: Header=BB152_109 Depth=2
	global_load_b32 v5, v[2:3], off
.LBB152_143:                            ;   in Loop: Header=BB152_109 Depth=2
	s_or_b32 exec_lo, exec_lo, s46
	s_and_saveexec_b32 s46, s14
	s_cbranch_execz .LBB152_145
; %bb.144:                              ;   in Loop: Header=BB152_109 Depth=2
	global_load_b32 v4, v[2:3], off offset:128
.LBB152_145:                            ;   in Loop: Header=BB152_109 Depth=2
	s_or_b32 exec_lo, exec_lo, s46
	v_dual_mov_b32 v6, 0 :: v_dual_mov_b32 v7, 0
	s_and_saveexec_b32 s46, s15
	s_cbranch_execz .LBB152_147
; %bb.146:                              ;   in Loop: Header=BB152_109 Depth=2
	global_load_b32 v7, v[2:3], off offset:256
.LBB152_147:                            ;   in Loop: Header=BB152_109 Depth=2
	s_or_b32 exec_lo, exec_lo, s46
	s_and_saveexec_b32 s46, s16
	s_cbranch_execz .LBB152_149
; %bb.148:                              ;   in Loop: Header=BB152_109 Depth=2
	global_load_b32 v6, v[2:3], off offset:384
.LBB152_149:                            ;   in Loop: Header=BB152_109 Depth=2
	s_or_b32 exec_lo, exec_lo, s46
	v_dual_mov_b32 v8, 0 :: v_dual_mov_b32 v9, 0
	s_and_saveexec_b32 s46, s17
	s_cbranch_execz .LBB152_151
; %bb.150:                              ;   in Loop: Header=BB152_109 Depth=2
	global_load_b32 v9, v[2:3], off offset:512
.LBB152_151:                            ;   in Loop: Header=BB152_109 Depth=2
	;; [unrolled: 13-line block ×7, first 2 shown]
	s_or_b32 exec_lo, exec_lo, s46
	s_and_saveexec_b32 s46, s28
	s_cbranch_execz .LBB152_173
; %bb.172:                              ;   in Loop: Header=BB152_109 Depth=2
	global_load_b32 v18, v[2:3], off offset:1920
.LBB152_173:                            ;   in Loop: Header=BB152_109 Depth=2
	s_or_b32 exec_lo, exec_lo, s46
	s_waitcnt vmcnt(0)
	ds_store_b32 v54, v5 offset:8448
	ds_store_b32 v71, v4 offset:128
	;; [unrolled: 1-line block ×16, first 2 shown]
	v_add_nc_u32_e32 v4, 0x2100, v70
	; wave barrier
	ds_load_2addr_b32 v[14:15], v86 offset0:2 offset1:3
	ds_load_2addr_b32 v[12:13], v86 offset0:4 offset1:5
	;; [unrolled: 1-line block ×6, first 2 shown]
	ds_load_2addr_b32 v[16:17], v4 offset1:1
	ds_load_2addr_b32 v[4:5], v86 offset0:14 offset1:15
	s_and_not1_b32 vcc_lo, exec_lo, s51
	s_cbranch_vccnz .LBB152_175
; %bb.174:                              ;   in Loop: Header=BB152_109 Depth=2
	v_mov_b32_e32 v18, s62
	ds_load_b64 v[18:19], v18
	s_cbranch_execz .LBB152_176
	s_branch .LBB152_179
.LBB152_175:                            ;   in Loop: Header=BB152_109 Depth=2
                                        ; implicit-def: $vgpr18
.LBB152_176:                            ;   in Loop: Header=BB152_109 Depth=2
	s_waitcnt lgkmcnt(0)
	v_mov_b32_e32 v19, 0
	s_and_not1_b32 vcc_lo, exec_lo, s84
	s_cbranch_vccnz .LBB152_178
; %bb.177:                              ;   in Loop: Header=BB152_109 Depth=2
	s_mov_b32 s59, s53
	s_delay_alu instid0(SALU_CYCLE_1) | instskip(NEXT) | instid1(SALU_CYCLE_1)
	s_lshl_b64 s[46:47], s[58:59], 2
	s_add_u32 s46, s88, s46
	s_addc_u32 s47, s89, s47
	global_load_b32 v19, v1, s[46:47]
.LBB152_178:                            ;   in Loop: Header=BB152_109 Depth=2
	v_mov_b32_e32 v18, 1.0
.LBB152_179:                            ;   in Loop: Header=BB152_109 Depth=2
	s_waitcnt lgkmcnt(31)
	v_dual_mul_f32 v177, 0x3fb8aa3b, v163 :: v_dual_mul_f32 v34, v34, v162
	s_waitcnt lgkmcnt(30)
	v_dual_mul_f32 v163, v35, v161 :: v_dual_mul_f32 v164, v32, v160
	;; [unrolled: 2-line block ×3, first 2 shown]
	v_mul_f32_e32 v165, v177, v112
	v_mul_f32_e32 v166, v177, v113
	v_dual_mul_f32 v167, v177, v114 :: v_dual_mul_f32 v28, v28, v156
	v_cndmask_b32_e64 v35, 0, v34, s29
	s_delay_alu instid0(VALU_DEP_4) | instskip(NEXT) | instid1(VALU_DEP_4)
	v_cmp_gt_f32_e64 s46, 0xc2fc0000, v165
	v_cmp_gt_f32_e64 s47, 0xc2fc0000, v166
	s_delay_alu instid0(VALU_DEP_4)
	v_cmp_gt_f32_e64 s48, 0xc2fc0000, v167
	v_cndmask_b32_e64 v34, 0, v164, s31
	v_cndmask_b32_e64 v28, 0, v28, s36
	v_cndmask_b32_e64 v166, 0, 0x42800000, s46
	v_cndmask_b32_e64 v168, 0, 0x42800000, s47
	v_cndmask_b32_e64 v164, 0, 0x42800000, s48
	v_cndmask_b32_e64 v169, 1.0, 0x1f800000, s46
	s_delay_alu instid0(VALU_DEP_4) | instskip(NEXT) | instid1(VALU_DEP_4)
	v_dual_mul_f32 v31, v31, v157 :: v_dual_fmac_f32 v166, v177, v112
	v_fmac_f32_e32 v168, v177, v113
	s_delay_alu instid0(VALU_DEP_4) | instskip(SKIP_1) | instid1(VALU_DEP_4)
	v_fmac_f32_e32 v164, v177, v114
	v_cndmask_b32_e64 v170, 1.0, 0x1f800000, s47
	v_cndmask_b32_e64 v31, 0, v31, s35
	v_exp_f32_e32 v166, v166
	v_exp_f32_e32 v168, v168
	v_mul_f32_e32 v167, v177, v116
	v_exp_f32_e32 v172, v164
	v_cndmask_b32_e64 v25, 0, v25, s41
	v_dual_mul_f32 v27, v27, v153 :: v_dual_mul_f32 v30, v30, v158
	v_mul_f32_e32 v24, v24, v152
	v_mul_f32_e32 v26, v26, v154
	;; [unrolled: 1-line block ×3, first 2 shown]
	s_delay_alu instid0(TRANS32_DEP_3) | instskip(NEXT) | instid1(TRANS32_DEP_2)
	v_mul_f32_e32 v164, v166, v169
	v_mul_f32_e32 v166, v168, v170
	v_cndmask_b32_e64 v168, 1.0, 0x1f800000, s48
	v_mul_f32_e32 v32, v177, v111
	v_mul_f32_e32 v170, v177, v118
	v_cndmask_b32_e64 v164, 1.0, v164, s30
	v_cndmask_b32_e64 v30, 0, v30, s34
	v_cndmask_b32_e64 v26, 0, v26, s38
	v_cmp_gt_f32_e32 vcc_lo, 0xc2fc0000, v32
	v_cndmask_b32_e64 v32, 0, v163, s30
	v_mul_f32_e32 v163, v177, v115
	v_cmp_gt_f32_e64 s47, 0xc2fc0000, v170
	v_cndmask_b32_e64 v27, 0, v27, s39
	v_cndmask_b32_e64 v165, 0, 0x42800000, vcc_lo
	v_fma_f32 v179, v164, v35, v32
	v_cmp_gt_f32_e64 s49, 0xc2fc0000, v163
	v_cndmask_b32_e64 v163, 1.0, 0x1f800000, vcc_lo
	v_cmp_gt_f32_e32 vcc_lo, 0xc2fc0000, v167
	v_mul_f32_e32 v167, v172, v168
	v_cndmask_b32_e64 v24, 0, v24, s40
	v_cndmask_b32_e64 v171, 0, 0x42800000, s49
	v_mul_f32_e32 v23, v23, v149
	v_cndmask_b32_e64 v170, 1.0, 0x1f800000, vcc_lo
	v_fmac_f32_e32 v165, v177, v111
	v_cndmask_b32_e64 v169, 0, 0x42800000, vcc_lo
	v_fmac_f32_e32 v171, v177, v115
	s_delay_alu instid0(VALU_DEP_3) | instskip(NEXT) | instid1(VALU_DEP_2)
	v_exp_f32_e32 v165, v165
	v_fmac_f32_e32 v169, v177, v116
	s_delay_alu instid0(VALU_DEP_2) | instskip(SKIP_2) | instid1(VALU_DEP_1)
	v_exp_f32_e32 v168, v171
	s_waitcnt_depctr 0xfff
	v_mul_f32_e32 v163, v165, v163
	v_cndmask_b32_e64 v165, 1.0, v163, s29
	v_cndmask_b32_e64 v163, 1.0, v166, s31
	v_mul_f32_e32 v166, v177, v117
	s_delay_alu instid0(VALU_DEP_1) | instskip(SKIP_3) | instid1(VALU_DEP_4)
	v_cmp_gt_f32_e64 s46, 0xc2fc0000, v166
	v_cndmask_b32_e64 v166, 1.0, v167, s33
	v_cndmask_b32_e64 v167, 1.0, 0x1f800000, s49
	v_mul_f32_e32 v172, v177, v119
	v_cndmask_b32_e64 v171, 0, 0x42800000, s46
	s_delay_alu instid0(VALU_DEP_3) | instskip(SKIP_2) | instid1(VALU_DEP_3)
	v_mul_f32_e32 v167, v168, v167
	v_exp_f32_e32 v168, v169
	v_cndmask_b32_e64 v169, 0, 0x42800000, s47
	v_fmac_f32_e32 v171, v177, v117
	v_cmp_gt_f32_e32 vcc_lo, 0xc2fc0000, v172
	v_cndmask_b32_e64 v167, 1.0, v167, s34
	v_mul_f32_e32 v172, v177, v128
	v_fmac_f32_e32 v169, v177, v118
	v_exp_f32_e32 v171, v171
	s_delay_alu instid0(TRANS32_DEP_2) | instskip(SKIP_1) | instid1(VALU_DEP_3)
	v_mul_f32_e32 v168, v168, v170
	v_cndmask_b32_e64 v170, 1.0, 0x1f800000, s46
	v_exp_f32_e32 v173, v169
	v_cmp_gt_f32_e64 s46, 0xc2fc0000, v172
	v_mul_f32_e32 v172, v177, v137
	v_cndmask_b32_e64 v168, 1.0, v168, s35
	s_delay_alu instid0(TRANS32_DEP_2) | instskip(SKIP_3) | instid1(VALU_DEP_4)
	v_dual_mul_f32 v174, v177, v131 :: v_dual_mul_f32 v169, v171, v170
	v_cndmask_b32_e64 v171, 0, 0x42800000, vcc_lo
	v_cndmask_b32_e64 v170, 1.0, 0x1f800000, s47
	v_cmp_gt_f32_e64 s48, 0xc2fc0000, v172
	v_cmp_gt_f32_e64 s47, 0xc2fc0000, v174
	v_cndmask_b32_e64 v172, 1.0, 0x1f800000, vcc_lo
	v_fmac_f32_e32 v171, v177, v119
	v_mul_f32_e32 v170, v173, v170
	v_cndmask_b32_e64 v173, 0, 0x42800000, s46
	v_cndmask_b32_e64 v174, 0, 0x42800000, s47
	;; [unrolled: 1-line block ×3, first 2 shown]
	v_exp_f32_e32 v171, v171
	v_cndmask_b32_e64 v170, 1.0, v170, s37
	v_fmac_f32_e32 v173, v177, v128
	v_fmac_f32_e32 v174, v177, v131
	v_cndmask_b32_e64 v176, 1.0, 0x1f800000, s47
	v_cndmask_b32_e64 v178, 1.0, 0x1f800000, s48
	;; [unrolled: 1-line block ×3, first 2 shown]
	v_exp_f32_e32 v173, v173
	s_delay_alu instid0(TRANS32_DEP_2) | instskip(SKIP_3) | instid1(VALU_DEP_3)
	v_mul_f32_e32 v171, v171, v172
	v_exp_f32_e32 v172, v174
	v_cndmask_b32_e64 v174, 1.0, 0x1f800000, s46
	v_mul_f32_e32 v33, v33, v159
	v_cndmask_b32_e64 v171, 1.0, v171, s38
	v_fmac_f32_e32 v175, v177, v137
	s_delay_alu instid0(TRANS32_DEP_2) | instid1(VALU_DEP_4)
	v_mul_f32_e32 v173, v173, v174
	v_mul_f32_e32 v174, v177, v139
	s_delay_alu instid0(VALU_DEP_3) | instskip(NEXT) | instid1(TRANS32_DEP_2)
	v_exp_f32_e32 v175, v175
	v_mul_f32_e32 v176, v172, v176
	s_delay_alu instid0(VALU_DEP_2) | instskip(SKIP_2) | instid1(VALU_DEP_4)
	v_cmp_gt_f32_e32 vcc_lo, 0xc2fc0000, v174
	v_cndmask_b32_e64 v172, 1.0, v173, s39
	v_cndmask_b32_e64 v33, 0, v33, s33
	v_cndmask_b32_e64 v173, 1.0, v176, s40
	v_cndmask_b32_e64 v176, 0, 0x42800000, vcc_lo
	s_delay_alu instid0(TRANS32_DEP_1) | instskip(SKIP_1) | instid1(VALU_DEP_3)
	v_dual_mul_f32 v174, v175, v178 :: v_dual_mul_f32 v175, v177, v140
	v_mul_f32_e32 v178, v164, v165
	v_fmac_f32_e32 v176, v177, v139
	s_delay_alu instid0(VALU_DEP_3) | instskip(NEXT) | instid1(VALU_DEP_3)
	v_cmp_gt_f32_e64 s46, 0xc2fc0000, v175
	v_mul_f32_e32 v175, v178, v163
	v_fma_f32 v178, v179, v163, v34
	s_delay_alu instid0(VALU_DEP_4)
	v_exp_f32_e32 v176, v176
	v_cndmask_b32_e64 v179, 1.0, v174, s41
	v_cndmask_b32_e64 v180, 0, 0x42800000, s46
	v_mul_f32_e32 v175, v175, v166
	v_fma_f32 v178, v178, v166, v33
	v_cndmask_b32_e64 v174, 1.0, 0x1f800000, vcc_lo
	v_mul_f32_e32 v29, v29, v155
	s_delay_alu instid0(VALU_DEP_4) | instskip(NEXT) | instid1(VALU_DEP_4)
	v_dual_fmac_f32 v180, v177, v140 :: v_dual_mul_f32 v175, v175, v167
	v_fma_f32 v178, v178, v167, v30
	s_delay_alu instid0(TRANS32_DEP_1) | instid1(VALU_DEP_4)
	v_mul_f32_e32 v176, v176, v174
	v_cndmask_b32_e64 v174, 0, v22, s42
	s_delay_alu instid0(VALU_DEP_4)
	v_exp_f32_e32 v180, v180
	v_mul_f32_e32 v181, v175, v168
	v_fma_f32 v178, v178, v168, v31
	v_mul_f32_e32 v22, v177, v141
	v_cndmask_b32_e64 v182, 1.0, 0x1f800000, s46
	v_cndmask_b32_e64 v175, 1.0, v176, s42
	v_mul_f32_e32 v176, v181, v169
	v_cndmask_b32_e64 v29, 0, v29, s37
	v_fma_f32 v178, v178, v169, v28
	v_cmp_gt_f32_e32 vcc_lo, 0xc2fc0000, v22
	v_mul_f32_e32 v22, v180, v182
	v_mul_f32_e32 v180, v177, v142
	v_mul_f32_e32 v176, v176, v170
	v_fma_f32 v178, v178, v170, v29
	v_cndmask_b32_e64 v181, 0, 0x42800000, vcc_lo
	s_delay_alu instid0(VALU_DEP_4) | instskip(NEXT) | instid1(VALU_DEP_4)
	v_cmp_gt_f32_e64 s46, 0xc2fc0000, v180
	v_mul_f32_e32 v180, v176, v171
	s_delay_alu instid0(VALU_DEP_4) | instskip(SKIP_1) | instid1(VALU_DEP_4)
	v_fma_f32 v178, v178, v171, v26
	v_cndmask_b32_e64 v176, 0, v23, s43
	v_cndmask_b32_e64 v23, 0, 0x42800000, s46
	s_delay_alu instid0(VALU_DEP_4) | instskip(NEXT) | instid1(VALU_DEP_4)
	v_mul_f32_e32 v180, v180, v172
	v_fma_f32 v182, v178, v172, v27
	v_cndmask_b32_e64 v178, 1.0, v22, s43
	s_delay_alu instid0(VALU_DEP_3) | instskip(SKIP_2) | instid1(VALU_DEP_3)
	v_mul_f32_e32 v22, v180, v173
	v_fmac_f32_e32 v181, v177, v141
	v_cndmask_b32_e64 v180, 1.0, 0x1f800000, vcc_lo
	v_mul_f32_e32 v22, v22, v179
	s_delay_alu instid0(VALU_DEP_3) | instskip(SKIP_2) | instid1(VALU_DEP_3)
	v_exp_f32_e32 v181, v181
	v_fmac_f32_e32 v23, v177, v142
	v_fma_f32 v177, v182, v173, v24
	v_mul_f32_e32 v22, v22, v175
	s_delay_alu instid0(VALU_DEP_3) | instskip(NEXT) | instid1(VALU_DEP_2)
	v_exp_f32_e32 v23, v23
	v_fma_f32 v182, v177, v179, v25
	v_cndmask_b32_e64 v177, 0, v20, s44
	v_cndmask_b32_e64 v20, 1.0, 0x1f800000, s46
	s_delay_alu instid0(TRANS32_DEP_2) | instskip(SKIP_3) | instid1(VALU_DEP_4)
	v_mul_f32_e32 v180, v181, v180
	v_mul_f32_e32 v21, v21, v143
	v_fma_f32 v182, v182, v175, v174
	v_mul_f32_e32 v22, v22, v178
	v_cndmask_b32_e64 v181, 1.0, v180, s44
	s_delay_alu instid0(TRANS32_DEP_1) | instskip(NEXT) | instid1(VALU_DEP_4)
	v_mul_f32_e32 v20, v23, v20
	v_fma_f32 v23, v182, v178, v176
	v_cndmask_b32_e64 v180, 0, v21, s45
	s_delay_alu instid0(VALU_DEP_3) | instskip(SKIP_1) | instid1(VALU_DEP_4)
	v_cndmask_b32_e64 v182, 1.0, v20, s45
	v_mul_f32_e32 v20, v22, v181
	v_fma_f32 v21, v23, v181, v177
	s_delay_alu instid0(VALU_DEP_2) | instskip(NEXT) | instid1(VALU_DEP_2)
	v_mul_f32_e32 v20, v20, v182
	v_fma_f32 v21, v21, v182, v180
	s_delay_alu instid0(VALU_DEP_2) | instskip(NEXT) | instid1(VALU_DEP_2)
	v_mov_b32_dpp v23, v20 row_shr:1 row_mask:0xf bank_mask:0xf
	v_mov_b32_dpp v22, v21 row_shr:1 row_mask:0xf bank_mask:0xf
	s_and_saveexec_b32 s46, s0
; %bb.180:                              ;   in Loop: Header=BB152_109 Depth=2
	s_delay_alu instid0(VALU_DEP_2) | instskip(NEXT) | instid1(VALU_DEP_1)
	v_mul_f32_e32 v23, v20, v23
	v_dual_fmac_f32 v21, v20, v22 :: v_dual_mov_b32 v20, v23
; %bb.181:                              ;   in Loop: Header=BB152_109 Depth=2
	s_or_b32 exec_lo, exec_lo, s46
	s_delay_alu instid0(VALU_DEP_1) | instskip(NEXT) | instid1(VALU_DEP_2)
	v_mov_b32_dpp v22, v20 row_shr:2 row_mask:0xf bank_mask:0xf
	v_mov_b32_dpp v23, v21 row_shr:2 row_mask:0xf bank_mask:0xf
	s_and_saveexec_b32 s46, s1
; %bb.182:                              ;   in Loop: Header=BB152_109 Depth=2
	s_delay_alu instid0(VALU_DEP_1) | instskip(NEXT) | instid1(VALU_DEP_3)
	v_fmac_f32_e32 v21, v20, v23
	v_mul_f32_e32 v20, v20, v22
; %bb.183:                              ;   in Loop: Header=BB152_109 Depth=2
	s_or_b32 exec_lo, exec_lo, s46
	s_delay_alu instid0(VALU_DEP_1) | instskip(NEXT) | instid1(VALU_DEP_3)
	v_mov_b32_dpp v22, v20 row_shr:4 row_mask:0xf bank_mask:0xf
	v_mov_b32_dpp v23, v21 row_shr:4 row_mask:0xf bank_mask:0xf
	s_and_saveexec_b32 s46, s2
; %bb.184:                              ;   in Loop: Header=BB152_109 Depth=2
	s_delay_alu instid0(VALU_DEP_1) | instskip(NEXT) | instid1(VALU_DEP_3)
	v_fmac_f32_e32 v21, v20, v23
	v_mul_f32_e32 v20, v20, v22
; %bb.185:                              ;   in Loop: Header=BB152_109 Depth=2
	s_or_b32 exec_lo, exec_lo, s46
	s_delay_alu instid0(VALU_DEP_1) | instskip(NEXT) | instid1(VALU_DEP_3)
	v_mov_b32_dpp v22, v20 row_shr:8 row_mask:0xf bank_mask:0xf
	v_mov_b32_dpp v23, v21 row_shr:8 row_mask:0xf bank_mask:0xf
	s_and_saveexec_b32 s46, s3
; %bb.186:                              ;   in Loop: Header=BB152_109 Depth=2
	s_delay_alu instid0(VALU_DEP_1) | instskip(NEXT) | instid1(VALU_DEP_3)
	v_fmac_f32_e32 v21, v20, v23
	v_mul_f32_e32 v20, v20, v22
; %bb.187:                              ;   in Loop: Header=BB152_109 Depth=2
	s_or_b32 exec_lo, exec_lo, s46
	ds_swizzle_b32 v23, v20 offset:swizzle(BROADCAST,32,15)
	ds_swizzle_b32 v22, v21 offset:swizzle(BROADCAST,32,15)
	s_and_saveexec_b32 s46, s4
	s_cbranch_execz .LBB152_189
; %bb.188:                              ;   in Loop: Header=BB152_109 Depth=2
	s_waitcnt lgkmcnt(1)
	v_mul_f32_e32 v23, v20, v23
	s_waitcnt lgkmcnt(0)
	s_delay_alu instid0(VALU_DEP_1)
	v_dual_fmac_f32 v21, v20, v22 :: v_dual_mov_b32 v20, v23
.LBB152_189:                            ;   in Loop: Header=BB152_109 Depth=2
	s_or_b32 exec_lo, exec_lo, s46
	s_and_saveexec_b32 s46, s5
	s_cbranch_execz .LBB152_191
; %bb.190:                              ;   in Loop: Header=BB152_109 Depth=2
	ds_store_b64 v87, v[20:21] offset:16896
.LBB152_191:                            ;   in Loop: Header=BB152_109 Depth=2
	s_or_b32 exec_lo, exec_lo, s46
	s_waitcnt vmcnt(0) lgkmcnt(0)
	s_waitcnt_vscnt null, 0x0
	s_barrier
	buffer_gl0_inv
	s_and_saveexec_b32 s46, s6
	s_cbranch_execz .LBB152_195
; %bb.192:                              ;   in Loop: Header=BB152_109 Depth=2
	ds_load_b64 v[22:23], v88 offset:16896
	s_waitcnt lgkmcnt(0)
	v_mov_b32_dpp v185, v22 row_shr:1 row_mask:0xf bank_mask:0xf
	v_mov_b32_dpp v184, v23 row_shr:1 row_mask:0xf bank_mask:0xf
	v_mov_b32_e32 v183, v22
	s_and_saveexec_b32 s47, s7
; %bb.193:                              ;   in Loop: Header=BB152_109 Depth=2
	s_delay_alu instid0(VALU_DEP_3) | instskip(NEXT) | instid1(VALU_DEP_1)
	v_mul_f32_e32 v183, v22, v185
	v_dual_fmac_f32 v23, v22, v184 :: v_dual_mov_b32 v22, v183
; %bb.194:                              ;   in Loop: Header=BB152_109 Depth=2
	s_or_b32 exec_lo, exec_lo, s47
	v_mov_b32_dpp v183, v183 row_shr:2 row_mask:0xf bank_mask:0xf
	s_delay_alu instid0(VALU_DEP_2) | instskip(NEXT) | instid1(VALU_DEP_2)
	v_mov_b32_dpp v184, v23 row_shr:2 row_mask:0xf bank_mask:0xf
	v_mul_f32_e32 v183, v22, v183
	s_delay_alu instid0(VALU_DEP_2) | instskip(NEXT) | instid1(VALU_DEP_2)
	v_fma_f32 v184, v22, v184, v23
	v_cndmask_b32_e64 v22, v22, v183, s8
	s_delay_alu instid0(VALU_DEP_2)
	v_cndmask_b32_e64 v23, v23, v184, s8
	ds_store_b64 v88, v[22:23] offset:16896
.LBB152_195:                            ;   in Loop: Header=BB152_109 Depth=2
	s_or_b32 exec_lo, exec_lo, s46
	s_waitcnt lgkmcnt(0)
	s_barrier
	buffer_gl0_inv
                                        ; implicit-def: $vgpr23
	s_and_saveexec_b32 s46, s10
	s_cbranch_execz .LBB152_197
; %bb.196:                              ;   in Loop: Header=BB152_109 Depth=2
	ds_load_b64 v[22:23], v87 offset:16888
	s_waitcnt lgkmcnt(0)
	v_mul_f32_e32 v183, v20, v22
	s_delay_alu instid0(VALU_DEP_1)
	v_dual_fmac_f32 v21, v20, v23 :: v_dual_mov_b32 v20, v183
.LBB152_197:                            ;   in Loop: Header=BB152_109 Depth=2
	s_or_b32 exec_lo, exec_lo, s46
	ds_bpermute_b32 v183, v89, v20
	ds_bpermute_b32 v184, v89, v21
	s_and_saveexec_b32 s46, s9
	s_cbranch_execz .LBB152_201
; %bb.198:                              ;   in Loop: Header=BB152_109 Depth=2
	ds_load_b64 v[20:21], v1 offset:16920
	s_and_saveexec_b32 s47, s11
	s_cbranch_execz .LBB152_200
; %bb.199:                              ;   in Loop: Header=BB152_109 Depth=2
	ds_store_b64 v1, v[18:19] offset:16920
.LBB152_200:                            ;   in Loop: Header=BB152_109 Depth=2
	s_or_b32 exec_lo, exec_lo, s47
	s_waitcnt lgkmcnt(0)
	v_fmac_f32_e32 v21, v19, v20
	s_delay_alu instid0(VALU_DEP_1)
	v_dual_mul_f32 v18, v18, v20 :: v_dual_mov_b32 v19, v21
.LBB152_201:                            ;   in Loop: Header=BB152_109 Depth=2
	s_or_b32 exec_lo, exec_lo, s46
	s_waitcnt lgkmcnt(0)
	s_barrier
	buffer_gl0_inv
	ds_load_b32 v20, v1 offset:16924
	s_and_saveexec_b32 s46, s11
	s_cbranch_execz .LBB152_108
; %bb.202:                              ;   in Loop: Header=BB152_109 Depth=2
	v_mov_b32_e32 v21, s62
	s_and_not1_b32 vcc_lo, exec_lo, s60
	ds_store_b64 v21, v[18:19]
	s_cbranch_vccnz .LBB152_108
; %bb.203:                              ;   in Loop: Header=BB152_109 Depth=2
	s_mov_b32 s59, s53
	s_delay_alu instid0(SALU_CYCLE_1) | instskip(NEXT) | instid1(SALU_CYCLE_1)
	s_lshl_b64 s[48:49], s[58:59], 2
	s_add_u32 s48, s88, s48
	s_addc_u32 s49, s89, s49
	global_store_b32 v1, v19, s[48:49]
	s_branch .LBB152_108
.LBB152_204:                            ;   in Loop: Header=BB152_12 Depth=1
	s_waitcnt_vscnt null, 0x0
	s_barrier
	buffer_gl0_inv
	ds_store_2addr_b32 v70, v138, v136 offset1:1
	ds_store_2addr_b32 v70, v135, v134 offset0:2 offset1:3
	ds_store_2addr_b32 v70, v133, v132 offset0:4 offset1:5
	;; [unrolled: 1-line block ×7, first 2 shown]
	; wave barrier
	ds_load_b32 v18, v55 offset:128
	ds_load_b32 v17, v56 offset:256
	ds_load_b32 v16, v57 offset:384
	ds_load_b32 v15, v58 offset:512
	ds_load_b32 v14, v59 offset:640
	ds_load_b32 v13, v60 offset:768
	ds_load_b32 v12, v61 offset:896
	ds_load_b32 v11, v62 offset:1024
	ds_load_b32 v10, v63 offset:1152
	ds_load_b32 v9, v64 offset:1280
	ds_load_b32 v8, v65 offset:1408
	ds_load_b32 v7, v66 offset:1536
	ds_load_b32 v6, v67 offset:1664
	ds_load_b32 v5, v68 offset:1792
	ds_load_b32 v4, v69 offset:1920
	s_mov_b32 s51, s53
	s_delay_alu instid0(SALU_CYCLE_1) | instskip(NEXT) | instid1(SALU_CYCLE_1)
	s_lshl_b64 s[34:35], s[50:51], 2
	v_add_co_u32 v2, vcc_lo, v0, s34
	v_add_co_ci_u32_e32 v3, vcc_lo, s35, v90, vcc_lo
	s_and_saveexec_b32 s29, s13
	s_cbranch_execnz .LBB152_256
; %bb.205:                              ;   in Loop: Header=BB152_12 Depth=1
	s_or_b32 exec_lo, exec_lo, s29
	s_and_saveexec_b32 s29, s14
	s_cbranch_execnz .LBB152_257
.LBB152_206:                            ;   in Loop: Header=BB152_12 Depth=1
	s_or_b32 exec_lo, exec_lo, s29
	s_and_saveexec_b32 s29, s15
	s_cbranch_execnz .LBB152_258
.LBB152_207:                            ;   in Loop: Header=BB152_12 Depth=1
	s_or_b32 exec_lo, exec_lo, s29
	s_and_saveexec_b32 s29, s16
	s_cbranch_execnz .LBB152_259
.LBB152_208:                            ;   in Loop: Header=BB152_12 Depth=1
	s_or_b32 exec_lo, exec_lo, s29
	s_and_saveexec_b32 s29, s17
	s_cbranch_execnz .LBB152_260
.LBB152_209:                            ;   in Loop: Header=BB152_12 Depth=1
	s_or_b32 exec_lo, exec_lo, s29
	s_and_saveexec_b32 s29, s18
	s_cbranch_execnz .LBB152_261
.LBB152_210:                            ;   in Loop: Header=BB152_12 Depth=1
	s_or_b32 exec_lo, exec_lo, s29
	s_and_saveexec_b32 s29, s19
	s_cbranch_execnz .LBB152_262
.LBB152_211:                            ;   in Loop: Header=BB152_12 Depth=1
	s_or_b32 exec_lo, exec_lo, s29
	s_and_saveexec_b32 s29, s20
	s_cbranch_execnz .LBB152_263
.LBB152_212:                            ;   in Loop: Header=BB152_12 Depth=1
	s_or_b32 exec_lo, exec_lo, s29
	s_and_saveexec_b32 s29, s21
	s_cbranch_execnz .LBB152_264
.LBB152_213:                            ;   in Loop: Header=BB152_12 Depth=1
	s_or_b32 exec_lo, exec_lo, s29
	s_and_saveexec_b32 s29, s22
	s_cbranch_execnz .LBB152_265
.LBB152_214:                            ;   in Loop: Header=BB152_12 Depth=1
	s_or_b32 exec_lo, exec_lo, s29
	s_and_saveexec_b32 s29, s23
	s_cbranch_execnz .LBB152_266
.LBB152_215:                            ;   in Loop: Header=BB152_12 Depth=1
	s_or_b32 exec_lo, exec_lo, s29
	s_and_saveexec_b32 s29, s24
	s_cbranch_execnz .LBB152_267
.LBB152_216:                            ;   in Loop: Header=BB152_12 Depth=1
	s_or_b32 exec_lo, exec_lo, s29
	s_and_saveexec_b32 s29, s25
	s_cbranch_execnz .LBB152_268
.LBB152_217:                            ;   in Loop: Header=BB152_12 Depth=1
	s_or_b32 exec_lo, exec_lo, s29
	s_and_saveexec_b32 s29, s26
	s_cbranch_execnz .LBB152_269
.LBB152_218:                            ;   in Loop: Header=BB152_12 Depth=1
	s_or_b32 exec_lo, exec_lo, s29
	s_and_saveexec_b32 s29, s27
	s_cbranch_execnz .LBB152_270
.LBB152_219:                            ;   in Loop: Header=BB152_12 Depth=1
	s_or_b32 exec_lo, exec_lo, s29
	s_and_saveexec_b32 s29, s28
	s_cbranch_execz .LBB152_221
.LBB152_220:                            ;   in Loop: Header=BB152_12 Depth=1
	s_waitcnt lgkmcnt(0)
	global_store_b32 v[2:3], v4, off offset:1920
.LBB152_221:                            ;   in Loop: Header=BB152_12 Depth=1
	s_or_b32 exec_lo, exec_lo, s29
	s_mov_b32 s52, s53
	s_mov_b32 s54, s53
	;; [unrolled: 1-line block ×15, first 2 shown]
	s_waitcnt lgkmcnt(14)
	v_add_co_u32 v18, vcc_lo, v91, s34
	s_waitcnt lgkmcnt(0)
	v_dual_mov_b32 v2, s52 :: v_dual_mov_b32 v3, s53
	v_add_co_ci_u32_e32 v19, vcc_lo, s35, v92, vcc_lo
	v_dual_mov_b32 v4, s54 :: v_dual_mov_b32 v5, s55
	v_dual_mov_b32 v6, s56 :: v_dual_mov_b32 v7, s57
	;; [unrolled: 1-line block ×7, first 2 shown]
	v_mov_b32_e32 v20, 0
	s_waitcnt_vscnt null, 0x0
	s_barrier
	buffer_gl0_inv
	s_and_saveexec_b32 s29, s13
	s_cbranch_execnz .LBB152_271
; %bb.222:                              ;   in Loop: Header=BB152_12 Depth=1
	s_or_b32 exec_lo, exec_lo, s29
	s_and_saveexec_b32 s29, s14
	s_cbranch_execnz .LBB152_272
.LBB152_223:                            ;   in Loop: Header=BB152_12 Depth=1
	s_or_b32 exec_lo, exec_lo, s29
	s_and_saveexec_b32 s29, s15
	s_cbranch_execnz .LBB152_273
.LBB152_224:                            ;   in Loop: Header=BB152_12 Depth=1
	s_or_b32 exec_lo, exec_lo, s29
	s_and_saveexec_b32 s29, s16
	s_cbranch_execnz .LBB152_274
.LBB152_225:                            ;   in Loop: Header=BB152_12 Depth=1
	s_or_b32 exec_lo, exec_lo, s29
	s_and_saveexec_b32 s29, s17
	s_cbranch_execnz .LBB152_275
.LBB152_226:                            ;   in Loop: Header=BB152_12 Depth=1
	s_or_b32 exec_lo, exec_lo, s29
	s_and_saveexec_b32 s29, s18
	s_cbranch_execnz .LBB152_276
.LBB152_227:                            ;   in Loop: Header=BB152_12 Depth=1
	s_or_b32 exec_lo, exec_lo, s29
	s_and_saveexec_b32 s29, s19
	s_cbranch_execnz .LBB152_277
.LBB152_228:                            ;   in Loop: Header=BB152_12 Depth=1
	s_or_b32 exec_lo, exec_lo, s29
	s_and_saveexec_b32 s29, s20
	s_cbranch_execnz .LBB152_278
.LBB152_229:                            ;   in Loop: Header=BB152_12 Depth=1
	s_or_b32 exec_lo, exec_lo, s29
	s_and_saveexec_b32 s29, s21
	s_cbranch_execnz .LBB152_279
.LBB152_230:                            ;   in Loop: Header=BB152_12 Depth=1
	s_or_b32 exec_lo, exec_lo, s29
	s_and_saveexec_b32 s29, s22
	s_cbranch_execnz .LBB152_280
.LBB152_231:                            ;   in Loop: Header=BB152_12 Depth=1
	s_or_b32 exec_lo, exec_lo, s29
	s_and_saveexec_b32 s29, s23
	s_cbranch_execnz .LBB152_281
.LBB152_232:                            ;   in Loop: Header=BB152_12 Depth=1
	s_or_b32 exec_lo, exec_lo, s29
	s_and_saveexec_b32 s29, s24
	s_cbranch_execnz .LBB152_282
.LBB152_233:                            ;   in Loop: Header=BB152_12 Depth=1
	s_or_b32 exec_lo, exec_lo, s29
	s_and_saveexec_b32 s29, s25
	s_cbranch_execnz .LBB152_283
.LBB152_234:                            ;   in Loop: Header=BB152_12 Depth=1
	s_or_b32 exec_lo, exec_lo, s29
	s_and_saveexec_b32 s29, s26
	s_cbranch_execnz .LBB152_284
.LBB152_235:                            ;   in Loop: Header=BB152_12 Depth=1
	s_or_b32 exec_lo, exec_lo, s29
	s_and_saveexec_b32 s29, s27
	s_cbranch_execnz .LBB152_285
.LBB152_236:                            ;   in Loop: Header=BB152_12 Depth=1
	s_or_b32 exec_lo, exec_lo, s29
	s_and_saveexec_b32 s29, s28
	s_cbranch_execz .LBB152_238
.LBB152_237:                            ;   in Loop: Header=BB152_12 Depth=1
	global_load_b32 v17, v[18:19], off offset:1920
.LBB152_238:                            ;   in Loop: Header=BB152_12 Depth=1
	s_or_b32 exec_lo, exec_lo, s29
	s_waitcnt vmcnt(0)
	ds_store_b32 v54, v20
	ds_store_b32 v55, v3 offset:128
	ds_store_b32 v56, v4 offset:256
	ds_store_b32 v57, v5 offset:384
	ds_store_b32 v58, v6 offset:512
	ds_store_b32 v59, v7 offset:640
	ds_store_b32 v60, v8 offset:768
	ds_store_b32 v61, v9 offset:896
	ds_store_b32 v62, v10 offset:1024
	ds_store_b32 v63, v11 offset:1152
	ds_store_b32 v64, v12 offset:1280
	ds_store_b32 v65, v13 offset:1408
	ds_store_b32 v66, v14 offset:1536
	ds_store_b32 v67, v15 offset:1664
	ds_store_b32 v68, v16 offset:1792
	ds_store_b32 v69, v17 offset:1920
	; wave barrier
	ds_load_2addr_b32 v[12:13], v70 offset1:1
	ds_load_2addr_b32 v[14:15], v70 offset0:2 offset1:3
	ds_load_2addr_b32 v[16:17], v70 offset0:4 offset1:5
	;; [unrolled: 1-line block ×3, first 2 shown]
	s_waitcnt lgkmcnt(3)
	v_dual_mul_f32 v2, 0xbfb8aa3b, v12 :: v_dual_mul_f32 v19, 0xbfb8aa3b, v13
	s_waitcnt lgkmcnt(2)
	v_dual_mul_f32 v23, 0xbfb8aa3b, v14 :: v_dual_mul_f32 v24, 0xbfb8aa3b, v15
	v_cmp_nlt_f32_e32 vcc_lo, 0x42ce8ed0, v12
	s_delay_alu instid0(VALU_DEP_3) | instskip(SKIP_4) | instid1(VALU_DEP_4)
	v_rndne_f32_e32 v18, v2
	v_fma_f32 v3, 0xbfb8aa3b, v12, -v2
	v_rndne_f32_e32 v20, v19
	v_fma_f32 v21, 0xbfb8aa3b, v13, -v19
	v_fma_f32 v26, 0xbfb8aa3b, v14, -v23
	v_dual_sub_f32 v2, v2, v18 :: v_dual_fmac_f32 v3, 0xb2a5705f, v12
	s_delay_alu instid0(VALU_DEP_4)
	v_sub_f32_e32 v19, v19, v20
	v_cvt_i32_f32_e32 v18, v18
	v_rndne_f32_e32 v27, v24
	s_waitcnt lgkmcnt(1)
	v_dual_mul_f32 v25, 0xbfb8aa3b, v16 :: v_dual_add_f32 v22, v2, v3
	v_cvt_i32_f32_e32 v20, v20
	v_fma_f32 v28, 0xbfb8aa3b, v15, -v24
	v_sub_f32_e32 v24, v24, v27
	v_cvt_i32_f32_e32 v27, v27
	v_exp_f32_e32 v22, v22
	v_cmp_ngt_f32_e64 s29, 0xc2b17218, v14
	v_cmp_ngt_f32_e64 s30, 0xc2b17218, v15
	ds_load_2addr_b32 v[8:9], v70 offset0:8 offset1:9
	ds_load_2addr_b32 v[6:7], v70 offset0:10 offset1:11
	;; [unrolled: 1-line block ×4, first 2 shown]
	s_waitcnt lgkmcnt(0)
	s_barrier
	buffer_gl0_inv
	v_fmac_f32_e32 v26, 0xb2a5705f, v14
	v_ldexp_f32 v18, v22, v18
	v_fmac_f32_e32 v21, 0xb2a5705f, v13
	v_rndne_f32_e32 v22, v25
	v_fmac_f32_e32 v28, 0xb2a5705f, v15
	s_delay_alu instid0(VALU_DEP_3) | instskip(SKIP_2) | instid1(VALU_DEP_3)
	v_dual_cndmask_b32 v18, 0, v18 :: v_dual_add_f32 v19, v19, v21
	v_rndne_f32_e32 v21, v23
	v_cmp_ngt_f32_e32 vcc_lo, 0xc2b17218, v12
	v_exp_f32_e32 v19, v19
	s_delay_alu instid0(VALU_DEP_2)
	v_dual_sub_f32 v23, v23, v21 :: v_dual_cndmask_b32 v18, 0x7f800000, v18
	v_cmp_nlt_f32_e32 vcc_lo, 0x42ce8ed0, v13
	v_cvt_i32_f32_e32 v21, v21
	s_waitcnt_depctr 0xfff
	v_ldexp_f32 v19, v19, v20
	v_add_f32_e32 v20, v23, v26
	v_fma_f32 v26, 0xbfb8aa3b, v16, -v25
	v_sub_f32_e32 v25, v25, v22
	v_dual_add_f32 v18, 1.0, v18 :: v_dual_add_f32 v23, v24, v28
	v_cndmask_b32_e32 v19, 0, v19, vcc_lo
	v_exp_f32_e32 v20, v20
	v_cmp_ngt_f32_e32 vcc_lo, 0xc2b17218, v13
	s_delay_alu instid0(VALU_DEP_3) | instskip(SKIP_3) | instid1(VALU_DEP_3)
	v_div_scale_f32 v24, null, v18, v18, v12
	v_exp_f32_e32 v23, v23
	v_cvt_i32_f32_e32 v22, v22
	v_fmac_f32_e32 v26, 0xb2a5705f, v16
	v_rcp_f32_e32 v28, v24
	s_delay_alu instid0(TRANS32_DEP_3) | instskip(NEXT) | instid1(VALU_DEP_2)
	v_ldexp_f32 v20, v20, v21
	v_add_f32_e32 v25, v25, v26
	s_waitcnt_depctr 0xfff
	v_ldexp_f32 v21, v23, v27
	v_exp_f32_e32 v25, v25
	v_fma_f32 v27, -v24, v28, 1.0
	v_cndmask_b32_e32 v19, 0x7f800000, v19, vcc_lo
	v_cmp_nlt_f32_e32 vcc_lo, 0x42ce8ed0, v14
	s_delay_alu instid0(VALU_DEP_2) | instskip(SKIP_3) | instid1(VALU_DEP_1)
	v_dual_fmac_f32 v28, v27, v28 :: v_dual_add_f32 v19, 1.0, v19
	s_waitcnt_depctr 0xfff
	v_ldexp_f32 v22, v25, v22
	v_div_scale_f32 v29, null, v19, v19, v13
	v_rcp_f32_e32 v23, v29
	s_waitcnt_depctr 0xfff
	v_fma_f32 v27, -v29, v23, 1.0
	v_cndmask_b32_e32 v20, 0, v20, vcc_lo
	v_div_scale_f32 v30, vcc_lo, v12, v18, v12
	s_delay_alu instid0(VALU_DEP_3) | instskip(NEXT) | instid1(VALU_DEP_3)
	v_fmac_f32_e32 v23, v27, v23
	v_cndmask_b32_e64 v20, 0x7f800000, v20, s29
	v_cmp_nlt_f32_e64 s29, 0x42ce8ed0, v15
	s_delay_alu instid0(VALU_DEP_2) | instskip(NEXT) | instid1(VALU_DEP_2)
	v_add_f32_e32 v20, 1.0, v20
	v_cndmask_b32_e64 v21, 0, v21, s29
	v_div_scale_f32 v32, s29, v13, v19, v13
	v_mul_f32_e32 v31, v30, v28
	s_delay_alu instid0(VALU_DEP_4) | instskip(NEXT) | instid1(VALU_DEP_3)
	v_div_scale_f32 v33, null, v20, v20, v14
	v_mul_f32_e32 v34, v32, v23
	v_cndmask_b32_e64 v21, 0x7f800000, v21, s30
	s_delay_alu instid0(VALU_DEP_4) | instskip(NEXT) | instid1(VALU_DEP_4)
	v_fma_f32 v27, -v24, v31, v30
	v_rcp_f32_e32 v26, v33
	s_delay_alu instid0(VALU_DEP_1) | instskip(SKIP_2) | instid1(VALU_DEP_3)
	v_fmac_f32_e32 v31, v27, v28
	v_fma_f32 v27, -v29, v34, v32
	v_add_f32_e32 v21, 1.0, v21
	v_fma_f32 v24, -v24, v31, v30
	s_delay_alu instid0(VALU_DEP_3) | instskip(SKIP_1) | instid1(VALU_DEP_3)
	v_fmac_f32_e32 v34, v27, v23
	v_mul_f32_e32 v30, 0xbfb8aa3b, v17
	v_div_fmas_f32 v24, v24, v28, v31
	s_delay_alu instid0(TRANS32_DEP_1) | instskip(NEXT) | instid1(VALU_DEP_3)
	v_fma_f32 v28, -v33, v26, 1.0
	v_rndne_f32_e32 v25, v30
	v_cmp_nlt_f32_e32 vcc_lo, 0x42ce8ed0, v16
	v_div_scale_f32 v31, s30, v14, v20, v14
	v_div_fixup_f32 v12, v24, v18, v12
	v_div_scale_f32 v18, null, v21, v21, v15
	v_fma_f32 v24, -v29, v34, v32
	s_delay_alu instid0(VALU_DEP_2) | instskip(SKIP_3) | instid1(VALU_DEP_2)
	v_rcp_f32_e32 v29, v18
	v_fmac_f32_e32 v26, v28, v26
	v_fma_f32 v28, 0xbfb8aa3b, v17, -v30
	v_sub_f32_e32 v30, v30, v25
	v_fmac_f32_e32 v28, 0xb2a5705f, v17
	s_delay_alu instid0(VALU_DEP_1) | instskip(SKIP_2) | instid1(VALU_DEP_1)
	v_add_f32_e32 v28, v30, v28
	s_waitcnt_depctr 0xfff
	v_fma_f32 v30, -v18, v29, 1.0
	v_dual_fmac_f32 v29, v30, v29 :: v_dual_cndmask_b32 v22, 0, v22
	s_mov_b32 vcc_lo, s29
	v_mul_f32_e32 v27, v31, v26
	v_div_fmas_f32 v23, v24, v23, v34
	v_cmp_ngt_f32_e32 vcc_lo, 0xc2b17218, v16
	s_delay_alu instid0(VALU_DEP_3) | instskip(NEXT) | instid1(VALU_DEP_3)
	v_fma_f32 v24, -v33, v27, v31
	v_div_fixup_f32 v13, v23, v19, v13
	v_exp_f32_e32 v19, v28
	v_cvt_i32_f32_e32 v23, v25
	v_div_scale_f32 v28, s29, v15, v21, v15
	v_fmac_f32_e32 v27, v24, v26
	v_dual_mul_f32 v24, 0xbfb8aa3b, v10 :: v_dual_mul_f32 v13, v13, v136
	s_delay_alu instid0(VALU_DEP_2)
	v_fma_f32 v31, -v33, v27, v31
	s_waitcnt_depctr 0xfff
	v_ldexp_f32 v19, v19, v23
	v_rndne_f32_e32 v23, v24
	v_fma_f32 v30, 0xbfb8aa3b, v10, -v24
	v_dual_mul_f32 v33, v28, v29 :: v_dual_cndmask_b32 v22, 0x7f800000, v22
	v_cmp_nlt_f32_e32 vcc_lo, 0x42ce8ed0, v17
	s_delay_alu instid0(VALU_DEP_4) | instskip(NEXT) | instid1(VALU_DEP_4)
	v_sub_f32_e32 v24, v24, v23
	v_fmac_f32_e32 v30, 0xb2a5705f, v10
	v_mul_f32_e32 v12, v12, v138
	v_cvt_i32_f32_e32 v23, v23
	v_cndmask_b32_e32 v19, 0, v19, vcc_lo
	v_cmp_ngt_f32_e32 vcc_lo, 0xc2b17218, v17
	v_add_f32_e32 v24, v24, v30
	v_fma_f32 v30, -v18, v33, v28
	s_delay_alu instid0(VALU_DEP_4) | instskip(NEXT) | instid1(VALU_DEP_3)
	v_dual_add_f32 v22, 1.0, v22 :: v_dual_cndmask_b32 v19, 0x7f800000, v19
	v_exp_f32_e32 v24, v24
	s_delay_alu instid0(VALU_DEP_2) | instskip(SKIP_1) | instid1(VALU_DEP_2)
	v_fmac_f32_e32 v33, v30, v29
	s_mov_b32 vcc_lo, s30
	v_div_scale_f32 v25, null, v22, v22, v16
	v_div_fmas_f32 v26, v31, v26, v27
	v_cmp_nlt_f32_e32 vcc_lo, 0x42ce8ed0, v10
	v_add_f32_e32 v19, 1.0, v19
	v_fma_f32 v18, -v18, v33, v28
	v_rcp_f32_e32 v32, v25
	s_delay_alu instid0(TRANS32_DEP_2) | instskip(SKIP_2) | instid1(VALU_DEP_3)
	v_ldexp_f32 v23, v24, v23
	v_div_fixup_f32 v14, v26, v20, v14
	v_div_scale_f32 v31, null, v19, v19, v17
	v_cndmask_b32_e32 v20, 0, v23, vcc_lo
	v_cmp_ngt_f32_e32 vcc_lo, 0xc2b17218, v10
	s_delay_alu instid0(VALU_DEP_3) | instskip(NEXT) | instid1(TRANS32_DEP_2)
	v_rcp_f32_e32 v34, v31
	v_fma_f32 v27, -v25, v32, 1.0
	s_delay_alu instid0(VALU_DEP_3)
	v_cndmask_b32_e32 v20, 0x7f800000, v20, vcc_lo
	s_mov_b32 vcc_lo, s29
	v_div_fmas_f32 v18, v18, v29, v33
	s_waitcnt_depctr 0xfff
	v_fma_f32 v26, -v31, v34, 1.0
	v_div_fixup_f32 v15, v18, v21, v15
	s_delay_alu instid0(VALU_DEP_2) | instskip(SKIP_1) | instid1(VALU_DEP_3)
	v_fmac_f32_e32 v34, v26, v34
	v_div_scale_f32 v26, s29, v17, v19, v17
	v_dual_mul_f32 v15, v15, v134 :: v_dual_add_f32 v20, 1.0, v20
	v_fmac_f32_e32 v32, v27, v32
	v_div_scale_f32 v27, s30, v16, v22, v16
	s_delay_alu instid0(VALU_DEP_1) | instskip(NEXT) | instid1(VALU_DEP_3)
	s_mov_b32 vcc_lo, s30
	v_div_scale_f32 v30, null, v20, v20, v10
	s_delay_alu instid0(VALU_DEP_2) | instskip(NEXT) | instid1(VALU_DEP_2)
	v_mul_f32_e32 v24, v27, v32
	v_rcp_f32_e32 v33, v30
	s_delay_alu instid0(VALU_DEP_1) | instskip(SKIP_3) | instid1(VALU_DEP_2)
	v_fma_f32 v23, -v25, v24, v27
	s_waitcnt_depctr 0xfff
	v_fma_f32 v21, -v30, v33, 1.0
	v_dual_fmac_f32 v24, v23, v32 :: v_dual_mul_f32 v23, 0xbfb8aa3b, v11
	v_fmac_f32_e32 v33, v21, v33
	s_delay_alu instid0(VALU_DEP_2) | instskip(NEXT) | instid1(VALU_DEP_3)
	v_fma_f32 v25, -v25, v24, v27
	v_rndne_f32_e32 v28, v23
	v_fma_f32 v29, 0xbfb8aa3b, v11, -v23
	v_mul_f32_e32 v27, v26, v34
	v_div_scale_f32 v21, s30, v10, v20, v10
	s_delay_alu instid0(VALU_DEP_4) | instskip(NEXT) | instid1(VALU_DEP_4)
	v_sub_f32_e32 v23, v23, v28
	v_fmac_f32_e32 v29, 0xb2a5705f, v11
	v_div_fmas_f32 v24, v25, v32, v24
	v_fma_f32 v25, -v31, v27, v26
	s_mov_b32 vcc_lo, s29
	v_cmp_nlt_f32_e64 s29, 0x42ce8ed0, v9
	v_add_f32_e32 v23, v23, v29
	v_div_fixup_f32 v16, v24, v22, v16
	v_fmac_f32_e32 v27, v25, v34
	v_cvt_i32_f32_e32 v22, v28
	v_mul_f32_e32 v24, 0xbfb8aa3b, v8
	v_exp_f32_e32 v18, v23
	s_delay_alu instid0(VALU_DEP_3) | instskip(NEXT) | instid1(VALU_DEP_2)
	v_fma_f32 v23, -v31, v27, v26
	v_fma_f32 v25, 0xbfb8aa3b, v8, -v24
	s_delay_alu instid0(VALU_DEP_1)
	v_dual_mul_f32 v16, v16, v133 :: v_dual_fmac_f32 v25, 0xb2a5705f, v8
	s_waitcnt_depctr 0xfff
	v_ldexp_f32 v18, v18, v22
	v_div_fmas_f32 v22, v23, v34, v27
	v_mul_f32_e32 v23, v21, v33
	v_cmp_nlt_f32_e32 vcc_lo, 0x42ce8ed0, v11
	s_delay_alu instid0(VALU_DEP_3) | instskip(NEXT) | instid1(VALU_DEP_3)
	v_div_fixup_f32 v17, v22, v19, v17
	v_fma_f32 v19, -v30, v23, v21
	v_rndne_f32_e32 v22, v24
	s_delay_alu instid0(VALU_DEP_3) | instskip(NEXT) | instid1(VALU_DEP_3)
	v_dual_mul_f32 v14, v14, v135 :: v_dual_mul_f32 v17, v17, v132
	v_fmac_f32_e32 v23, v19, v33
	s_delay_alu instid0(VALU_DEP_3) | instskip(SKIP_2) | instid1(VALU_DEP_4)
	v_dual_sub_f32 v19, v24, v22 :: v_dual_mul_f32 v24, 0xbfb8aa3b, v9
	v_cndmask_b32_e32 v18, 0, v18, vcc_lo
	v_cmp_ngt_f32_e32 vcc_lo, 0xc2b17218, v11
	v_fma_f32 v21, -v30, v23, v21
	s_delay_alu instid0(VALU_DEP_4) | instskip(SKIP_3) | instid1(VALU_DEP_4)
	v_add_f32_e32 v19, v19, v25
	v_rndne_f32_e32 v25, v24
	v_fma_f32 v27, 0xbfb8aa3b, v9, -v24
	v_cvt_i32_f32_e32 v22, v22
	v_exp_f32_e32 v19, v19
	s_delay_alu instid0(VALU_DEP_3) | instskip(NEXT) | instid1(VALU_DEP_3)
	v_sub_f32_e32 v24, v24, v25
	v_fmac_f32_e32 v27, 0xb2a5705f, v9
	v_cndmask_b32_e32 v18, 0x7f800000, v18, vcc_lo
	s_mov_b32 vcc_lo, s30
	v_div_fmas_f32 v21, v21, v33, v23
	v_cmp_nlt_f32_e32 vcc_lo, 0x42ce8ed0, v8
	s_waitcnt_depctr 0xfff
	v_ldexp_f32 v19, v19, v22
	v_div_fixup_f32 v10, v21, v20, v10
	s_delay_alu instid0(VALU_DEP_2) | instskip(SKIP_1) | instid1(VALU_DEP_2)
	v_cndmask_b32_e32 v19, 0, v19, vcc_lo
	v_cmp_ngt_f32_e32 vcc_lo, 0xc2b17218, v8
	v_cndmask_b32_e32 v19, 0x7f800000, v19, vcc_lo
	s_delay_alu instid0(VALU_DEP_1) | instskip(NEXT) | instid1(VALU_DEP_1)
	v_dual_mul_f32 v28, 0xbfb8aa3b, v6 :: v_dual_add_f32 v19, 1.0, v19
	v_fma_f32 v31, 0xbfb8aa3b, v6, -v28
	v_rndne_f32_e32 v30, v28
	s_delay_alu instid0(VALU_DEP_2) | instskip(SKIP_1) | instid1(VALU_DEP_3)
	v_fmac_f32_e32 v31, 0xb2a5705f, v6
	v_dual_add_f32 v23, v24, v27 :: v_dual_add_f32 v18, 1.0, v18
	v_sub_f32_e32 v24, v28, v30
	s_delay_alu instid0(VALU_DEP_2) | instskip(NEXT) | instid1(VALU_DEP_2)
	v_exp_f32_e32 v20, v23
	v_div_scale_f32 v26, null, v18, v18, v11
	s_delay_alu instid0(VALU_DEP_2) | instskip(SKIP_1) | instid1(VALU_DEP_3)
	v_add_f32_e32 v22, v24, v31
	v_cvt_i32_f32_e32 v23, v25
	v_rcp_f32_e32 v29, v26
	s_waitcnt_depctr 0xfff
	v_ldexp_f32 v20, v20, v23
	s_delay_alu instid0(VALU_DEP_1) | instskip(SKIP_2) | instid1(VALU_DEP_2)
	v_cndmask_b32_e64 v20, 0, v20, s29
	v_fma_f32 v21, -v26, v29, 1.0
	v_cmp_ngt_f32_e64 s29, 0xc2b17218, v9
	v_fmac_f32_e32 v29, v21, v29
	v_exp_f32_e32 v21, v22
	v_cvt_i32_f32_e32 v22, v30
	v_div_scale_f32 v23, vcc_lo, v11, v18, v11
	v_cndmask_b32_e64 v20, 0x7f800000, v20, s29
	v_cmp_nlt_f32_e64 s29, 0x42ce8ed0, v6
	s_delay_alu instid0(VALU_DEP_3) | instskip(SKIP_4) | instid1(VALU_DEP_3)
	v_mul_f32_e32 v24, v23, v29
	s_waitcnt_depctr 0xfff
	v_ldexp_f32 v21, v21, v22
	v_div_scale_f32 v22, null, v19, v19, v8
	v_fma_f32 v27, -v26, v24, v23
	v_cndmask_b32_e64 v21, 0, v21, s29
	s_delay_alu instid0(VALU_DEP_3) | instskip(SKIP_1) | instid1(VALU_DEP_3)
	v_rcp_f32_e32 v25, v22
	v_cmp_ngt_f32_e64 s29, 0xc2b17218, v6
	v_fmac_f32_e32 v24, v27, v29
	s_delay_alu instid0(VALU_DEP_2) | instskip(NEXT) | instid1(VALU_DEP_2)
	v_cndmask_b32_e64 v21, 0x7f800000, v21, s29
	v_fma_f32 v23, -v26, v24, v23
	s_waitcnt_depctr 0xfff
	v_fma_f32 v27, -v22, v25, 1.0
	v_dual_add_f32 v20, 1.0, v20 :: v_dual_add_f32 v21, 1.0, v21
	v_div_fmas_f32 v23, v23, v29, v24
	v_cmp_nlt_f32_e32 vcc_lo, 0x42ce8ed0, v7
	s_delay_alu instid0(VALU_DEP_4) | instskip(NEXT) | instid1(VALU_DEP_4)
	v_fmac_f32_e32 v25, v27, v25
	v_div_scale_f32 v28, null, v20, v20, v9
	v_div_scale_f32 v31, null, v21, v21, v6
	v_div_fixup_f32 v11, v23, v18, v11
	s_delay_alu instid0(VALU_DEP_3) | instskip(SKIP_1) | instid1(VALU_DEP_3)
	v_rcp_f32_e32 v30, v28
	v_div_scale_f32 v27, s29, v8, v19, v8
	v_rcp_f32_e32 v33, v31
	s_delay_alu instid0(VALU_DEP_2) | instskip(NEXT) | instid1(VALU_DEP_2)
	v_mul_f32_e32 v11, v11, v129
	v_mul_f32_e32 v26, v27, v25
	s_waitcnt_depctr 0xfff
	v_fma_f32 v111, -v28, v30, 1.0
	v_fma_f32 v24, -v22, v26, v27
	v_fma_f32 v112, -v31, v33, 1.0
	s_delay_alu instid0(VALU_DEP_3) | instskip(SKIP_1) | instid1(VALU_DEP_3)
	v_fmac_f32_e32 v30, v111, v30
	v_div_scale_f32 v111, s30, v9, v20, v9
	v_dual_fmac_f32 v33, v112, v33 :: v_dual_mul_f32 v32, 0xbfb8aa3b, v7
	s_delay_alu instid0(VALU_DEP_2) | instskip(NEXT) | instid1(VALU_DEP_2)
	v_dual_fmac_f32 v26, v24, v25 :: v_dual_mul_f32 v29, v111, v30
	v_rndne_f32_e32 v34, v32
	v_fma_f32 v35, 0xbfb8aa3b, v7, -v32
	v_mul_f32_e32 v10, v10, v130
	s_delay_alu instid0(VALU_DEP_4) | instskip(SKIP_1) | instid1(VALU_DEP_4)
	v_fma_f32 v23, -v28, v29, v111
	v_fma_f32 v22, -v22, v26, v27
	v_dual_sub_f32 v32, v32, v34 :: v_dual_fmac_f32 v35, 0xb2a5705f, v7
	v_cvt_i32_f32_e32 v18, v34
	s_delay_alu instid0(VALU_DEP_2) | instskip(SKIP_1) | instid1(VALU_DEP_2)
	v_dual_fmac_f32 v29, v23, v30 :: v_dual_add_f32 v32, v32, v35
	v_div_scale_f32 v35, s31, v6, v21, v6
	v_exp_f32_e32 v32, v32
	s_delay_alu instid0(VALU_DEP_1) | instskip(NEXT) | instid1(VALU_DEP_1)
	v_mul_f32_e32 v24, v35, v33
	v_fma_f32 v23, -v31, v24, v35
	s_waitcnt_depctr 0xfff
	v_ldexp_f32 v18, v32, v18
	v_dual_fmac_f32 v24, v23, v33 :: v_dual_mul_f32 v23, 0xbfb8aa3b, v4
	s_delay_alu instid0(VALU_DEP_2) | instskip(SKIP_1) | instid1(VALU_DEP_2)
	v_cndmask_b32_e32 v18, 0, v18, vcc_lo
	s_mov_b32 vcc_lo, s29
	v_rndne_f32_e32 v27, v23
	v_div_fmas_f32 v22, v22, v25, v26
	v_cmp_ngt_f32_e32 vcc_lo, 0xc2b17218, v7
	v_fma_f32 v25, -v28, v29, v111
	v_fma_f32 v26, -v31, v24, v35
	v_fma_f32 v28, 0xbfb8aa3b, v4, -v23
	v_dual_sub_f32 v23, v23, v27 :: v_dual_cndmask_b32 v18, 0x7f800000, v18
	s_mov_b32 vcc_lo, s30
	v_div_fixup_f32 v8, v22, v19, v8
	v_div_fmas_f32 v25, v25, v30, v29
	s_mov_b32 vcc_lo, s31
	v_fmac_f32_e32 v28, 0xb2a5705f, v4
	v_div_fmas_f32 v24, v26, v33, v24
	v_cvt_i32_f32_e32 v27, v27
	v_div_fixup_f32 v9, v25, v20, v9
	v_cmp_nlt_f32_e32 vcc_lo, 0x42ce8ed0, v4
	s_delay_alu instid0(VALU_DEP_4) | instskip(SKIP_1) | instid1(VALU_DEP_4)
	v_div_fixup_f32 v6, v24, v21, v6
	v_dual_mul_f32 v21, 0xbfb8aa3b, v5 :: v_dual_mul_f32 v24, 0xbfb8aa3b, v2
	v_mul_f32_e32 v9, v9, v126
	s_delay_alu instid0(VALU_DEP_2) | instskip(NEXT) | instid1(VALU_DEP_3)
	v_rndne_f32_e32 v22, v21
	v_fma_f32 v29, 0xbfb8aa3b, v2, -v24
	v_add_f32_e32 v20, v23, v28
	v_fma_f32 v23, 0xbfb8aa3b, v5, -v21
	v_rndne_f32_e32 v28, v24
	v_sub_f32_e32 v21, v21, v22
	v_fmac_f32_e32 v29, 0xb2a5705f, v2
	v_exp_f32_e32 v20, v20
	v_fmac_f32_e32 v23, 0xb2a5705f, v5
	v_cvt_i32_f32_e32 v22, v22
	s_delay_alu instid0(VALU_DEP_2)
	v_add_f32_e32 v21, v21, v23
	v_dual_sub_f32 v23, v24, v28 :: v_dual_add_f32 v18, 1.0, v18
	s_waitcnt_depctr 0xfff
	v_ldexp_f32 v20, v20, v27
	v_exp_f32_e32 v21, v21
	v_add_f32_e32 v23, v23, v29
	v_div_scale_f32 v26, null, v18, v18, v7
	s_delay_alu instid0(VALU_DEP_2) | instskip(NEXT) | instid1(VALU_DEP_1)
	v_exp_f32_e32 v23, v23
	v_rcp_f32_e32 v19, v26
	s_delay_alu instid0(TRANS32_DEP_3) | instskip(SKIP_4) | instid1(VALU_DEP_3)
	v_ldexp_f32 v21, v21, v22
	s_waitcnt_depctr 0xfff
	v_fma_f32 v25, -v26, v19, 1.0
	v_cndmask_b32_e32 v20, 0, v20, vcc_lo
	v_cmp_ngt_f32_e32 vcc_lo, 0xc2b17218, v4
	v_fmac_f32_e32 v19, v25, v19
	v_cvt_i32_f32_e32 v25, v28
	s_delay_alu instid0(VALU_DEP_4) | instskip(SKIP_2) | instid1(VALU_DEP_4)
	v_cndmask_b32_e32 v20, 0x7f800000, v20, vcc_lo
	v_cmp_nlt_f32_e32 vcc_lo, 0x42ce8ed0, v5
	v_mul_f32_e32 v30, 0xbfb8aa3b, v3
	v_ldexp_f32 v23, v23, v25
	v_cndmask_b32_e32 v21, 0, v21, vcc_lo
	s_delay_alu instid0(VALU_DEP_3)
	v_rndne_f32_e32 v24, v30
	v_fma_f32 v27, 0xbfb8aa3b, v3, -v30
	v_mul_f32_e32 v8, v8, v127
	v_mul_f32_e32 v6, v6, v125
	v_cmp_nlt_f32_e32 vcc_lo, 0x42ce8ed0, v2
	v_sub_f32_e32 v29, v30, v24
	v_fmac_f32_e32 v27, 0xb2a5705f, v3
	v_cvt_i32_f32_e32 v24, v24
	s_delay_alu instid0(VALU_DEP_2) | instskip(NEXT) | instid1(VALU_DEP_1)
	v_add_f32_e32 v27, v29, v27
	v_exp_f32_e32 v22, v27
	s_waitcnt_depctr 0xfff
	v_ldexp_f32 v22, v22, v24
	v_cndmask_b32_e32 v23, 0, v23, vcc_lo
	v_cmp_ngt_f32_e32 vcc_lo, 0xc2b17218, v5
	v_cndmask_b32_e32 v21, 0x7f800000, v21, vcc_lo
	v_cmp_ngt_f32_e32 vcc_lo, 0xc2b17218, v2
	s_delay_alu instid0(VALU_DEP_2) | instskip(SKIP_2) | instid1(VALU_DEP_3)
	v_dual_add_f32 v21, 1.0, v21 :: v_dual_add_f32 v20, 1.0, v20
	v_cndmask_b32_e32 v23, 0x7f800000, v23, vcc_lo
	v_cmp_nlt_f32_e32 vcc_lo, 0x42ce8ed0, v3
	v_div_scale_f32 v25, null, v21, v21, v5
	s_delay_alu instid0(VALU_DEP_4) | instskip(SKIP_3) | instid1(VALU_DEP_4)
	v_div_scale_f32 v27, null, v20, v20, v4
	v_cndmask_b32_e32 v22, 0, v22, vcc_lo
	v_cmp_ngt_f32_e32 vcc_lo, 0xc2b17218, v3
	v_add_f32_e32 v23, 1.0, v23
	v_rcp_f32_e32 v24, v27
	v_rcp_f32_e32 v30, v25
	v_cndmask_b32_e32 v22, 0x7f800000, v22, vcc_lo
	s_delay_alu instid0(VALU_DEP_2) | instskip(SKIP_1) | instid1(VALU_DEP_3)
	v_div_scale_f32 v28, null, v23, v23, v2
	v_div_scale_f32 v29, vcc_lo, v7, v18, v7
	v_add_f32_e32 v22, 1.0, v22
	s_delay_alu instid0(VALU_DEP_3) | instskip(NEXT) | instid1(TRANS32_DEP_3)
	v_rcp_f32_e32 v32, v28
	v_fma_f32 v31, -v27, v24, 1.0
	s_delay_alu instid0(VALU_DEP_3) | instskip(NEXT) | instid1(TRANS32_DEP_2)
	v_mul_f32_e32 v33, v29, v19
	v_fma_f32 v35, -v25, v30, 1.0
	v_div_scale_f32 v34, null, v22, v22, v3
	s_delay_alu instid0(VALU_DEP_4) | instskip(SKIP_1) | instid1(VALU_DEP_3)
	v_fmac_f32_e32 v24, v31, v24
	v_div_scale_f32 v31, s29, v4, v20, v4
	v_rcp_f32_e32 v111, v34
	v_fma_f32 v112, -v26, v33, v29
	s_delay_alu instid0(TRANS32_DEP_2) | instskip(NEXT) | instid1(VALU_DEP_2)
	v_fma_f32 v113, -v28, v32, 1.0
	v_dual_mul_f32 v114, v31, v24 :: v_dual_fmac_f32 v33, v112, v19
	s_delay_alu instid0(VALU_DEP_1)
	v_fma_f32 v112, -v27, v114, v31
	s_waitcnt_depctr 0xfff
	v_fma_f32 v115, -v34, v111, 1.0
	v_fmac_f32_e32 v32, v113, v32
	v_div_scale_f32 v113, s31, v2, v23, v2
	v_fma_f32 v26, -v26, v33, v29
	s_delay_alu instid0(VALU_DEP_4) | instskip(NEXT) | instid1(VALU_DEP_3)
	v_fmac_f32_e32 v111, v115, v111
	v_dual_fmac_f32 v30, v35, v30 :: v_dual_mul_f32 v117, v113, v32
	v_div_scale_f32 v35, s30, v5, v21, v5
	s_delay_alu instid0(VALU_DEP_4) | instskip(SKIP_2) | instid1(VALU_DEP_2)
	v_div_fmas_f32 v19, v26, v19, v33
	s_mov_b32 vcc_lo, s29
	v_div_scale_f32 v115, s33, v3, v22, v3
	v_div_fixup_f32 v7, v19, v18, v7
	v_fmac_f32_e32 v114, v112, v24
	v_fma_f32 v112, -v28, v117, v113
	v_mul_f32_e32 v116, v35, v30
	s_delay_alu instid0(VALU_DEP_4) | instskip(NEXT) | instid1(VALU_DEP_4)
	v_mul_f32_e32 v7, v7, v123
	v_fma_f32 v26, -v27, v114, v31
	s_delay_alu instid0(VALU_DEP_4) | instskip(NEXT) | instid1(VALU_DEP_4)
	v_fmac_f32_e32 v117, v112, v32
	v_fma_f32 v29, -v25, v116, v35
	s_delay_alu instid0(VALU_DEP_3) | instskip(SKIP_1) | instid1(VALU_DEP_2)
	v_div_fmas_f32 v24, v26, v24, v114
	s_mov_b32 vcc_lo, s30
	v_fmac_f32_e32 v116, v29, v30
	v_fma_f32 v26, -v28, v117, v113
	s_delay_alu instid0(VALU_DEP_3) | instskip(NEXT) | instid1(VALU_DEP_3)
	v_div_fixup_f32 v4, v24, v20, v4
	v_fma_f32 v25, -v25, v116, v35
	s_delay_alu instid0(VALU_DEP_2) | instskip(NEXT) | instid1(VALU_DEP_2)
	v_mul_f32_e32 v4, v4, v122
	v_div_fmas_f32 v25, v25, v30, v116
	s_mov_b32 vcc_lo, s31
	v_div_fmas_f32 v26, v26, v32, v117
	s_mov_b32 vcc_lo, s33
	s_delay_alu instid0(VALU_DEP_2) | instskip(SKIP_1) | instid1(VALU_DEP_3)
	v_div_fixup_f32 v5, v25, v21, v5
	v_mul_f32_e32 v118, v115, v111
	v_div_fixup_f32 v2, v26, v23, v2
	s_delay_alu instid0(VALU_DEP_3) | instskip(NEXT) | instid1(VALU_DEP_3)
	v_mul_f32_e32 v5, v5, v121
	v_fma_f32 v27, -v34, v118, v115
	s_delay_alu instid0(VALU_DEP_3) | instskip(NEXT) | instid1(VALU_DEP_2)
	v_mul_f32_e32 v2, v2, v120
	v_fmac_f32_e32 v118, v27, v111
	s_delay_alu instid0(VALU_DEP_1) | instskip(NEXT) | instid1(VALU_DEP_1)
	v_fma_f32 v27, -v34, v118, v115
	v_div_fmas_f32 v27, v27, v111, v118
	s_delay_alu instid0(VALU_DEP_1) | instskip(NEXT) | instid1(VALU_DEP_1)
	v_div_fixup_f32 v3, v27, v22, v3
	v_mul_f32_e32 v3, v3, v124
	ds_store_2addr_b32 v70, v12, v13 offset1:1
	ds_store_2addr_b32 v70, v14, v15 offset0:2 offset1:3
	ds_store_2addr_b32 v70, v16, v17 offset0:4 offset1:5
	;; [unrolled: 1-line block ×7, first 2 shown]
	; wave barrier
	ds_load_b32 v18, v55 offset:128
	ds_load_b32 v17, v56 offset:256
	;; [unrolled: 1-line block ×15, first 2 shown]
	v_add_co_u32 v2, vcc_lo, v93, s34
	v_add_co_ci_u32_e32 v3, vcc_lo, s35, v94, vcc_lo
	s_and_saveexec_b32 s29, s13
	s_cbranch_execnz .LBB152_286
; %bb.239:                              ;   in Loop: Header=BB152_12 Depth=1
	s_or_b32 exec_lo, exec_lo, s29
	s_and_saveexec_b32 s13, s14
	s_cbranch_execnz .LBB152_287
.LBB152_240:                            ;   in Loop: Header=BB152_12 Depth=1
	s_or_b32 exec_lo, exec_lo, s13
	s_and_saveexec_b32 s13, s15
	s_cbranch_execnz .LBB152_288
.LBB152_241:                            ;   in Loop: Header=BB152_12 Depth=1
	s_or_b32 exec_lo, exec_lo, s13
	s_and_saveexec_b32 s13, s16
	s_cbranch_execnz .LBB152_289
.LBB152_242:                            ;   in Loop: Header=BB152_12 Depth=1
	s_or_b32 exec_lo, exec_lo, s13
	s_and_saveexec_b32 s13, s17
	s_cbranch_execnz .LBB152_290
.LBB152_243:                            ;   in Loop: Header=BB152_12 Depth=1
	s_or_b32 exec_lo, exec_lo, s13
	s_and_saveexec_b32 s13, s18
	s_cbranch_execnz .LBB152_291
.LBB152_244:                            ;   in Loop: Header=BB152_12 Depth=1
	s_or_b32 exec_lo, exec_lo, s13
	s_and_saveexec_b32 s13, s19
	s_cbranch_execnz .LBB152_292
.LBB152_245:                            ;   in Loop: Header=BB152_12 Depth=1
	s_or_b32 exec_lo, exec_lo, s13
	s_and_saveexec_b32 s13, s20
	s_cbranch_execnz .LBB152_293
.LBB152_246:                            ;   in Loop: Header=BB152_12 Depth=1
	s_or_b32 exec_lo, exec_lo, s13
	s_and_saveexec_b32 s13, s21
	s_cbranch_execnz .LBB152_294
.LBB152_247:                            ;   in Loop: Header=BB152_12 Depth=1
	s_or_b32 exec_lo, exec_lo, s13
	s_and_saveexec_b32 s13, s22
	s_cbranch_execnz .LBB152_295
.LBB152_248:                            ;   in Loop: Header=BB152_12 Depth=1
	s_or_b32 exec_lo, exec_lo, s13
	s_and_saveexec_b32 s13, s23
	s_cbranch_execnz .LBB152_296
.LBB152_249:                            ;   in Loop: Header=BB152_12 Depth=1
	s_or_b32 exec_lo, exec_lo, s13
	s_and_saveexec_b32 s13, s24
	s_cbranch_execnz .LBB152_297
.LBB152_250:                            ;   in Loop: Header=BB152_12 Depth=1
	s_or_b32 exec_lo, exec_lo, s13
	s_and_saveexec_b32 s13, s25
	s_cbranch_execnz .LBB152_298
.LBB152_251:                            ;   in Loop: Header=BB152_12 Depth=1
	s_or_b32 exec_lo, exec_lo, s13
	s_and_saveexec_b32 s13, s26
	s_cbranch_execnz .LBB152_299
.LBB152_252:                            ;   in Loop: Header=BB152_12 Depth=1
	s_or_b32 exec_lo, exec_lo, s13
	s_and_saveexec_b32 s13, s27
	s_cbranch_execnz .LBB152_300
.LBB152_253:                            ;   in Loop: Header=BB152_12 Depth=1
	s_or_b32 exec_lo, exec_lo, s13
	s_and_saveexec_b32 s13, s28
	s_cbranch_execz .LBB152_11
	s_branch .LBB152_301
.LBB152_254:                            ;   in Loop: Header=BB152_12 Depth=1
	global_load_b32 v35, v[18:19], off offset:1664
	s_or_b32 exec_lo, exec_lo, s29
	s_and_saveexec_b32 s29, s27
	s_cbranch_execz .LBB152_72
.LBB152_255:                            ;   in Loop: Header=BB152_12 Depth=1
	global_load_b32 v33, v[18:19], off offset:1792
	s_or_b32 exec_lo, exec_lo, s29
	v_mov_b32_e32 v111, 0
	s_and_saveexec_b32 s29, s28
	s_cbranch_execnz .LBB152_73
	s_branch .LBB152_74
.LBB152_256:                            ;   in Loop: Header=BB152_12 Depth=1
	ds_load_b32 v19, v54
	s_waitcnt lgkmcnt(0)
	global_store_b32 v[2:3], v19, off
	s_or_b32 exec_lo, exec_lo, s29
	s_and_saveexec_b32 s29, s14
	s_cbranch_execz .LBB152_206
.LBB152_257:                            ;   in Loop: Header=BB152_12 Depth=1
	s_waitcnt lgkmcnt(14)
	global_store_b32 v[2:3], v18, off offset:128
	s_or_b32 exec_lo, exec_lo, s29
	s_and_saveexec_b32 s29, s15
	s_cbranch_execz .LBB152_207
.LBB152_258:                            ;   in Loop: Header=BB152_12 Depth=1
	s_waitcnt lgkmcnt(13)
	global_store_b32 v[2:3], v17, off offset:256
	s_or_b32 exec_lo, exec_lo, s29
	s_and_saveexec_b32 s29, s16
	s_cbranch_execz .LBB152_208
.LBB152_259:                            ;   in Loop: Header=BB152_12 Depth=1
	s_waitcnt lgkmcnt(12)
	global_store_b32 v[2:3], v16, off offset:384
	s_or_b32 exec_lo, exec_lo, s29
	s_and_saveexec_b32 s29, s17
	s_cbranch_execz .LBB152_209
.LBB152_260:                            ;   in Loop: Header=BB152_12 Depth=1
	s_waitcnt lgkmcnt(11)
	global_store_b32 v[2:3], v15, off offset:512
	s_or_b32 exec_lo, exec_lo, s29
	s_and_saveexec_b32 s29, s18
	s_cbranch_execz .LBB152_210
.LBB152_261:                            ;   in Loop: Header=BB152_12 Depth=1
	s_waitcnt lgkmcnt(10)
	global_store_b32 v[2:3], v14, off offset:640
	s_or_b32 exec_lo, exec_lo, s29
	s_and_saveexec_b32 s29, s19
	s_cbranch_execz .LBB152_211
.LBB152_262:                            ;   in Loop: Header=BB152_12 Depth=1
	s_waitcnt lgkmcnt(9)
	global_store_b32 v[2:3], v13, off offset:768
	s_or_b32 exec_lo, exec_lo, s29
	s_and_saveexec_b32 s29, s20
	s_cbranch_execz .LBB152_212
.LBB152_263:                            ;   in Loop: Header=BB152_12 Depth=1
	s_waitcnt lgkmcnt(8)
	global_store_b32 v[2:3], v12, off offset:896
	s_or_b32 exec_lo, exec_lo, s29
	s_and_saveexec_b32 s29, s21
	s_cbranch_execz .LBB152_213
.LBB152_264:                            ;   in Loop: Header=BB152_12 Depth=1
	s_waitcnt lgkmcnt(7)
	global_store_b32 v[2:3], v11, off offset:1024
	s_or_b32 exec_lo, exec_lo, s29
	s_and_saveexec_b32 s29, s22
	s_cbranch_execz .LBB152_214
.LBB152_265:                            ;   in Loop: Header=BB152_12 Depth=1
	s_waitcnt lgkmcnt(6)
	global_store_b32 v[2:3], v10, off offset:1152
	s_or_b32 exec_lo, exec_lo, s29
	s_and_saveexec_b32 s29, s23
	s_cbranch_execz .LBB152_215
.LBB152_266:                            ;   in Loop: Header=BB152_12 Depth=1
	s_waitcnt lgkmcnt(5)
	global_store_b32 v[2:3], v9, off offset:1280
	s_or_b32 exec_lo, exec_lo, s29
	s_and_saveexec_b32 s29, s24
	s_cbranch_execz .LBB152_216
.LBB152_267:                            ;   in Loop: Header=BB152_12 Depth=1
	s_waitcnt lgkmcnt(4)
	global_store_b32 v[2:3], v8, off offset:1408
	s_or_b32 exec_lo, exec_lo, s29
	s_and_saveexec_b32 s29, s25
	s_cbranch_execz .LBB152_217
.LBB152_268:                            ;   in Loop: Header=BB152_12 Depth=1
	s_waitcnt lgkmcnt(3)
	global_store_b32 v[2:3], v7, off offset:1536
	s_or_b32 exec_lo, exec_lo, s29
	s_and_saveexec_b32 s29, s26
	s_cbranch_execz .LBB152_218
.LBB152_269:                            ;   in Loop: Header=BB152_12 Depth=1
	s_waitcnt lgkmcnt(2)
	global_store_b32 v[2:3], v6, off offset:1664
	s_or_b32 exec_lo, exec_lo, s29
	s_and_saveexec_b32 s29, s27
	s_cbranch_execz .LBB152_219
.LBB152_270:                            ;   in Loop: Header=BB152_12 Depth=1
	s_waitcnt lgkmcnt(1)
	global_store_b32 v[2:3], v5, off offset:1792
	s_or_b32 exec_lo, exec_lo, s29
	s_and_saveexec_b32 s29, s28
	s_cbranch_execnz .LBB152_220
	s_branch .LBB152_221
.LBB152_271:                            ;   in Loop: Header=BB152_12 Depth=1
	global_load_b32 v20, v[18:19], off
	v_mov_b32_e32 v15, v1
	v_mov_b32_e32 v2, v1
	;; [unrolled: 1-line block ×15, first 2 shown]
	s_delay_alu instid0(VALU_DEP_2)
	v_dual_mov_b32 v16, v14 :: v_dual_mov_b32 v15, v13
	v_mov_b32_e32 v14, v12
	v_mov_b32_e32 v13, v11
	;; [unrolled: 1-line block ×13, first 2 shown]
	s_or_b32 exec_lo, exec_lo, s29
	s_and_saveexec_b32 s29, s14
	s_cbranch_execz .LBB152_223
.LBB152_272:                            ;   in Loop: Header=BB152_12 Depth=1
	global_load_b32 v3, v[18:19], off offset:128
	s_or_b32 exec_lo, exec_lo, s29
	s_and_saveexec_b32 s29, s15
	s_cbranch_execz .LBB152_224
.LBB152_273:                            ;   in Loop: Header=BB152_12 Depth=1
	global_load_b32 v4, v[18:19], off offset:256
	s_or_b32 exec_lo, exec_lo, s29
	s_and_saveexec_b32 s29, s16
	s_cbranch_execz .LBB152_225
.LBB152_274:                            ;   in Loop: Header=BB152_12 Depth=1
	global_load_b32 v5, v[18:19], off offset:384
	s_or_b32 exec_lo, exec_lo, s29
	s_and_saveexec_b32 s29, s17
	s_cbranch_execz .LBB152_226
.LBB152_275:                            ;   in Loop: Header=BB152_12 Depth=1
	global_load_b32 v6, v[18:19], off offset:512
	s_or_b32 exec_lo, exec_lo, s29
	s_and_saveexec_b32 s29, s18
	s_cbranch_execz .LBB152_227
.LBB152_276:                            ;   in Loop: Header=BB152_12 Depth=1
	global_load_b32 v7, v[18:19], off offset:640
	s_or_b32 exec_lo, exec_lo, s29
	s_and_saveexec_b32 s29, s19
	s_cbranch_execz .LBB152_228
.LBB152_277:                            ;   in Loop: Header=BB152_12 Depth=1
	global_load_b32 v8, v[18:19], off offset:768
	s_or_b32 exec_lo, exec_lo, s29
	s_and_saveexec_b32 s29, s20
	s_cbranch_execz .LBB152_229
.LBB152_278:                            ;   in Loop: Header=BB152_12 Depth=1
	global_load_b32 v9, v[18:19], off offset:896
	s_or_b32 exec_lo, exec_lo, s29
	s_and_saveexec_b32 s29, s21
	s_cbranch_execz .LBB152_230
.LBB152_279:                            ;   in Loop: Header=BB152_12 Depth=1
	global_load_b32 v10, v[18:19], off offset:1024
	s_or_b32 exec_lo, exec_lo, s29
	s_and_saveexec_b32 s29, s22
	s_cbranch_execz .LBB152_231
.LBB152_280:                            ;   in Loop: Header=BB152_12 Depth=1
	global_load_b32 v11, v[18:19], off offset:1152
	s_or_b32 exec_lo, exec_lo, s29
	s_and_saveexec_b32 s29, s23
	s_cbranch_execz .LBB152_232
.LBB152_281:                            ;   in Loop: Header=BB152_12 Depth=1
	global_load_b32 v12, v[18:19], off offset:1280
	s_or_b32 exec_lo, exec_lo, s29
	s_and_saveexec_b32 s29, s24
	s_cbranch_execz .LBB152_233
.LBB152_282:                            ;   in Loop: Header=BB152_12 Depth=1
	global_load_b32 v13, v[18:19], off offset:1408
	s_or_b32 exec_lo, exec_lo, s29
	s_and_saveexec_b32 s29, s25
	s_cbranch_execz .LBB152_234
.LBB152_283:                            ;   in Loop: Header=BB152_12 Depth=1
	global_load_b32 v14, v[18:19], off offset:1536
	s_or_b32 exec_lo, exec_lo, s29
	s_and_saveexec_b32 s29, s26
	s_cbranch_execz .LBB152_235
.LBB152_284:                            ;   in Loop: Header=BB152_12 Depth=1
	global_load_b32 v15, v[18:19], off offset:1664
	s_or_b32 exec_lo, exec_lo, s29
	s_and_saveexec_b32 s29, s27
	s_cbranch_execz .LBB152_236
.LBB152_285:                            ;   in Loop: Header=BB152_12 Depth=1
	global_load_b32 v16, v[18:19], off offset:1792
	s_or_b32 exec_lo, exec_lo, s29
	s_and_saveexec_b32 s29, s28
	s_cbranch_execnz .LBB152_237
	s_branch .LBB152_238
.LBB152_286:                            ;   in Loop: Header=BB152_12 Depth=1
	ds_load_b32 v19, v54
	s_waitcnt lgkmcnt(0)
	global_store_b32 v[2:3], v19, off
	s_or_b32 exec_lo, exec_lo, s29
	s_and_saveexec_b32 s13, s14
	s_cbranch_execz .LBB152_240
.LBB152_287:                            ;   in Loop: Header=BB152_12 Depth=1
	s_waitcnt lgkmcnt(14)
	global_store_b32 v[2:3], v18, off offset:128
	s_or_b32 exec_lo, exec_lo, s13
	s_and_saveexec_b32 s13, s15
	s_cbranch_execz .LBB152_241
.LBB152_288:                            ;   in Loop: Header=BB152_12 Depth=1
	s_waitcnt lgkmcnt(13)
	global_store_b32 v[2:3], v17, off offset:256
	s_or_b32 exec_lo, exec_lo, s13
	s_and_saveexec_b32 s13, s16
	s_cbranch_execz .LBB152_242
.LBB152_289:                            ;   in Loop: Header=BB152_12 Depth=1
	s_waitcnt lgkmcnt(12)
	global_store_b32 v[2:3], v16, off offset:384
	s_or_b32 exec_lo, exec_lo, s13
	s_and_saveexec_b32 s13, s17
	s_cbranch_execz .LBB152_243
.LBB152_290:                            ;   in Loop: Header=BB152_12 Depth=1
	s_waitcnt lgkmcnt(11)
	global_store_b32 v[2:3], v15, off offset:512
	s_or_b32 exec_lo, exec_lo, s13
	s_and_saveexec_b32 s13, s18
	s_cbranch_execz .LBB152_244
.LBB152_291:                            ;   in Loop: Header=BB152_12 Depth=1
	s_waitcnt lgkmcnt(10)
	global_store_b32 v[2:3], v14, off offset:640
	s_or_b32 exec_lo, exec_lo, s13
	s_and_saveexec_b32 s13, s19
	s_cbranch_execz .LBB152_245
.LBB152_292:                            ;   in Loop: Header=BB152_12 Depth=1
	s_waitcnt lgkmcnt(9)
	global_store_b32 v[2:3], v13, off offset:768
	s_or_b32 exec_lo, exec_lo, s13
	s_and_saveexec_b32 s13, s20
	s_cbranch_execz .LBB152_246
.LBB152_293:                            ;   in Loop: Header=BB152_12 Depth=1
	s_waitcnt lgkmcnt(8)
	global_store_b32 v[2:3], v12, off offset:896
	s_or_b32 exec_lo, exec_lo, s13
	s_and_saveexec_b32 s13, s21
	s_cbranch_execz .LBB152_247
.LBB152_294:                            ;   in Loop: Header=BB152_12 Depth=1
	s_waitcnt lgkmcnt(7)
	global_store_b32 v[2:3], v11, off offset:1024
	s_or_b32 exec_lo, exec_lo, s13
	s_and_saveexec_b32 s13, s22
	s_cbranch_execz .LBB152_248
.LBB152_295:                            ;   in Loop: Header=BB152_12 Depth=1
	s_waitcnt lgkmcnt(6)
	global_store_b32 v[2:3], v10, off offset:1152
	s_or_b32 exec_lo, exec_lo, s13
	s_and_saveexec_b32 s13, s23
	s_cbranch_execz .LBB152_249
.LBB152_296:                            ;   in Loop: Header=BB152_12 Depth=1
	s_waitcnt lgkmcnt(5)
	global_store_b32 v[2:3], v9, off offset:1280
	s_or_b32 exec_lo, exec_lo, s13
	s_and_saveexec_b32 s13, s24
	s_cbranch_execz .LBB152_250
.LBB152_297:                            ;   in Loop: Header=BB152_12 Depth=1
	s_waitcnt lgkmcnt(4)
	global_store_b32 v[2:3], v8, off offset:1408
	s_or_b32 exec_lo, exec_lo, s13
	s_and_saveexec_b32 s13, s25
	s_cbranch_execz .LBB152_251
.LBB152_298:                            ;   in Loop: Header=BB152_12 Depth=1
	s_waitcnt lgkmcnt(3)
	global_store_b32 v[2:3], v7, off offset:1536
	s_or_b32 exec_lo, exec_lo, s13
	s_and_saveexec_b32 s13, s26
	s_cbranch_execz .LBB152_252
.LBB152_299:                            ;   in Loop: Header=BB152_12 Depth=1
	s_waitcnt lgkmcnt(2)
	global_store_b32 v[2:3], v6, off offset:1664
	s_or_b32 exec_lo, exec_lo, s13
	s_and_saveexec_b32 s13, s27
	s_cbranch_execz .LBB152_253
.LBB152_300:                            ;   in Loop: Header=BB152_12 Depth=1
	s_waitcnt lgkmcnt(1)
	global_store_b32 v[2:3], v5, off offset:1792
	s_or_b32 exec_lo, exec_lo, s13
	s_and_saveexec_b32 s13, s28
	s_cbranch_execz .LBB152_11
.LBB152_301:                            ;   in Loop: Header=BB152_12 Depth=1
	s_waitcnt lgkmcnt(0)
	global_store_b32 v[2:3], v4, off offset:1920
	s_branch .LBB152_11
.LBB152_302:
	s_nop 0
	s_sendmsg sendmsg(MSG_DEALLOC_VGPRS)
	s_endpgm
	.section	.rodata,"a",@progbits
	.p2align	6, 0x0
	.amdhsa_kernel _Z25selective_scan_fwd_kernelI32Selective_Scan_fwd_kernel_traitsILi128ELi16ELi1ELb1ELb1ELb1ELb1ELb1EfffEEv13SSMParamsBase
		.amdhsa_group_segment_fixed_size 0
		.amdhsa_private_segment_fixed_size 0
		.amdhsa_kernarg_size 248
		.amdhsa_user_sgpr_count 14
		.amdhsa_user_sgpr_dispatch_ptr 0
		.amdhsa_user_sgpr_queue_ptr 0
		.amdhsa_user_sgpr_kernarg_segment_ptr 1
		.amdhsa_user_sgpr_dispatch_id 0
		.amdhsa_user_sgpr_private_segment_size 0
		.amdhsa_wavefront_size32 1
		.amdhsa_uses_dynamic_stack 0
		.amdhsa_enable_private_segment 0
		.amdhsa_system_sgpr_workgroup_id_x 1
		.amdhsa_system_sgpr_workgroup_id_y 1
		.amdhsa_system_sgpr_workgroup_id_z 0
		.amdhsa_system_sgpr_workgroup_info 0
		.amdhsa_system_vgpr_workitem_id 0
		.amdhsa_next_free_vgpr 186
		.amdhsa_next_free_sgpr 97
		.amdhsa_reserve_vcc 1
		.amdhsa_float_round_mode_32 0
		.amdhsa_float_round_mode_16_64 0
		.amdhsa_float_denorm_mode_32 3
		.amdhsa_float_denorm_mode_16_64 3
		.amdhsa_dx10_clamp 1
		.amdhsa_ieee_mode 1
		.amdhsa_fp16_overflow 0
		.amdhsa_workgroup_processor_mode 1
		.amdhsa_memory_ordered 1
		.amdhsa_forward_progress 0
		.amdhsa_shared_vgpr_count 0
		.amdhsa_exception_fp_ieee_invalid_op 0
		.amdhsa_exception_fp_denorm_src 0
		.amdhsa_exception_fp_ieee_div_zero 0
		.amdhsa_exception_fp_ieee_overflow 0
		.amdhsa_exception_fp_ieee_underflow 0
		.amdhsa_exception_fp_ieee_inexact 0
		.amdhsa_exception_int_div_zero 0
	.end_amdhsa_kernel
	.section	.text._Z25selective_scan_fwd_kernelI32Selective_Scan_fwd_kernel_traitsILi128ELi16ELi1ELb1ELb1ELb1ELb1ELb1EfffEEv13SSMParamsBase,"axG",@progbits,_Z25selective_scan_fwd_kernelI32Selective_Scan_fwd_kernel_traitsILi128ELi16ELi1ELb1ELb1ELb1ELb1ELb1EfffEEv13SSMParamsBase,comdat
.Lfunc_end152:
	.size	_Z25selective_scan_fwd_kernelI32Selective_Scan_fwd_kernel_traitsILi128ELi16ELi1ELb1ELb1ELb1ELb1ELb1EfffEEv13SSMParamsBase, .Lfunc_end152-_Z25selective_scan_fwd_kernelI32Selective_Scan_fwd_kernel_traitsILi128ELi16ELi1ELb1ELb1ELb1ELb1ELb1EfffEEv13SSMParamsBase
                                        ; -- End function
	.section	.AMDGPU.csdata,"",@progbits
; Kernel info:
; codeLenInByte = 25588
; NumSgprs: 99
; NumVgprs: 186
; ScratchSize: 0
; MemoryBound: 0
; FloatMode: 240
; IeeeMode: 1
; LDSByteSize: 0 bytes/workgroup (compile time only)
; SGPRBlocks: 12
; VGPRBlocks: 23
; NumSGPRsForWavesPerEU: 99
; NumVGPRsForWavesPerEU: 186
; Occupancy: 8
; WaveLimiterHint : 1
; COMPUTE_PGM_RSRC2:SCRATCH_EN: 0
; COMPUTE_PGM_RSRC2:USER_SGPR: 14
; COMPUTE_PGM_RSRC2:TRAP_HANDLER: 0
; COMPUTE_PGM_RSRC2:TGID_X_EN: 1
; COMPUTE_PGM_RSRC2:TGID_Y_EN: 1
; COMPUTE_PGM_RSRC2:TGID_Z_EN: 0
; COMPUTE_PGM_RSRC2:TIDIG_COMP_CNT: 0
	.section	.text._Z25selective_scan_fwd_kernelI32Selective_Scan_fwd_kernel_traitsILi128ELi16ELi1ELb1ELb1ELb1ELb1ELb0EfffEEv13SSMParamsBase,"axG",@progbits,_Z25selective_scan_fwd_kernelI32Selective_Scan_fwd_kernel_traitsILi128ELi16ELi1ELb1ELb1ELb1ELb1ELb0EfffEEv13SSMParamsBase,comdat
	.protected	_Z25selective_scan_fwd_kernelI32Selective_Scan_fwd_kernel_traitsILi128ELi16ELi1ELb1ELb1ELb1ELb1ELb0EfffEEv13SSMParamsBase ; -- Begin function _Z25selective_scan_fwd_kernelI32Selective_Scan_fwd_kernel_traitsILi128ELi16ELi1ELb1ELb1ELb1ELb1ELb0EfffEEv13SSMParamsBase
	.globl	_Z25selective_scan_fwd_kernelI32Selective_Scan_fwd_kernel_traitsILi128ELi16ELi1ELb1ELb1ELb1ELb1ELb0EfffEEv13SSMParamsBase
	.p2align	8
	.type	_Z25selective_scan_fwd_kernelI32Selective_Scan_fwd_kernel_traitsILi128ELi16ELi1ELb1ELb1ELb1ELb1ELb0EfffEEv13SSMParamsBase,@function
_Z25selective_scan_fwd_kernelI32Selective_Scan_fwd_kernel_traitsILi128ELi16ELi1ELb1ELb1ELb1ELb1ELb0EfffEEv13SSMParamsBase: ; @_Z25selective_scan_fwd_kernelI32Selective_Scan_fwd_kernel_traitsILi128ELi16ELi1ELb1ELb1ELb1ELb1ELb0EfffEEv13SSMParamsBase
; %bb.0:
	s_clause 0x1
	s_load_b32 s9, s[0:1], 0x18
	s_load_b128 s[4:7], s[0:1], 0xe8
	s_mov_b32 s34, s15
	s_mov_b32 s37, 0
	s_waitcnt lgkmcnt(0)
	s_abs_i32 s8, s9
	s_cmp_eq_u64 s[6:7], 0
	v_cvt_f32_u32_e32 v1, s8
	s_delay_alu instid0(VALU_DEP_1) | instskip(SKIP_2) | instid1(VALU_DEP_1)
	v_rcp_iflag_f32_e32 v1, v1
	s_waitcnt_depctr 0xfff
	v_mul_f32_e32 v1, 0x4f7ffffe, v1
	v_cvt_u32_f32_e32 v1, v1
	s_delay_alu instid0(VALU_DEP_1)
	v_readfirstlane_b32 s10, v1
	s_cbranch_scc1 .LBB153_2
; %bb.1:
	v_mov_b32_e32 v1, 0
	s_ashr_i32 s3, s14, 31
	s_add_u32 s2, s6, s14
	s_addc_u32 s3, s7, s3
	global_load_u8 v1, v1, s[2:3]
	s_waitcnt vmcnt(0)
	v_and_b32_e32 v1, 1, v1
	s_delay_alu instid0(VALU_DEP_1)
	v_cmp_eq_u32_e64 s37, 1, v1
.LBB153_2:
	s_load_b64 s[6:7], s[0:1], 0x20
	s_cmp_eq_u64 s[4:5], 0
	s_cbranch_scc1 .LBB153_4
; %bb.3:
	s_ashr_i32 s15, s14, 31
	s_delay_alu instid0(SALU_CYCLE_1) | instskip(NEXT) | instid1(SALU_CYCLE_1)
	s_lshl_b64 s[2:3], s[14:15], 2
	s_add_u32 s2, s4, s2
	s_addc_u32 s3, s5, s3
	s_load_b32 s2, s[2:3], 0x0
	s_waitcnt lgkmcnt(0)
	s_ashr_i32 s3, s2, 31
	s_delay_alu instid0(SALU_CYCLE_1)
	s_cmp_eq_u64 s[6:7], s[2:3]
	s_cbranch_scc0 .LBB153_5
	s_branch .LBB153_102
.LBB153_4:
	s_mov_b32 s2, s14
	s_delay_alu instid0(SALU_CYCLE_1)
	s_ashr_i32 s3, s2, 31
	s_waitcnt lgkmcnt(0)
	s_cmp_eq_u64 s[6:7], s[2:3]
	s_cbranch_scc1 .LBB153_102
.LBB153_5:
	s_clause 0x1
	s_load_b512 s[16:31], s[0:1], 0x88
	s_load_b64 s[38:39], s[0:1], 0x8
	s_mov_b32 s58, 0
	s_mov_b32 s59, 0
	s_waitcnt lgkmcnt(0)
	s_cmp_eq_u64 s[22:23], 0
	s_cbranch_scc1 .LBB153_7
; %bb.6:
	s_ashr_i32 s35, s34, 31
	s_delay_alu instid0(SALU_CYCLE_1) | instskip(NEXT) | instid1(SALU_CYCLE_1)
	s_lshl_b64 s[4:5], s[34:35], 2
	s_add_u32 s4, s22, s4
	s_addc_u32 s5, s23, s5
	s_load_b32 s59, s[4:5], 0x0
.LBB153_7:
	s_cmp_eq_u64 s[28:29], 0
	s_cbranch_scc1 .LBB153_9
; %bb.8:
	s_ashr_i32 s35, s34, 31
	s_delay_alu instid0(SALU_CYCLE_1) | instskip(NEXT) | instid1(SALU_CYCLE_1)
	s_lshl_b64 s[4:5], s[34:35], 2
	s_add_u32 s4, s28, s4
	s_addc_u32 s5, s29, s5
	s_load_b32 s58, s[4:5], 0x0
.LBB153_9:
	s_cmp_lt_i32 s38, 1
	s_cbranch_scc1 .LBB153_102
; %bb.10:
	s_sub_i32 s3, 0, s8
	s_load_b256 s[40:47], s[0:1], 0x4c
	s_mul_i32 s3, s3, s10
	s_abs_i32 s4, s34
	s_mul_hi_u32 s3, s10, s3
	s_ashr_i32 s6, s9, 31
	s_add_i32 s10, s10, s3
	s_ashr_i32 s3, s34, 31
	s_mul_hi_u32 s5, s4, s10
	s_xor_b32 s3, s3, s6
	s_mul_i32 s7, s5, s8
	s_add_i32 s6, s5, 1
	s_sub_i32 s4, s4, s7
	s_load_b256 s[48:55], s[0:1], 0x2c
	s_sub_i32 s7, s4, s8
	s_cmp_ge_u32 s4, s8
	s_mov_b32 s57, 0
	s_cselect_b32 s5, s6, s5
	s_cselect_b32 s4, s7, s4
	s_add_i32 s6, s5, 1
	s_cmp_ge_u32 s4, s8
	s_waitcnt lgkmcnt(0)
	s_mul_i32 s56, s42, s14
	s_cselect_b32 s6, s6, s5
	s_lshl_b64 s[4:5], s[56:57], 2
	s_xor_b32 s6, s6, s3
	s_mul_i32 s56, s43, s34
	s_sub_i32 s3, s6, s3
	s_add_u32 s6, s24, s4
	s_addc_u32 s7, s25, s5
	s_lshl_b64 s[4:5], s[56:57], 2
	s_mul_i32 s56, s44, s14
	s_add_u32 s55, s6, s4
	s_addc_u32 s60, s7, s5
	s_lshl_b64 s[4:5], s[56:57], 2
	s_mul_i32 s56, s45, s34
	;; [unrolled: 4-line block ×3, first 2 shown]
	s_add_u32 s61, s6, s4
	s_addc_u32 s48, s7, s5
	s_clause 0x2
	s_load_b64 s[6:7], s[0:1], 0x7c
	s_load_b32 s65, s[0:1], 0x84
	s_load_b128 s[24:27], s[0:1], 0xc8
	s_lshl_b64 s[4:5], s[56:57], 2
	s_mul_i32 s56, s50, s14
	s_add_u32 s62, s16, s4
	s_addc_u32 s63, s17, s5
	s_lshl_b64 s[4:5], s[56:57], 2
	s_mul_i32 s56, s3, s53
	s_add_u32 s8, s18, s4
	s_addc_u32 s9, s19, s5
	s_lshl_b64 s[4:5], s[56:57], 2
	s_mul_i32 s56, s54, s14
	s_add_u32 s53, s8, s4
	s_addc_u32 s54, s9, s5
	s_lshl_b64 s[4:5], s[56:57], 2
	s_mul_i32 s56, s3, s41
	s_add_u32 s8, s20, s4
	s_addc_u32 s3, s21, s5
	s_load_b64 s[20:21], s[0:1], 0xd8
	s_lshl_b64 s[4:5], s[56:57], 2
	s_waitcnt lgkmcnt(0)
	s_mul_i32 s56, s2, s6
	s_add_u32 s41, s8, s4
	s_addc_u32 s64, s3, s5
	s_lshl_b64 s[2:3], s[56:57], 2
	v_dual_mov_b32 v98, 0 :: v_dual_lshlrev_b32 v1, 2, v0
	s_mul_i32 s56, s7, s34
	s_add_u32 s4, s24, s2
	s_addc_u32 s5, s25, s3
	s_lshl_b64 s[2:3], s[56:57], 2
	s_load_b128 s[16:19], s[0:1], 0x6c
	s_add_u32 s66, s4, s2
	s_load_b32 s4, s[0:1], 0x28
	v_mbcnt_lo_u32_b32 v2, -1, 0
	v_and_b32_e32 v1, 0x180, v1
	v_and_b32_e32 v8, 0x60, v0
	s_addc_u32 s67, s5, s3
	s_add_i32 s2, s38, 0x7ff
	v_lshlrev_b32_e32 v108, 4, v0
	v_or_b32_e32 v3, v2, v1
	v_lshrrev_b32_e32 v6, 5, v1
	s_lshr_b32 s68, s2, 11
	v_or_b32_e32 v9, v2, v8
	v_cmp_gt_u32_e64 s10, 4, v0
	v_or_b32_e32 v4, 32, v3
	v_or_b32_e32 v5, 64, v3
	;; [unrolled: 1-line block ×3, first 2 shown]
	v_add_nc_u32_e32 v6, v6, v3
	v_cmp_gt_u32_e64 s0, 0x200, v3
	v_cmp_gt_u32_e64 s1, 0x200, v4
	;; [unrolled: 1-line block ×3, first 2 shown]
	v_lshrrev_b32_e32 v4, 5, v4
	v_lshrrev_b32_e32 v5, 5, v5
	v_lshl_add_u32 v99, v6, 4, 0
	v_lshrrev_b32_e32 v6, 5, v7
	s_waitcnt lgkmcnt(0)
	s_bitcmp1_b32 s4, 0
	v_cmp_gt_u32_e64 s3, 0x200, v7
	v_add_lshl_u32 v4, v4, v3, 4
	v_add_lshl_u32 v5, v5, v3, 4
	v_lshlrev_b32_e32 v7, 2, v9
	v_bfe_u32 v9, v9, 3, 27
	v_add_lshl_u32 v3, v6, v3, 4
	s_cselect_b32 s69, -1, 0
	s_cmp_gt_i32 s39, 0
	v_add_nc_u32_e32 v100, 0, v4
	s_cselect_b32 s70, -1, 0
	s_add_i32 s4, 0, 0x2100
	v_add_lshl_u32 v6, v9, v7, 4
	v_add_nc_u32_e32 v102, 0, v3
	v_add_nc_u32_e32 v106, s4, v3
	v_and_b32_e32 v3, 15, v2
	s_and_b32 s5, s38, 0x7ff
	v_add_nc_u32_e32 v104, s4, v4
	v_add_nc_u32_e32 v105, s4, v5
	s_cmp_eq_u32 s5, 0
	v_add_nc_u32_e32 v107, s4, v6
	v_cmp_ne_u32_e64 s4, 0, v3
	v_cmp_lt_u32_e64 s5, 1, v3
	v_cmp_lt_u32_e64 s6, 3, v3
	;; [unrolled: 1-line block ×3, first 2 shown]
	v_add_nc_u32_e32 v3, -1, v2
	v_lshrrev_b32_e32 v4, 2, v0
	s_mul_i32 s56, s16, s14
	v_add_nc_u32_e32 v103, 0, v6
	s_cselect_b32 s71, -1, 0
	v_cmp_gt_i32_e32 vcc_lo, 0, v3
	s_lshl_b64 s[22:23], s[56:57], 2
	v_and_b32_e32 v4, 24, v4
	s_add_i32 s72, s68, -1
	s_mul_i32 s56, s17, s34
	v_cndmask_b32_e32 v3, v3, v2, vcc_lo
	v_or_b32_e32 v6, 31, v8
	s_add_u32 s24, s30, s22
	s_addc_u32 s25, s31, s23
	s_lshl_b64 s[22:23], s[56:57], 2
	v_lshl_add_u32 v110, v0, 3, 0
	v_cmp_eq_u32_e64 s9, v6, v0
	v_cmp_gt_u32_e64 s13, 32, v0
	v_cmp_lt_u32_e64 s15, 31, v0
	v_cmp_eq_u32_e64 s16, 0, v0
	s_mul_i32 s56, s46, s14
	v_lshlrev_b32_e32 v0, 4, v2
	s_add_u32 s24, s24, s22
	v_add_nc_u32_e32 v109, 0, v4
	v_and_b32_e32 v4, 3, v2
	s_addc_u32 s25, s25, s23
	s_lshl_b64 s[22:23], s[56:57], 2
	v_add_nc_u32_e32 v101, 0, v5
	v_and_b32_e32 v5, 16, v2
	s_mul_i32 s56, s47, s34
	s_add_u32 s26, s26, s22
	v_lshlrev_b32_e32 v111, 2, v3
	s_addc_u32 s27, s27, s23
	s_lshl_b64 s[22:23], s[56:57], 2
	v_add_co_u32 v3, s24, s24, v0
	s_mul_i32 s56, s18, s14
	v_cmp_ne_u32_e64 s11, 0, v4
	v_cmp_lt_u32_e64 s12, 1, v4
	v_add_co_ci_u32_e64 v4, null, s25, 0, s24
	s_add_u32 s24, s26, s22
	v_cmp_ne_u32_e64 s8, 0, v5
	s_addc_u32 s14, s27, s23
	s_lshl_b64 s[22:23], s[56:57], 2
	v_lshlrev_b32_e32 v5, 4, v1
	s_mul_i32 s56, s19, s34
	s_add_u32 s20, s20, s22
	s_addc_u32 s21, s21, s23
	s_lshl_b64 s[18:19], s[56:57], 2
	v_add_co_u32 v112, vcc_lo, v3, v5
	s_add_u32 s18, s20, s18
	v_add_co_u32 v3, s20, s24, v0
	v_add_co_ci_u32_e32 v113, vcc_lo, 0, v4, vcc_lo
	v_add_co_ci_u32_e64 v4, null, s14, 0, s20
	s_addc_u32 s19, s21, s19
	v_add_co_u32 v0, s14, s18, v0
	s_delay_alu instid0(VALU_DEP_1) | instskip(SKIP_2) | instid1(VALU_DEP_4)
	v_add_co_ci_u32_e64 v6, null, s19, 0, s14
	v_add_co_u32 v114, vcc_lo, v3, v5
	v_add_co_ci_u32_e32 v115, vcc_lo, 0, v4, vcc_lo
	v_add_co_u32 v116, vcc_lo, v0, v5
	v_cmp_eq_u32_e64 s17, 0, v2
	v_add_co_ci_u32_e32 v117, vcc_lo, 0, v6, vcc_lo
	v_or_b32_e32 v118, 1, v108
	v_or_b32_e32 v119, 2, v108
	;; [unrolled: 1-line block ×15, first 2 shown]
	v_lshlrev_b32_e32 v133, 4, v1
	v_lshlrev_b32_e32 v134, 4, v2
	s_mov_b32 s73, 0x3e9b6dac
	s_add_i32 s74, 0, 0x4220
	s_mov_b32 s75, 0
                                        ; implicit-def: $vgpr3
                                        ; implicit-def: $vgpr7
                                        ; implicit-def: $vgpr19
                                        ; implicit-def: $vgpr35
                                        ; implicit-def: $vgpr36
                                        ; implicit-def: $vgpr28
                                        ; implicit-def: $vgpr20
                                        ; implicit-def: $vgpr8
                                        ; implicit-def: $vgpr15
                                        ; implicit-def: $vgpr27
                                        ; implicit-def: $vgpr43
                                        ; implicit-def: $vgpr47
	s_branch .LBB153_12
.LBB153_11:                             ;   in Loop: Header=BB153_12 Depth=1
	s_or_b32 exec_lo, exec_lo, s14
	s_waitcnt vmcnt(0)
	ds_store_b128 v99, v[44:47]
	ds_store_b128 v100, v[40:43] offset:512
	ds_store_b128 v101, v[24:27] offset:1024
	;; [unrolled: 1-line block ×3, first 2 shown]
	; wave barrier
	ds_load_b128 v[44:47], v103
	ds_load_b128 v[40:43], v103 offset:16
	ds_load_b128 v[24:27], v103 offset:32
	;; [unrolled: 1-line block ×3, first 2 shown]
	s_waitcnt lgkmcnt(0)
	s_barrier
	buffer_gl0_inv
	s_add_u32 s61, s61, 0x2000
	s_addc_u32 s48, s48, 0
	s_add_u32 s55, s55, 0x2000
	s_addc_u32 s60, s60, 0
	;; [unrolled: 2-line block ×4, first 2 shown]
	s_add_i32 s75, s75, 1
	s_delay_alu instid0(SALU_CYCLE_1) | instskip(SKIP_3) | instid1(VALU_DEP_3)
	s_cmp_eq_u32 s75, s68
	v_dual_mul_f32 v64, 0xbfb8aa3b, v44 :: v_dual_mul_f32 v65, 0xbfb8aa3b, v45
	v_dual_mul_f32 v66, 0xbfb8aa3b, v46 :: v_dual_mul_f32 v67, 0xbfb8aa3b, v47
	v_cmp_nlt_f32_e32 vcc_lo, 0x42ce8ed0, v44
	v_rndne_f32_e32 v70, v64
	v_fma_f32 v71, 0xbfb8aa3b, v44, -v64
	v_rndne_f32_e32 v72, v65
	v_fma_f32 v73, 0xbfb8aa3b, v45, -v65
	v_rndne_f32_e32 v74, v66
	s_delay_alu instid0(VALU_DEP_4) | instskip(NEXT) | instid1(VALU_DEP_4)
	v_dual_sub_f32 v64, v64, v70 :: v_dual_fmac_f32 v71, 0xb2a5705f, v44
	v_sub_f32_e32 v65, v65, v72
	v_cvt_i32_f32_e32 v70, v70
	v_fma_f32 v75, 0xbfb8aa3b, v46, -v66
	v_dual_fmac_f32 v73, 0xb2a5705f, v45 :: v_dual_sub_f32 v66, v66, v74
	v_add_f32_e32 v64, v64, v71
	v_dual_mul_f32 v68, 0xbfb8aa3b, v40 :: v_dual_mul_f32 v69, 0xbfb8aa3b, v41
	v_cvt_i32_f32_e32 v71, v72
	v_rndne_f32_e32 v76, v67
	s_delay_alu instid0(VALU_DEP_4) | instskip(NEXT) | instid1(VALU_DEP_3)
	v_exp_f32_e32 v64, v64
	v_rndne_f32_e32 v78, v68
	v_fma_f32 v77, 0xbfb8aa3b, v47, -v67
	v_fma_f32 v79, 0xbfb8aa3b, v40, -v68
	v_sub_f32_e32 v67, v67, v76
	v_cvt_i32_f32_e32 v72, v74
	v_sub_f32_e32 v68, v68, v78
	v_rndne_f32_e32 v80, v69
	v_fma_f32 v81, 0xbfb8aa3b, v41, -v69
	s_delay_alu instid0(TRANS32_DEP_1) | instskip(SKIP_2) | instid1(VALU_DEP_3)
	v_ldexp_f32 v64, v64, v70
	v_fmac_f32_e32 v75, 0xb2a5705f, v46
	v_cvt_i32_f32_e32 v70, v78
	v_dual_cndmask_b32 v64, 0, v64 :: v_dual_add_f32 v65, v65, v73
	s_delay_alu instid0(VALU_DEP_3) | instskip(SKIP_2) | instid1(VALU_DEP_4)
	v_add_f32_e32 v66, v66, v75
	v_cmp_nlt_f32_e32 vcc_lo, 0x42ce8ed0, v45
	v_cvt_i32_f32_e32 v73, v76
	v_exp_f32_e32 v65, v65
	s_delay_alu instid0(VALU_DEP_3) | instskip(SKIP_3) | instid1(VALU_DEP_2)
	v_exp_f32_e32 v66, v66
	s_waitcnt_depctr 0xfff
	v_ldexp_f32 v65, v65, v71
	v_ldexp_f32 v66, v66, v72
	v_cndmask_b32_e32 v65, 0, v65, vcc_lo
	v_cmp_ngt_f32_e32 vcc_lo, 0xc2b17218, v44
	v_cndmask_b32_e32 v64, 0x7f800000, v64, vcc_lo
	v_cmp_ngt_f32_e32 vcc_lo, 0xc2b17218, v45
	s_delay_alu instid0(VALU_DEP_4) | instskip(SKIP_1) | instid1(VALU_DEP_2)
	v_cndmask_b32_e32 v65, 0x7f800000, v65, vcc_lo
	v_cmp_nlt_f32_e32 vcc_lo, 0x42ce8ed0, v46
	v_add_f32_e32 v65, 1.0, v65
	v_dual_fmac_f32 v77, 0xb2a5705f, v47 :: v_dual_add_f32 v64, 1.0, v64
	v_cndmask_b32_e32 v66, 0, v66, vcc_lo
	v_cmp_nlt_f32_e32 vcc_lo, 0x42ce8ed0, v47
	s_delay_alu instid0(VALU_DEP_4) | instskip(NEXT) | instid1(VALU_DEP_4)
	v_div_scale_f32 v72, null, v65, v65, v45
	v_add_f32_e32 v67, v67, v77
	v_div_scale_f32 v71, null, v64, v64, v44
	s_delay_alu instid0(VALU_DEP_3) | instskip(NEXT) | instid1(VALU_DEP_2)
	v_rcp_f32_e32 v74, v72
	v_exp_f32_e32 v67, v67
	s_waitcnt_depctr 0xfff
	v_fma_f32 v78, -v72, v74, 1.0
	v_ldexp_f32 v67, v67, v73
	v_rcp_f32_e32 v73, v71
	s_delay_alu instid0(VALU_DEP_2) | instskip(SKIP_2) | instid1(VALU_DEP_1)
	v_fmac_f32_e32 v74, v78, v74
	s_waitcnt_depctr 0xfff
	v_fma_f32 v76, -v71, v73, 1.0
	v_fmac_f32_e32 v73, v76, v73
	v_cndmask_b32_e32 v67, 0, v67, vcc_lo
	v_cmp_ngt_f32_e32 vcc_lo, 0xc2b17218, v46
	v_dual_sub_f32 v69, v69, v80 :: v_dual_cndmask_b32 v66, 0x7f800000, v66
	v_fmac_f32_e32 v79, 0xb2a5705f, v40
	v_cmp_ngt_f32_e32 vcc_lo, 0xc2b17218, v47
	s_delay_alu instid0(VALU_DEP_3) | instskip(NEXT) | instid1(VALU_DEP_3)
	v_add_f32_e32 v66, 1.0, v66
	v_add_f32_e32 v68, v68, v79
	v_div_scale_f32 v79, s14, v45, v65, v45
	v_cndmask_b32_e32 v67, 0x7f800000, v67, vcc_lo
	s_delay_alu instid0(VALU_DEP_4) | instskip(NEXT) | instid1(VALU_DEP_3)
	v_div_scale_f32 v77, null, v66, v66, v46
	v_mul_f32_e32 v82, v79, v74
	v_div_scale_f32 v75, vcc_lo, v44, v64, v44
	s_delay_alu instid0(VALU_DEP_3) | instskip(SKIP_1) | instid1(VALU_DEP_2)
	v_rcp_f32_e32 v76, v77
	v_exp_f32_e32 v68, v68
	v_fma_f32 v86, -v72, v82, v79
	v_fmac_f32_e32 v81, 0xb2a5705f, v41
	v_div_scale_f32 v83, s18, v46, v66, v46
	s_delay_alu instid0(VALU_DEP_2) | instskip(SKIP_4) | instid1(VALU_DEP_3)
	v_dual_fmac_f32 v82, v86, v74 :: v_dual_add_f32 v69, v69, v81
	s_waitcnt_depctr 0xfff
	v_fma_f32 v85, -v77, v76, 1.0
	v_ldexp_f32 v68, v68, v70
	v_fma_f32 v72, -v72, v82, v79
	v_fmac_f32_e32 v76, v85, v76
	v_mul_f32_e32 v78, v75, v73
	s_delay_alu instid0(VALU_DEP_1) | instskip(NEXT) | instid1(VALU_DEP_1)
	v_fma_f32 v84, -v71, v78, v75
	v_dual_add_f32 v67, 1.0, v67 :: v_dual_fmac_f32 v78, v84, v73
	s_delay_alu instid0(VALU_DEP_1) | instskip(NEXT) | instid1(VALU_DEP_2)
	v_div_scale_f32 v87, null, v67, v67, v47
	v_fma_f32 v71, -v71, v78, v75
	s_delay_alu instid0(VALU_DEP_2) | instskip(NEXT) | instid1(VALU_DEP_1)
	v_rcp_f32_e32 v70, v87
	v_div_fmas_f32 v71, v71, v73, v78
	v_cmp_nlt_f32_e32 vcc_lo, 0x42ce8ed0, v40
	s_delay_alu instid0(VALU_DEP_2)
	v_div_fixup_f32 v64, v71, v64, v44
	v_cndmask_b32_e32 v68, 0, v68, vcc_lo
	s_mov_b32 vcc_lo, s14
	s_waitcnt_depctr 0xfff
	v_fma_f32 v73, -v87, v70, 1.0
	v_mul_f32_e32 v75, v83, v76
	v_div_fmas_f32 v72, v72, v74, v82
	v_mul_f32_e32 v60, v60, v64
	v_cmp_ngt_f32_e32 vcc_lo, 0xc2b17218, v40
	v_fmac_f32_e32 v70, v73, v70
	v_fma_f32 v71, -v77, v75, v83
	v_div_fixup_f32 v64, v72, v65, v45
	v_exp_f32_e32 v65, v69
	v_cvt_i32_f32_e32 v69, v80
	v_div_scale_f32 v73, s14, v47, v67, v47
	v_fmac_f32_e32 v75, v71, v76
	v_mul_f32_e32 v71, 0xbfb8aa3b, v42
	v_mul_f32_e32 v61, v61, v64
	s_waitcnt_depctr 0xfff
	v_ldexp_f32 v65, v65, v69
	v_rndne_f32_e32 v69, v71
	v_cndmask_b32_e32 v68, 0x7f800000, v68, vcc_lo
	v_fma_f32 v74, 0xbfb8aa3b, v42, -v71
	v_cmp_nlt_f32_e32 vcc_lo, 0x42ce8ed0, v41
	s_delay_alu instid0(VALU_DEP_3) | instskip(NEXT) | instid1(VALU_DEP_3)
	v_dual_sub_f32 v71, v71, v69 :: v_dual_add_f32 v68, 1.0, v68
	v_dual_fmac_f32 v74, 0xb2a5705f, v42 :: v_dual_cndmask_b32 v65, 0, v65
	v_cmp_ngt_f32_e32 vcc_lo, 0xc2b17218, v41
	v_fma_f32 v77, -v77, v75, v83
	s_delay_alu instid0(VALU_DEP_4) | instskip(NEXT) | instid1(VALU_DEP_4)
	v_div_scale_f32 v72, null, v68, v68, v40
	v_add_f32_e32 v71, v71, v74
	v_cvt_i32_f32_e32 v69, v69
	s_delay_alu instid0(VALU_DEP_3) | instskip(SKIP_1) | instid1(VALU_DEP_3)
	v_rcp_f32_e32 v78, v72
	v_cndmask_b32_e32 v65, 0x7f800000, v65, vcc_lo
	v_exp_f32_e32 v71, v71
	s_mov_b32 vcc_lo, s18
	v_div_fmas_f32 v74, v77, v76, v75
	v_cmp_nlt_f32_e32 vcc_lo, 0x42ce8ed0, v42
	s_waitcnt_depctr 0xfff
	v_fma_f32 v75, -v72, v78, 1.0
	v_div_fixup_f32 v66, v74, v66, v46
	v_ldexp_f32 v64, v71, v69
	v_mul_f32_e32 v79, v73, v70
	s_delay_alu instid0(VALU_DEP_4) | instskip(SKIP_1) | instid1(VALU_DEP_4)
	v_fmac_f32_e32 v78, v75, v78
	v_div_scale_f32 v75, s18, v40, v68, v40
	v_cndmask_b32_e32 v64, 0, v64, vcc_lo
	s_delay_alu instid0(VALU_DEP_4)
	v_fma_f32 v76, -v87, v79, v73
	v_cmp_ngt_f32_e32 vcc_lo, 0xc2b17218, v42
	v_add_f32_e32 v65, 1.0, v65
	v_mul_f32_e32 v69, v75, v78
	v_mul_f32_e32 v62, v62, v66
	v_dual_cndmask_b32 v64, 0x7f800000, v64 :: v_dual_fmac_f32 v79, v76, v70
	s_delay_alu instid0(VALU_DEP_4) | instskip(SKIP_1) | instid1(VALU_DEP_2)
	v_div_scale_f32 v77, null, v65, v65, v41
	s_mov_b32 vcc_lo, s14
	v_add_f32_e32 v64, 1.0, v64
	s_delay_alu instid0(VALU_DEP_3) | instskip(SKIP_2) | instid1(VALU_DEP_2)
	v_fma_f32 v71, -v87, v79, v73
	v_fma_f32 v73, -v72, v69, v75
	v_rcp_f32_e32 v80, v77
	v_div_fmas_f32 v70, v71, v70, v79
	s_delay_alu instid0(VALU_DEP_2) | instskip(SKIP_2) | instid1(VALU_DEP_4)
	v_fmac_f32_e32 v69, v73, v78
	v_div_scale_f32 v79, null, v64, v64, v42
	v_mul_f32_e32 v71, 0xbfb8aa3b, v43
	v_div_fixup_f32 v66, v70, v67, v47
	v_mul_f32_e32 v70, 0xbfb8aa3b, v24
	v_fma_f32 v72, -v72, v69, v75
	v_rcp_f32_e32 v81, v79
	s_mov_b32 vcc_lo, s18
	v_fma_f32 v74, -v77, v80, 1.0
	v_fma_f32 v76, 0xbfb8aa3b, v43, -v71
	v_div_fmas_f32 v69, v72, v78, v69
	v_mul_f32_e32 v78, 0xbfb8aa3b, v27
	s_delay_alu instid0(VALU_DEP_4) | instskip(SKIP_1) | instid1(VALU_DEP_4)
	v_fmac_f32_e32 v80, v74, v80
	v_rndne_f32_e32 v74, v71
	v_div_fixup_f32 v67, v69, v68, v40
	s_delay_alu instid0(TRANS32_DEP_1) | instskip(SKIP_2) | instid1(VALU_DEP_3)
	v_fma_f32 v69, -v79, v81, 1.0
	v_fmac_f32_e32 v76, 0xb2a5705f, v43
	v_div_scale_f32 v73, s14, v41, v65, v41
	v_dual_mul_f32 v56, v56, v67 :: v_dual_fmac_f32 v81, v69, v81
	v_div_scale_f32 v69, s18, v42, v64, v42
	v_sub_f32_e32 v71, v71, v74
	s_mov_b32 vcc_lo, s14
	v_cmp_nlt_f32_e64 s14, 0x42ce8ed0, v25
	s_delay_alu instid0(VALU_DEP_2) | instskip(NEXT) | instid1(VALU_DEP_1)
	v_add_f32_e32 v71, v71, v76
	v_exp_f32_e32 v68, v71
	v_rndne_f32_e32 v71, v70
	v_mul_f32_e32 v63, v63, v66
	v_cvt_i32_f32_e32 v66, v74
	v_mul_f32_e32 v74, 0xbfb8aa3b, v26
	s_delay_alu instid0(VALU_DEP_1) | instskip(SKIP_4) | instid1(VALU_DEP_2)
	v_rndne_f32_e32 v76, v74
	s_waitcnt_depctr 0xfff
	v_ldexp_f32 v66, v68, v66
	v_mul_f32_e32 v75, v73, v80
	v_mul_f32_e32 v68, v69, v81
	v_fma_f32 v72, -v77, v75, v73
	s_delay_alu instid0(VALU_DEP_1) | instskip(SKIP_1) | instid1(VALU_DEP_2)
	v_fmac_f32_e32 v75, v72, v80
	v_fma_f32 v72, 0xbfb8aa3b, v24, -v70
	v_fma_f32 v67, -v77, v75, v73
	s_delay_alu instid0(VALU_DEP_2) | instskip(SKIP_1) | instid1(VALU_DEP_3)
	v_fmac_f32_e32 v72, 0xb2a5705f, v24
	v_fma_f32 v77, 0xbfb8aa3b, v26, -v74
	v_div_fmas_f32 v67, v67, v80, v75
	v_cmp_nlt_f32_e32 vcc_lo, 0x42ce8ed0, v43
	s_delay_alu instid0(VALU_DEP_3) | instskip(SKIP_1) | instid1(VALU_DEP_4)
	v_fmac_f32_e32 v77, 0xb2a5705f, v26
	v_rndne_f32_e32 v80, v78
	v_div_fixup_f32 v65, v67, v65, v41
	v_cndmask_b32_e32 v66, 0, v66, vcc_lo
	v_cmp_ngt_f32_e32 vcc_lo, 0xc2b17218, v43
	v_fma_f32 v67, -v79, v68, v69
	s_delay_alu instid0(VALU_DEP_3) | instskip(NEXT) | instid1(VALU_DEP_2)
	v_dual_mul_f32 v57, v57, v65 :: v_dual_cndmask_b32 v66, 0x7f800000, v66
	v_fmac_f32_e32 v68, v67, v81
	s_mov_b32 vcc_lo, s18
	v_mul_f32_e32 v67, 0xbfb8aa3b, v25
	s_delay_alu instid0(VALU_DEP_3) | instskip(NEXT) | instid1(VALU_DEP_3)
	v_dual_add_f32 v65, 1.0, v66 :: v_dual_sub_f32 v66, v70, v71
	v_fma_f32 v69, -v79, v68, v69
	s_delay_alu instid0(VALU_DEP_3) | instskip(NEXT) | instid1(VALU_DEP_3)
	v_fma_f32 v73, 0xbfb8aa3b, v25, -v67
	v_div_scale_f32 v70, null, v65, v65, v43
	s_delay_alu instid0(VALU_DEP_4) | instskip(NEXT) | instid1(VALU_DEP_4)
	v_add_f32_e32 v66, v66, v72
	v_div_fmas_f32 v68, v69, v81, v68
	v_cvt_i32_f32_e32 v69, v71
	v_rndne_f32_e32 v72, v67
	v_cmp_nlt_f32_e32 vcc_lo, 0x42ce8ed0, v24
	v_exp_f32_e32 v66, v66
	v_rcp_f32_e32 v75, v70
	v_div_fixup_f32 v64, v68, v64, v42
	v_fma_f32 v81, 0xbfb8aa3b, v27, -v78
	v_sub_f32_e32 v78, v78, v80
	s_delay_alu instid0(VALU_DEP_2) | instskip(SKIP_4) | instid1(VALU_DEP_3)
	v_dual_mul_f32 v58, v58, v64 :: v_dual_fmac_f32 v81, 0xb2a5705f, v27
	s_waitcnt_depctr 0xfff
	v_ldexp_f32 v66, v66, v69
	v_sub_f32_e32 v67, v67, v72
	v_fma_f32 v68, -v70, v75, 1.0
	v_cndmask_b32_e32 v66, 0, v66, vcc_lo
	v_cmp_ngt_f32_e32 vcc_lo, 0xc2b17218, v24
	v_sub_f32_e32 v71, v74, v76
	s_delay_alu instid0(VALU_DEP_3) | instskip(SKIP_1) | instid1(VALU_DEP_3)
	v_dual_fmac_f32 v75, v68, v75 :: v_dual_cndmask_b32 v66, 0x7f800000, v66
	v_fmac_f32_e32 v73, 0xb2a5705f, v25
	v_add_f32_e32 v69, v71, v77
	v_cvt_i32_f32_e32 v71, v72
	s_delay_alu instid0(VALU_DEP_3) | instskip(NEXT) | instid1(VALU_DEP_1)
	v_dual_add_f32 v66, 1.0, v66 :: v_dual_add_f32 v67, v67, v73
	v_exp_f32_e32 v67, v67
	s_waitcnt_depctr 0xfff
	v_ldexp_f32 v67, v67, v71
	v_div_scale_f32 v71, vcc_lo, v43, v65, v43
	s_delay_alu instid0(VALU_DEP_2) | instskip(NEXT) | instid1(VALU_DEP_2)
	v_cndmask_b32_e64 v67, 0, v67, s14
	v_mul_f32_e32 v72, v71, v75
	v_cmp_ngt_f32_e64 s14, 0xc2b17218, v25
	s_delay_alu instid0(VALU_DEP_2) | instskip(NEXT) | instid1(VALU_DEP_2)
	v_fma_f32 v74, -v70, v72, v71
	v_cndmask_b32_e64 v67, 0x7f800000, v67, s14
	v_cmp_nlt_f32_e64 s14, 0x42ce8ed0, v26
	s_delay_alu instid0(VALU_DEP_3) | instskip(SKIP_3) | instid1(VALU_DEP_3)
	v_fmac_f32_e32 v72, v74, v75
	v_exp_f32_e32 v68, v69
	v_cvt_i32_f32_e32 v69, v76
	v_add_f32_e32 v67, 1.0, v67
	v_fma_f32 v70, -v70, v72, v71
	s_delay_alu instid0(VALU_DEP_2) | instskip(NEXT) | instid1(VALU_DEP_2)
	v_div_scale_f32 v76, null, v67, v67, v25
	v_div_fmas_f32 v70, v70, v75, v72
	s_waitcnt_depctr 0xfff
	v_ldexp_f32 v68, v68, v69
	v_div_scale_f32 v69, null, v66, v66, v24
	v_rcp_f32_e32 v74, v76
	v_div_fixup_f32 v65, v70, v65, v43
	s_delay_alu instid0(VALU_DEP_3)
	v_cndmask_b32_e64 v68, 0, v68, s14
	v_cmp_ngt_f32_e64 s14, 0xc2b17218, v26
	v_rcp_f32_e32 v73, v69
	v_cvt_i32_f32_e32 v70, v80
	v_mul_f32_e32 v59, v59, v65
	v_cmp_nlt_f32_e32 vcc_lo, 0x42ce8ed0, v27
	v_cndmask_b32_e64 v68, 0x7f800000, v68, s14
	s_delay_alu instid0(TRANS32_DEP_2) | instskip(NEXT) | instid1(VALU_DEP_2)
	v_fma_f32 v82, -v76, v74, 1.0
	v_add_f32_e32 v64, 1.0, v68
	s_delay_alu instid0(TRANS32_DEP_1) | instskip(NEXT) | instid1(VALU_DEP_3)
	v_fma_f32 v68, -v69, v73, 1.0
	v_fmac_f32_e32 v74, v82, v74
	v_div_scale_f32 v82, s18, v25, v67, v25
	s_delay_alu instid0(VALU_DEP_4) | instskip(NEXT) | instid1(VALU_DEP_4)
	v_div_scale_f32 v77, null, v64, v64, v26
	v_fmac_f32_e32 v73, v68, v73
	v_div_scale_f32 v68, s14, v24, v66, v24
	s_delay_alu instid0(VALU_DEP_3) | instskip(SKIP_4) | instid1(VALU_DEP_3)
	v_rcp_f32_e32 v79, v77
	s_waitcnt_depctr 0xfff
	v_fma_f32 v83, -v77, v79, 1.0
	v_add_f32_e32 v78, v78, v81
	v_div_scale_f32 v81, s19, v26, v64, v26
	v_fmac_f32_e32 v79, v83, v79
	v_mul_f32_e32 v71, v68, v73
	s_delay_alu instid0(VALU_DEP_4) | instskip(NEXT) | instid1(VALU_DEP_2)
	v_exp_f32_e32 v78, v78
	v_mul_f32_e32 v80, v81, v79
	s_delay_alu instid0(VALU_DEP_2) | instskip(NEXT) | instid1(VALU_DEP_1)
	v_fma_f32 v72, -v69, v71, v68
	v_fmac_f32_e32 v71, v72, v73
	s_waitcnt_depctr 0xfff
	v_ldexp_f32 v65, v78, v70
	v_fma_f32 v68, -v69, v71, v68
	v_fma_f32 v69, -v77, v80, v81
	v_mul_f32_e32 v75, v82, v74
	s_delay_alu instid0(VALU_DEP_4) | instskip(SKIP_1) | instid1(VALU_DEP_3)
	v_cndmask_b32_e32 v65, 0, v65, vcc_lo
	s_mov_b32 vcc_lo, s14
	v_fmac_f32_e32 v80, v69, v79
	s_delay_alu instid0(VALU_DEP_3) | instskip(SKIP_2) | instid1(VALU_DEP_4)
	v_fma_f32 v72, -v76, v75, v82
	v_div_fmas_f32 v68, v68, v73, v71
	v_cmp_ngt_f32_e32 vcc_lo, 0xc2b17218, v27
	v_fma_f32 v71, -v77, v80, v81
	s_delay_alu instid0(VALU_DEP_4) | instskip(NEXT) | instid1(VALU_DEP_4)
	v_fmac_f32_e32 v75, v72, v74
	v_div_fixup_f32 v66, v68, v66, v24
	s_delay_alu instid0(VALU_DEP_2)
	v_fma_f32 v70, -v76, v75, v82
	v_mul_f32_e32 v76, 0xbfb8aa3b, v15
	v_cndmask_b32_e32 v65, 0x7f800000, v65, vcc_lo
	s_mov_b32 vcc_lo, s18
	v_mul_f32_e32 v52, v52, v66
	v_div_fmas_f32 v70, v70, v74, v75
	s_mov_b32 vcc_lo, s19
	v_div_fmas_f32 v71, v71, v79, v80
	v_cmp_nlt_f32_e32 vcc_lo, 0x42ce8ed0, v12
	s_delay_alu instid0(VALU_DEP_3) | instskip(SKIP_1) | instid1(VALU_DEP_4)
	v_div_fixup_f32 v67, v70, v67, v25
	v_mul_f32_e32 v70, 0xbfb8aa3b, v13
	v_div_fixup_f32 v64, v71, v64, v26
	s_delay_alu instid0(VALU_DEP_3) | instskip(NEXT) | instid1(VALU_DEP_3)
	v_mul_f32_e32 v53, v53, v67
	v_rndne_f32_e32 v66, v70
	v_fma_f32 v67, 0xbfb8aa3b, v13, -v70
	s_delay_alu instid0(VALU_DEP_4) | instskip(NEXT) | instid1(VALU_DEP_2)
	v_mul_f32_e32 v54, v54, v64
	v_dual_sub_f32 v70, v70, v66 :: v_dual_fmac_f32 v67, 0xb2a5705f, v13
	v_cvt_i32_f32_e32 v66, v66
	s_delay_alu instid0(VALU_DEP_2) | instskip(SKIP_1) | instid1(VALU_DEP_2)
	v_add_f32_e32 v67, v70, v67
	v_rndne_f32_e32 v70, v76
	v_exp_f32_e32 v67, v67
	s_waitcnt_depctr 0xfff
	v_ldexp_f32 v66, v67, v66
	v_mul_f32_e32 v69, 0xbfb8aa3b, v12
	s_delay_alu instid0(VALU_DEP_1) | instskip(SKIP_1) | instid1(VALU_DEP_2)
	v_rndne_f32_e32 v72, v69
	v_fma_f32 v73, 0xbfb8aa3b, v12, -v69
	v_sub_f32_e32 v69, v69, v72
	s_delay_alu instid0(VALU_DEP_2) | instskip(SKIP_1) | instid1(VALU_DEP_2)
	v_fmac_f32_e32 v73, 0xb2a5705f, v12
	v_cvt_i32_f32_e32 v72, v72
	v_add_f32_e32 v69, v69, v73
	s_delay_alu instid0(VALU_DEP_1) | instskip(SKIP_1) | instid1(VALU_DEP_1)
	v_exp_f32_e32 v64, v69
	v_mul_f32_e32 v69, 0xbfb8aa3b, v14
	v_rndne_f32_e32 v73, v69
	v_fma_f32 v75, 0xbfb8aa3b, v14, -v69
	s_waitcnt_depctr 0xfff
	v_ldexp_f32 v64, v64, v72
	v_sub_f32_e32 v69, v69, v73
	v_fmac_f32_e32 v75, 0xb2a5705f, v14
	v_fma_f32 v72, 0xbfb8aa3b, v15, -v76
	s_delay_alu instid0(VALU_DEP_4) | instskip(SKIP_1) | instid1(VALU_DEP_4)
	v_cndmask_b32_e32 v64, 0, v64, vcc_lo
	v_cmp_ngt_f32_e32 vcc_lo, 0xc2b17218, v12
	v_add_f32_e32 v69, v69, v75
	s_delay_alu instid0(VALU_DEP_4) | instskip(SKIP_2) | instid1(VALU_DEP_4)
	v_dual_sub_f32 v75, v76, v70 :: v_dual_fmac_f32 v72, 0xb2a5705f, v15
	v_cvt_i32_f32_e32 v70, v70
	v_cndmask_b32_e32 v64, 0x7f800000, v64, vcc_lo
	v_exp_f32_e32 v69, v69
	v_cmp_nlt_f32_e32 vcc_lo, 0x42ce8ed0, v13
	v_dual_add_f32 v72, v75, v72 :: v_dual_add_f32 v65, 1.0, v65
	s_delay_alu instid0(VALU_DEP_3) | instskip(SKIP_2) | instid1(VALU_DEP_4)
	v_add_f32_e32 v64, 1.0, v64
	v_cndmask_b32_e32 v66, 0, v66, vcc_lo
	v_cmp_nlt_f32_e32 vcc_lo, 0x42ce8ed0, v14
	v_div_scale_f32 v74, null, v65, v65, v27
	v_exp_f32_e32 v67, v72
	v_div_scale_f32 v72, null, v64, v64, v12
	s_delay_alu instid0(VALU_DEP_2) | instskip(SKIP_4) | instid1(VALU_DEP_1)
	v_rcp_f32_e32 v68, v74
	s_waitcnt_depctr 0xfff
	v_ldexp_f32 v67, v67, v70
	v_rcp_f32_e32 v70, v72
	v_fma_f32 v71, -v74, v68, 1.0
	v_fmac_f32_e32 v68, v71, v68
	v_cvt_i32_f32_e32 v71, v73
	s_waitcnt_depctr 0xfff
	v_fma_f32 v77, -v72, v70, 1.0
	v_ldexp_f32 v69, v69, v71
	s_delay_alu instid0(VALU_DEP_2) | instskip(SKIP_1) | instid1(VALU_DEP_3)
	v_fmac_f32_e32 v70, v77, v70
	v_div_scale_f32 v77, s14, v12, v64, v12
	v_cndmask_b32_e32 v69, 0, v69, vcc_lo
	v_cmp_ngt_f32_e32 vcc_lo, 0xc2b17218, v13
	s_delay_alu instid0(VALU_DEP_3) | instskip(SKIP_2) | instid1(VALU_DEP_2)
	v_mul_f32_e32 v85, v77, v70
	v_cndmask_b32_e32 v66, 0x7f800000, v66, vcc_lo
	v_cmp_ngt_f32_e32 vcc_lo, 0xc2b17218, v14
	v_dual_add_f32 v66, 1.0, v66 :: v_dual_cndmask_b32 v69, 0x7f800000, v69
	v_cmp_nlt_f32_e32 vcc_lo, 0x42ce8ed0, v15
	s_delay_alu instid0(VALU_DEP_2) | instskip(SKIP_3) | instid1(VALU_DEP_4)
	v_div_scale_f32 v71, null, v66, v66, v13
	v_cndmask_b32_e32 v67, 0, v67, vcc_lo
	v_cmp_ngt_f32_e32 vcc_lo, 0xc2b17218, v15
	v_add_f32_e32 v69, 1.0, v69
	v_rcp_f32_e32 v76, v71
	s_delay_alu instid0(VALU_DEP_3) | instskip(NEXT) | instid1(VALU_DEP_2)
	v_cndmask_b32_e32 v67, 0x7f800000, v67, vcc_lo
	v_div_scale_f32 v73, null, v69, v69, v14
	v_div_scale_f32 v75, vcc_lo, v27, v65, v27
	s_delay_alu instid0(VALU_DEP_3) | instskip(NEXT) | instid1(VALU_DEP_3)
	v_add_f32_e32 v67, 1.0, v67
	v_rcp_f32_e32 v78, v73
	s_waitcnt_depctr 0xfff
	v_fma_f32 v81, -v71, v76, 1.0
	v_mul_f32_e32 v79, v75, v68
	v_div_scale_f32 v80, null, v67, v67, v15
	s_delay_alu instid0(VALU_DEP_3) | instskip(NEXT) | instid1(VALU_DEP_3)
	v_fmac_f32_e32 v76, v81, v76
	v_fma_f32 v83, -v74, v79, v75
	v_div_scale_f32 v81, s18, v13, v66, v13
	s_delay_alu instid0(VALU_DEP_4) | instskip(SKIP_1) | instid1(VALU_DEP_3)
	v_rcp_f32_e32 v82, v80
	v_fma_f32 v84, -v73, v78, 1.0
	v_fmac_f32_e32 v79, v83, v68
	s_delay_alu instid0(VALU_DEP_3) | instskip(SKIP_1) | instid1(VALU_DEP_4)
	v_mul_f32_e32 v87, v81, v76
	v_fma_f32 v83, -v72, v85, v77
	v_fmac_f32_e32 v78, v84, v78
	v_div_scale_f32 v84, s19, v14, v69, v14
	v_fma_f32 v74, -v74, v79, v75
	s_delay_alu instid0(TRANS32_DEP_1) | instskip(SKIP_1) | instid1(VALU_DEP_4)
	v_fma_f32 v86, -v80, v82, 1.0
	v_fma_f32 v75, -v71, v87, v81
	v_mul_f32_e32 v88, v84, v78
	v_fmac_f32_e32 v85, v83, v70
	v_div_fmas_f32 v68, v74, v68, v79
	v_fmac_f32_e32 v82, v86, v82
	v_div_scale_f32 v86, s20, v15, v67, v15
	v_fma_f32 v83, -v73, v88, v84
	v_fmac_f32_e32 v87, v75, v76
	v_fma_f32 v72, -v72, v85, v77
	s_delay_alu instid0(VALU_DEP_4)
	v_mul_f32_e32 v89, v86, v82
	s_mov_b32 vcc_lo, s14
	v_fmac_f32_e32 v88, v83, v78
	v_fma_f32 v71, -v71, v87, v81
	v_div_fmas_f32 v70, v72, v70, v85
	v_fma_f32 v74, -v80, v89, v86
	s_mov_b32 vcc_lo, s18
	v_fma_f32 v72, -v73, v88, v84
	v_div_fmas_f32 v71, v71, v76, v87
	s_mov_b32 vcc_lo, s19
	v_fmac_f32_e32 v89, v74, v82
	v_div_fixup_f32 v65, v68, v65, v27
	v_div_fmas_f32 v72, v72, v78, v88
	s_mov_b32 vcc_lo, s20
	v_div_fixup_f32 v64, v70, v64, v12
	v_fma_f32 v73, -v80, v89, v86
	v_div_fixup_f32 v66, v71, v66, v13
	v_div_fixup_f32 v68, v72, v69, v14
	s_delay_alu instid0(VALU_DEP_4) | instskip(NEXT) | instid1(VALU_DEP_4)
	v_dual_mul_f32 v55, v55, v65 :: v_dual_mul_f32 v48, v48, v64
	v_div_fmas_f32 v73, v73, v82, v89
	s_delay_alu instid0(VALU_DEP_3) | instskip(SKIP_1) | instid1(VALU_DEP_3)
	v_dual_mul_f32 v49, v49, v66 :: v_dual_mul_f32 v50, v50, v68
	v_add_co_u32 v64, vcc_lo, v116, s22
	v_div_fixup_f32 v67, v73, v67, v15
	v_add_co_ci_u32_e32 v65, vcc_lo, s23, v117, vcc_lo
	s_delay_alu instid0(VALU_DEP_2)
	v_mul_f32_e32 v51, v51, v67
	ds_store_b128 v103, v[60:63]
	ds_store_b128 v103, v[56:59] offset:16
	ds_store_b128 v103, v[52:55] offset:32
	;; [unrolled: 1-line block ×3, first 2 shown]
	; wave barrier
	ds_load_b128 v[48:51], v99
	ds_load_b128 v[52:55], v100 offset:512
	ds_load_b128 v[56:59], v101 offset:1024
	;; [unrolled: 1-line block ×3, first 2 shown]
	s_waitcnt lgkmcnt(3)
	global_store_b128 v[64:65], v[48:51], off
	s_waitcnt lgkmcnt(2)
	global_store_b128 v[64:65], v[52:55], off offset:512
	s_waitcnt lgkmcnt(1)
	global_store_b128 v[64:65], v[56:59], off offset:1024
	;; [unrolled: 2-line block ×3, first 2 shown]
	s_cbranch_scc1 .LBB153_102
.LBB153_12:                             ; =>This Loop Header: Depth=1
                                        ;     Child Loop BB153_57 Depth 2
	v_add_co_u32 v48, s14, s55, v134
	s_delay_alu instid0(VALU_DEP_1) | instskip(NEXT) | instid1(VALU_DEP_2)
	v_add_co_ci_u32_e64 v49, null, s60, 0, s14
	v_add_co_u32 v48, vcc_lo, v48, v133
	s_delay_alu instid0(VALU_DEP_2)
	v_add_co_ci_u32_e32 v49, vcc_lo, 0, v49, vcc_lo
	s_waitcnt_vscnt null, 0x0
	s_barrier
	buffer_gl0_inv
	s_and_saveexec_b32 s14, s0
	s_cbranch_execnz .LBB153_92
; %bb.13:                               ;   in Loop: Header=BB153_12 Depth=1
	s_or_b32 exec_lo, exec_lo, s14
	s_and_saveexec_b32 s14, s1
	s_cbranch_execnz .LBB153_93
.LBB153_14:                             ;   in Loop: Header=BB153_12 Depth=1
	s_or_b32 exec_lo, exec_lo, s14
	s_and_saveexec_b32 s14, s2
	s_cbranch_execnz .LBB153_94
.LBB153_15:                             ;   in Loop: Header=BB153_12 Depth=1
	s_or_b32 exec_lo, exec_lo, s14
	s_and_saveexec_b32 s14, s3
	s_cbranch_execz .LBB153_17
.LBB153_16:                             ;   in Loop: Header=BB153_12 Depth=1
	global_load_b128 v[8:11], v[48:49], off offset:1536
.LBB153_17:                             ;   in Loop: Header=BB153_12 Depth=1
	s_or_b32 exec_lo, exec_lo, s14
	s_waitcnt vmcnt(0)
	ds_store_b128 v99, v[36:39]
	ds_store_b128 v100, v[28:31] offset:512
	ds_store_b128 v101, v[20:23] offset:1024
	;; [unrolled: 1-line block ×3, first 2 shown]
	; wave barrier
	ds_load_b128 v[36:39], v103
	ds_load_b128 v[28:31], v103 offset:16
	ds_load_b128 v[20:23], v103 offset:32
	;; [unrolled: 1-line block ×3, first 2 shown]
	v_add_co_u32 v48, s14, s61, v134
	s_delay_alu instid0(VALU_DEP_1) | instskip(SKIP_1) | instid1(VALU_DEP_2)
	v_add_co_ci_u32_e64 v49, null, s48, 0, s14
	s_waitcnt lgkmcnt(0)
	v_add_co_u32 v48, vcc_lo, v48, v133
	s_delay_alu instid0(VALU_DEP_2)
	v_add_co_ci_u32_e32 v49, vcc_lo, 0, v49, vcc_lo
	s_barrier
	buffer_gl0_inv
	s_and_saveexec_b32 s14, s0
	s_cbranch_execnz .LBB153_95
; %bb.18:                               ;   in Loop: Header=BB153_12 Depth=1
	s_or_b32 exec_lo, exec_lo, s14
	s_and_saveexec_b32 s14, s1
	s_cbranch_execnz .LBB153_96
.LBB153_19:                             ;   in Loop: Header=BB153_12 Depth=1
	s_or_b32 exec_lo, exec_lo, s14
	s_and_saveexec_b32 s14, s2
	s_cbranch_execnz .LBB153_97
.LBB153_20:                             ;   in Loop: Header=BB153_12 Depth=1
	s_or_b32 exec_lo, exec_lo, s14
	s_and_saveexec_b32 s14, s3
	s_cbranch_execz .LBB153_22
.LBB153_21:                             ;   in Loop: Header=BB153_12 Depth=1
	global_load_b128 v[0:3], v[48:49], off offset:1536
.LBB153_22:                             ;   in Loop: Header=BB153_12 Depth=1
	s_or_b32 exec_lo, exec_lo, s14
	s_waitcnt vmcnt(0)
	ds_store_b128 v99, v[32:35]
	ds_store_b128 v100, v[16:19] offset:512
	ds_store_b128 v101, v[4:7] offset:1024
	;; [unrolled: 1-line block ×3, first 2 shown]
	; wave barrier
	ds_load_b128 v[32:35], v103
	ds_load_b128 v[16:19], v103 offset:16
	ds_load_b128 v[4:7], v103 offset:32
	;; [unrolled: 1-line block ×3, first 2 shown]
	s_waitcnt lgkmcnt(3)
	v_add_f32_e32 v135, s58, v32
	s_delay_alu instid0(VALU_DEP_1) | instskip(SKIP_1) | instid1(SALU_CYCLE_1)
	v_cmp_ge_f32_e32 vcc_lo, 0x41a00000, v135
	s_and_b32 s14, s69, vcc_lo
	s_and_saveexec_b32 s18, s14
	s_cbranch_execz .LBB153_24
; %bb.23:                               ;   in Loop: Header=BB153_12 Depth=1
	v_mul_f32_e32 v48, 0x3fb8aa3b, v135
	v_cmp_ngt_f32_e32 vcc_lo, 0xc2ce8ed0, v135
	s_delay_alu instid0(VALU_DEP_2) | instskip(SKIP_1) | instid1(VALU_DEP_2)
	v_rndne_f32_e32 v49, v48
	v_fma_f32 v50, 0x3fb8aa3b, v135, -v48
	v_sub_f32_e32 v48, v48, v49
	s_delay_alu instid0(VALU_DEP_2) | instskip(SKIP_1) | instid1(VALU_DEP_2)
	v_fmac_f32_e32 v50, 0x32a5705f, v135
	v_cvt_i32_f32_e32 v49, v49
	v_add_f32_e32 v48, v48, v50
	s_delay_alu instid0(VALU_DEP_1) | instskip(SKIP_2) | instid1(VALU_DEP_1)
	v_exp_f32_e32 v48, v48
	s_waitcnt_depctr 0xfff
	v_ldexp_f32 v48, v48, v49
	v_cndmask_b32_e32 v48, 0, v48, vcc_lo
	v_cmp_nlt_f32_e32 vcc_lo, 0x42b17218, v135
	s_delay_alu instid0(VALU_DEP_2) | instskip(NEXT) | instid1(VALU_DEP_1)
	v_cndmask_b32_e32 v50, 0x7f800000, v48, vcc_lo
	v_add_f32_e32 v51, 1.0, v50
	s_delay_alu instid0(VALU_DEP_1) | instskip(NEXT) | instid1(VALU_DEP_1)
	v_cvt_f64_f32_e32 v[48:49], v51
	v_frexp_exp_i32_f64_e32 v48, v[48:49]
	v_frexp_mant_f32_e32 v49, v51
	s_delay_alu instid0(VALU_DEP_1) | instskip(SKIP_1) | instid1(VALU_DEP_1)
	v_cmp_gt_f32_e32 vcc_lo, 0x3f2aaaab, v49
	v_add_f32_e32 v49, -1.0, v51
	v_sub_f32_e32 v53, v49, v51
	v_sub_f32_e32 v49, v50, v49
	s_delay_alu instid0(VALU_DEP_2) | instskip(NEXT) | instid1(VALU_DEP_1)
	v_add_f32_e32 v53, 1.0, v53
	v_add_f32_e32 v49, v49, v53
	v_cmp_gt_f32_e64 s14, 0x33800000, v50
	v_subrev_co_ci_u32_e32 v48, vcc_lo, 0, v48, vcc_lo
	v_cmp_eq_f32_e32 vcc_lo, 0x7f800000, v50
	s_delay_alu instid0(VALU_DEP_2) | instskip(SKIP_2) | instid1(VALU_DEP_2)
	v_sub_nc_u32_e32 v52, 0, v48
	v_cvt_f32_i32_e32 v48, v48
	s_or_b32 vcc_lo, s14, vcc_lo
	v_ldexp_f32 v51, v51, v52
	v_ldexp_f32 v49, v49, v52
	s_delay_alu instid0(VALU_DEP_2) | instskip(NEXT) | instid1(VALU_DEP_1)
	v_add_f32_e32 v54, 1.0, v51
	v_dual_add_f32 v52, -1.0, v51 :: v_dual_add_f32 v53, -1.0, v54
	s_delay_alu instid0(VALU_DEP_1) | instskip(NEXT) | instid1(VALU_DEP_2)
	v_add_f32_e32 v55, 1.0, v52
	v_sub_f32_e32 v53, v51, v53
	s_delay_alu instid0(VALU_DEP_2) | instskip(NEXT) | instid1(VALU_DEP_2)
	v_sub_f32_e32 v51, v51, v55
	v_add_f32_e32 v53, v49, v53
	s_delay_alu instid0(VALU_DEP_2) | instskip(NEXT) | instid1(VALU_DEP_1)
	v_add_f32_e32 v49, v49, v51
	v_add_f32_e32 v56, v52, v49
	s_delay_alu instid0(VALU_DEP_1) | instskip(NEXT) | instid1(VALU_DEP_1)
	v_dual_add_f32 v55, v54, v53 :: v_dual_sub_f32 v52, v52, v56
	v_rcp_f32_e32 v51, v55
	v_sub_f32_e32 v54, v54, v55
	s_delay_alu instid0(VALU_DEP_1) | instskip(SKIP_2) | instid1(VALU_DEP_1)
	v_add_f32_e32 v53, v53, v54
	s_waitcnt_depctr 0xfff
	v_mul_f32_e32 v57, v56, v51
	v_mul_f32_e32 v58, v55, v57
	s_delay_alu instid0(VALU_DEP_1) | instskip(NEXT) | instid1(VALU_DEP_1)
	v_fma_f32 v54, v57, v55, -v58
	v_fmac_f32_e32 v54, v57, v53
	s_delay_alu instid0(VALU_DEP_1) | instskip(NEXT) | instid1(VALU_DEP_1)
	v_add_f32_e32 v59, v58, v54
	v_sub_f32_e32 v60, v56, v59
	s_delay_alu instid0(VALU_DEP_1) | instskip(SKIP_1) | instid1(VALU_DEP_2)
	v_sub_f32_e32 v56, v56, v60
	v_dual_add_f32 v49, v49, v52 :: v_dual_sub_f32 v52, v59, v58
	v_sub_f32_e32 v56, v56, v59
	s_delay_alu instid0(VALU_DEP_1) | instskip(NEXT) | instid1(VALU_DEP_1)
	v_dual_sub_f32 v52, v52, v54 :: v_dual_add_f32 v49, v49, v56
	v_add_f32_e32 v49, v52, v49
	s_delay_alu instid0(VALU_DEP_1) | instskip(NEXT) | instid1(VALU_DEP_1)
	v_add_f32_e32 v52, v60, v49
	v_mul_f32_e32 v54, v51, v52
	s_delay_alu instid0(VALU_DEP_1) | instskip(NEXT) | instid1(VALU_DEP_1)
	v_dual_sub_f32 v59, v60, v52 :: v_dual_mul_f32 v56, v55, v54
	v_add_f32_e32 v49, v49, v59
	s_delay_alu instid0(VALU_DEP_2) | instskip(NEXT) | instid1(VALU_DEP_1)
	v_fma_f32 v55, v54, v55, -v56
	v_fmac_f32_e32 v55, v54, v53
	s_delay_alu instid0(VALU_DEP_1) | instskip(NEXT) | instid1(VALU_DEP_1)
	v_add_f32_e32 v53, v56, v55
	v_sub_f32_e32 v58, v52, v53
	s_delay_alu instid0(VALU_DEP_1) | instskip(NEXT) | instid1(VALU_DEP_1)
	v_sub_f32_e32 v52, v52, v58
	v_sub_f32_e32 v52, v52, v53
	s_delay_alu instid0(VALU_DEP_1) | instskip(SKIP_2) | instid1(VALU_DEP_1)
	v_add_f32_e32 v49, v49, v52
	v_add_f32_e32 v52, v57, v54
	v_sub_f32_e32 v56, v53, v56
	v_sub_f32_e32 v53, v56, v55
	s_delay_alu instid0(VALU_DEP_1) | instskip(NEXT) | instid1(VALU_DEP_4)
	v_add_f32_e32 v49, v53, v49
	v_sub_f32_e32 v53, v52, v57
	s_delay_alu instid0(VALU_DEP_2) | instskip(NEXT) | instid1(VALU_DEP_2)
	v_add_f32_e32 v49, v58, v49
	v_sub_f32_e32 v53, v54, v53
	s_delay_alu instid0(VALU_DEP_2) | instskip(NEXT) | instid1(VALU_DEP_1)
	v_mul_f32_e32 v49, v51, v49
	v_add_f32_e32 v49, v53, v49
	s_delay_alu instid0(VALU_DEP_1) | instskip(NEXT) | instid1(VALU_DEP_1)
	v_add_f32_e32 v51, v52, v49
	v_mul_f32_e32 v53, v51, v51
	s_delay_alu instid0(VALU_DEP_1) | instskip(SKIP_1) | instid1(VALU_DEP_2)
	v_fmaak_f32 v54, s73, v53, 0x3ecc95a3
	v_mul_f32_e32 v55, v51, v53
	v_fmaak_f32 v53, v53, v54, 0x3f2aaada
	v_ldexp_f32 v54, v51, 1
	s_delay_alu instid0(VALU_DEP_2) | instskip(SKIP_1) | instid1(VALU_DEP_2)
	v_mul_f32_e32 v53, v55, v53
	v_sub_f32_e32 v51, v51, v52
	v_dual_mul_f32 v55, 0x3f317218, v48 :: v_dual_add_f32 v52, v54, v53
	s_delay_alu instid0(VALU_DEP_2) | instskip(NEXT) | instid1(VALU_DEP_2)
	v_sub_f32_e32 v49, v49, v51
	v_sub_f32_e32 v51, v52, v54
	s_delay_alu instid0(VALU_DEP_3) | instskip(NEXT) | instid1(VALU_DEP_3)
	v_fma_f32 v54, 0x3f317218, v48, -v55
	v_ldexp_f32 v49, v49, 1
	s_delay_alu instid0(VALU_DEP_2) | instskip(NEXT) | instid1(VALU_DEP_1)
	v_dual_sub_f32 v51, v53, v51 :: v_dual_fmac_f32 v54, 0xb102e308, v48
	v_dual_add_f32 v48, v49, v51 :: v_dual_add_f32 v49, v55, v54
	s_delay_alu instid0(VALU_DEP_1) | instskip(NEXT) | instid1(VALU_DEP_1)
	v_add_f32_e32 v51, v52, v48
	v_dual_add_f32 v53, v49, v51 :: v_dual_sub_f32 v52, v51, v52
	s_delay_alu instid0(VALU_DEP_1) | instskip(NEXT) | instid1(VALU_DEP_2)
	v_sub_f32_e32 v56, v53, v49
	v_dual_sub_f32 v55, v49, v55 :: v_dual_sub_f32 v48, v48, v52
	s_delay_alu instid0(VALU_DEP_1) | instskip(SKIP_1) | instid1(VALU_DEP_2)
	v_dual_sub_f32 v57, v53, v56 :: v_dual_sub_f32 v54, v54, v55
	v_sub_f32_e32 v51, v51, v56
	v_dual_sub_f32 v49, v49, v57 :: v_dual_add_f32 v52, v54, v48
	s_delay_alu instid0(VALU_DEP_1) | instskip(NEXT) | instid1(VALU_DEP_2)
	v_add_f32_e32 v49, v51, v49
	v_sub_f32_e32 v51, v52, v54
	s_delay_alu instid0(VALU_DEP_2) | instskip(NEXT) | instid1(VALU_DEP_2)
	v_add_f32_e32 v49, v52, v49
	v_sub_f32_e32 v52, v52, v51
	s_delay_alu instid0(VALU_DEP_2) | instskip(NEXT) | instid1(VALU_DEP_1)
	v_dual_sub_f32 v48, v48, v51 :: v_dual_add_f32 v55, v53, v49
	v_dual_sub_f32 v52, v54, v52 :: v_dual_sub_f32 v51, v55, v53
	s_delay_alu instid0(VALU_DEP_1) | instskip(NEXT) | instid1(VALU_DEP_1)
	v_dual_add_f32 v48, v48, v52 :: v_dual_sub_f32 v49, v49, v51
	v_add_f32_e32 v48, v48, v49
	s_delay_alu instid0(VALU_DEP_1) | instskip(NEXT) | instid1(VALU_DEP_1)
	v_add_f32_e32 v48, v55, v48
	v_cndmask_b32_e32 v135, v48, v50, vcc_lo
.LBB153_24:                             ;   in Loop: Header=BB153_12 Depth=1
	s_or_b32 exec_lo, exec_lo, s18
	v_add_f32_e32 v136, s58, v33
	s_delay_alu instid0(VALU_DEP_1) | instskip(SKIP_1) | instid1(SALU_CYCLE_1)
	v_cmp_ge_f32_e32 vcc_lo, 0x41a00000, v136
	s_and_b32 s14, s69, vcc_lo
	s_and_saveexec_b32 s18, s14
	s_cbranch_execz .LBB153_26
; %bb.25:                               ;   in Loop: Header=BB153_12 Depth=1
	v_mul_f32_e32 v48, 0x3fb8aa3b, v136
	v_cmp_ngt_f32_e32 vcc_lo, 0xc2ce8ed0, v136
	s_delay_alu instid0(VALU_DEP_2) | instskip(SKIP_1) | instid1(VALU_DEP_2)
	v_rndne_f32_e32 v49, v48
	v_fma_f32 v50, 0x3fb8aa3b, v136, -v48
	v_sub_f32_e32 v48, v48, v49
	s_delay_alu instid0(VALU_DEP_2) | instskip(SKIP_1) | instid1(VALU_DEP_2)
	v_fmac_f32_e32 v50, 0x32a5705f, v136
	v_cvt_i32_f32_e32 v49, v49
	v_add_f32_e32 v48, v48, v50
	s_delay_alu instid0(VALU_DEP_1) | instskip(SKIP_2) | instid1(VALU_DEP_1)
	v_exp_f32_e32 v48, v48
	s_waitcnt_depctr 0xfff
	v_ldexp_f32 v48, v48, v49
	v_cndmask_b32_e32 v48, 0, v48, vcc_lo
	v_cmp_nlt_f32_e32 vcc_lo, 0x42b17218, v136
	s_delay_alu instid0(VALU_DEP_2) | instskip(NEXT) | instid1(VALU_DEP_1)
	v_cndmask_b32_e32 v50, 0x7f800000, v48, vcc_lo
	v_add_f32_e32 v51, 1.0, v50
	s_delay_alu instid0(VALU_DEP_1) | instskip(NEXT) | instid1(VALU_DEP_1)
	v_cvt_f64_f32_e32 v[48:49], v51
	v_frexp_exp_i32_f64_e32 v48, v[48:49]
	v_frexp_mant_f32_e32 v49, v51
	s_delay_alu instid0(VALU_DEP_1) | instskip(SKIP_1) | instid1(VALU_DEP_1)
	v_cmp_gt_f32_e32 vcc_lo, 0x3f2aaaab, v49
	v_add_f32_e32 v49, -1.0, v51
	v_sub_f32_e32 v53, v49, v51
	v_sub_f32_e32 v49, v50, v49
	s_delay_alu instid0(VALU_DEP_2) | instskip(NEXT) | instid1(VALU_DEP_1)
	v_add_f32_e32 v53, 1.0, v53
	v_add_f32_e32 v49, v49, v53
	v_cmp_gt_f32_e64 s14, 0x33800000, v50
	v_subrev_co_ci_u32_e32 v48, vcc_lo, 0, v48, vcc_lo
	v_cmp_eq_f32_e32 vcc_lo, 0x7f800000, v50
	s_delay_alu instid0(VALU_DEP_2) | instskip(SKIP_2) | instid1(VALU_DEP_2)
	v_sub_nc_u32_e32 v52, 0, v48
	v_cvt_f32_i32_e32 v48, v48
	s_or_b32 vcc_lo, s14, vcc_lo
	v_ldexp_f32 v51, v51, v52
	v_ldexp_f32 v49, v49, v52
	s_delay_alu instid0(VALU_DEP_2) | instskip(NEXT) | instid1(VALU_DEP_1)
	v_add_f32_e32 v54, 1.0, v51
	v_dual_add_f32 v52, -1.0, v51 :: v_dual_add_f32 v53, -1.0, v54
	s_delay_alu instid0(VALU_DEP_1) | instskip(NEXT) | instid1(VALU_DEP_2)
	v_add_f32_e32 v55, 1.0, v52
	v_sub_f32_e32 v53, v51, v53
	s_delay_alu instid0(VALU_DEP_2) | instskip(NEXT) | instid1(VALU_DEP_2)
	v_sub_f32_e32 v51, v51, v55
	v_add_f32_e32 v53, v49, v53
	s_delay_alu instid0(VALU_DEP_2) | instskip(NEXT) | instid1(VALU_DEP_1)
	v_add_f32_e32 v49, v49, v51
	v_add_f32_e32 v56, v52, v49
	s_delay_alu instid0(VALU_DEP_1) | instskip(NEXT) | instid1(VALU_DEP_1)
	v_dual_add_f32 v55, v54, v53 :: v_dual_sub_f32 v52, v52, v56
	v_rcp_f32_e32 v51, v55
	v_sub_f32_e32 v54, v54, v55
	s_delay_alu instid0(VALU_DEP_1) | instskip(SKIP_2) | instid1(VALU_DEP_1)
	v_add_f32_e32 v53, v53, v54
	s_waitcnt_depctr 0xfff
	v_mul_f32_e32 v57, v56, v51
	v_mul_f32_e32 v58, v55, v57
	s_delay_alu instid0(VALU_DEP_1) | instskip(NEXT) | instid1(VALU_DEP_1)
	v_fma_f32 v54, v57, v55, -v58
	v_fmac_f32_e32 v54, v57, v53
	s_delay_alu instid0(VALU_DEP_1) | instskip(NEXT) | instid1(VALU_DEP_1)
	v_add_f32_e32 v59, v58, v54
	v_sub_f32_e32 v60, v56, v59
	s_delay_alu instid0(VALU_DEP_1) | instskip(SKIP_1) | instid1(VALU_DEP_2)
	v_sub_f32_e32 v56, v56, v60
	v_dual_add_f32 v49, v49, v52 :: v_dual_sub_f32 v52, v59, v58
	v_sub_f32_e32 v56, v56, v59
	s_delay_alu instid0(VALU_DEP_1) | instskip(NEXT) | instid1(VALU_DEP_1)
	v_dual_sub_f32 v52, v52, v54 :: v_dual_add_f32 v49, v49, v56
	v_add_f32_e32 v49, v52, v49
	s_delay_alu instid0(VALU_DEP_1) | instskip(NEXT) | instid1(VALU_DEP_1)
	v_add_f32_e32 v52, v60, v49
	v_mul_f32_e32 v54, v51, v52
	s_delay_alu instid0(VALU_DEP_1) | instskip(NEXT) | instid1(VALU_DEP_1)
	v_dual_sub_f32 v59, v60, v52 :: v_dual_mul_f32 v56, v55, v54
	v_add_f32_e32 v49, v49, v59
	s_delay_alu instid0(VALU_DEP_2) | instskip(NEXT) | instid1(VALU_DEP_1)
	v_fma_f32 v55, v54, v55, -v56
	v_fmac_f32_e32 v55, v54, v53
	s_delay_alu instid0(VALU_DEP_1) | instskip(NEXT) | instid1(VALU_DEP_1)
	v_add_f32_e32 v53, v56, v55
	v_sub_f32_e32 v58, v52, v53
	s_delay_alu instid0(VALU_DEP_1) | instskip(NEXT) | instid1(VALU_DEP_1)
	v_sub_f32_e32 v52, v52, v58
	v_sub_f32_e32 v52, v52, v53
	s_delay_alu instid0(VALU_DEP_1) | instskip(SKIP_2) | instid1(VALU_DEP_1)
	v_add_f32_e32 v49, v49, v52
	v_add_f32_e32 v52, v57, v54
	v_sub_f32_e32 v56, v53, v56
	v_sub_f32_e32 v53, v56, v55
	s_delay_alu instid0(VALU_DEP_1) | instskip(NEXT) | instid1(VALU_DEP_4)
	v_add_f32_e32 v49, v53, v49
	v_sub_f32_e32 v53, v52, v57
	s_delay_alu instid0(VALU_DEP_2) | instskip(NEXT) | instid1(VALU_DEP_2)
	v_add_f32_e32 v49, v58, v49
	v_sub_f32_e32 v53, v54, v53
	s_delay_alu instid0(VALU_DEP_2) | instskip(NEXT) | instid1(VALU_DEP_1)
	v_mul_f32_e32 v49, v51, v49
	v_add_f32_e32 v49, v53, v49
	s_delay_alu instid0(VALU_DEP_1) | instskip(NEXT) | instid1(VALU_DEP_1)
	v_add_f32_e32 v51, v52, v49
	v_mul_f32_e32 v53, v51, v51
	s_delay_alu instid0(VALU_DEP_1) | instskip(SKIP_1) | instid1(VALU_DEP_2)
	v_fmaak_f32 v54, s73, v53, 0x3ecc95a3
	v_mul_f32_e32 v55, v51, v53
	v_fmaak_f32 v53, v53, v54, 0x3f2aaada
	v_ldexp_f32 v54, v51, 1
	s_delay_alu instid0(VALU_DEP_2) | instskip(SKIP_1) | instid1(VALU_DEP_2)
	v_mul_f32_e32 v53, v55, v53
	v_sub_f32_e32 v51, v51, v52
	v_dual_mul_f32 v55, 0x3f317218, v48 :: v_dual_add_f32 v52, v54, v53
	s_delay_alu instid0(VALU_DEP_2) | instskip(NEXT) | instid1(VALU_DEP_2)
	v_sub_f32_e32 v49, v49, v51
	v_sub_f32_e32 v51, v52, v54
	s_delay_alu instid0(VALU_DEP_3) | instskip(NEXT) | instid1(VALU_DEP_3)
	v_fma_f32 v54, 0x3f317218, v48, -v55
	v_ldexp_f32 v49, v49, 1
	s_delay_alu instid0(VALU_DEP_2) | instskip(NEXT) | instid1(VALU_DEP_1)
	v_dual_sub_f32 v51, v53, v51 :: v_dual_fmac_f32 v54, 0xb102e308, v48
	v_dual_add_f32 v48, v49, v51 :: v_dual_add_f32 v49, v55, v54
	s_delay_alu instid0(VALU_DEP_1) | instskip(NEXT) | instid1(VALU_DEP_1)
	v_add_f32_e32 v51, v52, v48
	v_dual_add_f32 v53, v49, v51 :: v_dual_sub_f32 v52, v51, v52
	s_delay_alu instid0(VALU_DEP_1) | instskip(NEXT) | instid1(VALU_DEP_2)
	v_sub_f32_e32 v56, v53, v49
	v_dual_sub_f32 v55, v49, v55 :: v_dual_sub_f32 v48, v48, v52
	s_delay_alu instid0(VALU_DEP_1) | instskip(SKIP_1) | instid1(VALU_DEP_2)
	v_dual_sub_f32 v57, v53, v56 :: v_dual_sub_f32 v54, v54, v55
	v_sub_f32_e32 v51, v51, v56
	v_dual_sub_f32 v49, v49, v57 :: v_dual_add_f32 v52, v54, v48
	s_delay_alu instid0(VALU_DEP_1) | instskip(NEXT) | instid1(VALU_DEP_2)
	v_add_f32_e32 v49, v51, v49
	v_sub_f32_e32 v51, v52, v54
	s_delay_alu instid0(VALU_DEP_2) | instskip(NEXT) | instid1(VALU_DEP_2)
	v_add_f32_e32 v49, v52, v49
	v_sub_f32_e32 v52, v52, v51
	s_delay_alu instid0(VALU_DEP_2) | instskip(NEXT) | instid1(VALU_DEP_1)
	v_dual_sub_f32 v48, v48, v51 :: v_dual_add_f32 v55, v53, v49
	v_dual_sub_f32 v52, v54, v52 :: v_dual_sub_f32 v51, v55, v53
	s_delay_alu instid0(VALU_DEP_1) | instskip(NEXT) | instid1(VALU_DEP_1)
	v_dual_add_f32 v48, v48, v52 :: v_dual_sub_f32 v49, v49, v51
	v_add_f32_e32 v48, v48, v49
	s_delay_alu instid0(VALU_DEP_1) | instskip(NEXT) | instid1(VALU_DEP_1)
	v_add_f32_e32 v48, v55, v48
	v_cndmask_b32_e32 v136, v48, v50, vcc_lo
.LBB153_26:                             ;   in Loop: Header=BB153_12 Depth=1
	s_or_b32 exec_lo, exec_lo, s18
	v_add_f32_e32 v137, s58, v34
	s_delay_alu instid0(VALU_DEP_1) | instskip(SKIP_1) | instid1(SALU_CYCLE_1)
	v_cmp_ge_f32_e32 vcc_lo, 0x41a00000, v137
	s_and_b32 s14, s69, vcc_lo
	s_and_saveexec_b32 s18, s14
	s_cbranch_execz .LBB153_28
; %bb.27:                               ;   in Loop: Header=BB153_12 Depth=1
	v_mul_f32_e32 v48, 0x3fb8aa3b, v137
	v_cmp_ngt_f32_e32 vcc_lo, 0xc2ce8ed0, v137
	s_delay_alu instid0(VALU_DEP_2) | instskip(SKIP_1) | instid1(VALU_DEP_2)
	v_rndne_f32_e32 v49, v48
	v_fma_f32 v50, 0x3fb8aa3b, v137, -v48
	v_sub_f32_e32 v48, v48, v49
	s_delay_alu instid0(VALU_DEP_2) | instskip(SKIP_1) | instid1(VALU_DEP_2)
	v_fmac_f32_e32 v50, 0x32a5705f, v137
	v_cvt_i32_f32_e32 v49, v49
	v_add_f32_e32 v48, v48, v50
	s_delay_alu instid0(VALU_DEP_1) | instskip(SKIP_2) | instid1(VALU_DEP_1)
	v_exp_f32_e32 v48, v48
	s_waitcnt_depctr 0xfff
	v_ldexp_f32 v48, v48, v49
	v_cndmask_b32_e32 v48, 0, v48, vcc_lo
	v_cmp_nlt_f32_e32 vcc_lo, 0x42b17218, v137
	s_delay_alu instid0(VALU_DEP_2) | instskip(NEXT) | instid1(VALU_DEP_1)
	v_cndmask_b32_e32 v50, 0x7f800000, v48, vcc_lo
	v_add_f32_e32 v51, 1.0, v50
	s_delay_alu instid0(VALU_DEP_1) | instskip(NEXT) | instid1(VALU_DEP_1)
	v_cvt_f64_f32_e32 v[48:49], v51
	v_frexp_exp_i32_f64_e32 v48, v[48:49]
	v_frexp_mant_f32_e32 v49, v51
	s_delay_alu instid0(VALU_DEP_1) | instskip(SKIP_1) | instid1(VALU_DEP_1)
	v_cmp_gt_f32_e32 vcc_lo, 0x3f2aaaab, v49
	v_add_f32_e32 v49, -1.0, v51
	v_sub_f32_e32 v53, v49, v51
	v_sub_f32_e32 v49, v50, v49
	s_delay_alu instid0(VALU_DEP_2) | instskip(NEXT) | instid1(VALU_DEP_1)
	v_add_f32_e32 v53, 1.0, v53
	v_add_f32_e32 v49, v49, v53
	v_cmp_gt_f32_e64 s14, 0x33800000, v50
	v_subrev_co_ci_u32_e32 v48, vcc_lo, 0, v48, vcc_lo
	v_cmp_eq_f32_e32 vcc_lo, 0x7f800000, v50
	s_delay_alu instid0(VALU_DEP_2) | instskip(SKIP_2) | instid1(VALU_DEP_2)
	v_sub_nc_u32_e32 v52, 0, v48
	v_cvt_f32_i32_e32 v48, v48
	s_or_b32 vcc_lo, s14, vcc_lo
	v_ldexp_f32 v51, v51, v52
	v_ldexp_f32 v49, v49, v52
	s_delay_alu instid0(VALU_DEP_2) | instskip(NEXT) | instid1(VALU_DEP_1)
	v_add_f32_e32 v54, 1.0, v51
	v_dual_add_f32 v52, -1.0, v51 :: v_dual_add_f32 v53, -1.0, v54
	s_delay_alu instid0(VALU_DEP_1) | instskip(NEXT) | instid1(VALU_DEP_2)
	v_add_f32_e32 v55, 1.0, v52
	v_sub_f32_e32 v53, v51, v53
	s_delay_alu instid0(VALU_DEP_2) | instskip(NEXT) | instid1(VALU_DEP_2)
	v_sub_f32_e32 v51, v51, v55
	v_add_f32_e32 v53, v49, v53
	s_delay_alu instid0(VALU_DEP_2) | instskip(NEXT) | instid1(VALU_DEP_1)
	v_add_f32_e32 v49, v49, v51
	v_add_f32_e32 v56, v52, v49
	s_delay_alu instid0(VALU_DEP_1) | instskip(NEXT) | instid1(VALU_DEP_1)
	v_dual_add_f32 v55, v54, v53 :: v_dual_sub_f32 v52, v52, v56
	v_rcp_f32_e32 v51, v55
	v_sub_f32_e32 v54, v54, v55
	s_delay_alu instid0(VALU_DEP_1) | instskip(SKIP_2) | instid1(VALU_DEP_1)
	v_add_f32_e32 v53, v53, v54
	s_waitcnt_depctr 0xfff
	v_mul_f32_e32 v57, v56, v51
	v_mul_f32_e32 v58, v55, v57
	s_delay_alu instid0(VALU_DEP_1) | instskip(NEXT) | instid1(VALU_DEP_1)
	v_fma_f32 v54, v57, v55, -v58
	v_fmac_f32_e32 v54, v57, v53
	s_delay_alu instid0(VALU_DEP_1) | instskip(NEXT) | instid1(VALU_DEP_1)
	v_add_f32_e32 v59, v58, v54
	v_sub_f32_e32 v60, v56, v59
	s_delay_alu instid0(VALU_DEP_1) | instskip(SKIP_1) | instid1(VALU_DEP_2)
	v_sub_f32_e32 v56, v56, v60
	v_dual_add_f32 v49, v49, v52 :: v_dual_sub_f32 v52, v59, v58
	v_sub_f32_e32 v56, v56, v59
	s_delay_alu instid0(VALU_DEP_1) | instskip(NEXT) | instid1(VALU_DEP_1)
	v_dual_sub_f32 v52, v52, v54 :: v_dual_add_f32 v49, v49, v56
	v_add_f32_e32 v49, v52, v49
	s_delay_alu instid0(VALU_DEP_1) | instskip(NEXT) | instid1(VALU_DEP_1)
	v_add_f32_e32 v52, v60, v49
	v_mul_f32_e32 v54, v51, v52
	s_delay_alu instid0(VALU_DEP_1) | instskip(NEXT) | instid1(VALU_DEP_1)
	v_dual_sub_f32 v59, v60, v52 :: v_dual_mul_f32 v56, v55, v54
	v_add_f32_e32 v49, v49, v59
	s_delay_alu instid0(VALU_DEP_2) | instskip(NEXT) | instid1(VALU_DEP_1)
	v_fma_f32 v55, v54, v55, -v56
	v_fmac_f32_e32 v55, v54, v53
	s_delay_alu instid0(VALU_DEP_1) | instskip(NEXT) | instid1(VALU_DEP_1)
	v_add_f32_e32 v53, v56, v55
	v_sub_f32_e32 v58, v52, v53
	s_delay_alu instid0(VALU_DEP_1) | instskip(NEXT) | instid1(VALU_DEP_1)
	v_sub_f32_e32 v52, v52, v58
	v_sub_f32_e32 v52, v52, v53
	s_delay_alu instid0(VALU_DEP_1) | instskip(SKIP_2) | instid1(VALU_DEP_1)
	v_add_f32_e32 v49, v49, v52
	v_add_f32_e32 v52, v57, v54
	v_sub_f32_e32 v56, v53, v56
	v_sub_f32_e32 v53, v56, v55
	s_delay_alu instid0(VALU_DEP_1) | instskip(NEXT) | instid1(VALU_DEP_4)
	v_add_f32_e32 v49, v53, v49
	v_sub_f32_e32 v53, v52, v57
	s_delay_alu instid0(VALU_DEP_2) | instskip(NEXT) | instid1(VALU_DEP_2)
	v_add_f32_e32 v49, v58, v49
	v_sub_f32_e32 v53, v54, v53
	s_delay_alu instid0(VALU_DEP_2) | instskip(NEXT) | instid1(VALU_DEP_1)
	v_mul_f32_e32 v49, v51, v49
	v_add_f32_e32 v49, v53, v49
	s_delay_alu instid0(VALU_DEP_1) | instskip(NEXT) | instid1(VALU_DEP_1)
	v_add_f32_e32 v51, v52, v49
	v_mul_f32_e32 v53, v51, v51
	s_delay_alu instid0(VALU_DEP_1) | instskip(SKIP_1) | instid1(VALU_DEP_2)
	v_fmaak_f32 v54, s73, v53, 0x3ecc95a3
	v_mul_f32_e32 v55, v51, v53
	v_fmaak_f32 v53, v53, v54, 0x3f2aaada
	v_ldexp_f32 v54, v51, 1
	s_delay_alu instid0(VALU_DEP_2) | instskip(SKIP_1) | instid1(VALU_DEP_2)
	v_mul_f32_e32 v53, v55, v53
	v_sub_f32_e32 v51, v51, v52
	v_dual_mul_f32 v55, 0x3f317218, v48 :: v_dual_add_f32 v52, v54, v53
	s_delay_alu instid0(VALU_DEP_2) | instskip(NEXT) | instid1(VALU_DEP_2)
	v_sub_f32_e32 v49, v49, v51
	v_sub_f32_e32 v51, v52, v54
	s_delay_alu instid0(VALU_DEP_3) | instskip(NEXT) | instid1(VALU_DEP_3)
	v_fma_f32 v54, 0x3f317218, v48, -v55
	v_ldexp_f32 v49, v49, 1
	s_delay_alu instid0(VALU_DEP_2) | instskip(NEXT) | instid1(VALU_DEP_1)
	v_dual_sub_f32 v51, v53, v51 :: v_dual_fmac_f32 v54, 0xb102e308, v48
	v_dual_add_f32 v48, v49, v51 :: v_dual_add_f32 v49, v55, v54
	s_delay_alu instid0(VALU_DEP_1) | instskip(NEXT) | instid1(VALU_DEP_1)
	v_add_f32_e32 v51, v52, v48
	v_dual_add_f32 v53, v49, v51 :: v_dual_sub_f32 v52, v51, v52
	s_delay_alu instid0(VALU_DEP_1) | instskip(NEXT) | instid1(VALU_DEP_2)
	v_sub_f32_e32 v56, v53, v49
	v_dual_sub_f32 v55, v49, v55 :: v_dual_sub_f32 v48, v48, v52
	s_delay_alu instid0(VALU_DEP_1) | instskip(SKIP_1) | instid1(VALU_DEP_2)
	v_dual_sub_f32 v57, v53, v56 :: v_dual_sub_f32 v54, v54, v55
	v_sub_f32_e32 v51, v51, v56
	v_dual_sub_f32 v49, v49, v57 :: v_dual_add_f32 v52, v54, v48
	s_delay_alu instid0(VALU_DEP_1) | instskip(NEXT) | instid1(VALU_DEP_2)
	v_add_f32_e32 v49, v51, v49
	v_sub_f32_e32 v51, v52, v54
	s_delay_alu instid0(VALU_DEP_2) | instskip(NEXT) | instid1(VALU_DEP_2)
	v_add_f32_e32 v49, v52, v49
	v_sub_f32_e32 v52, v52, v51
	s_delay_alu instid0(VALU_DEP_2) | instskip(NEXT) | instid1(VALU_DEP_1)
	v_dual_sub_f32 v48, v48, v51 :: v_dual_add_f32 v55, v53, v49
	v_dual_sub_f32 v52, v54, v52 :: v_dual_sub_f32 v51, v55, v53
	s_delay_alu instid0(VALU_DEP_1) | instskip(NEXT) | instid1(VALU_DEP_1)
	v_dual_add_f32 v48, v48, v52 :: v_dual_sub_f32 v49, v49, v51
	v_add_f32_e32 v48, v48, v49
	s_delay_alu instid0(VALU_DEP_1) | instskip(NEXT) | instid1(VALU_DEP_1)
	v_add_f32_e32 v48, v55, v48
	v_cndmask_b32_e32 v137, v48, v50, vcc_lo
.LBB153_28:                             ;   in Loop: Header=BB153_12 Depth=1
	s_or_b32 exec_lo, exec_lo, s18
	v_add_f32_e32 v138, s58, v35
	s_delay_alu instid0(VALU_DEP_1) | instskip(SKIP_1) | instid1(SALU_CYCLE_1)
	v_cmp_ge_f32_e32 vcc_lo, 0x41a00000, v138
	s_and_b32 s14, s69, vcc_lo
	s_and_saveexec_b32 s18, s14
	s_cbranch_execz .LBB153_30
; %bb.29:                               ;   in Loop: Header=BB153_12 Depth=1
	v_mul_f32_e32 v48, 0x3fb8aa3b, v138
	v_cmp_ngt_f32_e32 vcc_lo, 0xc2ce8ed0, v138
	s_delay_alu instid0(VALU_DEP_2) | instskip(SKIP_1) | instid1(VALU_DEP_2)
	v_rndne_f32_e32 v49, v48
	v_fma_f32 v50, 0x3fb8aa3b, v138, -v48
	v_sub_f32_e32 v48, v48, v49
	s_delay_alu instid0(VALU_DEP_2) | instskip(SKIP_1) | instid1(VALU_DEP_2)
	v_fmac_f32_e32 v50, 0x32a5705f, v138
	v_cvt_i32_f32_e32 v49, v49
	v_add_f32_e32 v48, v48, v50
	s_delay_alu instid0(VALU_DEP_1) | instskip(SKIP_2) | instid1(VALU_DEP_1)
	v_exp_f32_e32 v48, v48
	s_waitcnt_depctr 0xfff
	v_ldexp_f32 v48, v48, v49
	v_cndmask_b32_e32 v48, 0, v48, vcc_lo
	v_cmp_nlt_f32_e32 vcc_lo, 0x42b17218, v138
	s_delay_alu instid0(VALU_DEP_2) | instskip(NEXT) | instid1(VALU_DEP_1)
	v_cndmask_b32_e32 v50, 0x7f800000, v48, vcc_lo
	v_add_f32_e32 v51, 1.0, v50
	s_delay_alu instid0(VALU_DEP_1) | instskip(NEXT) | instid1(VALU_DEP_1)
	v_cvt_f64_f32_e32 v[48:49], v51
	v_frexp_exp_i32_f64_e32 v48, v[48:49]
	v_frexp_mant_f32_e32 v49, v51
	s_delay_alu instid0(VALU_DEP_1) | instskip(SKIP_1) | instid1(VALU_DEP_1)
	v_cmp_gt_f32_e32 vcc_lo, 0x3f2aaaab, v49
	v_add_f32_e32 v49, -1.0, v51
	v_sub_f32_e32 v53, v49, v51
	v_sub_f32_e32 v49, v50, v49
	s_delay_alu instid0(VALU_DEP_2) | instskip(NEXT) | instid1(VALU_DEP_1)
	v_add_f32_e32 v53, 1.0, v53
	v_add_f32_e32 v49, v49, v53
	v_cmp_gt_f32_e64 s14, 0x33800000, v50
	v_subrev_co_ci_u32_e32 v48, vcc_lo, 0, v48, vcc_lo
	v_cmp_eq_f32_e32 vcc_lo, 0x7f800000, v50
	s_delay_alu instid0(VALU_DEP_2) | instskip(SKIP_2) | instid1(VALU_DEP_2)
	v_sub_nc_u32_e32 v52, 0, v48
	v_cvt_f32_i32_e32 v48, v48
	s_or_b32 vcc_lo, s14, vcc_lo
	v_ldexp_f32 v51, v51, v52
	v_ldexp_f32 v49, v49, v52
	s_delay_alu instid0(VALU_DEP_2) | instskip(NEXT) | instid1(VALU_DEP_1)
	v_add_f32_e32 v54, 1.0, v51
	v_dual_add_f32 v52, -1.0, v51 :: v_dual_add_f32 v53, -1.0, v54
	s_delay_alu instid0(VALU_DEP_1) | instskip(NEXT) | instid1(VALU_DEP_2)
	v_add_f32_e32 v55, 1.0, v52
	v_sub_f32_e32 v53, v51, v53
	s_delay_alu instid0(VALU_DEP_2) | instskip(NEXT) | instid1(VALU_DEP_2)
	v_sub_f32_e32 v51, v51, v55
	v_add_f32_e32 v53, v49, v53
	s_delay_alu instid0(VALU_DEP_2) | instskip(NEXT) | instid1(VALU_DEP_1)
	v_add_f32_e32 v49, v49, v51
	v_add_f32_e32 v56, v52, v49
	s_delay_alu instid0(VALU_DEP_1) | instskip(NEXT) | instid1(VALU_DEP_1)
	v_dual_add_f32 v55, v54, v53 :: v_dual_sub_f32 v52, v52, v56
	v_rcp_f32_e32 v51, v55
	v_sub_f32_e32 v54, v54, v55
	s_delay_alu instid0(VALU_DEP_1) | instskip(SKIP_2) | instid1(VALU_DEP_1)
	v_add_f32_e32 v53, v53, v54
	s_waitcnt_depctr 0xfff
	v_mul_f32_e32 v57, v56, v51
	v_mul_f32_e32 v58, v55, v57
	s_delay_alu instid0(VALU_DEP_1) | instskip(NEXT) | instid1(VALU_DEP_1)
	v_fma_f32 v54, v57, v55, -v58
	v_fmac_f32_e32 v54, v57, v53
	s_delay_alu instid0(VALU_DEP_1) | instskip(NEXT) | instid1(VALU_DEP_1)
	v_add_f32_e32 v59, v58, v54
	v_sub_f32_e32 v60, v56, v59
	s_delay_alu instid0(VALU_DEP_1) | instskip(SKIP_1) | instid1(VALU_DEP_2)
	v_sub_f32_e32 v56, v56, v60
	v_dual_add_f32 v49, v49, v52 :: v_dual_sub_f32 v52, v59, v58
	v_sub_f32_e32 v56, v56, v59
	s_delay_alu instid0(VALU_DEP_1) | instskip(NEXT) | instid1(VALU_DEP_1)
	v_dual_sub_f32 v52, v52, v54 :: v_dual_add_f32 v49, v49, v56
	v_add_f32_e32 v49, v52, v49
	s_delay_alu instid0(VALU_DEP_1) | instskip(NEXT) | instid1(VALU_DEP_1)
	v_add_f32_e32 v52, v60, v49
	v_mul_f32_e32 v54, v51, v52
	s_delay_alu instid0(VALU_DEP_1) | instskip(NEXT) | instid1(VALU_DEP_1)
	v_dual_sub_f32 v59, v60, v52 :: v_dual_mul_f32 v56, v55, v54
	v_add_f32_e32 v49, v49, v59
	s_delay_alu instid0(VALU_DEP_2) | instskip(NEXT) | instid1(VALU_DEP_1)
	v_fma_f32 v55, v54, v55, -v56
	v_fmac_f32_e32 v55, v54, v53
	s_delay_alu instid0(VALU_DEP_1) | instskip(NEXT) | instid1(VALU_DEP_1)
	v_add_f32_e32 v53, v56, v55
	v_sub_f32_e32 v58, v52, v53
	s_delay_alu instid0(VALU_DEP_1) | instskip(NEXT) | instid1(VALU_DEP_1)
	v_sub_f32_e32 v52, v52, v58
	v_sub_f32_e32 v52, v52, v53
	s_delay_alu instid0(VALU_DEP_1) | instskip(SKIP_2) | instid1(VALU_DEP_1)
	v_add_f32_e32 v49, v49, v52
	v_add_f32_e32 v52, v57, v54
	v_sub_f32_e32 v56, v53, v56
	v_sub_f32_e32 v53, v56, v55
	s_delay_alu instid0(VALU_DEP_1) | instskip(NEXT) | instid1(VALU_DEP_4)
	v_add_f32_e32 v49, v53, v49
	v_sub_f32_e32 v53, v52, v57
	s_delay_alu instid0(VALU_DEP_2) | instskip(NEXT) | instid1(VALU_DEP_2)
	v_add_f32_e32 v49, v58, v49
	v_sub_f32_e32 v53, v54, v53
	s_delay_alu instid0(VALU_DEP_2) | instskip(NEXT) | instid1(VALU_DEP_1)
	v_mul_f32_e32 v49, v51, v49
	v_add_f32_e32 v49, v53, v49
	s_delay_alu instid0(VALU_DEP_1) | instskip(NEXT) | instid1(VALU_DEP_1)
	v_add_f32_e32 v51, v52, v49
	v_mul_f32_e32 v53, v51, v51
	s_delay_alu instid0(VALU_DEP_1) | instskip(SKIP_1) | instid1(VALU_DEP_2)
	v_fmaak_f32 v54, s73, v53, 0x3ecc95a3
	v_mul_f32_e32 v55, v51, v53
	v_fmaak_f32 v53, v53, v54, 0x3f2aaada
	v_ldexp_f32 v54, v51, 1
	s_delay_alu instid0(VALU_DEP_2) | instskip(SKIP_1) | instid1(VALU_DEP_2)
	v_mul_f32_e32 v53, v55, v53
	v_sub_f32_e32 v51, v51, v52
	v_dual_mul_f32 v55, 0x3f317218, v48 :: v_dual_add_f32 v52, v54, v53
	s_delay_alu instid0(VALU_DEP_2) | instskip(NEXT) | instid1(VALU_DEP_2)
	v_sub_f32_e32 v49, v49, v51
	v_sub_f32_e32 v51, v52, v54
	s_delay_alu instid0(VALU_DEP_3) | instskip(NEXT) | instid1(VALU_DEP_3)
	v_fma_f32 v54, 0x3f317218, v48, -v55
	v_ldexp_f32 v49, v49, 1
	s_delay_alu instid0(VALU_DEP_2) | instskip(NEXT) | instid1(VALU_DEP_1)
	v_dual_sub_f32 v51, v53, v51 :: v_dual_fmac_f32 v54, 0xb102e308, v48
	v_dual_add_f32 v48, v49, v51 :: v_dual_add_f32 v49, v55, v54
	s_delay_alu instid0(VALU_DEP_1) | instskip(NEXT) | instid1(VALU_DEP_1)
	v_add_f32_e32 v51, v52, v48
	v_dual_add_f32 v53, v49, v51 :: v_dual_sub_f32 v52, v51, v52
	s_delay_alu instid0(VALU_DEP_1) | instskip(NEXT) | instid1(VALU_DEP_2)
	v_sub_f32_e32 v56, v53, v49
	v_dual_sub_f32 v55, v49, v55 :: v_dual_sub_f32 v48, v48, v52
	s_delay_alu instid0(VALU_DEP_1) | instskip(SKIP_1) | instid1(VALU_DEP_2)
	v_dual_sub_f32 v57, v53, v56 :: v_dual_sub_f32 v54, v54, v55
	v_sub_f32_e32 v51, v51, v56
	v_dual_sub_f32 v49, v49, v57 :: v_dual_add_f32 v52, v54, v48
	s_delay_alu instid0(VALU_DEP_1) | instskip(NEXT) | instid1(VALU_DEP_2)
	v_add_f32_e32 v49, v51, v49
	v_sub_f32_e32 v51, v52, v54
	s_delay_alu instid0(VALU_DEP_2) | instskip(NEXT) | instid1(VALU_DEP_2)
	v_add_f32_e32 v49, v52, v49
	v_sub_f32_e32 v52, v52, v51
	s_delay_alu instid0(VALU_DEP_2) | instskip(NEXT) | instid1(VALU_DEP_1)
	v_dual_sub_f32 v48, v48, v51 :: v_dual_add_f32 v55, v53, v49
	v_dual_sub_f32 v52, v54, v52 :: v_dual_sub_f32 v51, v55, v53
	s_delay_alu instid0(VALU_DEP_1) | instskip(NEXT) | instid1(VALU_DEP_1)
	v_dual_add_f32 v48, v48, v52 :: v_dual_sub_f32 v49, v49, v51
	v_add_f32_e32 v48, v48, v49
	s_delay_alu instid0(VALU_DEP_1) | instskip(NEXT) | instid1(VALU_DEP_1)
	v_add_f32_e32 v48, v55, v48
	v_cndmask_b32_e32 v138, v48, v50, vcc_lo
.LBB153_30:                             ;   in Loop: Header=BB153_12 Depth=1
	s_or_b32 exec_lo, exec_lo, s18
	s_waitcnt lgkmcnt(2)
	v_add_f32_e32 v139, s58, v16
	s_delay_alu instid0(VALU_DEP_1) | instskip(SKIP_1) | instid1(SALU_CYCLE_1)
	v_cmp_ge_f32_e32 vcc_lo, 0x41a00000, v139
	s_and_b32 s14, s69, vcc_lo
	s_and_saveexec_b32 s18, s14
	s_cbranch_execz .LBB153_32
; %bb.31:                               ;   in Loop: Header=BB153_12 Depth=1
	v_mul_f32_e32 v48, 0x3fb8aa3b, v139
	v_cmp_ngt_f32_e32 vcc_lo, 0xc2ce8ed0, v139
	s_delay_alu instid0(VALU_DEP_2) | instskip(SKIP_1) | instid1(VALU_DEP_2)
	v_rndne_f32_e32 v49, v48
	v_fma_f32 v50, 0x3fb8aa3b, v139, -v48
	v_sub_f32_e32 v48, v48, v49
	s_delay_alu instid0(VALU_DEP_2) | instskip(SKIP_1) | instid1(VALU_DEP_2)
	v_fmac_f32_e32 v50, 0x32a5705f, v139
	v_cvt_i32_f32_e32 v49, v49
	v_add_f32_e32 v48, v48, v50
	s_delay_alu instid0(VALU_DEP_1) | instskip(SKIP_2) | instid1(VALU_DEP_1)
	v_exp_f32_e32 v48, v48
	s_waitcnt_depctr 0xfff
	v_ldexp_f32 v48, v48, v49
	v_cndmask_b32_e32 v48, 0, v48, vcc_lo
	v_cmp_nlt_f32_e32 vcc_lo, 0x42b17218, v139
	s_delay_alu instid0(VALU_DEP_2) | instskip(NEXT) | instid1(VALU_DEP_1)
	v_cndmask_b32_e32 v50, 0x7f800000, v48, vcc_lo
	v_add_f32_e32 v51, 1.0, v50
	s_delay_alu instid0(VALU_DEP_1) | instskip(NEXT) | instid1(VALU_DEP_1)
	v_cvt_f64_f32_e32 v[48:49], v51
	v_frexp_exp_i32_f64_e32 v48, v[48:49]
	v_frexp_mant_f32_e32 v49, v51
	s_delay_alu instid0(VALU_DEP_1) | instskip(SKIP_1) | instid1(VALU_DEP_1)
	v_cmp_gt_f32_e32 vcc_lo, 0x3f2aaaab, v49
	v_add_f32_e32 v49, -1.0, v51
	v_sub_f32_e32 v53, v49, v51
	v_sub_f32_e32 v49, v50, v49
	s_delay_alu instid0(VALU_DEP_2) | instskip(NEXT) | instid1(VALU_DEP_1)
	v_add_f32_e32 v53, 1.0, v53
	v_add_f32_e32 v49, v49, v53
	v_cmp_gt_f32_e64 s14, 0x33800000, v50
	v_subrev_co_ci_u32_e32 v48, vcc_lo, 0, v48, vcc_lo
	v_cmp_eq_f32_e32 vcc_lo, 0x7f800000, v50
	s_delay_alu instid0(VALU_DEP_2) | instskip(SKIP_2) | instid1(VALU_DEP_2)
	v_sub_nc_u32_e32 v52, 0, v48
	v_cvt_f32_i32_e32 v48, v48
	s_or_b32 vcc_lo, s14, vcc_lo
	v_ldexp_f32 v51, v51, v52
	v_ldexp_f32 v49, v49, v52
	s_delay_alu instid0(VALU_DEP_2) | instskip(NEXT) | instid1(VALU_DEP_1)
	v_add_f32_e32 v54, 1.0, v51
	v_dual_add_f32 v52, -1.0, v51 :: v_dual_add_f32 v53, -1.0, v54
	s_delay_alu instid0(VALU_DEP_1) | instskip(NEXT) | instid1(VALU_DEP_2)
	v_add_f32_e32 v55, 1.0, v52
	v_sub_f32_e32 v53, v51, v53
	s_delay_alu instid0(VALU_DEP_2) | instskip(NEXT) | instid1(VALU_DEP_2)
	v_sub_f32_e32 v51, v51, v55
	v_add_f32_e32 v53, v49, v53
	s_delay_alu instid0(VALU_DEP_2) | instskip(NEXT) | instid1(VALU_DEP_1)
	v_add_f32_e32 v49, v49, v51
	v_add_f32_e32 v56, v52, v49
	s_delay_alu instid0(VALU_DEP_1) | instskip(NEXT) | instid1(VALU_DEP_1)
	v_dual_add_f32 v55, v54, v53 :: v_dual_sub_f32 v52, v52, v56
	v_rcp_f32_e32 v51, v55
	v_sub_f32_e32 v54, v54, v55
	s_delay_alu instid0(VALU_DEP_1) | instskip(SKIP_2) | instid1(VALU_DEP_1)
	v_add_f32_e32 v53, v53, v54
	s_waitcnt_depctr 0xfff
	v_mul_f32_e32 v57, v56, v51
	v_mul_f32_e32 v58, v55, v57
	s_delay_alu instid0(VALU_DEP_1) | instskip(NEXT) | instid1(VALU_DEP_1)
	v_fma_f32 v54, v57, v55, -v58
	v_fmac_f32_e32 v54, v57, v53
	s_delay_alu instid0(VALU_DEP_1) | instskip(NEXT) | instid1(VALU_DEP_1)
	v_add_f32_e32 v59, v58, v54
	v_sub_f32_e32 v60, v56, v59
	s_delay_alu instid0(VALU_DEP_1) | instskip(SKIP_1) | instid1(VALU_DEP_2)
	v_sub_f32_e32 v56, v56, v60
	v_dual_add_f32 v49, v49, v52 :: v_dual_sub_f32 v52, v59, v58
	v_sub_f32_e32 v56, v56, v59
	s_delay_alu instid0(VALU_DEP_1) | instskip(NEXT) | instid1(VALU_DEP_1)
	v_dual_sub_f32 v52, v52, v54 :: v_dual_add_f32 v49, v49, v56
	v_add_f32_e32 v49, v52, v49
	s_delay_alu instid0(VALU_DEP_1) | instskip(NEXT) | instid1(VALU_DEP_1)
	v_add_f32_e32 v52, v60, v49
	v_mul_f32_e32 v54, v51, v52
	s_delay_alu instid0(VALU_DEP_1) | instskip(NEXT) | instid1(VALU_DEP_1)
	v_dual_sub_f32 v59, v60, v52 :: v_dual_mul_f32 v56, v55, v54
	v_add_f32_e32 v49, v49, v59
	s_delay_alu instid0(VALU_DEP_2) | instskip(NEXT) | instid1(VALU_DEP_1)
	v_fma_f32 v55, v54, v55, -v56
	v_fmac_f32_e32 v55, v54, v53
	s_delay_alu instid0(VALU_DEP_1) | instskip(NEXT) | instid1(VALU_DEP_1)
	v_add_f32_e32 v53, v56, v55
	v_sub_f32_e32 v58, v52, v53
	s_delay_alu instid0(VALU_DEP_1) | instskip(NEXT) | instid1(VALU_DEP_1)
	v_sub_f32_e32 v52, v52, v58
	v_sub_f32_e32 v52, v52, v53
	s_delay_alu instid0(VALU_DEP_1) | instskip(SKIP_2) | instid1(VALU_DEP_1)
	v_add_f32_e32 v49, v49, v52
	v_add_f32_e32 v52, v57, v54
	v_sub_f32_e32 v56, v53, v56
	v_sub_f32_e32 v53, v56, v55
	s_delay_alu instid0(VALU_DEP_1) | instskip(NEXT) | instid1(VALU_DEP_4)
	v_add_f32_e32 v49, v53, v49
	v_sub_f32_e32 v53, v52, v57
	s_delay_alu instid0(VALU_DEP_2) | instskip(NEXT) | instid1(VALU_DEP_2)
	v_add_f32_e32 v49, v58, v49
	v_sub_f32_e32 v53, v54, v53
	s_delay_alu instid0(VALU_DEP_2) | instskip(NEXT) | instid1(VALU_DEP_1)
	v_mul_f32_e32 v49, v51, v49
	v_add_f32_e32 v49, v53, v49
	s_delay_alu instid0(VALU_DEP_1) | instskip(NEXT) | instid1(VALU_DEP_1)
	v_add_f32_e32 v51, v52, v49
	v_mul_f32_e32 v53, v51, v51
	s_delay_alu instid0(VALU_DEP_1) | instskip(SKIP_1) | instid1(VALU_DEP_2)
	v_fmaak_f32 v54, s73, v53, 0x3ecc95a3
	v_mul_f32_e32 v55, v51, v53
	v_fmaak_f32 v53, v53, v54, 0x3f2aaada
	v_ldexp_f32 v54, v51, 1
	s_delay_alu instid0(VALU_DEP_2) | instskip(SKIP_1) | instid1(VALU_DEP_2)
	v_mul_f32_e32 v53, v55, v53
	v_sub_f32_e32 v51, v51, v52
	v_dual_mul_f32 v55, 0x3f317218, v48 :: v_dual_add_f32 v52, v54, v53
	s_delay_alu instid0(VALU_DEP_2) | instskip(NEXT) | instid1(VALU_DEP_2)
	v_sub_f32_e32 v49, v49, v51
	v_sub_f32_e32 v51, v52, v54
	s_delay_alu instid0(VALU_DEP_3) | instskip(NEXT) | instid1(VALU_DEP_3)
	v_fma_f32 v54, 0x3f317218, v48, -v55
	v_ldexp_f32 v49, v49, 1
	s_delay_alu instid0(VALU_DEP_2) | instskip(NEXT) | instid1(VALU_DEP_1)
	v_dual_sub_f32 v51, v53, v51 :: v_dual_fmac_f32 v54, 0xb102e308, v48
	v_dual_add_f32 v48, v49, v51 :: v_dual_add_f32 v49, v55, v54
	s_delay_alu instid0(VALU_DEP_1) | instskip(NEXT) | instid1(VALU_DEP_1)
	v_add_f32_e32 v51, v52, v48
	v_dual_add_f32 v53, v49, v51 :: v_dual_sub_f32 v52, v51, v52
	s_delay_alu instid0(VALU_DEP_1) | instskip(NEXT) | instid1(VALU_DEP_2)
	v_sub_f32_e32 v56, v53, v49
	v_dual_sub_f32 v55, v49, v55 :: v_dual_sub_f32 v48, v48, v52
	s_delay_alu instid0(VALU_DEP_1) | instskip(SKIP_1) | instid1(VALU_DEP_2)
	v_dual_sub_f32 v57, v53, v56 :: v_dual_sub_f32 v54, v54, v55
	v_sub_f32_e32 v51, v51, v56
	v_dual_sub_f32 v49, v49, v57 :: v_dual_add_f32 v52, v54, v48
	s_delay_alu instid0(VALU_DEP_1) | instskip(NEXT) | instid1(VALU_DEP_2)
	v_add_f32_e32 v49, v51, v49
	v_sub_f32_e32 v51, v52, v54
	s_delay_alu instid0(VALU_DEP_2) | instskip(NEXT) | instid1(VALU_DEP_2)
	v_add_f32_e32 v49, v52, v49
	v_sub_f32_e32 v52, v52, v51
	s_delay_alu instid0(VALU_DEP_2) | instskip(NEXT) | instid1(VALU_DEP_1)
	v_dual_sub_f32 v48, v48, v51 :: v_dual_add_f32 v55, v53, v49
	v_dual_sub_f32 v52, v54, v52 :: v_dual_sub_f32 v51, v55, v53
	s_delay_alu instid0(VALU_DEP_1) | instskip(NEXT) | instid1(VALU_DEP_1)
	v_dual_add_f32 v48, v48, v52 :: v_dual_sub_f32 v49, v49, v51
	v_add_f32_e32 v48, v48, v49
	s_delay_alu instid0(VALU_DEP_1) | instskip(NEXT) | instid1(VALU_DEP_1)
	v_add_f32_e32 v48, v55, v48
	v_cndmask_b32_e32 v139, v48, v50, vcc_lo
.LBB153_32:                             ;   in Loop: Header=BB153_12 Depth=1
	s_or_b32 exec_lo, exec_lo, s18
	v_add_f32_e32 v140, s58, v17
	s_delay_alu instid0(VALU_DEP_1) | instskip(SKIP_1) | instid1(SALU_CYCLE_1)
	v_cmp_ge_f32_e32 vcc_lo, 0x41a00000, v140
	s_and_b32 s14, s69, vcc_lo
	s_and_saveexec_b32 s18, s14
	s_cbranch_execz .LBB153_34
; %bb.33:                               ;   in Loop: Header=BB153_12 Depth=1
	v_mul_f32_e32 v48, 0x3fb8aa3b, v140
	v_cmp_ngt_f32_e32 vcc_lo, 0xc2ce8ed0, v140
	s_delay_alu instid0(VALU_DEP_2) | instskip(SKIP_1) | instid1(VALU_DEP_2)
	v_rndne_f32_e32 v49, v48
	v_fma_f32 v50, 0x3fb8aa3b, v140, -v48
	v_sub_f32_e32 v48, v48, v49
	s_delay_alu instid0(VALU_DEP_2) | instskip(SKIP_1) | instid1(VALU_DEP_2)
	v_fmac_f32_e32 v50, 0x32a5705f, v140
	v_cvt_i32_f32_e32 v49, v49
	v_add_f32_e32 v48, v48, v50
	s_delay_alu instid0(VALU_DEP_1) | instskip(SKIP_2) | instid1(VALU_DEP_1)
	v_exp_f32_e32 v48, v48
	s_waitcnt_depctr 0xfff
	v_ldexp_f32 v48, v48, v49
	v_cndmask_b32_e32 v48, 0, v48, vcc_lo
	v_cmp_nlt_f32_e32 vcc_lo, 0x42b17218, v140
	s_delay_alu instid0(VALU_DEP_2) | instskip(NEXT) | instid1(VALU_DEP_1)
	v_cndmask_b32_e32 v50, 0x7f800000, v48, vcc_lo
	v_add_f32_e32 v51, 1.0, v50
	s_delay_alu instid0(VALU_DEP_1) | instskip(NEXT) | instid1(VALU_DEP_1)
	v_cvt_f64_f32_e32 v[48:49], v51
	v_frexp_exp_i32_f64_e32 v48, v[48:49]
	v_frexp_mant_f32_e32 v49, v51
	s_delay_alu instid0(VALU_DEP_1) | instskip(SKIP_1) | instid1(VALU_DEP_1)
	v_cmp_gt_f32_e32 vcc_lo, 0x3f2aaaab, v49
	v_add_f32_e32 v49, -1.0, v51
	v_sub_f32_e32 v53, v49, v51
	v_sub_f32_e32 v49, v50, v49
	s_delay_alu instid0(VALU_DEP_2) | instskip(NEXT) | instid1(VALU_DEP_1)
	v_add_f32_e32 v53, 1.0, v53
	v_add_f32_e32 v49, v49, v53
	v_cmp_gt_f32_e64 s14, 0x33800000, v50
	v_subrev_co_ci_u32_e32 v48, vcc_lo, 0, v48, vcc_lo
	v_cmp_eq_f32_e32 vcc_lo, 0x7f800000, v50
	s_delay_alu instid0(VALU_DEP_2) | instskip(SKIP_2) | instid1(VALU_DEP_2)
	v_sub_nc_u32_e32 v52, 0, v48
	v_cvt_f32_i32_e32 v48, v48
	s_or_b32 vcc_lo, s14, vcc_lo
	v_ldexp_f32 v51, v51, v52
	v_ldexp_f32 v49, v49, v52
	s_delay_alu instid0(VALU_DEP_2) | instskip(NEXT) | instid1(VALU_DEP_1)
	v_add_f32_e32 v54, 1.0, v51
	v_dual_add_f32 v52, -1.0, v51 :: v_dual_add_f32 v53, -1.0, v54
	s_delay_alu instid0(VALU_DEP_1) | instskip(NEXT) | instid1(VALU_DEP_2)
	v_add_f32_e32 v55, 1.0, v52
	v_sub_f32_e32 v53, v51, v53
	s_delay_alu instid0(VALU_DEP_2) | instskip(NEXT) | instid1(VALU_DEP_2)
	v_sub_f32_e32 v51, v51, v55
	v_add_f32_e32 v53, v49, v53
	s_delay_alu instid0(VALU_DEP_2) | instskip(NEXT) | instid1(VALU_DEP_1)
	v_add_f32_e32 v49, v49, v51
	v_add_f32_e32 v56, v52, v49
	s_delay_alu instid0(VALU_DEP_1) | instskip(NEXT) | instid1(VALU_DEP_1)
	v_dual_add_f32 v55, v54, v53 :: v_dual_sub_f32 v52, v52, v56
	v_rcp_f32_e32 v51, v55
	v_sub_f32_e32 v54, v54, v55
	s_delay_alu instid0(VALU_DEP_1) | instskip(SKIP_2) | instid1(VALU_DEP_1)
	v_add_f32_e32 v53, v53, v54
	s_waitcnt_depctr 0xfff
	v_mul_f32_e32 v57, v56, v51
	v_mul_f32_e32 v58, v55, v57
	s_delay_alu instid0(VALU_DEP_1) | instskip(NEXT) | instid1(VALU_DEP_1)
	v_fma_f32 v54, v57, v55, -v58
	v_fmac_f32_e32 v54, v57, v53
	s_delay_alu instid0(VALU_DEP_1) | instskip(NEXT) | instid1(VALU_DEP_1)
	v_add_f32_e32 v59, v58, v54
	v_sub_f32_e32 v60, v56, v59
	s_delay_alu instid0(VALU_DEP_1) | instskip(SKIP_1) | instid1(VALU_DEP_2)
	v_sub_f32_e32 v56, v56, v60
	v_dual_add_f32 v49, v49, v52 :: v_dual_sub_f32 v52, v59, v58
	v_sub_f32_e32 v56, v56, v59
	s_delay_alu instid0(VALU_DEP_1) | instskip(NEXT) | instid1(VALU_DEP_1)
	v_dual_sub_f32 v52, v52, v54 :: v_dual_add_f32 v49, v49, v56
	v_add_f32_e32 v49, v52, v49
	s_delay_alu instid0(VALU_DEP_1) | instskip(NEXT) | instid1(VALU_DEP_1)
	v_add_f32_e32 v52, v60, v49
	v_mul_f32_e32 v54, v51, v52
	s_delay_alu instid0(VALU_DEP_1) | instskip(NEXT) | instid1(VALU_DEP_1)
	v_dual_sub_f32 v59, v60, v52 :: v_dual_mul_f32 v56, v55, v54
	v_add_f32_e32 v49, v49, v59
	s_delay_alu instid0(VALU_DEP_2) | instskip(NEXT) | instid1(VALU_DEP_1)
	v_fma_f32 v55, v54, v55, -v56
	v_fmac_f32_e32 v55, v54, v53
	s_delay_alu instid0(VALU_DEP_1) | instskip(NEXT) | instid1(VALU_DEP_1)
	v_add_f32_e32 v53, v56, v55
	v_sub_f32_e32 v58, v52, v53
	s_delay_alu instid0(VALU_DEP_1) | instskip(NEXT) | instid1(VALU_DEP_1)
	v_sub_f32_e32 v52, v52, v58
	v_sub_f32_e32 v52, v52, v53
	s_delay_alu instid0(VALU_DEP_1) | instskip(SKIP_2) | instid1(VALU_DEP_1)
	v_add_f32_e32 v49, v49, v52
	v_add_f32_e32 v52, v57, v54
	v_sub_f32_e32 v56, v53, v56
	v_sub_f32_e32 v53, v56, v55
	s_delay_alu instid0(VALU_DEP_1) | instskip(NEXT) | instid1(VALU_DEP_4)
	v_add_f32_e32 v49, v53, v49
	v_sub_f32_e32 v53, v52, v57
	s_delay_alu instid0(VALU_DEP_2) | instskip(NEXT) | instid1(VALU_DEP_2)
	v_add_f32_e32 v49, v58, v49
	v_sub_f32_e32 v53, v54, v53
	s_delay_alu instid0(VALU_DEP_2) | instskip(NEXT) | instid1(VALU_DEP_1)
	v_mul_f32_e32 v49, v51, v49
	v_add_f32_e32 v49, v53, v49
	s_delay_alu instid0(VALU_DEP_1) | instskip(NEXT) | instid1(VALU_DEP_1)
	v_add_f32_e32 v51, v52, v49
	v_mul_f32_e32 v53, v51, v51
	s_delay_alu instid0(VALU_DEP_1) | instskip(SKIP_1) | instid1(VALU_DEP_2)
	v_fmaak_f32 v54, s73, v53, 0x3ecc95a3
	v_mul_f32_e32 v55, v51, v53
	v_fmaak_f32 v53, v53, v54, 0x3f2aaada
	v_ldexp_f32 v54, v51, 1
	s_delay_alu instid0(VALU_DEP_2) | instskip(SKIP_1) | instid1(VALU_DEP_2)
	v_mul_f32_e32 v53, v55, v53
	v_sub_f32_e32 v51, v51, v52
	v_dual_mul_f32 v55, 0x3f317218, v48 :: v_dual_add_f32 v52, v54, v53
	s_delay_alu instid0(VALU_DEP_2) | instskip(NEXT) | instid1(VALU_DEP_2)
	v_sub_f32_e32 v49, v49, v51
	v_sub_f32_e32 v51, v52, v54
	s_delay_alu instid0(VALU_DEP_3) | instskip(NEXT) | instid1(VALU_DEP_3)
	v_fma_f32 v54, 0x3f317218, v48, -v55
	v_ldexp_f32 v49, v49, 1
	s_delay_alu instid0(VALU_DEP_2) | instskip(NEXT) | instid1(VALU_DEP_1)
	v_dual_sub_f32 v51, v53, v51 :: v_dual_fmac_f32 v54, 0xb102e308, v48
	v_dual_add_f32 v48, v49, v51 :: v_dual_add_f32 v49, v55, v54
	s_delay_alu instid0(VALU_DEP_1) | instskip(NEXT) | instid1(VALU_DEP_1)
	v_add_f32_e32 v51, v52, v48
	v_dual_add_f32 v53, v49, v51 :: v_dual_sub_f32 v52, v51, v52
	s_delay_alu instid0(VALU_DEP_1) | instskip(NEXT) | instid1(VALU_DEP_2)
	v_sub_f32_e32 v56, v53, v49
	v_dual_sub_f32 v55, v49, v55 :: v_dual_sub_f32 v48, v48, v52
	s_delay_alu instid0(VALU_DEP_1) | instskip(SKIP_1) | instid1(VALU_DEP_2)
	v_dual_sub_f32 v57, v53, v56 :: v_dual_sub_f32 v54, v54, v55
	v_sub_f32_e32 v51, v51, v56
	v_dual_sub_f32 v49, v49, v57 :: v_dual_add_f32 v52, v54, v48
	s_delay_alu instid0(VALU_DEP_1) | instskip(NEXT) | instid1(VALU_DEP_2)
	v_add_f32_e32 v49, v51, v49
	v_sub_f32_e32 v51, v52, v54
	s_delay_alu instid0(VALU_DEP_2) | instskip(NEXT) | instid1(VALU_DEP_2)
	v_add_f32_e32 v49, v52, v49
	v_sub_f32_e32 v52, v52, v51
	s_delay_alu instid0(VALU_DEP_2) | instskip(NEXT) | instid1(VALU_DEP_1)
	v_dual_sub_f32 v48, v48, v51 :: v_dual_add_f32 v55, v53, v49
	v_dual_sub_f32 v52, v54, v52 :: v_dual_sub_f32 v51, v55, v53
	s_delay_alu instid0(VALU_DEP_1) | instskip(NEXT) | instid1(VALU_DEP_1)
	v_dual_add_f32 v48, v48, v52 :: v_dual_sub_f32 v49, v49, v51
	v_add_f32_e32 v48, v48, v49
	s_delay_alu instid0(VALU_DEP_1) | instskip(NEXT) | instid1(VALU_DEP_1)
	v_add_f32_e32 v48, v55, v48
	v_cndmask_b32_e32 v140, v48, v50, vcc_lo
.LBB153_34:                             ;   in Loop: Header=BB153_12 Depth=1
	s_or_b32 exec_lo, exec_lo, s18
	v_add_f32_e32 v141, s58, v18
	s_delay_alu instid0(VALU_DEP_1) | instskip(SKIP_1) | instid1(SALU_CYCLE_1)
	v_cmp_ge_f32_e32 vcc_lo, 0x41a00000, v141
	s_and_b32 s14, s69, vcc_lo
	s_and_saveexec_b32 s18, s14
	s_cbranch_execz .LBB153_36
; %bb.35:                               ;   in Loop: Header=BB153_12 Depth=1
	v_mul_f32_e32 v48, 0x3fb8aa3b, v141
	v_cmp_ngt_f32_e32 vcc_lo, 0xc2ce8ed0, v141
	s_delay_alu instid0(VALU_DEP_2) | instskip(SKIP_1) | instid1(VALU_DEP_2)
	v_rndne_f32_e32 v49, v48
	v_fma_f32 v50, 0x3fb8aa3b, v141, -v48
	v_sub_f32_e32 v48, v48, v49
	s_delay_alu instid0(VALU_DEP_2) | instskip(SKIP_1) | instid1(VALU_DEP_2)
	v_fmac_f32_e32 v50, 0x32a5705f, v141
	v_cvt_i32_f32_e32 v49, v49
	v_add_f32_e32 v48, v48, v50
	s_delay_alu instid0(VALU_DEP_1) | instskip(SKIP_2) | instid1(VALU_DEP_1)
	v_exp_f32_e32 v48, v48
	s_waitcnt_depctr 0xfff
	v_ldexp_f32 v48, v48, v49
	v_cndmask_b32_e32 v48, 0, v48, vcc_lo
	v_cmp_nlt_f32_e32 vcc_lo, 0x42b17218, v141
	s_delay_alu instid0(VALU_DEP_2) | instskip(NEXT) | instid1(VALU_DEP_1)
	v_cndmask_b32_e32 v50, 0x7f800000, v48, vcc_lo
	v_add_f32_e32 v51, 1.0, v50
	s_delay_alu instid0(VALU_DEP_1) | instskip(NEXT) | instid1(VALU_DEP_1)
	v_cvt_f64_f32_e32 v[48:49], v51
	v_frexp_exp_i32_f64_e32 v48, v[48:49]
	v_frexp_mant_f32_e32 v49, v51
	s_delay_alu instid0(VALU_DEP_1) | instskip(SKIP_1) | instid1(VALU_DEP_1)
	v_cmp_gt_f32_e32 vcc_lo, 0x3f2aaaab, v49
	v_add_f32_e32 v49, -1.0, v51
	v_sub_f32_e32 v53, v49, v51
	v_sub_f32_e32 v49, v50, v49
	s_delay_alu instid0(VALU_DEP_2) | instskip(NEXT) | instid1(VALU_DEP_1)
	v_add_f32_e32 v53, 1.0, v53
	v_add_f32_e32 v49, v49, v53
	v_cmp_gt_f32_e64 s14, 0x33800000, v50
	v_subrev_co_ci_u32_e32 v48, vcc_lo, 0, v48, vcc_lo
	v_cmp_eq_f32_e32 vcc_lo, 0x7f800000, v50
	s_delay_alu instid0(VALU_DEP_2) | instskip(SKIP_2) | instid1(VALU_DEP_2)
	v_sub_nc_u32_e32 v52, 0, v48
	v_cvt_f32_i32_e32 v48, v48
	s_or_b32 vcc_lo, s14, vcc_lo
	v_ldexp_f32 v51, v51, v52
	v_ldexp_f32 v49, v49, v52
	s_delay_alu instid0(VALU_DEP_2) | instskip(NEXT) | instid1(VALU_DEP_1)
	v_add_f32_e32 v54, 1.0, v51
	v_dual_add_f32 v52, -1.0, v51 :: v_dual_add_f32 v53, -1.0, v54
	s_delay_alu instid0(VALU_DEP_1) | instskip(NEXT) | instid1(VALU_DEP_2)
	v_add_f32_e32 v55, 1.0, v52
	v_sub_f32_e32 v53, v51, v53
	s_delay_alu instid0(VALU_DEP_2) | instskip(NEXT) | instid1(VALU_DEP_2)
	v_sub_f32_e32 v51, v51, v55
	v_add_f32_e32 v53, v49, v53
	s_delay_alu instid0(VALU_DEP_2) | instskip(NEXT) | instid1(VALU_DEP_1)
	v_add_f32_e32 v49, v49, v51
	v_add_f32_e32 v56, v52, v49
	s_delay_alu instid0(VALU_DEP_1) | instskip(NEXT) | instid1(VALU_DEP_1)
	v_dual_add_f32 v55, v54, v53 :: v_dual_sub_f32 v52, v52, v56
	v_rcp_f32_e32 v51, v55
	v_sub_f32_e32 v54, v54, v55
	s_delay_alu instid0(VALU_DEP_1) | instskip(SKIP_2) | instid1(VALU_DEP_1)
	v_add_f32_e32 v53, v53, v54
	s_waitcnt_depctr 0xfff
	v_mul_f32_e32 v57, v56, v51
	v_mul_f32_e32 v58, v55, v57
	s_delay_alu instid0(VALU_DEP_1) | instskip(NEXT) | instid1(VALU_DEP_1)
	v_fma_f32 v54, v57, v55, -v58
	v_fmac_f32_e32 v54, v57, v53
	s_delay_alu instid0(VALU_DEP_1) | instskip(NEXT) | instid1(VALU_DEP_1)
	v_add_f32_e32 v59, v58, v54
	v_sub_f32_e32 v60, v56, v59
	s_delay_alu instid0(VALU_DEP_1) | instskip(SKIP_1) | instid1(VALU_DEP_2)
	v_sub_f32_e32 v56, v56, v60
	v_dual_add_f32 v49, v49, v52 :: v_dual_sub_f32 v52, v59, v58
	v_sub_f32_e32 v56, v56, v59
	s_delay_alu instid0(VALU_DEP_1) | instskip(NEXT) | instid1(VALU_DEP_1)
	v_dual_sub_f32 v52, v52, v54 :: v_dual_add_f32 v49, v49, v56
	v_add_f32_e32 v49, v52, v49
	s_delay_alu instid0(VALU_DEP_1) | instskip(NEXT) | instid1(VALU_DEP_1)
	v_add_f32_e32 v52, v60, v49
	v_mul_f32_e32 v54, v51, v52
	s_delay_alu instid0(VALU_DEP_1) | instskip(NEXT) | instid1(VALU_DEP_1)
	v_dual_sub_f32 v59, v60, v52 :: v_dual_mul_f32 v56, v55, v54
	v_add_f32_e32 v49, v49, v59
	s_delay_alu instid0(VALU_DEP_2) | instskip(NEXT) | instid1(VALU_DEP_1)
	v_fma_f32 v55, v54, v55, -v56
	v_fmac_f32_e32 v55, v54, v53
	s_delay_alu instid0(VALU_DEP_1) | instskip(NEXT) | instid1(VALU_DEP_1)
	v_add_f32_e32 v53, v56, v55
	v_sub_f32_e32 v58, v52, v53
	s_delay_alu instid0(VALU_DEP_1) | instskip(NEXT) | instid1(VALU_DEP_1)
	v_sub_f32_e32 v52, v52, v58
	v_sub_f32_e32 v52, v52, v53
	s_delay_alu instid0(VALU_DEP_1) | instskip(SKIP_2) | instid1(VALU_DEP_1)
	v_add_f32_e32 v49, v49, v52
	v_add_f32_e32 v52, v57, v54
	v_sub_f32_e32 v56, v53, v56
	v_sub_f32_e32 v53, v56, v55
	s_delay_alu instid0(VALU_DEP_1) | instskip(NEXT) | instid1(VALU_DEP_4)
	v_add_f32_e32 v49, v53, v49
	v_sub_f32_e32 v53, v52, v57
	s_delay_alu instid0(VALU_DEP_2) | instskip(NEXT) | instid1(VALU_DEP_2)
	v_add_f32_e32 v49, v58, v49
	v_sub_f32_e32 v53, v54, v53
	s_delay_alu instid0(VALU_DEP_2) | instskip(NEXT) | instid1(VALU_DEP_1)
	v_mul_f32_e32 v49, v51, v49
	v_add_f32_e32 v49, v53, v49
	s_delay_alu instid0(VALU_DEP_1) | instskip(NEXT) | instid1(VALU_DEP_1)
	v_add_f32_e32 v51, v52, v49
	v_mul_f32_e32 v53, v51, v51
	s_delay_alu instid0(VALU_DEP_1) | instskip(SKIP_1) | instid1(VALU_DEP_2)
	v_fmaak_f32 v54, s73, v53, 0x3ecc95a3
	v_mul_f32_e32 v55, v51, v53
	v_fmaak_f32 v53, v53, v54, 0x3f2aaada
	v_ldexp_f32 v54, v51, 1
	s_delay_alu instid0(VALU_DEP_2) | instskip(SKIP_1) | instid1(VALU_DEP_2)
	v_mul_f32_e32 v53, v55, v53
	v_sub_f32_e32 v51, v51, v52
	v_dual_mul_f32 v55, 0x3f317218, v48 :: v_dual_add_f32 v52, v54, v53
	s_delay_alu instid0(VALU_DEP_2) | instskip(NEXT) | instid1(VALU_DEP_2)
	v_sub_f32_e32 v49, v49, v51
	v_sub_f32_e32 v51, v52, v54
	s_delay_alu instid0(VALU_DEP_3) | instskip(NEXT) | instid1(VALU_DEP_3)
	v_fma_f32 v54, 0x3f317218, v48, -v55
	v_ldexp_f32 v49, v49, 1
	s_delay_alu instid0(VALU_DEP_2) | instskip(NEXT) | instid1(VALU_DEP_1)
	v_dual_sub_f32 v51, v53, v51 :: v_dual_fmac_f32 v54, 0xb102e308, v48
	v_dual_add_f32 v48, v49, v51 :: v_dual_add_f32 v49, v55, v54
	s_delay_alu instid0(VALU_DEP_1) | instskip(NEXT) | instid1(VALU_DEP_1)
	v_add_f32_e32 v51, v52, v48
	v_dual_add_f32 v53, v49, v51 :: v_dual_sub_f32 v52, v51, v52
	s_delay_alu instid0(VALU_DEP_1) | instskip(NEXT) | instid1(VALU_DEP_2)
	v_sub_f32_e32 v56, v53, v49
	v_dual_sub_f32 v55, v49, v55 :: v_dual_sub_f32 v48, v48, v52
	s_delay_alu instid0(VALU_DEP_1) | instskip(SKIP_1) | instid1(VALU_DEP_2)
	v_dual_sub_f32 v57, v53, v56 :: v_dual_sub_f32 v54, v54, v55
	v_sub_f32_e32 v51, v51, v56
	v_dual_sub_f32 v49, v49, v57 :: v_dual_add_f32 v52, v54, v48
	s_delay_alu instid0(VALU_DEP_1) | instskip(NEXT) | instid1(VALU_DEP_2)
	v_add_f32_e32 v49, v51, v49
	v_sub_f32_e32 v51, v52, v54
	s_delay_alu instid0(VALU_DEP_2) | instskip(NEXT) | instid1(VALU_DEP_2)
	v_add_f32_e32 v49, v52, v49
	v_sub_f32_e32 v52, v52, v51
	s_delay_alu instid0(VALU_DEP_2) | instskip(NEXT) | instid1(VALU_DEP_1)
	v_dual_sub_f32 v48, v48, v51 :: v_dual_add_f32 v55, v53, v49
	v_dual_sub_f32 v52, v54, v52 :: v_dual_sub_f32 v51, v55, v53
	s_delay_alu instid0(VALU_DEP_1) | instskip(NEXT) | instid1(VALU_DEP_1)
	v_dual_add_f32 v48, v48, v52 :: v_dual_sub_f32 v49, v49, v51
	v_add_f32_e32 v48, v48, v49
	s_delay_alu instid0(VALU_DEP_1) | instskip(NEXT) | instid1(VALU_DEP_1)
	v_add_f32_e32 v48, v55, v48
	v_cndmask_b32_e32 v141, v48, v50, vcc_lo
.LBB153_36:                             ;   in Loop: Header=BB153_12 Depth=1
	s_or_b32 exec_lo, exec_lo, s18
	v_add_f32_e32 v142, s58, v19
	s_delay_alu instid0(VALU_DEP_1) | instskip(SKIP_1) | instid1(SALU_CYCLE_1)
	v_cmp_ge_f32_e32 vcc_lo, 0x41a00000, v142
	s_and_b32 s14, s69, vcc_lo
	s_and_saveexec_b32 s18, s14
	s_cbranch_execz .LBB153_38
; %bb.37:                               ;   in Loop: Header=BB153_12 Depth=1
	v_mul_f32_e32 v48, 0x3fb8aa3b, v142
	v_cmp_ngt_f32_e32 vcc_lo, 0xc2ce8ed0, v142
	s_delay_alu instid0(VALU_DEP_2) | instskip(SKIP_1) | instid1(VALU_DEP_2)
	v_rndne_f32_e32 v49, v48
	v_fma_f32 v50, 0x3fb8aa3b, v142, -v48
	v_sub_f32_e32 v48, v48, v49
	s_delay_alu instid0(VALU_DEP_2) | instskip(SKIP_1) | instid1(VALU_DEP_2)
	v_fmac_f32_e32 v50, 0x32a5705f, v142
	v_cvt_i32_f32_e32 v49, v49
	v_add_f32_e32 v48, v48, v50
	s_delay_alu instid0(VALU_DEP_1) | instskip(SKIP_2) | instid1(VALU_DEP_1)
	v_exp_f32_e32 v48, v48
	s_waitcnt_depctr 0xfff
	v_ldexp_f32 v48, v48, v49
	v_cndmask_b32_e32 v48, 0, v48, vcc_lo
	v_cmp_nlt_f32_e32 vcc_lo, 0x42b17218, v142
	s_delay_alu instid0(VALU_DEP_2) | instskip(NEXT) | instid1(VALU_DEP_1)
	v_cndmask_b32_e32 v50, 0x7f800000, v48, vcc_lo
	v_add_f32_e32 v51, 1.0, v50
	s_delay_alu instid0(VALU_DEP_1) | instskip(NEXT) | instid1(VALU_DEP_1)
	v_cvt_f64_f32_e32 v[48:49], v51
	v_frexp_exp_i32_f64_e32 v48, v[48:49]
	v_frexp_mant_f32_e32 v49, v51
	s_delay_alu instid0(VALU_DEP_1) | instskip(SKIP_1) | instid1(VALU_DEP_1)
	v_cmp_gt_f32_e32 vcc_lo, 0x3f2aaaab, v49
	v_add_f32_e32 v49, -1.0, v51
	v_sub_f32_e32 v53, v49, v51
	v_sub_f32_e32 v49, v50, v49
	s_delay_alu instid0(VALU_DEP_2) | instskip(NEXT) | instid1(VALU_DEP_1)
	v_add_f32_e32 v53, 1.0, v53
	v_add_f32_e32 v49, v49, v53
	v_cmp_gt_f32_e64 s14, 0x33800000, v50
	v_subrev_co_ci_u32_e32 v48, vcc_lo, 0, v48, vcc_lo
	v_cmp_eq_f32_e32 vcc_lo, 0x7f800000, v50
	s_delay_alu instid0(VALU_DEP_2) | instskip(SKIP_2) | instid1(VALU_DEP_2)
	v_sub_nc_u32_e32 v52, 0, v48
	v_cvt_f32_i32_e32 v48, v48
	s_or_b32 vcc_lo, s14, vcc_lo
	v_ldexp_f32 v51, v51, v52
	v_ldexp_f32 v49, v49, v52
	s_delay_alu instid0(VALU_DEP_2) | instskip(NEXT) | instid1(VALU_DEP_1)
	v_add_f32_e32 v54, 1.0, v51
	v_dual_add_f32 v52, -1.0, v51 :: v_dual_add_f32 v53, -1.0, v54
	s_delay_alu instid0(VALU_DEP_1) | instskip(NEXT) | instid1(VALU_DEP_2)
	v_add_f32_e32 v55, 1.0, v52
	v_sub_f32_e32 v53, v51, v53
	s_delay_alu instid0(VALU_DEP_2) | instskip(NEXT) | instid1(VALU_DEP_2)
	v_sub_f32_e32 v51, v51, v55
	v_add_f32_e32 v53, v49, v53
	s_delay_alu instid0(VALU_DEP_2) | instskip(NEXT) | instid1(VALU_DEP_1)
	v_add_f32_e32 v49, v49, v51
	v_add_f32_e32 v56, v52, v49
	s_delay_alu instid0(VALU_DEP_1) | instskip(NEXT) | instid1(VALU_DEP_1)
	v_dual_add_f32 v55, v54, v53 :: v_dual_sub_f32 v52, v52, v56
	v_rcp_f32_e32 v51, v55
	v_sub_f32_e32 v54, v54, v55
	s_delay_alu instid0(VALU_DEP_1) | instskip(SKIP_2) | instid1(VALU_DEP_1)
	v_add_f32_e32 v53, v53, v54
	s_waitcnt_depctr 0xfff
	v_mul_f32_e32 v57, v56, v51
	v_mul_f32_e32 v58, v55, v57
	s_delay_alu instid0(VALU_DEP_1) | instskip(NEXT) | instid1(VALU_DEP_1)
	v_fma_f32 v54, v57, v55, -v58
	v_fmac_f32_e32 v54, v57, v53
	s_delay_alu instid0(VALU_DEP_1) | instskip(NEXT) | instid1(VALU_DEP_1)
	v_add_f32_e32 v59, v58, v54
	v_sub_f32_e32 v60, v56, v59
	s_delay_alu instid0(VALU_DEP_1) | instskip(SKIP_1) | instid1(VALU_DEP_2)
	v_sub_f32_e32 v56, v56, v60
	v_dual_add_f32 v49, v49, v52 :: v_dual_sub_f32 v52, v59, v58
	v_sub_f32_e32 v56, v56, v59
	s_delay_alu instid0(VALU_DEP_1) | instskip(NEXT) | instid1(VALU_DEP_1)
	v_dual_sub_f32 v52, v52, v54 :: v_dual_add_f32 v49, v49, v56
	v_add_f32_e32 v49, v52, v49
	s_delay_alu instid0(VALU_DEP_1) | instskip(NEXT) | instid1(VALU_DEP_1)
	v_add_f32_e32 v52, v60, v49
	v_mul_f32_e32 v54, v51, v52
	s_delay_alu instid0(VALU_DEP_1) | instskip(NEXT) | instid1(VALU_DEP_1)
	v_dual_sub_f32 v59, v60, v52 :: v_dual_mul_f32 v56, v55, v54
	v_add_f32_e32 v49, v49, v59
	s_delay_alu instid0(VALU_DEP_2) | instskip(NEXT) | instid1(VALU_DEP_1)
	v_fma_f32 v55, v54, v55, -v56
	v_fmac_f32_e32 v55, v54, v53
	s_delay_alu instid0(VALU_DEP_1) | instskip(NEXT) | instid1(VALU_DEP_1)
	v_add_f32_e32 v53, v56, v55
	v_sub_f32_e32 v58, v52, v53
	s_delay_alu instid0(VALU_DEP_1) | instskip(NEXT) | instid1(VALU_DEP_1)
	v_sub_f32_e32 v52, v52, v58
	v_sub_f32_e32 v52, v52, v53
	s_delay_alu instid0(VALU_DEP_1) | instskip(SKIP_2) | instid1(VALU_DEP_1)
	v_add_f32_e32 v49, v49, v52
	v_add_f32_e32 v52, v57, v54
	v_sub_f32_e32 v56, v53, v56
	v_sub_f32_e32 v53, v56, v55
	s_delay_alu instid0(VALU_DEP_1) | instskip(NEXT) | instid1(VALU_DEP_4)
	v_add_f32_e32 v49, v53, v49
	v_sub_f32_e32 v53, v52, v57
	s_delay_alu instid0(VALU_DEP_2) | instskip(NEXT) | instid1(VALU_DEP_2)
	v_add_f32_e32 v49, v58, v49
	v_sub_f32_e32 v53, v54, v53
	s_delay_alu instid0(VALU_DEP_2) | instskip(NEXT) | instid1(VALU_DEP_1)
	v_mul_f32_e32 v49, v51, v49
	v_add_f32_e32 v49, v53, v49
	s_delay_alu instid0(VALU_DEP_1) | instskip(NEXT) | instid1(VALU_DEP_1)
	v_add_f32_e32 v51, v52, v49
	v_mul_f32_e32 v53, v51, v51
	s_delay_alu instid0(VALU_DEP_1) | instskip(SKIP_1) | instid1(VALU_DEP_2)
	v_fmaak_f32 v54, s73, v53, 0x3ecc95a3
	v_mul_f32_e32 v55, v51, v53
	v_fmaak_f32 v53, v53, v54, 0x3f2aaada
	v_ldexp_f32 v54, v51, 1
	s_delay_alu instid0(VALU_DEP_2) | instskip(SKIP_1) | instid1(VALU_DEP_2)
	v_mul_f32_e32 v53, v55, v53
	v_sub_f32_e32 v51, v51, v52
	v_dual_mul_f32 v55, 0x3f317218, v48 :: v_dual_add_f32 v52, v54, v53
	s_delay_alu instid0(VALU_DEP_2) | instskip(NEXT) | instid1(VALU_DEP_2)
	v_sub_f32_e32 v49, v49, v51
	v_sub_f32_e32 v51, v52, v54
	s_delay_alu instid0(VALU_DEP_3) | instskip(NEXT) | instid1(VALU_DEP_3)
	v_fma_f32 v54, 0x3f317218, v48, -v55
	v_ldexp_f32 v49, v49, 1
	s_delay_alu instid0(VALU_DEP_2) | instskip(NEXT) | instid1(VALU_DEP_1)
	v_dual_sub_f32 v51, v53, v51 :: v_dual_fmac_f32 v54, 0xb102e308, v48
	v_dual_add_f32 v48, v49, v51 :: v_dual_add_f32 v49, v55, v54
	s_delay_alu instid0(VALU_DEP_1) | instskip(NEXT) | instid1(VALU_DEP_1)
	v_add_f32_e32 v51, v52, v48
	v_dual_add_f32 v53, v49, v51 :: v_dual_sub_f32 v52, v51, v52
	s_delay_alu instid0(VALU_DEP_1) | instskip(NEXT) | instid1(VALU_DEP_2)
	v_sub_f32_e32 v56, v53, v49
	v_dual_sub_f32 v55, v49, v55 :: v_dual_sub_f32 v48, v48, v52
	s_delay_alu instid0(VALU_DEP_1) | instskip(SKIP_1) | instid1(VALU_DEP_2)
	v_dual_sub_f32 v57, v53, v56 :: v_dual_sub_f32 v54, v54, v55
	v_sub_f32_e32 v51, v51, v56
	v_dual_sub_f32 v49, v49, v57 :: v_dual_add_f32 v52, v54, v48
	s_delay_alu instid0(VALU_DEP_1) | instskip(NEXT) | instid1(VALU_DEP_2)
	v_add_f32_e32 v49, v51, v49
	v_sub_f32_e32 v51, v52, v54
	s_delay_alu instid0(VALU_DEP_2) | instskip(NEXT) | instid1(VALU_DEP_2)
	v_add_f32_e32 v49, v52, v49
	v_sub_f32_e32 v52, v52, v51
	s_delay_alu instid0(VALU_DEP_2) | instskip(NEXT) | instid1(VALU_DEP_1)
	v_dual_sub_f32 v48, v48, v51 :: v_dual_add_f32 v55, v53, v49
	v_dual_sub_f32 v52, v54, v52 :: v_dual_sub_f32 v51, v55, v53
	s_delay_alu instid0(VALU_DEP_1) | instskip(NEXT) | instid1(VALU_DEP_1)
	v_dual_add_f32 v48, v48, v52 :: v_dual_sub_f32 v49, v49, v51
	v_add_f32_e32 v48, v48, v49
	s_delay_alu instid0(VALU_DEP_1) | instskip(NEXT) | instid1(VALU_DEP_1)
	v_add_f32_e32 v48, v55, v48
	v_cndmask_b32_e32 v142, v48, v50, vcc_lo
.LBB153_38:                             ;   in Loop: Header=BB153_12 Depth=1
	s_or_b32 exec_lo, exec_lo, s18
	s_waitcnt lgkmcnt(1)
	v_add_f32_e32 v143, s58, v4
	s_delay_alu instid0(VALU_DEP_1) | instskip(SKIP_1) | instid1(SALU_CYCLE_1)
	v_cmp_ge_f32_e32 vcc_lo, 0x41a00000, v143
	s_and_b32 s14, s69, vcc_lo
	s_and_saveexec_b32 s18, s14
	s_cbranch_execz .LBB153_40
; %bb.39:                               ;   in Loop: Header=BB153_12 Depth=1
	v_mul_f32_e32 v48, 0x3fb8aa3b, v143
	v_cmp_ngt_f32_e32 vcc_lo, 0xc2ce8ed0, v143
	s_delay_alu instid0(VALU_DEP_2) | instskip(SKIP_1) | instid1(VALU_DEP_2)
	v_rndne_f32_e32 v49, v48
	v_fma_f32 v50, 0x3fb8aa3b, v143, -v48
	v_sub_f32_e32 v48, v48, v49
	s_delay_alu instid0(VALU_DEP_2) | instskip(SKIP_1) | instid1(VALU_DEP_2)
	v_fmac_f32_e32 v50, 0x32a5705f, v143
	v_cvt_i32_f32_e32 v49, v49
	v_add_f32_e32 v48, v48, v50
	s_delay_alu instid0(VALU_DEP_1) | instskip(SKIP_2) | instid1(VALU_DEP_1)
	v_exp_f32_e32 v48, v48
	s_waitcnt_depctr 0xfff
	v_ldexp_f32 v48, v48, v49
	v_cndmask_b32_e32 v48, 0, v48, vcc_lo
	v_cmp_nlt_f32_e32 vcc_lo, 0x42b17218, v143
	s_delay_alu instid0(VALU_DEP_2) | instskip(NEXT) | instid1(VALU_DEP_1)
	v_cndmask_b32_e32 v50, 0x7f800000, v48, vcc_lo
	v_add_f32_e32 v51, 1.0, v50
	s_delay_alu instid0(VALU_DEP_1) | instskip(NEXT) | instid1(VALU_DEP_1)
	v_cvt_f64_f32_e32 v[48:49], v51
	v_frexp_exp_i32_f64_e32 v48, v[48:49]
	v_frexp_mant_f32_e32 v49, v51
	s_delay_alu instid0(VALU_DEP_1) | instskip(SKIP_1) | instid1(VALU_DEP_1)
	v_cmp_gt_f32_e32 vcc_lo, 0x3f2aaaab, v49
	v_add_f32_e32 v49, -1.0, v51
	v_sub_f32_e32 v53, v49, v51
	v_sub_f32_e32 v49, v50, v49
	s_delay_alu instid0(VALU_DEP_2) | instskip(NEXT) | instid1(VALU_DEP_1)
	v_add_f32_e32 v53, 1.0, v53
	v_add_f32_e32 v49, v49, v53
	v_cmp_gt_f32_e64 s14, 0x33800000, v50
	v_subrev_co_ci_u32_e32 v48, vcc_lo, 0, v48, vcc_lo
	v_cmp_eq_f32_e32 vcc_lo, 0x7f800000, v50
	s_delay_alu instid0(VALU_DEP_2) | instskip(SKIP_2) | instid1(VALU_DEP_2)
	v_sub_nc_u32_e32 v52, 0, v48
	v_cvt_f32_i32_e32 v48, v48
	s_or_b32 vcc_lo, s14, vcc_lo
	v_ldexp_f32 v51, v51, v52
	v_ldexp_f32 v49, v49, v52
	s_delay_alu instid0(VALU_DEP_2) | instskip(NEXT) | instid1(VALU_DEP_1)
	v_add_f32_e32 v54, 1.0, v51
	v_dual_add_f32 v52, -1.0, v51 :: v_dual_add_f32 v53, -1.0, v54
	s_delay_alu instid0(VALU_DEP_1) | instskip(NEXT) | instid1(VALU_DEP_2)
	v_add_f32_e32 v55, 1.0, v52
	v_sub_f32_e32 v53, v51, v53
	s_delay_alu instid0(VALU_DEP_2) | instskip(NEXT) | instid1(VALU_DEP_2)
	v_sub_f32_e32 v51, v51, v55
	v_add_f32_e32 v53, v49, v53
	s_delay_alu instid0(VALU_DEP_2) | instskip(NEXT) | instid1(VALU_DEP_1)
	v_add_f32_e32 v49, v49, v51
	v_add_f32_e32 v56, v52, v49
	s_delay_alu instid0(VALU_DEP_1) | instskip(NEXT) | instid1(VALU_DEP_1)
	v_dual_add_f32 v55, v54, v53 :: v_dual_sub_f32 v52, v52, v56
	v_rcp_f32_e32 v51, v55
	v_sub_f32_e32 v54, v54, v55
	s_delay_alu instid0(VALU_DEP_1) | instskip(SKIP_2) | instid1(VALU_DEP_1)
	v_add_f32_e32 v53, v53, v54
	s_waitcnt_depctr 0xfff
	v_mul_f32_e32 v57, v56, v51
	v_mul_f32_e32 v58, v55, v57
	s_delay_alu instid0(VALU_DEP_1) | instskip(NEXT) | instid1(VALU_DEP_1)
	v_fma_f32 v54, v57, v55, -v58
	v_fmac_f32_e32 v54, v57, v53
	s_delay_alu instid0(VALU_DEP_1) | instskip(NEXT) | instid1(VALU_DEP_1)
	v_add_f32_e32 v59, v58, v54
	v_sub_f32_e32 v60, v56, v59
	s_delay_alu instid0(VALU_DEP_1) | instskip(SKIP_1) | instid1(VALU_DEP_2)
	v_sub_f32_e32 v56, v56, v60
	v_dual_add_f32 v49, v49, v52 :: v_dual_sub_f32 v52, v59, v58
	v_sub_f32_e32 v56, v56, v59
	s_delay_alu instid0(VALU_DEP_1) | instskip(NEXT) | instid1(VALU_DEP_1)
	v_dual_sub_f32 v52, v52, v54 :: v_dual_add_f32 v49, v49, v56
	v_add_f32_e32 v49, v52, v49
	s_delay_alu instid0(VALU_DEP_1) | instskip(NEXT) | instid1(VALU_DEP_1)
	v_add_f32_e32 v52, v60, v49
	v_mul_f32_e32 v54, v51, v52
	s_delay_alu instid0(VALU_DEP_1) | instskip(NEXT) | instid1(VALU_DEP_1)
	v_dual_sub_f32 v59, v60, v52 :: v_dual_mul_f32 v56, v55, v54
	v_add_f32_e32 v49, v49, v59
	s_delay_alu instid0(VALU_DEP_2) | instskip(NEXT) | instid1(VALU_DEP_1)
	v_fma_f32 v55, v54, v55, -v56
	v_fmac_f32_e32 v55, v54, v53
	s_delay_alu instid0(VALU_DEP_1) | instskip(NEXT) | instid1(VALU_DEP_1)
	v_add_f32_e32 v53, v56, v55
	v_sub_f32_e32 v58, v52, v53
	s_delay_alu instid0(VALU_DEP_1) | instskip(NEXT) | instid1(VALU_DEP_1)
	v_sub_f32_e32 v52, v52, v58
	v_sub_f32_e32 v52, v52, v53
	s_delay_alu instid0(VALU_DEP_1) | instskip(SKIP_2) | instid1(VALU_DEP_1)
	v_add_f32_e32 v49, v49, v52
	v_add_f32_e32 v52, v57, v54
	v_sub_f32_e32 v56, v53, v56
	v_sub_f32_e32 v53, v56, v55
	s_delay_alu instid0(VALU_DEP_1) | instskip(NEXT) | instid1(VALU_DEP_4)
	v_add_f32_e32 v49, v53, v49
	v_sub_f32_e32 v53, v52, v57
	s_delay_alu instid0(VALU_DEP_2) | instskip(NEXT) | instid1(VALU_DEP_2)
	v_add_f32_e32 v49, v58, v49
	v_sub_f32_e32 v53, v54, v53
	s_delay_alu instid0(VALU_DEP_2) | instskip(NEXT) | instid1(VALU_DEP_1)
	v_mul_f32_e32 v49, v51, v49
	v_add_f32_e32 v49, v53, v49
	s_delay_alu instid0(VALU_DEP_1) | instskip(NEXT) | instid1(VALU_DEP_1)
	v_add_f32_e32 v51, v52, v49
	v_mul_f32_e32 v53, v51, v51
	s_delay_alu instid0(VALU_DEP_1) | instskip(SKIP_1) | instid1(VALU_DEP_2)
	v_fmaak_f32 v54, s73, v53, 0x3ecc95a3
	v_mul_f32_e32 v55, v51, v53
	v_fmaak_f32 v53, v53, v54, 0x3f2aaada
	v_ldexp_f32 v54, v51, 1
	s_delay_alu instid0(VALU_DEP_2) | instskip(SKIP_1) | instid1(VALU_DEP_2)
	v_mul_f32_e32 v53, v55, v53
	v_sub_f32_e32 v51, v51, v52
	v_dual_mul_f32 v55, 0x3f317218, v48 :: v_dual_add_f32 v52, v54, v53
	s_delay_alu instid0(VALU_DEP_2) | instskip(NEXT) | instid1(VALU_DEP_2)
	v_sub_f32_e32 v49, v49, v51
	v_sub_f32_e32 v51, v52, v54
	s_delay_alu instid0(VALU_DEP_3) | instskip(NEXT) | instid1(VALU_DEP_3)
	v_fma_f32 v54, 0x3f317218, v48, -v55
	v_ldexp_f32 v49, v49, 1
	s_delay_alu instid0(VALU_DEP_2) | instskip(NEXT) | instid1(VALU_DEP_1)
	v_dual_sub_f32 v51, v53, v51 :: v_dual_fmac_f32 v54, 0xb102e308, v48
	v_dual_add_f32 v48, v49, v51 :: v_dual_add_f32 v49, v55, v54
	s_delay_alu instid0(VALU_DEP_1) | instskip(NEXT) | instid1(VALU_DEP_1)
	v_add_f32_e32 v51, v52, v48
	v_dual_add_f32 v53, v49, v51 :: v_dual_sub_f32 v52, v51, v52
	s_delay_alu instid0(VALU_DEP_1) | instskip(NEXT) | instid1(VALU_DEP_2)
	v_sub_f32_e32 v56, v53, v49
	v_dual_sub_f32 v55, v49, v55 :: v_dual_sub_f32 v48, v48, v52
	s_delay_alu instid0(VALU_DEP_1) | instskip(SKIP_1) | instid1(VALU_DEP_2)
	v_dual_sub_f32 v57, v53, v56 :: v_dual_sub_f32 v54, v54, v55
	v_sub_f32_e32 v51, v51, v56
	v_dual_sub_f32 v49, v49, v57 :: v_dual_add_f32 v52, v54, v48
	s_delay_alu instid0(VALU_DEP_1) | instskip(NEXT) | instid1(VALU_DEP_2)
	v_add_f32_e32 v49, v51, v49
	v_sub_f32_e32 v51, v52, v54
	s_delay_alu instid0(VALU_DEP_2) | instskip(NEXT) | instid1(VALU_DEP_2)
	v_add_f32_e32 v49, v52, v49
	v_sub_f32_e32 v52, v52, v51
	s_delay_alu instid0(VALU_DEP_2) | instskip(NEXT) | instid1(VALU_DEP_1)
	v_dual_sub_f32 v48, v48, v51 :: v_dual_add_f32 v55, v53, v49
	v_dual_sub_f32 v52, v54, v52 :: v_dual_sub_f32 v51, v55, v53
	s_delay_alu instid0(VALU_DEP_1) | instskip(NEXT) | instid1(VALU_DEP_1)
	v_dual_add_f32 v48, v48, v52 :: v_dual_sub_f32 v49, v49, v51
	v_add_f32_e32 v48, v48, v49
	s_delay_alu instid0(VALU_DEP_1) | instskip(NEXT) | instid1(VALU_DEP_1)
	v_add_f32_e32 v48, v55, v48
	v_cndmask_b32_e32 v143, v48, v50, vcc_lo
.LBB153_40:                             ;   in Loop: Header=BB153_12 Depth=1
	s_or_b32 exec_lo, exec_lo, s18
	v_add_f32_e32 v144, s58, v5
	s_delay_alu instid0(VALU_DEP_1) | instskip(SKIP_1) | instid1(SALU_CYCLE_1)
	v_cmp_ge_f32_e32 vcc_lo, 0x41a00000, v144
	s_and_b32 s14, s69, vcc_lo
	s_and_saveexec_b32 s18, s14
	s_cbranch_execz .LBB153_42
; %bb.41:                               ;   in Loop: Header=BB153_12 Depth=1
	v_mul_f32_e32 v48, 0x3fb8aa3b, v144
	v_cmp_ngt_f32_e32 vcc_lo, 0xc2ce8ed0, v144
	s_delay_alu instid0(VALU_DEP_2) | instskip(SKIP_1) | instid1(VALU_DEP_2)
	v_rndne_f32_e32 v49, v48
	v_fma_f32 v50, 0x3fb8aa3b, v144, -v48
	v_sub_f32_e32 v48, v48, v49
	s_delay_alu instid0(VALU_DEP_2) | instskip(SKIP_1) | instid1(VALU_DEP_2)
	v_fmac_f32_e32 v50, 0x32a5705f, v144
	v_cvt_i32_f32_e32 v49, v49
	v_add_f32_e32 v48, v48, v50
	s_delay_alu instid0(VALU_DEP_1) | instskip(SKIP_2) | instid1(VALU_DEP_1)
	v_exp_f32_e32 v48, v48
	s_waitcnt_depctr 0xfff
	v_ldexp_f32 v48, v48, v49
	v_cndmask_b32_e32 v48, 0, v48, vcc_lo
	v_cmp_nlt_f32_e32 vcc_lo, 0x42b17218, v144
	s_delay_alu instid0(VALU_DEP_2) | instskip(NEXT) | instid1(VALU_DEP_1)
	v_cndmask_b32_e32 v50, 0x7f800000, v48, vcc_lo
	v_add_f32_e32 v51, 1.0, v50
	s_delay_alu instid0(VALU_DEP_1) | instskip(NEXT) | instid1(VALU_DEP_1)
	v_cvt_f64_f32_e32 v[48:49], v51
	v_frexp_exp_i32_f64_e32 v48, v[48:49]
	v_frexp_mant_f32_e32 v49, v51
	s_delay_alu instid0(VALU_DEP_1) | instskip(SKIP_1) | instid1(VALU_DEP_1)
	v_cmp_gt_f32_e32 vcc_lo, 0x3f2aaaab, v49
	v_add_f32_e32 v49, -1.0, v51
	v_sub_f32_e32 v53, v49, v51
	v_sub_f32_e32 v49, v50, v49
	s_delay_alu instid0(VALU_DEP_2) | instskip(NEXT) | instid1(VALU_DEP_1)
	v_add_f32_e32 v53, 1.0, v53
	v_add_f32_e32 v49, v49, v53
	v_cmp_gt_f32_e64 s14, 0x33800000, v50
	v_subrev_co_ci_u32_e32 v48, vcc_lo, 0, v48, vcc_lo
	v_cmp_eq_f32_e32 vcc_lo, 0x7f800000, v50
	s_delay_alu instid0(VALU_DEP_2) | instskip(SKIP_2) | instid1(VALU_DEP_2)
	v_sub_nc_u32_e32 v52, 0, v48
	v_cvt_f32_i32_e32 v48, v48
	s_or_b32 vcc_lo, s14, vcc_lo
	v_ldexp_f32 v51, v51, v52
	v_ldexp_f32 v49, v49, v52
	s_delay_alu instid0(VALU_DEP_2) | instskip(NEXT) | instid1(VALU_DEP_1)
	v_add_f32_e32 v54, 1.0, v51
	v_dual_add_f32 v52, -1.0, v51 :: v_dual_add_f32 v53, -1.0, v54
	s_delay_alu instid0(VALU_DEP_1) | instskip(NEXT) | instid1(VALU_DEP_2)
	v_add_f32_e32 v55, 1.0, v52
	v_sub_f32_e32 v53, v51, v53
	s_delay_alu instid0(VALU_DEP_2) | instskip(NEXT) | instid1(VALU_DEP_2)
	v_sub_f32_e32 v51, v51, v55
	v_add_f32_e32 v53, v49, v53
	s_delay_alu instid0(VALU_DEP_2) | instskip(NEXT) | instid1(VALU_DEP_1)
	v_add_f32_e32 v49, v49, v51
	v_add_f32_e32 v56, v52, v49
	s_delay_alu instid0(VALU_DEP_1) | instskip(NEXT) | instid1(VALU_DEP_1)
	v_dual_add_f32 v55, v54, v53 :: v_dual_sub_f32 v52, v52, v56
	v_rcp_f32_e32 v51, v55
	v_sub_f32_e32 v54, v54, v55
	s_delay_alu instid0(VALU_DEP_1) | instskip(SKIP_2) | instid1(VALU_DEP_1)
	v_add_f32_e32 v53, v53, v54
	s_waitcnt_depctr 0xfff
	v_mul_f32_e32 v57, v56, v51
	v_mul_f32_e32 v58, v55, v57
	s_delay_alu instid0(VALU_DEP_1) | instskip(NEXT) | instid1(VALU_DEP_1)
	v_fma_f32 v54, v57, v55, -v58
	v_fmac_f32_e32 v54, v57, v53
	s_delay_alu instid0(VALU_DEP_1) | instskip(NEXT) | instid1(VALU_DEP_1)
	v_add_f32_e32 v59, v58, v54
	v_sub_f32_e32 v60, v56, v59
	s_delay_alu instid0(VALU_DEP_1) | instskip(SKIP_1) | instid1(VALU_DEP_2)
	v_sub_f32_e32 v56, v56, v60
	v_dual_add_f32 v49, v49, v52 :: v_dual_sub_f32 v52, v59, v58
	v_sub_f32_e32 v56, v56, v59
	s_delay_alu instid0(VALU_DEP_1) | instskip(NEXT) | instid1(VALU_DEP_1)
	v_dual_sub_f32 v52, v52, v54 :: v_dual_add_f32 v49, v49, v56
	v_add_f32_e32 v49, v52, v49
	s_delay_alu instid0(VALU_DEP_1) | instskip(NEXT) | instid1(VALU_DEP_1)
	v_add_f32_e32 v52, v60, v49
	v_mul_f32_e32 v54, v51, v52
	s_delay_alu instid0(VALU_DEP_1) | instskip(NEXT) | instid1(VALU_DEP_1)
	v_dual_sub_f32 v59, v60, v52 :: v_dual_mul_f32 v56, v55, v54
	v_add_f32_e32 v49, v49, v59
	s_delay_alu instid0(VALU_DEP_2) | instskip(NEXT) | instid1(VALU_DEP_1)
	v_fma_f32 v55, v54, v55, -v56
	v_fmac_f32_e32 v55, v54, v53
	s_delay_alu instid0(VALU_DEP_1) | instskip(NEXT) | instid1(VALU_DEP_1)
	v_add_f32_e32 v53, v56, v55
	v_sub_f32_e32 v58, v52, v53
	s_delay_alu instid0(VALU_DEP_1) | instskip(NEXT) | instid1(VALU_DEP_1)
	v_sub_f32_e32 v52, v52, v58
	v_sub_f32_e32 v52, v52, v53
	s_delay_alu instid0(VALU_DEP_1) | instskip(SKIP_2) | instid1(VALU_DEP_1)
	v_add_f32_e32 v49, v49, v52
	v_add_f32_e32 v52, v57, v54
	v_sub_f32_e32 v56, v53, v56
	v_sub_f32_e32 v53, v56, v55
	s_delay_alu instid0(VALU_DEP_1) | instskip(NEXT) | instid1(VALU_DEP_4)
	v_add_f32_e32 v49, v53, v49
	v_sub_f32_e32 v53, v52, v57
	s_delay_alu instid0(VALU_DEP_2) | instskip(NEXT) | instid1(VALU_DEP_2)
	v_add_f32_e32 v49, v58, v49
	v_sub_f32_e32 v53, v54, v53
	s_delay_alu instid0(VALU_DEP_2) | instskip(NEXT) | instid1(VALU_DEP_1)
	v_mul_f32_e32 v49, v51, v49
	v_add_f32_e32 v49, v53, v49
	s_delay_alu instid0(VALU_DEP_1) | instskip(NEXT) | instid1(VALU_DEP_1)
	v_add_f32_e32 v51, v52, v49
	v_mul_f32_e32 v53, v51, v51
	s_delay_alu instid0(VALU_DEP_1) | instskip(SKIP_1) | instid1(VALU_DEP_2)
	v_fmaak_f32 v54, s73, v53, 0x3ecc95a3
	v_mul_f32_e32 v55, v51, v53
	v_fmaak_f32 v53, v53, v54, 0x3f2aaada
	v_ldexp_f32 v54, v51, 1
	s_delay_alu instid0(VALU_DEP_2) | instskip(SKIP_1) | instid1(VALU_DEP_2)
	v_mul_f32_e32 v53, v55, v53
	v_sub_f32_e32 v51, v51, v52
	v_dual_mul_f32 v55, 0x3f317218, v48 :: v_dual_add_f32 v52, v54, v53
	s_delay_alu instid0(VALU_DEP_2) | instskip(NEXT) | instid1(VALU_DEP_2)
	v_sub_f32_e32 v49, v49, v51
	v_sub_f32_e32 v51, v52, v54
	s_delay_alu instid0(VALU_DEP_3) | instskip(NEXT) | instid1(VALU_DEP_3)
	v_fma_f32 v54, 0x3f317218, v48, -v55
	v_ldexp_f32 v49, v49, 1
	s_delay_alu instid0(VALU_DEP_2) | instskip(NEXT) | instid1(VALU_DEP_1)
	v_dual_sub_f32 v51, v53, v51 :: v_dual_fmac_f32 v54, 0xb102e308, v48
	v_dual_add_f32 v48, v49, v51 :: v_dual_add_f32 v49, v55, v54
	s_delay_alu instid0(VALU_DEP_1) | instskip(NEXT) | instid1(VALU_DEP_1)
	v_add_f32_e32 v51, v52, v48
	v_dual_add_f32 v53, v49, v51 :: v_dual_sub_f32 v52, v51, v52
	s_delay_alu instid0(VALU_DEP_1) | instskip(NEXT) | instid1(VALU_DEP_2)
	v_sub_f32_e32 v56, v53, v49
	v_dual_sub_f32 v55, v49, v55 :: v_dual_sub_f32 v48, v48, v52
	s_delay_alu instid0(VALU_DEP_1) | instskip(SKIP_1) | instid1(VALU_DEP_2)
	v_dual_sub_f32 v57, v53, v56 :: v_dual_sub_f32 v54, v54, v55
	v_sub_f32_e32 v51, v51, v56
	v_dual_sub_f32 v49, v49, v57 :: v_dual_add_f32 v52, v54, v48
	s_delay_alu instid0(VALU_DEP_1) | instskip(NEXT) | instid1(VALU_DEP_2)
	v_add_f32_e32 v49, v51, v49
	v_sub_f32_e32 v51, v52, v54
	s_delay_alu instid0(VALU_DEP_2) | instskip(NEXT) | instid1(VALU_DEP_2)
	v_add_f32_e32 v49, v52, v49
	v_sub_f32_e32 v52, v52, v51
	s_delay_alu instid0(VALU_DEP_2) | instskip(NEXT) | instid1(VALU_DEP_1)
	v_dual_sub_f32 v48, v48, v51 :: v_dual_add_f32 v55, v53, v49
	v_dual_sub_f32 v52, v54, v52 :: v_dual_sub_f32 v51, v55, v53
	s_delay_alu instid0(VALU_DEP_1) | instskip(NEXT) | instid1(VALU_DEP_1)
	v_dual_add_f32 v48, v48, v52 :: v_dual_sub_f32 v49, v49, v51
	v_add_f32_e32 v48, v48, v49
	s_delay_alu instid0(VALU_DEP_1) | instskip(NEXT) | instid1(VALU_DEP_1)
	v_add_f32_e32 v48, v55, v48
	v_cndmask_b32_e32 v144, v48, v50, vcc_lo
.LBB153_42:                             ;   in Loop: Header=BB153_12 Depth=1
	s_or_b32 exec_lo, exec_lo, s18
	v_add_f32_e32 v145, s58, v6
	s_delay_alu instid0(VALU_DEP_1) | instskip(SKIP_1) | instid1(SALU_CYCLE_1)
	v_cmp_ge_f32_e32 vcc_lo, 0x41a00000, v145
	s_and_b32 s14, s69, vcc_lo
	s_and_saveexec_b32 s18, s14
	s_cbranch_execz .LBB153_44
; %bb.43:                               ;   in Loop: Header=BB153_12 Depth=1
	v_mul_f32_e32 v48, 0x3fb8aa3b, v145
	v_cmp_ngt_f32_e32 vcc_lo, 0xc2ce8ed0, v145
	s_delay_alu instid0(VALU_DEP_2) | instskip(SKIP_1) | instid1(VALU_DEP_2)
	v_rndne_f32_e32 v49, v48
	v_fma_f32 v50, 0x3fb8aa3b, v145, -v48
	v_sub_f32_e32 v48, v48, v49
	s_delay_alu instid0(VALU_DEP_2) | instskip(SKIP_1) | instid1(VALU_DEP_2)
	v_fmac_f32_e32 v50, 0x32a5705f, v145
	v_cvt_i32_f32_e32 v49, v49
	v_add_f32_e32 v48, v48, v50
	s_delay_alu instid0(VALU_DEP_1) | instskip(SKIP_2) | instid1(VALU_DEP_1)
	v_exp_f32_e32 v48, v48
	s_waitcnt_depctr 0xfff
	v_ldexp_f32 v48, v48, v49
	v_cndmask_b32_e32 v48, 0, v48, vcc_lo
	v_cmp_nlt_f32_e32 vcc_lo, 0x42b17218, v145
	s_delay_alu instid0(VALU_DEP_2) | instskip(NEXT) | instid1(VALU_DEP_1)
	v_cndmask_b32_e32 v50, 0x7f800000, v48, vcc_lo
	v_add_f32_e32 v51, 1.0, v50
	s_delay_alu instid0(VALU_DEP_1) | instskip(NEXT) | instid1(VALU_DEP_1)
	v_cvt_f64_f32_e32 v[48:49], v51
	v_frexp_exp_i32_f64_e32 v48, v[48:49]
	v_frexp_mant_f32_e32 v49, v51
	s_delay_alu instid0(VALU_DEP_1) | instskip(SKIP_1) | instid1(VALU_DEP_1)
	v_cmp_gt_f32_e32 vcc_lo, 0x3f2aaaab, v49
	v_add_f32_e32 v49, -1.0, v51
	v_sub_f32_e32 v53, v49, v51
	v_sub_f32_e32 v49, v50, v49
	s_delay_alu instid0(VALU_DEP_2) | instskip(NEXT) | instid1(VALU_DEP_1)
	v_add_f32_e32 v53, 1.0, v53
	v_add_f32_e32 v49, v49, v53
	v_cmp_gt_f32_e64 s14, 0x33800000, v50
	v_subrev_co_ci_u32_e32 v48, vcc_lo, 0, v48, vcc_lo
	v_cmp_eq_f32_e32 vcc_lo, 0x7f800000, v50
	s_delay_alu instid0(VALU_DEP_2) | instskip(SKIP_2) | instid1(VALU_DEP_2)
	v_sub_nc_u32_e32 v52, 0, v48
	v_cvt_f32_i32_e32 v48, v48
	s_or_b32 vcc_lo, s14, vcc_lo
	v_ldexp_f32 v51, v51, v52
	v_ldexp_f32 v49, v49, v52
	s_delay_alu instid0(VALU_DEP_2) | instskip(NEXT) | instid1(VALU_DEP_1)
	v_add_f32_e32 v54, 1.0, v51
	v_dual_add_f32 v52, -1.0, v51 :: v_dual_add_f32 v53, -1.0, v54
	s_delay_alu instid0(VALU_DEP_1) | instskip(NEXT) | instid1(VALU_DEP_2)
	v_add_f32_e32 v55, 1.0, v52
	v_sub_f32_e32 v53, v51, v53
	s_delay_alu instid0(VALU_DEP_2) | instskip(NEXT) | instid1(VALU_DEP_2)
	v_sub_f32_e32 v51, v51, v55
	v_add_f32_e32 v53, v49, v53
	s_delay_alu instid0(VALU_DEP_2) | instskip(NEXT) | instid1(VALU_DEP_1)
	v_add_f32_e32 v49, v49, v51
	v_add_f32_e32 v56, v52, v49
	s_delay_alu instid0(VALU_DEP_1) | instskip(NEXT) | instid1(VALU_DEP_1)
	v_dual_add_f32 v55, v54, v53 :: v_dual_sub_f32 v52, v52, v56
	v_rcp_f32_e32 v51, v55
	v_sub_f32_e32 v54, v54, v55
	s_delay_alu instid0(VALU_DEP_1) | instskip(SKIP_2) | instid1(VALU_DEP_1)
	v_add_f32_e32 v53, v53, v54
	s_waitcnt_depctr 0xfff
	v_mul_f32_e32 v57, v56, v51
	v_mul_f32_e32 v58, v55, v57
	s_delay_alu instid0(VALU_DEP_1) | instskip(NEXT) | instid1(VALU_DEP_1)
	v_fma_f32 v54, v57, v55, -v58
	v_fmac_f32_e32 v54, v57, v53
	s_delay_alu instid0(VALU_DEP_1) | instskip(NEXT) | instid1(VALU_DEP_1)
	v_add_f32_e32 v59, v58, v54
	v_sub_f32_e32 v60, v56, v59
	s_delay_alu instid0(VALU_DEP_1) | instskip(SKIP_1) | instid1(VALU_DEP_2)
	v_sub_f32_e32 v56, v56, v60
	v_dual_add_f32 v49, v49, v52 :: v_dual_sub_f32 v52, v59, v58
	v_sub_f32_e32 v56, v56, v59
	s_delay_alu instid0(VALU_DEP_1) | instskip(NEXT) | instid1(VALU_DEP_1)
	v_dual_sub_f32 v52, v52, v54 :: v_dual_add_f32 v49, v49, v56
	v_add_f32_e32 v49, v52, v49
	s_delay_alu instid0(VALU_DEP_1) | instskip(NEXT) | instid1(VALU_DEP_1)
	v_add_f32_e32 v52, v60, v49
	v_mul_f32_e32 v54, v51, v52
	s_delay_alu instid0(VALU_DEP_1) | instskip(NEXT) | instid1(VALU_DEP_1)
	v_dual_sub_f32 v59, v60, v52 :: v_dual_mul_f32 v56, v55, v54
	v_add_f32_e32 v49, v49, v59
	s_delay_alu instid0(VALU_DEP_2) | instskip(NEXT) | instid1(VALU_DEP_1)
	v_fma_f32 v55, v54, v55, -v56
	v_fmac_f32_e32 v55, v54, v53
	s_delay_alu instid0(VALU_DEP_1) | instskip(NEXT) | instid1(VALU_DEP_1)
	v_add_f32_e32 v53, v56, v55
	v_sub_f32_e32 v58, v52, v53
	s_delay_alu instid0(VALU_DEP_1) | instskip(NEXT) | instid1(VALU_DEP_1)
	v_sub_f32_e32 v52, v52, v58
	v_sub_f32_e32 v52, v52, v53
	s_delay_alu instid0(VALU_DEP_1) | instskip(SKIP_2) | instid1(VALU_DEP_1)
	v_add_f32_e32 v49, v49, v52
	v_add_f32_e32 v52, v57, v54
	v_sub_f32_e32 v56, v53, v56
	v_sub_f32_e32 v53, v56, v55
	s_delay_alu instid0(VALU_DEP_1) | instskip(NEXT) | instid1(VALU_DEP_4)
	v_add_f32_e32 v49, v53, v49
	v_sub_f32_e32 v53, v52, v57
	s_delay_alu instid0(VALU_DEP_2) | instskip(NEXT) | instid1(VALU_DEP_2)
	v_add_f32_e32 v49, v58, v49
	v_sub_f32_e32 v53, v54, v53
	s_delay_alu instid0(VALU_DEP_2) | instskip(NEXT) | instid1(VALU_DEP_1)
	v_mul_f32_e32 v49, v51, v49
	v_add_f32_e32 v49, v53, v49
	s_delay_alu instid0(VALU_DEP_1) | instskip(NEXT) | instid1(VALU_DEP_1)
	v_add_f32_e32 v51, v52, v49
	v_mul_f32_e32 v53, v51, v51
	s_delay_alu instid0(VALU_DEP_1) | instskip(SKIP_1) | instid1(VALU_DEP_2)
	v_fmaak_f32 v54, s73, v53, 0x3ecc95a3
	v_mul_f32_e32 v55, v51, v53
	v_fmaak_f32 v53, v53, v54, 0x3f2aaada
	v_ldexp_f32 v54, v51, 1
	s_delay_alu instid0(VALU_DEP_2) | instskip(SKIP_1) | instid1(VALU_DEP_2)
	v_mul_f32_e32 v53, v55, v53
	v_sub_f32_e32 v51, v51, v52
	v_dual_mul_f32 v55, 0x3f317218, v48 :: v_dual_add_f32 v52, v54, v53
	s_delay_alu instid0(VALU_DEP_2) | instskip(NEXT) | instid1(VALU_DEP_2)
	v_sub_f32_e32 v49, v49, v51
	v_sub_f32_e32 v51, v52, v54
	s_delay_alu instid0(VALU_DEP_3) | instskip(NEXT) | instid1(VALU_DEP_3)
	v_fma_f32 v54, 0x3f317218, v48, -v55
	v_ldexp_f32 v49, v49, 1
	s_delay_alu instid0(VALU_DEP_2) | instskip(NEXT) | instid1(VALU_DEP_1)
	v_dual_sub_f32 v51, v53, v51 :: v_dual_fmac_f32 v54, 0xb102e308, v48
	v_dual_add_f32 v48, v49, v51 :: v_dual_add_f32 v49, v55, v54
	s_delay_alu instid0(VALU_DEP_1) | instskip(NEXT) | instid1(VALU_DEP_1)
	v_add_f32_e32 v51, v52, v48
	v_dual_add_f32 v53, v49, v51 :: v_dual_sub_f32 v52, v51, v52
	s_delay_alu instid0(VALU_DEP_1) | instskip(NEXT) | instid1(VALU_DEP_2)
	v_sub_f32_e32 v56, v53, v49
	v_dual_sub_f32 v55, v49, v55 :: v_dual_sub_f32 v48, v48, v52
	s_delay_alu instid0(VALU_DEP_1) | instskip(SKIP_1) | instid1(VALU_DEP_2)
	v_dual_sub_f32 v57, v53, v56 :: v_dual_sub_f32 v54, v54, v55
	v_sub_f32_e32 v51, v51, v56
	v_dual_sub_f32 v49, v49, v57 :: v_dual_add_f32 v52, v54, v48
	s_delay_alu instid0(VALU_DEP_1) | instskip(NEXT) | instid1(VALU_DEP_2)
	v_add_f32_e32 v49, v51, v49
	v_sub_f32_e32 v51, v52, v54
	s_delay_alu instid0(VALU_DEP_2) | instskip(NEXT) | instid1(VALU_DEP_2)
	v_add_f32_e32 v49, v52, v49
	v_sub_f32_e32 v52, v52, v51
	s_delay_alu instid0(VALU_DEP_2) | instskip(NEXT) | instid1(VALU_DEP_1)
	v_dual_sub_f32 v48, v48, v51 :: v_dual_add_f32 v55, v53, v49
	v_dual_sub_f32 v52, v54, v52 :: v_dual_sub_f32 v51, v55, v53
	s_delay_alu instid0(VALU_DEP_1) | instskip(NEXT) | instid1(VALU_DEP_1)
	v_dual_add_f32 v48, v48, v52 :: v_dual_sub_f32 v49, v49, v51
	v_add_f32_e32 v48, v48, v49
	s_delay_alu instid0(VALU_DEP_1) | instskip(NEXT) | instid1(VALU_DEP_1)
	v_add_f32_e32 v48, v55, v48
	v_cndmask_b32_e32 v145, v48, v50, vcc_lo
.LBB153_44:                             ;   in Loop: Header=BB153_12 Depth=1
	s_or_b32 exec_lo, exec_lo, s18
	v_add_f32_e32 v146, s58, v7
	s_delay_alu instid0(VALU_DEP_1) | instskip(SKIP_1) | instid1(SALU_CYCLE_1)
	v_cmp_ge_f32_e32 vcc_lo, 0x41a00000, v146
	s_and_b32 s14, s69, vcc_lo
	s_and_saveexec_b32 s18, s14
	s_cbranch_execz .LBB153_46
; %bb.45:                               ;   in Loop: Header=BB153_12 Depth=1
	v_mul_f32_e32 v48, 0x3fb8aa3b, v146
	v_cmp_ngt_f32_e32 vcc_lo, 0xc2ce8ed0, v146
	s_delay_alu instid0(VALU_DEP_2) | instskip(SKIP_1) | instid1(VALU_DEP_2)
	v_rndne_f32_e32 v49, v48
	v_fma_f32 v50, 0x3fb8aa3b, v146, -v48
	v_sub_f32_e32 v48, v48, v49
	s_delay_alu instid0(VALU_DEP_2) | instskip(SKIP_1) | instid1(VALU_DEP_2)
	v_fmac_f32_e32 v50, 0x32a5705f, v146
	v_cvt_i32_f32_e32 v49, v49
	v_add_f32_e32 v48, v48, v50
	s_delay_alu instid0(VALU_DEP_1) | instskip(SKIP_2) | instid1(VALU_DEP_1)
	v_exp_f32_e32 v48, v48
	s_waitcnt_depctr 0xfff
	v_ldexp_f32 v48, v48, v49
	v_cndmask_b32_e32 v48, 0, v48, vcc_lo
	v_cmp_nlt_f32_e32 vcc_lo, 0x42b17218, v146
	s_delay_alu instid0(VALU_DEP_2) | instskip(NEXT) | instid1(VALU_DEP_1)
	v_cndmask_b32_e32 v50, 0x7f800000, v48, vcc_lo
	v_add_f32_e32 v51, 1.0, v50
	s_delay_alu instid0(VALU_DEP_1) | instskip(NEXT) | instid1(VALU_DEP_1)
	v_cvt_f64_f32_e32 v[48:49], v51
	v_frexp_exp_i32_f64_e32 v48, v[48:49]
	v_frexp_mant_f32_e32 v49, v51
	s_delay_alu instid0(VALU_DEP_1) | instskip(SKIP_1) | instid1(VALU_DEP_1)
	v_cmp_gt_f32_e32 vcc_lo, 0x3f2aaaab, v49
	v_add_f32_e32 v49, -1.0, v51
	v_sub_f32_e32 v53, v49, v51
	v_sub_f32_e32 v49, v50, v49
	s_delay_alu instid0(VALU_DEP_2) | instskip(NEXT) | instid1(VALU_DEP_1)
	v_add_f32_e32 v53, 1.0, v53
	v_add_f32_e32 v49, v49, v53
	v_cmp_gt_f32_e64 s14, 0x33800000, v50
	v_subrev_co_ci_u32_e32 v48, vcc_lo, 0, v48, vcc_lo
	v_cmp_eq_f32_e32 vcc_lo, 0x7f800000, v50
	s_delay_alu instid0(VALU_DEP_2) | instskip(SKIP_2) | instid1(VALU_DEP_2)
	v_sub_nc_u32_e32 v52, 0, v48
	v_cvt_f32_i32_e32 v48, v48
	s_or_b32 vcc_lo, s14, vcc_lo
	v_ldexp_f32 v51, v51, v52
	v_ldexp_f32 v49, v49, v52
	s_delay_alu instid0(VALU_DEP_2) | instskip(NEXT) | instid1(VALU_DEP_1)
	v_add_f32_e32 v54, 1.0, v51
	v_dual_add_f32 v52, -1.0, v51 :: v_dual_add_f32 v53, -1.0, v54
	s_delay_alu instid0(VALU_DEP_1) | instskip(NEXT) | instid1(VALU_DEP_2)
	v_add_f32_e32 v55, 1.0, v52
	v_sub_f32_e32 v53, v51, v53
	s_delay_alu instid0(VALU_DEP_2) | instskip(NEXT) | instid1(VALU_DEP_2)
	v_sub_f32_e32 v51, v51, v55
	v_add_f32_e32 v53, v49, v53
	s_delay_alu instid0(VALU_DEP_2) | instskip(NEXT) | instid1(VALU_DEP_1)
	v_add_f32_e32 v49, v49, v51
	v_add_f32_e32 v56, v52, v49
	s_delay_alu instid0(VALU_DEP_1) | instskip(NEXT) | instid1(VALU_DEP_1)
	v_dual_add_f32 v55, v54, v53 :: v_dual_sub_f32 v52, v52, v56
	v_rcp_f32_e32 v51, v55
	v_sub_f32_e32 v54, v54, v55
	s_delay_alu instid0(VALU_DEP_1) | instskip(SKIP_2) | instid1(VALU_DEP_1)
	v_add_f32_e32 v53, v53, v54
	s_waitcnt_depctr 0xfff
	v_mul_f32_e32 v57, v56, v51
	v_mul_f32_e32 v58, v55, v57
	s_delay_alu instid0(VALU_DEP_1) | instskip(NEXT) | instid1(VALU_DEP_1)
	v_fma_f32 v54, v57, v55, -v58
	v_fmac_f32_e32 v54, v57, v53
	s_delay_alu instid0(VALU_DEP_1) | instskip(NEXT) | instid1(VALU_DEP_1)
	v_add_f32_e32 v59, v58, v54
	v_sub_f32_e32 v60, v56, v59
	s_delay_alu instid0(VALU_DEP_1) | instskip(SKIP_1) | instid1(VALU_DEP_2)
	v_sub_f32_e32 v56, v56, v60
	v_dual_add_f32 v49, v49, v52 :: v_dual_sub_f32 v52, v59, v58
	v_sub_f32_e32 v56, v56, v59
	s_delay_alu instid0(VALU_DEP_1) | instskip(NEXT) | instid1(VALU_DEP_1)
	v_dual_sub_f32 v52, v52, v54 :: v_dual_add_f32 v49, v49, v56
	v_add_f32_e32 v49, v52, v49
	s_delay_alu instid0(VALU_DEP_1) | instskip(NEXT) | instid1(VALU_DEP_1)
	v_add_f32_e32 v52, v60, v49
	v_mul_f32_e32 v54, v51, v52
	s_delay_alu instid0(VALU_DEP_1) | instskip(NEXT) | instid1(VALU_DEP_1)
	v_dual_sub_f32 v59, v60, v52 :: v_dual_mul_f32 v56, v55, v54
	v_add_f32_e32 v49, v49, v59
	s_delay_alu instid0(VALU_DEP_2) | instskip(NEXT) | instid1(VALU_DEP_1)
	v_fma_f32 v55, v54, v55, -v56
	v_fmac_f32_e32 v55, v54, v53
	s_delay_alu instid0(VALU_DEP_1) | instskip(NEXT) | instid1(VALU_DEP_1)
	v_add_f32_e32 v53, v56, v55
	v_sub_f32_e32 v58, v52, v53
	s_delay_alu instid0(VALU_DEP_1) | instskip(NEXT) | instid1(VALU_DEP_1)
	v_sub_f32_e32 v52, v52, v58
	v_sub_f32_e32 v52, v52, v53
	s_delay_alu instid0(VALU_DEP_1) | instskip(SKIP_2) | instid1(VALU_DEP_1)
	v_add_f32_e32 v49, v49, v52
	v_add_f32_e32 v52, v57, v54
	v_sub_f32_e32 v56, v53, v56
	v_sub_f32_e32 v53, v56, v55
	s_delay_alu instid0(VALU_DEP_1) | instskip(NEXT) | instid1(VALU_DEP_4)
	v_add_f32_e32 v49, v53, v49
	v_sub_f32_e32 v53, v52, v57
	s_delay_alu instid0(VALU_DEP_2) | instskip(NEXT) | instid1(VALU_DEP_2)
	v_add_f32_e32 v49, v58, v49
	v_sub_f32_e32 v53, v54, v53
	s_delay_alu instid0(VALU_DEP_2) | instskip(NEXT) | instid1(VALU_DEP_1)
	v_mul_f32_e32 v49, v51, v49
	v_add_f32_e32 v49, v53, v49
	s_delay_alu instid0(VALU_DEP_1) | instskip(NEXT) | instid1(VALU_DEP_1)
	v_add_f32_e32 v51, v52, v49
	v_mul_f32_e32 v53, v51, v51
	s_delay_alu instid0(VALU_DEP_1) | instskip(SKIP_1) | instid1(VALU_DEP_2)
	v_fmaak_f32 v54, s73, v53, 0x3ecc95a3
	v_mul_f32_e32 v55, v51, v53
	v_fmaak_f32 v53, v53, v54, 0x3f2aaada
	v_ldexp_f32 v54, v51, 1
	s_delay_alu instid0(VALU_DEP_2) | instskip(SKIP_1) | instid1(VALU_DEP_2)
	v_mul_f32_e32 v53, v55, v53
	v_sub_f32_e32 v51, v51, v52
	v_dual_mul_f32 v55, 0x3f317218, v48 :: v_dual_add_f32 v52, v54, v53
	s_delay_alu instid0(VALU_DEP_2) | instskip(NEXT) | instid1(VALU_DEP_2)
	v_sub_f32_e32 v49, v49, v51
	v_sub_f32_e32 v51, v52, v54
	s_delay_alu instid0(VALU_DEP_3) | instskip(NEXT) | instid1(VALU_DEP_3)
	v_fma_f32 v54, 0x3f317218, v48, -v55
	v_ldexp_f32 v49, v49, 1
	s_delay_alu instid0(VALU_DEP_2) | instskip(NEXT) | instid1(VALU_DEP_1)
	v_dual_sub_f32 v51, v53, v51 :: v_dual_fmac_f32 v54, 0xb102e308, v48
	v_dual_add_f32 v48, v49, v51 :: v_dual_add_f32 v49, v55, v54
	s_delay_alu instid0(VALU_DEP_1) | instskip(NEXT) | instid1(VALU_DEP_1)
	v_add_f32_e32 v51, v52, v48
	v_dual_add_f32 v53, v49, v51 :: v_dual_sub_f32 v52, v51, v52
	s_delay_alu instid0(VALU_DEP_1) | instskip(NEXT) | instid1(VALU_DEP_2)
	v_sub_f32_e32 v56, v53, v49
	v_dual_sub_f32 v55, v49, v55 :: v_dual_sub_f32 v48, v48, v52
	s_delay_alu instid0(VALU_DEP_1) | instskip(SKIP_1) | instid1(VALU_DEP_2)
	v_dual_sub_f32 v57, v53, v56 :: v_dual_sub_f32 v54, v54, v55
	v_sub_f32_e32 v51, v51, v56
	v_dual_sub_f32 v49, v49, v57 :: v_dual_add_f32 v52, v54, v48
	s_delay_alu instid0(VALU_DEP_1) | instskip(NEXT) | instid1(VALU_DEP_2)
	v_add_f32_e32 v49, v51, v49
	v_sub_f32_e32 v51, v52, v54
	s_delay_alu instid0(VALU_DEP_2) | instskip(NEXT) | instid1(VALU_DEP_2)
	v_add_f32_e32 v49, v52, v49
	v_sub_f32_e32 v52, v52, v51
	s_delay_alu instid0(VALU_DEP_2) | instskip(NEXT) | instid1(VALU_DEP_1)
	v_dual_sub_f32 v48, v48, v51 :: v_dual_add_f32 v55, v53, v49
	v_dual_sub_f32 v52, v54, v52 :: v_dual_sub_f32 v51, v55, v53
	s_delay_alu instid0(VALU_DEP_1) | instskip(NEXT) | instid1(VALU_DEP_1)
	v_dual_add_f32 v48, v48, v52 :: v_dual_sub_f32 v49, v49, v51
	v_add_f32_e32 v48, v48, v49
	s_delay_alu instid0(VALU_DEP_1) | instskip(NEXT) | instid1(VALU_DEP_1)
	v_add_f32_e32 v48, v55, v48
	v_cndmask_b32_e32 v146, v48, v50, vcc_lo
.LBB153_46:                             ;   in Loop: Header=BB153_12 Depth=1
	s_or_b32 exec_lo, exec_lo, s18
	s_waitcnt lgkmcnt(0)
	v_add_f32_e32 v147, s58, v0
	s_delay_alu instid0(VALU_DEP_1) | instskip(SKIP_1) | instid1(SALU_CYCLE_1)
	v_cmp_ge_f32_e32 vcc_lo, 0x41a00000, v147
	s_and_b32 s14, s69, vcc_lo
	s_and_saveexec_b32 s18, s14
	s_cbranch_execz .LBB153_48
; %bb.47:                               ;   in Loop: Header=BB153_12 Depth=1
	v_mul_f32_e32 v48, 0x3fb8aa3b, v147
	v_cmp_ngt_f32_e32 vcc_lo, 0xc2ce8ed0, v147
	s_delay_alu instid0(VALU_DEP_2) | instskip(SKIP_1) | instid1(VALU_DEP_2)
	v_rndne_f32_e32 v49, v48
	v_fma_f32 v50, 0x3fb8aa3b, v147, -v48
	v_sub_f32_e32 v48, v48, v49
	s_delay_alu instid0(VALU_DEP_2) | instskip(SKIP_1) | instid1(VALU_DEP_2)
	v_fmac_f32_e32 v50, 0x32a5705f, v147
	v_cvt_i32_f32_e32 v49, v49
	v_add_f32_e32 v48, v48, v50
	s_delay_alu instid0(VALU_DEP_1) | instskip(SKIP_2) | instid1(VALU_DEP_1)
	v_exp_f32_e32 v48, v48
	s_waitcnt_depctr 0xfff
	v_ldexp_f32 v48, v48, v49
	v_cndmask_b32_e32 v48, 0, v48, vcc_lo
	v_cmp_nlt_f32_e32 vcc_lo, 0x42b17218, v147
	s_delay_alu instid0(VALU_DEP_2) | instskip(NEXT) | instid1(VALU_DEP_1)
	v_cndmask_b32_e32 v50, 0x7f800000, v48, vcc_lo
	v_add_f32_e32 v51, 1.0, v50
	s_delay_alu instid0(VALU_DEP_1) | instskip(NEXT) | instid1(VALU_DEP_1)
	v_cvt_f64_f32_e32 v[48:49], v51
	v_frexp_exp_i32_f64_e32 v48, v[48:49]
	v_frexp_mant_f32_e32 v49, v51
	s_delay_alu instid0(VALU_DEP_1) | instskip(SKIP_1) | instid1(VALU_DEP_1)
	v_cmp_gt_f32_e32 vcc_lo, 0x3f2aaaab, v49
	v_add_f32_e32 v49, -1.0, v51
	v_sub_f32_e32 v53, v49, v51
	v_sub_f32_e32 v49, v50, v49
	s_delay_alu instid0(VALU_DEP_2) | instskip(NEXT) | instid1(VALU_DEP_1)
	v_add_f32_e32 v53, 1.0, v53
	v_add_f32_e32 v49, v49, v53
	v_cmp_gt_f32_e64 s14, 0x33800000, v50
	v_subrev_co_ci_u32_e32 v48, vcc_lo, 0, v48, vcc_lo
	v_cmp_eq_f32_e32 vcc_lo, 0x7f800000, v50
	s_delay_alu instid0(VALU_DEP_2) | instskip(SKIP_2) | instid1(VALU_DEP_2)
	v_sub_nc_u32_e32 v52, 0, v48
	v_cvt_f32_i32_e32 v48, v48
	s_or_b32 vcc_lo, s14, vcc_lo
	v_ldexp_f32 v51, v51, v52
	v_ldexp_f32 v49, v49, v52
	s_delay_alu instid0(VALU_DEP_2) | instskip(NEXT) | instid1(VALU_DEP_1)
	v_add_f32_e32 v54, 1.0, v51
	v_dual_add_f32 v52, -1.0, v51 :: v_dual_add_f32 v53, -1.0, v54
	s_delay_alu instid0(VALU_DEP_1) | instskip(NEXT) | instid1(VALU_DEP_2)
	v_add_f32_e32 v55, 1.0, v52
	v_sub_f32_e32 v53, v51, v53
	s_delay_alu instid0(VALU_DEP_2) | instskip(NEXT) | instid1(VALU_DEP_2)
	v_sub_f32_e32 v51, v51, v55
	v_add_f32_e32 v53, v49, v53
	s_delay_alu instid0(VALU_DEP_2) | instskip(NEXT) | instid1(VALU_DEP_1)
	v_add_f32_e32 v49, v49, v51
	v_add_f32_e32 v56, v52, v49
	s_delay_alu instid0(VALU_DEP_1) | instskip(NEXT) | instid1(VALU_DEP_1)
	v_dual_add_f32 v55, v54, v53 :: v_dual_sub_f32 v52, v52, v56
	v_rcp_f32_e32 v51, v55
	v_sub_f32_e32 v54, v54, v55
	s_delay_alu instid0(VALU_DEP_1) | instskip(SKIP_2) | instid1(VALU_DEP_1)
	v_add_f32_e32 v53, v53, v54
	s_waitcnt_depctr 0xfff
	v_mul_f32_e32 v57, v56, v51
	v_mul_f32_e32 v58, v55, v57
	s_delay_alu instid0(VALU_DEP_1) | instskip(NEXT) | instid1(VALU_DEP_1)
	v_fma_f32 v54, v57, v55, -v58
	v_fmac_f32_e32 v54, v57, v53
	s_delay_alu instid0(VALU_DEP_1) | instskip(NEXT) | instid1(VALU_DEP_1)
	v_add_f32_e32 v59, v58, v54
	v_sub_f32_e32 v60, v56, v59
	s_delay_alu instid0(VALU_DEP_1) | instskip(SKIP_1) | instid1(VALU_DEP_2)
	v_sub_f32_e32 v56, v56, v60
	v_dual_add_f32 v49, v49, v52 :: v_dual_sub_f32 v52, v59, v58
	v_sub_f32_e32 v56, v56, v59
	s_delay_alu instid0(VALU_DEP_1) | instskip(NEXT) | instid1(VALU_DEP_1)
	v_dual_sub_f32 v52, v52, v54 :: v_dual_add_f32 v49, v49, v56
	v_add_f32_e32 v49, v52, v49
	s_delay_alu instid0(VALU_DEP_1) | instskip(NEXT) | instid1(VALU_DEP_1)
	v_add_f32_e32 v52, v60, v49
	v_mul_f32_e32 v54, v51, v52
	s_delay_alu instid0(VALU_DEP_1) | instskip(NEXT) | instid1(VALU_DEP_1)
	v_dual_sub_f32 v59, v60, v52 :: v_dual_mul_f32 v56, v55, v54
	v_add_f32_e32 v49, v49, v59
	s_delay_alu instid0(VALU_DEP_2) | instskip(NEXT) | instid1(VALU_DEP_1)
	v_fma_f32 v55, v54, v55, -v56
	v_fmac_f32_e32 v55, v54, v53
	s_delay_alu instid0(VALU_DEP_1) | instskip(NEXT) | instid1(VALU_DEP_1)
	v_add_f32_e32 v53, v56, v55
	v_sub_f32_e32 v58, v52, v53
	s_delay_alu instid0(VALU_DEP_1) | instskip(NEXT) | instid1(VALU_DEP_1)
	v_sub_f32_e32 v52, v52, v58
	v_sub_f32_e32 v52, v52, v53
	s_delay_alu instid0(VALU_DEP_1) | instskip(SKIP_2) | instid1(VALU_DEP_1)
	v_add_f32_e32 v49, v49, v52
	v_add_f32_e32 v52, v57, v54
	v_sub_f32_e32 v56, v53, v56
	v_sub_f32_e32 v53, v56, v55
	s_delay_alu instid0(VALU_DEP_1) | instskip(NEXT) | instid1(VALU_DEP_4)
	v_add_f32_e32 v49, v53, v49
	v_sub_f32_e32 v53, v52, v57
	s_delay_alu instid0(VALU_DEP_2) | instskip(NEXT) | instid1(VALU_DEP_2)
	v_add_f32_e32 v49, v58, v49
	v_sub_f32_e32 v53, v54, v53
	s_delay_alu instid0(VALU_DEP_2) | instskip(NEXT) | instid1(VALU_DEP_1)
	v_mul_f32_e32 v49, v51, v49
	v_add_f32_e32 v49, v53, v49
	s_delay_alu instid0(VALU_DEP_1) | instskip(NEXT) | instid1(VALU_DEP_1)
	v_add_f32_e32 v51, v52, v49
	v_mul_f32_e32 v53, v51, v51
	s_delay_alu instid0(VALU_DEP_1) | instskip(SKIP_1) | instid1(VALU_DEP_2)
	v_fmaak_f32 v54, s73, v53, 0x3ecc95a3
	v_mul_f32_e32 v55, v51, v53
	v_fmaak_f32 v53, v53, v54, 0x3f2aaada
	v_ldexp_f32 v54, v51, 1
	s_delay_alu instid0(VALU_DEP_2) | instskip(SKIP_1) | instid1(VALU_DEP_2)
	v_mul_f32_e32 v53, v55, v53
	v_sub_f32_e32 v51, v51, v52
	v_dual_mul_f32 v55, 0x3f317218, v48 :: v_dual_add_f32 v52, v54, v53
	s_delay_alu instid0(VALU_DEP_2) | instskip(NEXT) | instid1(VALU_DEP_2)
	v_sub_f32_e32 v49, v49, v51
	v_sub_f32_e32 v51, v52, v54
	s_delay_alu instid0(VALU_DEP_3) | instskip(NEXT) | instid1(VALU_DEP_3)
	v_fma_f32 v54, 0x3f317218, v48, -v55
	v_ldexp_f32 v49, v49, 1
	s_delay_alu instid0(VALU_DEP_2) | instskip(NEXT) | instid1(VALU_DEP_1)
	v_dual_sub_f32 v51, v53, v51 :: v_dual_fmac_f32 v54, 0xb102e308, v48
	v_dual_add_f32 v48, v49, v51 :: v_dual_add_f32 v49, v55, v54
	s_delay_alu instid0(VALU_DEP_1) | instskip(NEXT) | instid1(VALU_DEP_1)
	v_add_f32_e32 v51, v52, v48
	v_dual_add_f32 v53, v49, v51 :: v_dual_sub_f32 v52, v51, v52
	s_delay_alu instid0(VALU_DEP_1) | instskip(NEXT) | instid1(VALU_DEP_2)
	v_sub_f32_e32 v56, v53, v49
	v_dual_sub_f32 v55, v49, v55 :: v_dual_sub_f32 v48, v48, v52
	s_delay_alu instid0(VALU_DEP_1) | instskip(SKIP_1) | instid1(VALU_DEP_2)
	v_dual_sub_f32 v57, v53, v56 :: v_dual_sub_f32 v54, v54, v55
	v_sub_f32_e32 v51, v51, v56
	v_dual_sub_f32 v49, v49, v57 :: v_dual_add_f32 v52, v54, v48
	s_delay_alu instid0(VALU_DEP_1) | instskip(NEXT) | instid1(VALU_DEP_2)
	v_add_f32_e32 v49, v51, v49
	v_sub_f32_e32 v51, v52, v54
	s_delay_alu instid0(VALU_DEP_2) | instskip(NEXT) | instid1(VALU_DEP_2)
	v_add_f32_e32 v49, v52, v49
	v_sub_f32_e32 v52, v52, v51
	s_delay_alu instid0(VALU_DEP_2) | instskip(NEXT) | instid1(VALU_DEP_1)
	v_dual_sub_f32 v48, v48, v51 :: v_dual_add_f32 v55, v53, v49
	v_dual_sub_f32 v52, v54, v52 :: v_dual_sub_f32 v51, v55, v53
	s_delay_alu instid0(VALU_DEP_1) | instskip(NEXT) | instid1(VALU_DEP_1)
	v_dual_add_f32 v48, v48, v52 :: v_dual_sub_f32 v49, v49, v51
	v_add_f32_e32 v48, v48, v49
	s_delay_alu instid0(VALU_DEP_1) | instskip(NEXT) | instid1(VALU_DEP_1)
	v_add_f32_e32 v48, v55, v48
	v_cndmask_b32_e32 v147, v48, v50, vcc_lo
.LBB153_48:                             ;   in Loop: Header=BB153_12 Depth=1
	s_or_b32 exec_lo, exec_lo, s18
	v_add_f32_e32 v148, s58, v1
	s_delay_alu instid0(VALU_DEP_1) | instskip(SKIP_1) | instid1(SALU_CYCLE_1)
	v_cmp_ge_f32_e32 vcc_lo, 0x41a00000, v148
	s_and_b32 s14, s69, vcc_lo
	s_and_saveexec_b32 s18, s14
	s_cbranch_execz .LBB153_50
; %bb.49:                               ;   in Loop: Header=BB153_12 Depth=1
	v_mul_f32_e32 v48, 0x3fb8aa3b, v148
	v_cmp_ngt_f32_e32 vcc_lo, 0xc2ce8ed0, v148
	s_delay_alu instid0(VALU_DEP_2) | instskip(SKIP_1) | instid1(VALU_DEP_2)
	v_rndne_f32_e32 v49, v48
	v_fma_f32 v50, 0x3fb8aa3b, v148, -v48
	v_sub_f32_e32 v48, v48, v49
	s_delay_alu instid0(VALU_DEP_2) | instskip(SKIP_1) | instid1(VALU_DEP_2)
	v_fmac_f32_e32 v50, 0x32a5705f, v148
	v_cvt_i32_f32_e32 v49, v49
	v_add_f32_e32 v48, v48, v50
	s_delay_alu instid0(VALU_DEP_1) | instskip(SKIP_2) | instid1(VALU_DEP_1)
	v_exp_f32_e32 v48, v48
	s_waitcnt_depctr 0xfff
	v_ldexp_f32 v48, v48, v49
	v_cndmask_b32_e32 v48, 0, v48, vcc_lo
	v_cmp_nlt_f32_e32 vcc_lo, 0x42b17218, v148
	s_delay_alu instid0(VALU_DEP_2) | instskip(NEXT) | instid1(VALU_DEP_1)
	v_cndmask_b32_e32 v50, 0x7f800000, v48, vcc_lo
	v_add_f32_e32 v51, 1.0, v50
	s_delay_alu instid0(VALU_DEP_1) | instskip(NEXT) | instid1(VALU_DEP_1)
	v_cvt_f64_f32_e32 v[48:49], v51
	v_frexp_exp_i32_f64_e32 v48, v[48:49]
	v_frexp_mant_f32_e32 v49, v51
	s_delay_alu instid0(VALU_DEP_1) | instskip(SKIP_1) | instid1(VALU_DEP_1)
	v_cmp_gt_f32_e32 vcc_lo, 0x3f2aaaab, v49
	v_add_f32_e32 v49, -1.0, v51
	v_sub_f32_e32 v53, v49, v51
	v_sub_f32_e32 v49, v50, v49
	s_delay_alu instid0(VALU_DEP_2) | instskip(NEXT) | instid1(VALU_DEP_1)
	v_add_f32_e32 v53, 1.0, v53
	v_add_f32_e32 v49, v49, v53
	v_cmp_gt_f32_e64 s14, 0x33800000, v50
	v_subrev_co_ci_u32_e32 v48, vcc_lo, 0, v48, vcc_lo
	v_cmp_eq_f32_e32 vcc_lo, 0x7f800000, v50
	s_delay_alu instid0(VALU_DEP_2) | instskip(SKIP_2) | instid1(VALU_DEP_2)
	v_sub_nc_u32_e32 v52, 0, v48
	v_cvt_f32_i32_e32 v48, v48
	s_or_b32 vcc_lo, s14, vcc_lo
	v_ldexp_f32 v51, v51, v52
	v_ldexp_f32 v49, v49, v52
	s_delay_alu instid0(VALU_DEP_2) | instskip(NEXT) | instid1(VALU_DEP_1)
	v_add_f32_e32 v54, 1.0, v51
	v_dual_add_f32 v52, -1.0, v51 :: v_dual_add_f32 v53, -1.0, v54
	s_delay_alu instid0(VALU_DEP_1) | instskip(NEXT) | instid1(VALU_DEP_2)
	v_add_f32_e32 v55, 1.0, v52
	v_sub_f32_e32 v53, v51, v53
	s_delay_alu instid0(VALU_DEP_2) | instskip(NEXT) | instid1(VALU_DEP_2)
	v_sub_f32_e32 v51, v51, v55
	v_add_f32_e32 v53, v49, v53
	s_delay_alu instid0(VALU_DEP_2) | instskip(NEXT) | instid1(VALU_DEP_1)
	v_add_f32_e32 v49, v49, v51
	v_add_f32_e32 v56, v52, v49
	s_delay_alu instid0(VALU_DEP_1) | instskip(NEXT) | instid1(VALU_DEP_1)
	v_dual_add_f32 v55, v54, v53 :: v_dual_sub_f32 v52, v52, v56
	v_rcp_f32_e32 v51, v55
	v_sub_f32_e32 v54, v54, v55
	s_delay_alu instid0(VALU_DEP_1) | instskip(SKIP_2) | instid1(VALU_DEP_1)
	v_add_f32_e32 v53, v53, v54
	s_waitcnt_depctr 0xfff
	v_mul_f32_e32 v57, v56, v51
	v_mul_f32_e32 v58, v55, v57
	s_delay_alu instid0(VALU_DEP_1) | instskip(NEXT) | instid1(VALU_DEP_1)
	v_fma_f32 v54, v57, v55, -v58
	v_fmac_f32_e32 v54, v57, v53
	s_delay_alu instid0(VALU_DEP_1) | instskip(NEXT) | instid1(VALU_DEP_1)
	v_add_f32_e32 v59, v58, v54
	v_sub_f32_e32 v60, v56, v59
	s_delay_alu instid0(VALU_DEP_1) | instskip(SKIP_1) | instid1(VALU_DEP_2)
	v_sub_f32_e32 v56, v56, v60
	v_dual_add_f32 v49, v49, v52 :: v_dual_sub_f32 v52, v59, v58
	v_sub_f32_e32 v56, v56, v59
	s_delay_alu instid0(VALU_DEP_1) | instskip(NEXT) | instid1(VALU_DEP_1)
	v_dual_sub_f32 v52, v52, v54 :: v_dual_add_f32 v49, v49, v56
	v_add_f32_e32 v49, v52, v49
	s_delay_alu instid0(VALU_DEP_1) | instskip(NEXT) | instid1(VALU_DEP_1)
	v_add_f32_e32 v52, v60, v49
	v_mul_f32_e32 v54, v51, v52
	s_delay_alu instid0(VALU_DEP_1) | instskip(NEXT) | instid1(VALU_DEP_1)
	v_dual_sub_f32 v59, v60, v52 :: v_dual_mul_f32 v56, v55, v54
	v_add_f32_e32 v49, v49, v59
	s_delay_alu instid0(VALU_DEP_2) | instskip(NEXT) | instid1(VALU_DEP_1)
	v_fma_f32 v55, v54, v55, -v56
	v_fmac_f32_e32 v55, v54, v53
	s_delay_alu instid0(VALU_DEP_1) | instskip(NEXT) | instid1(VALU_DEP_1)
	v_add_f32_e32 v53, v56, v55
	v_sub_f32_e32 v58, v52, v53
	s_delay_alu instid0(VALU_DEP_1) | instskip(NEXT) | instid1(VALU_DEP_1)
	v_sub_f32_e32 v52, v52, v58
	v_sub_f32_e32 v52, v52, v53
	s_delay_alu instid0(VALU_DEP_1) | instskip(SKIP_2) | instid1(VALU_DEP_1)
	v_add_f32_e32 v49, v49, v52
	v_add_f32_e32 v52, v57, v54
	v_sub_f32_e32 v56, v53, v56
	v_sub_f32_e32 v53, v56, v55
	s_delay_alu instid0(VALU_DEP_1) | instskip(NEXT) | instid1(VALU_DEP_4)
	v_add_f32_e32 v49, v53, v49
	v_sub_f32_e32 v53, v52, v57
	s_delay_alu instid0(VALU_DEP_2) | instskip(NEXT) | instid1(VALU_DEP_2)
	v_add_f32_e32 v49, v58, v49
	v_sub_f32_e32 v53, v54, v53
	s_delay_alu instid0(VALU_DEP_2) | instskip(NEXT) | instid1(VALU_DEP_1)
	v_mul_f32_e32 v49, v51, v49
	v_add_f32_e32 v49, v53, v49
	s_delay_alu instid0(VALU_DEP_1) | instskip(NEXT) | instid1(VALU_DEP_1)
	v_add_f32_e32 v51, v52, v49
	v_mul_f32_e32 v53, v51, v51
	s_delay_alu instid0(VALU_DEP_1) | instskip(SKIP_1) | instid1(VALU_DEP_2)
	v_fmaak_f32 v54, s73, v53, 0x3ecc95a3
	v_mul_f32_e32 v55, v51, v53
	v_fmaak_f32 v53, v53, v54, 0x3f2aaada
	v_ldexp_f32 v54, v51, 1
	s_delay_alu instid0(VALU_DEP_2) | instskip(SKIP_1) | instid1(VALU_DEP_2)
	v_mul_f32_e32 v53, v55, v53
	v_sub_f32_e32 v51, v51, v52
	v_dual_mul_f32 v55, 0x3f317218, v48 :: v_dual_add_f32 v52, v54, v53
	s_delay_alu instid0(VALU_DEP_2) | instskip(NEXT) | instid1(VALU_DEP_2)
	v_sub_f32_e32 v49, v49, v51
	v_sub_f32_e32 v51, v52, v54
	s_delay_alu instid0(VALU_DEP_3) | instskip(NEXT) | instid1(VALU_DEP_3)
	v_fma_f32 v54, 0x3f317218, v48, -v55
	v_ldexp_f32 v49, v49, 1
	s_delay_alu instid0(VALU_DEP_2) | instskip(NEXT) | instid1(VALU_DEP_1)
	v_dual_sub_f32 v51, v53, v51 :: v_dual_fmac_f32 v54, 0xb102e308, v48
	v_dual_add_f32 v48, v49, v51 :: v_dual_add_f32 v49, v55, v54
	s_delay_alu instid0(VALU_DEP_1) | instskip(NEXT) | instid1(VALU_DEP_1)
	v_add_f32_e32 v51, v52, v48
	v_dual_add_f32 v53, v49, v51 :: v_dual_sub_f32 v52, v51, v52
	s_delay_alu instid0(VALU_DEP_1) | instskip(NEXT) | instid1(VALU_DEP_2)
	v_sub_f32_e32 v56, v53, v49
	v_dual_sub_f32 v55, v49, v55 :: v_dual_sub_f32 v48, v48, v52
	s_delay_alu instid0(VALU_DEP_1) | instskip(SKIP_1) | instid1(VALU_DEP_2)
	v_dual_sub_f32 v57, v53, v56 :: v_dual_sub_f32 v54, v54, v55
	v_sub_f32_e32 v51, v51, v56
	v_dual_sub_f32 v49, v49, v57 :: v_dual_add_f32 v52, v54, v48
	s_delay_alu instid0(VALU_DEP_1) | instskip(NEXT) | instid1(VALU_DEP_2)
	v_add_f32_e32 v49, v51, v49
	v_sub_f32_e32 v51, v52, v54
	s_delay_alu instid0(VALU_DEP_2) | instskip(NEXT) | instid1(VALU_DEP_2)
	v_add_f32_e32 v49, v52, v49
	v_sub_f32_e32 v52, v52, v51
	s_delay_alu instid0(VALU_DEP_2) | instskip(NEXT) | instid1(VALU_DEP_1)
	v_dual_sub_f32 v48, v48, v51 :: v_dual_add_f32 v55, v53, v49
	v_dual_sub_f32 v52, v54, v52 :: v_dual_sub_f32 v51, v55, v53
	s_delay_alu instid0(VALU_DEP_1) | instskip(NEXT) | instid1(VALU_DEP_1)
	v_dual_add_f32 v48, v48, v52 :: v_dual_sub_f32 v49, v49, v51
	v_add_f32_e32 v48, v48, v49
	s_delay_alu instid0(VALU_DEP_1) | instskip(NEXT) | instid1(VALU_DEP_1)
	v_add_f32_e32 v48, v55, v48
	v_cndmask_b32_e32 v148, v48, v50, vcc_lo
.LBB153_50:                             ;   in Loop: Header=BB153_12 Depth=1
	s_or_b32 exec_lo, exec_lo, s18
	v_add_f32_e32 v149, s58, v2
	s_delay_alu instid0(VALU_DEP_1) | instskip(SKIP_1) | instid1(SALU_CYCLE_1)
	v_cmp_ge_f32_e32 vcc_lo, 0x41a00000, v149
	s_and_b32 s14, s69, vcc_lo
	s_and_saveexec_b32 s18, s14
	s_cbranch_execz .LBB153_52
; %bb.51:                               ;   in Loop: Header=BB153_12 Depth=1
	v_mul_f32_e32 v48, 0x3fb8aa3b, v149
	v_cmp_ngt_f32_e32 vcc_lo, 0xc2ce8ed0, v149
	s_delay_alu instid0(VALU_DEP_2) | instskip(SKIP_1) | instid1(VALU_DEP_2)
	v_rndne_f32_e32 v49, v48
	v_fma_f32 v50, 0x3fb8aa3b, v149, -v48
	v_sub_f32_e32 v48, v48, v49
	s_delay_alu instid0(VALU_DEP_2) | instskip(SKIP_1) | instid1(VALU_DEP_2)
	v_fmac_f32_e32 v50, 0x32a5705f, v149
	v_cvt_i32_f32_e32 v49, v49
	v_add_f32_e32 v48, v48, v50
	s_delay_alu instid0(VALU_DEP_1) | instskip(SKIP_2) | instid1(VALU_DEP_1)
	v_exp_f32_e32 v48, v48
	s_waitcnt_depctr 0xfff
	v_ldexp_f32 v48, v48, v49
	v_cndmask_b32_e32 v48, 0, v48, vcc_lo
	v_cmp_nlt_f32_e32 vcc_lo, 0x42b17218, v149
	s_delay_alu instid0(VALU_DEP_2) | instskip(NEXT) | instid1(VALU_DEP_1)
	v_cndmask_b32_e32 v50, 0x7f800000, v48, vcc_lo
	v_add_f32_e32 v51, 1.0, v50
	s_delay_alu instid0(VALU_DEP_1) | instskip(NEXT) | instid1(VALU_DEP_1)
	v_cvt_f64_f32_e32 v[48:49], v51
	v_frexp_exp_i32_f64_e32 v48, v[48:49]
	v_frexp_mant_f32_e32 v49, v51
	s_delay_alu instid0(VALU_DEP_1) | instskip(SKIP_1) | instid1(VALU_DEP_1)
	v_cmp_gt_f32_e32 vcc_lo, 0x3f2aaaab, v49
	v_add_f32_e32 v49, -1.0, v51
	v_sub_f32_e32 v53, v49, v51
	v_sub_f32_e32 v49, v50, v49
	s_delay_alu instid0(VALU_DEP_2) | instskip(NEXT) | instid1(VALU_DEP_1)
	v_add_f32_e32 v53, 1.0, v53
	v_add_f32_e32 v49, v49, v53
	v_cmp_gt_f32_e64 s14, 0x33800000, v50
	v_subrev_co_ci_u32_e32 v48, vcc_lo, 0, v48, vcc_lo
	v_cmp_eq_f32_e32 vcc_lo, 0x7f800000, v50
	s_delay_alu instid0(VALU_DEP_2) | instskip(SKIP_2) | instid1(VALU_DEP_2)
	v_sub_nc_u32_e32 v52, 0, v48
	v_cvt_f32_i32_e32 v48, v48
	s_or_b32 vcc_lo, s14, vcc_lo
	v_ldexp_f32 v51, v51, v52
	v_ldexp_f32 v49, v49, v52
	s_delay_alu instid0(VALU_DEP_2) | instskip(NEXT) | instid1(VALU_DEP_1)
	v_add_f32_e32 v54, 1.0, v51
	v_dual_add_f32 v52, -1.0, v51 :: v_dual_add_f32 v53, -1.0, v54
	s_delay_alu instid0(VALU_DEP_1) | instskip(NEXT) | instid1(VALU_DEP_2)
	v_add_f32_e32 v55, 1.0, v52
	v_sub_f32_e32 v53, v51, v53
	s_delay_alu instid0(VALU_DEP_2) | instskip(NEXT) | instid1(VALU_DEP_2)
	v_sub_f32_e32 v51, v51, v55
	v_add_f32_e32 v53, v49, v53
	s_delay_alu instid0(VALU_DEP_2) | instskip(NEXT) | instid1(VALU_DEP_1)
	v_add_f32_e32 v49, v49, v51
	v_add_f32_e32 v56, v52, v49
	s_delay_alu instid0(VALU_DEP_1) | instskip(NEXT) | instid1(VALU_DEP_1)
	v_dual_add_f32 v55, v54, v53 :: v_dual_sub_f32 v52, v52, v56
	v_rcp_f32_e32 v51, v55
	v_sub_f32_e32 v54, v54, v55
	s_delay_alu instid0(VALU_DEP_1) | instskip(SKIP_2) | instid1(VALU_DEP_1)
	v_add_f32_e32 v53, v53, v54
	s_waitcnt_depctr 0xfff
	v_mul_f32_e32 v57, v56, v51
	v_mul_f32_e32 v58, v55, v57
	s_delay_alu instid0(VALU_DEP_1) | instskip(NEXT) | instid1(VALU_DEP_1)
	v_fma_f32 v54, v57, v55, -v58
	v_fmac_f32_e32 v54, v57, v53
	s_delay_alu instid0(VALU_DEP_1) | instskip(NEXT) | instid1(VALU_DEP_1)
	v_add_f32_e32 v59, v58, v54
	v_sub_f32_e32 v60, v56, v59
	s_delay_alu instid0(VALU_DEP_1) | instskip(SKIP_1) | instid1(VALU_DEP_2)
	v_sub_f32_e32 v56, v56, v60
	v_dual_add_f32 v49, v49, v52 :: v_dual_sub_f32 v52, v59, v58
	v_sub_f32_e32 v56, v56, v59
	s_delay_alu instid0(VALU_DEP_1) | instskip(NEXT) | instid1(VALU_DEP_1)
	v_dual_sub_f32 v52, v52, v54 :: v_dual_add_f32 v49, v49, v56
	v_add_f32_e32 v49, v52, v49
	s_delay_alu instid0(VALU_DEP_1) | instskip(NEXT) | instid1(VALU_DEP_1)
	v_add_f32_e32 v52, v60, v49
	v_mul_f32_e32 v54, v51, v52
	s_delay_alu instid0(VALU_DEP_1) | instskip(NEXT) | instid1(VALU_DEP_1)
	v_dual_sub_f32 v59, v60, v52 :: v_dual_mul_f32 v56, v55, v54
	v_add_f32_e32 v49, v49, v59
	s_delay_alu instid0(VALU_DEP_2) | instskip(NEXT) | instid1(VALU_DEP_1)
	v_fma_f32 v55, v54, v55, -v56
	v_fmac_f32_e32 v55, v54, v53
	s_delay_alu instid0(VALU_DEP_1) | instskip(NEXT) | instid1(VALU_DEP_1)
	v_add_f32_e32 v53, v56, v55
	v_sub_f32_e32 v58, v52, v53
	s_delay_alu instid0(VALU_DEP_1) | instskip(NEXT) | instid1(VALU_DEP_1)
	v_sub_f32_e32 v52, v52, v58
	v_sub_f32_e32 v52, v52, v53
	s_delay_alu instid0(VALU_DEP_1) | instskip(SKIP_2) | instid1(VALU_DEP_1)
	v_add_f32_e32 v49, v49, v52
	v_add_f32_e32 v52, v57, v54
	v_sub_f32_e32 v56, v53, v56
	v_sub_f32_e32 v53, v56, v55
	s_delay_alu instid0(VALU_DEP_1) | instskip(NEXT) | instid1(VALU_DEP_4)
	v_add_f32_e32 v49, v53, v49
	v_sub_f32_e32 v53, v52, v57
	s_delay_alu instid0(VALU_DEP_2) | instskip(NEXT) | instid1(VALU_DEP_2)
	v_add_f32_e32 v49, v58, v49
	v_sub_f32_e32 v53, v54, v53
	s_delay_alu instid0(VALU_DEP_2) | instskip(NEXT) | instid1(VALU_DEP_1)
	v_mul_f32_e32 v49, v51, v49
	v_add_f32_e32 v49, v53, v49
	s_delay_alu instid0(VALU_DEP_1) | instskip(NEXT) | instid1(VALU_DEP_1)
	v_add_f32_e32 v51, v52, v49
	v_mul_f32_e32 v53, v51, v51
	s_delay_alu instid0(VALU_DEP_1) | instskip(SKIP_1) | instid1(VALU_DEP_2)
	v_fmaak_f32 v54, s73, v53, 0x3ecc95a3
	v_mul_f32_e32 v55, v51, v53
	v_fmaak_f32 v53, v53, v54, 0x3f2aaada
	v_ldexp_f32 v54, v51, 1
	s_delay_alu instid0(VALU_DEP_2) | instskip(SKIP_1) | instid1(VALU_DEP_2)
	v_mul_f32_e32 v53, v55, v53
	v_sub_f32_e32 v51, v51, v52
	v_dual_mul_f32 v55, 0x3f317218, v48 :: v_dual_add_f32 v52, v54, v53
	s_delay_alu instid0(VALU_DEP_2) | instskip(NEXT) | instid1(VALU_DEP_2)
	v_sub_f32_e32 v49, v49, v51
	v_sub_f32_e32 v51, v52, v54
	s_delay_alu instid0(VALU_DEP_3) | instskip(NEXT) | instid1(VALU_DEP_3)
	v_fma_f32 v54, 0x3f317218, v48, -v55
	v_ldexp_f32 v49, v49, 1
	s_delay_alu instid0(VALU_DEP_2) | instskip(NEXT) | instid1(VALU_DEP_1)
	v_dual_sub_f32 v51, v53, v51 :: v_dual_fmac_f32 v54, 0xb102e308, v48
	v_dual_add_f32 v48, v49, v51 :: v_dual_add_f32 v49, v55, v54
	s_delay_alu instid0(VALU_DEP_1) | instskip(NEXT) | instid1(VALU_DEP_1)
	v_add_f32_e32 v51, v52, v48
	v_dual_add_f32 v53, v49, v51 :: v_dual_sub_f32 v52, v51, v52
	s_delay_alu instid0(VALU_DEP_1) | instskip(NEXT) | instid1(VALU_DEP_2)
	v_sub_f32_e32 v56, v53, v49
	v_dual_sub_f32 v55, v49, v55 :: v_dual_sub_f32 v48, v48, v52
	s_delay_alu instid0(VALU_DEP_1) | instskip(SKIP_1) | instid1(VALU_DEP_2)
	v_dual_sub_f32 v57, v53, v56 :: v_dual_sub_f32 v54, v54, v55
	v_sub_f32_e32 v51, v51, v56
	v_dual_sub_f32 v49, v49, v57 :: v_dual_add_f32 v52, v54, v48
	s_delay_alu instid0(VALU_DEP_1) | instskip(NEXT) | instid1(VALU_DEP_2)
	v_add_f32_e32 v49, v51, v49
	v_sub_f32_e32 v51, v52, v54
	s_delay_alu instid0(VALU_DEP_2) | instskip(NEXT) | instid1(VALU_DEP_2)
	v_add_f32_e32 v49, v52, v49
	v_sub_f32_e32 v52, v52, v51
	s_delay_alu instid0(VALU_DEP_2) | instskip(NEXT) | instid1(VALU_DEP_1)
	v_dual_sub_f32 v48, v48, v51 :: v_dual_add_f32 v55, v53, v49
	v_dual_sub_f32 v52, v54, v52 :: v_dual_sub_f32 v51, v55, v53
	s_delay_alu instid0(VALU_DEP_1) | instskip(NEXT) | instid1(VALU_DEP_1)
	v_dual_add_f32 v48, v48, v52 :: v_dual_sub_f32 v49, v49, v51
	v_add_f32_e32 v48, v48, v49
	s_delay_alu instid0(VALU_DEP_1) | instskip(NEXT) | instid1(VALU_DEP_1)
	v_add_f32_e32 v48, v55, v48
	v_cndmask_b32_e32 v149, v48, v50, vcc_lo
.LBB153_52:                             ;   in Loop: Header=BB153_12 Depth=1
	s_or_b32 exec_lo, exec_lo, s18
	v_add_f32_e32 v150, s58, v3
	s_delay_alu instid0(VALU_DEP_1) | instskip(SKIP_1) | instid1(SALU_CYCLE_1)
	v_cmp_ge_f32_e32 vcc_lo, 0x41a00000, v150
	s_and_b32 s14, s69, vcc_lo
	s_and_saveexec_b32 s18, s14
	s_cbranch_execz .LBB153_54
; %bb.53:                               ;   in Loop: Header=BB153_12 Depth=1
	v_mul_f32_e32 v48, 0x3fb8aa3b, v150
	v_cmp_ngt_f32_e32 vcc_lo, 0xc2ce8ed0, v150
	s_delay_alu instid0(VALU_DEP_2) | instskip(SKIP_1) | instid1(VALU_DEP_2)
	v_rndne_f32_e32 v49, v48
	v_fma_f32 v50, 0x3fb8aa3b, v150, -v48
	v_sub_f32_e32 v48, v48, v49
	s_delay_alu instid0(VALU_DEP_2) | instskip(SKIP_1) | instid1(VALU_DEP_2)
	v_fmac_f32_e32 v50, 0x32a5705f, v150
	v_cvt_i32_f32_e32 v49, v49
	v_add_f32_e32 v48, v48, v50
	s_delay_alu instid0(VALU_DEP_1) | instskip(SKIP_2) | instid1(VALU_DEP_1)
	v_exp_f32_e32 v48, v48
	s_waitcnt_depctr 0xfff
	v_ldexp_f32 v48, v48, v49
	v_cndmask_b32_e32 v48, 0, v48, vcc_lo
	v_cmp_nlt_f32_e32 vcc_lo, 0x42b17218, v150
	s_delay_alu instid0(VALU_DEP_2) | instskip(NEXT) | instid1(VALU_DEP_1)
	v_cndmask_b32_e32 v50, 0x7f800000, v48, vcc_lo
	v_add_f32_e32 v51, 1.0, v50
	s_delay_alu instid0(VALU_DEP_1) | instskip(NEXT) | instid1(VALU_DEP_1)
	v_cvt_f64_f32_e32 v[48:49], v51
	v_frexp_exp_i32_f64_e32 v48, v[48:49]
	v_frexp_mant_f32_e32 v49, v51
	s_delay_alu instid0(VALU_DEP_1) | instskip(SKIP_1) | instid1(VALU_DEP_1)
	v_cmp_gt_f32_e32 vcc_lo, 0x3f2aaaab, v49
	v_add_f32_e32 v49, -1.0, v51
	v_sub_f32_e32 v53, v49, v51
	v_sub_f32_e32 v49, v50, v49
	s_delay_alu instid0(VALU_DEP_2) | instskip(NEXT) | instid1(VALU_DEP_1)
	v_add_f32_e32 v53, 1.0, v53
	v_add_f32_e32 v49, v49, v53
	v_cmp_gt_f32_e64 s14, 0x33800000, v50
	v_subrev_co_ci_u32_e32 v48, vcc_lo, 0, v48, vcc_lo
	v_cmp_eq_f32_e32 vcc_lo, 0x7f800000, v50
	s_delay_alu instid0(VALU_DEP_2) | instskip(SKIP_2) | instid1(VALU_DEP_2)
	v_sub_nc_u32_e32 v52, 0, v48
	v_cvt_f32_i32_e32 v48, v48
	s_or_b32 vcc_lo, s14, vcc_lo
	v_ldexp_f32 v51, v51, v52
	v_ldexp_f32 v49, v49, v52
	s_delay_alu instid0(VALU_DEP_2) | instskip(NEXT) | instid1(VALU_DEP_1)
	v_add_f32_e32 v54, 1.0, v51
	v_dual_add_f32 v52, -1.0, v51 :: v_dual_add_f32 v53, -1.0, v54
	s_delay_alu instid0(VALU_DEP_1) | instskip(NEXT) | instid1(VALU_DEP_2)
	v_add_f32_e32 v55, 1.0, v52
	v_sub_f32_e32 v53, v51, v53
	s_delay_alu instid0(VALU_DEP_2) | instskip(NEXT) | instid1(VALU_DEP_2)
	v_sub_f32_e32 v51, v51, v55
	v_add_f32_e32 v53, v49, v53
	s_delay_alu instid0(VALU_DEP_2) | instskip(NEXT) | instid1(VALU_DEP_1)
	v_add_f32_e32 v49, v49, v51
	v_add_f32_e32 v56, v52, v49
	s_delay_alu instid0(VALU_DEP_1) | instskip(NEXT) | instid1(VALU_DEP_1)
	v_dual_add_f32 v55, v54, v53 :: v_dual_sub_f32 v52, v52, v56
	v_rcp_f32_e32 v51, v55
	v_sub_f32_e32 v54, v54, v55
	s_delay_alu instid0(VALU_DEP_1) | instskip(SKIP_2) | instid1(VALU_DEP_1)
	v_add_f32_e32 v53, v53, v54
	s_waitcnt_depctr 0xfff
	v_mul_f32_e32 v57, v56, v51
	v_mul_f32_e32 v58, v55, v57
	s_delay_alu instid0(VALU_DEP_1) | instskip(NEXT) | instid1(VALU_DEP_1)
	v_fma_f32 v54, v57, v55, -v58
	v_fmac_f32_e32 v54, v57, v53
	s_delay_alu instid0(VALU_DEP_1) | instskip(NEXT) | instid1(VALU_DEP_1)
	v_add_f32_e32 v59, v58, v54
	v_sub_f32_e32 v60, v56, v59
	s_delay_alu instid0(VALU_DEP_1) | instskip(SKIP_1) | instid1(VALU_DEP_2)
	v_sub_f32_e32 v56, v56, v60
	v_dual_add_f32 v49, v49, v52 :: v_dual_sub_f32 v52, v59, v58
	v_sub_f32_e32 v56, v56, v59
	s_delay_alu instid0(VALU_DEP_1) | instskip(NEXT) | instid1(VALU_DEP_1)
	v_dual_sub_f32 v52, v52, v54 :: v_dual_add_f32 v49, v49, v56
	v_add_f32_e32 v49, v52, v49
	s_delay_alu instid0(VALU_DEP_1) | instskip(NEXT) | instid1(VALU_DEP_1)
	v_add_f32_e32 v52, v60, v49
	v_mul_f32_e32 v54, v51, v52
	s_delay_alu instid0(VALU_DEP_1) | instskip(NEXT) | instid1(VALU_DEP_1)
	v_dual_sub_f32 v59, v60, v52 :: v_dual_mul_f32 v56, v55, v54
	v_add_f32_e32 v49, v49, v59
	s_delay_alu instid0(VALU_DEP_2) | instskip(NEXT) | instid1(VALU_DEP_1)
	v_fma_f32 v55, v54, v55, -v56
	v_fmac_f32_e32 v55, v54, v53
	s_delay_alu instid0(VALU_DEP_1) | instskip(NEXT) | instid1(VALU_DEP_1)
	v_add_f32_e32 v53, v56, v55
	v_sub_f32_e32 v58, v52, v53
	s_delay_alu instid0(VALU_DEP_1) | instskip(NEXT) | instid1(VALU_DEP_1)
	v_sub_f32_e32 v52, v52, v58
	v_sub_f32_e32 v52, v52, v53
	s_delay_alu instid0(VALU_DEP_1) | instskip(SKIP_2) | instid1(VALU_DEP_1)
	v_add_f32_e32 v49, v49, v52
	v_add_f32_e32 v52, v57, v54
	v_sub_f32_e32 v56, v53, v56
	v_sub_f32_e32 v53, v56, v55
	s_delay_alu instid0(VALU_DEP_1) | instskip(NEXT) | instid1(VALU_DEP_4)
	v_add_f32_e32 v49, v53, v49
	v_sub_f32_e32 v53, v52, v57
	s_delay_alu instid0(VALU_DEP_2) | instskip(NEXT) | instid1(VALU_DEP_2)
	v_add_f32_e32 v49, v58, v49
	v_sub_f32_e32 v53, v54, v53
	s_delay_alu instid0(VALU_DEP_2) | instskip(NEXT) | instid1(VALU_DEP_1)
	v_mul_f32_e32 v49, v51, v49
	v_add_f32_e32 v49, v53, v49
	s_delay_alu instid0(VALU_DEP_1) | instskip(NEXT) | instid1(VALU_DEP_1)
	v_add_f32_e32 v51, v52, v49
	v_mul_f32_e32 v53, v51, v51
	s_delay_alu instid0(VALU_DEP_1) | instskip(SKIP_1) | instid1(VALU_DEP_2)
	v_fmaak_f32 v54, s73, v53, 0x3ecc95a3
	v_mul_f32_e32 v55, v51, v53
	v_fmaak_f32 v53, v53, v54, 0x3f2aaada
	v_ldexp_f32 v54, v51, 1
	s_delay_alu instid0(VALU_DEP_2) | instskip(SKIP_1) | instid1(VALU_DEP_2)
	v_mul_f32_e32 v53, v55, v53
	v_sub_f32_e32 v51, v51, v52
	v_dual_mul_f32 v55, 0x3f317218, v48 :: v_dual_add_f32 v52, v54, v53
	s_delay_alu instid0(VALU_DEP_2) | instskip(NEXT) | instid1(VALU_DEP_2)
	v_sub_f32_e32 v49, v49, v51
	v_sub_f32_e32 v51, v52, v54
	s_delay_alu instid0(VALU_DEP_3) | instskip(NEXT) | instid1(VALU_DEP_3)
	v_fma_f32 v54, 0x3f317218, v48, -v55
	v_ldexp_f32 v49, v49, 1
	s_delay_alu instid0(VALU_DEP_2) | instskip(NEXT) | instid1(VALU_DEP_1)
	v_dual_sub_f32 v51, v53, v51 :: v_dual_fmac_f32 v54, 0xb102e308, v48
	v_dual_add_f32 v48, v49, v51 :: v_dual_add_f32 v49, v55, v54
	s_delay_alu instid0(VALU_DEP_1) | instskip(NEXT) | instid1(VALU_DEP_1)
	v_add_f32_e32 v51, v52, v48
	v_dual_add_f32 v53, v49, v51 :: v_dual_sub_f32 v52, v51, v52
	s_delay_alu instid0(VALU_DEP_1) | instskip(NEXT) | instid1(VALU_DEP_2)
	v_sub_f32_e32 v56, v53, v49
	v_dual_sub_f32 v55, v49, v55 :: v_dual_sub_f32 v48, v48, v52
	s_delay_alu instid0(VALU_DEP_1) | instskip(SKIP_1) | instid1(VALU_DEP_2)
	v_dual_sub_f32 v57, v53, v56 :: v_dual_sub_f32 v54, v54, v55
	v_sub_f32_e32 v51, v51, v56
	v_dual_sub_f32 v49, v49, v57 :: v_dual_add_f32 v52, v54, v48
	s_delay_alu instid0(VALU_DEP_1) | instskip(NEXT) | instid1(VALU_DEP_2)
	v_add_f32_e32 v49, v51, v49
	v_sub_f32_e32 v51, v52, v54
	s_delay_alu instid0(VALU_DEP_2) | instskip(NEXT) | instid1(VALU_DEP_2)
	v_add_f32_e32 v49, v52, v49
	v_sub_f32_e32 v52, v52, v51
	s_delay_alu instid0(VALU_DEP_2) | instskip(NEXT) | instid1(VALU_DEP_1)
	v_dual_sub_f32 v48, v48, v51 :: v_dual_add_f32 v55, v53, v49
	v_dual_sub_f32 v52, v54, v52 :: v_dual_sub_f32 v51, v55, v53
	s_delay_alu instid0(VALU_DEP_1) | instskip(NEXT) | instid1(VALU_DEP_1)
	v_dual_add_f32 v48, v48, v52 :: v_dual_sub_f32 v49, v49, v51
	v_add_f32_e32 v48, v48, v49
	s_delay_alu instid0(VALU_DEP_1) | instskip(NEXT) | instid1(VALU_DEP_1)
	v_add_f32_e32 v48, v55, v48
	v_cndmask_b32_e32 v150, v48, v50, vcc_lo
.LBB153_54:                             ;   in Loop: Header=BB153_12 Depth=1
	s_or_b32 exec_lo, exec_lo, s18
	v_dual_mul_f32 v50, s59, v10 :: v_dual_mul_f32 v49, s59, v9
	v_dual_mul_f32 v48, s59, v8 :: v_dual_mul_f32 v55, s59, v23
	;; [unrolled: 1-line block ×8, first 2 shown]
	s_lshl_b32 s42, s75, 11
	s_and_b32 vcc_lo, exec_lo, s70
	s_barrier
	buffer_gl0_inv
	s_cbranch_vccz .LBB153_88
; %bb.55:                               ;   in Loop: Header=BB153_12 Depth=1
	v_add_co_u32 v64, s14, s53, v134
	s_delay_alu instid0(VALU_DEP_1) | instskip(SKIP_1) | instid1(VALU_DEP_1)
	v_add_co_ci_u32_e64 v65, null, s54, 0, s14
	v_add_co_u32 v66, s14, s41, v134
	v_add_co_ci_u32_e64 v67, null, s64, 0, s14
	s_delay_alu instid0(VALU_DEP_4) | instskip(NEXT) | instid1(VALU_DEP_4)
	v_add_co_u32 v152, vcc_lo, v64, v133
	v_add_co_ci_u32_e32 v153, vcc_lo, 0, v65, vcc_lo
	s_delay_alu instid0(VALU_DEP_4)
	v_add_co_u32 v154, vcc_lo, v66, v133
	s_sub_i32 s28, s38, s42
	v_add_co_ci_u32_e32 v155, vcc_lo, 0, v67, vcc_lo
	v_cmp_gt_u32_e32 vcc_lo, s28, v108
	s_cmp_lg_u32 s75, 0
	v_cmp_gt_u32_e64 s19, s28, v119
	s_cselect_b32 s43, -1, 0
	s_cmp_eq_u32 s75, s72
	v_cmp_gt_u32_e64 s20, s28, v120
	s_cselect_b32 s76, -1, 0
	s_or_b32 s14, s71, vcc_lo
	v_cmp_gt_u32_e32 vcc_lo, s28, v118
	v_cmp_gt_u32_e64 s21, s28, v121
	v_cmp_gt_u32_e64 s22, s28, v122
	;; [unrolled: 1-line block ×4, first 2 shown]
	s_or_b32 s18, s71, vcc_lo
	v_cmp_gt_u32_e32 vcc_lo, s28, v123
	v_cmp_gt_u32_e64 s26, s28, v126
	v_cmp_gt_u32_e64 s27, s28, v127
	;; [unrolled: 1-line block ×4, first 2 shown]
	s_or_b32 s23, s71, vcc_lo
	v_cmp_gt_u32_e32 vcc_lo, s28, v128
	v_cmp_gt_u32_e64 s31, s28, v131
	v_cmp_gt_u32_e64 s33, s28, v132
	v_dual_mul_f32 v151, v11, v150 :: v_dual_mul_f32 v156, v10, v149
	v_dual_mul_f32 v157, v9, v148 :: v_dual_mul_f32 v158, v8, v147
	;; [unrolled: 1-line block ×8, first 2 shown]
	s_mov_b32 s56, 0
	s_or_b32 s19, s71, s19
	s_or_b32 s20, s71, s20
	;; [unrolled: 1-line block ×8, first 2 shown]
	s_or_b32 s28, s71, vcc_lo
	s_or_b32 s29, s71, s29
	s_or_b32 s30, s71, s30
	;; [unrolled: 1-line block ×4, first 2 shown]
	s_mov_b32 s44, s56
	s_mov_b32 s46, s56
	;; [unrolled: 1-line block ×5, first 2 shown]
	s_branch .LBB153_57
.LBB153_56:                             ;   in Loop: Header=BB153_57 Depth=2
	s_or_b32 exec_lo, exec_lo, s34
	v_cndmask_b32_e64 v81, v192, v83, s17
	v_cndmask_b32_e64 v82, v191, v82, s17
	s_add_i32 s77, s77, -1
	s_add_i32 s78, s78, 8
	s_add_i32 s50, s50, s65
	v_fma_f32 v81, v81, v173, v171
	v_mul_f32_e32 v82, v82, v173
	s_add_i32 s46, s46, s40
	s_add_i32 s44, s44, s52
	;; [unrolled: 1-line block ×3, first 2 shown]
	v_cndmask_b32_e64 v81, v81, v171, s16
	v_cndmask_b32_e64 v82, v82, v173, s16
	s_cmp_eq_u32 s77, 0
	s_waitcnt lgkmcnt(0)
	s_delay_alu instid0(VALU_DEP_1) | instskip(NEXT) | instid1(VALU_DEP_1)
	v_fmac_f32_e32 v81, v80, v82
	v_fmac_f32_e32 v92, v81, v172
	s_delay_alu instid0(VALU_DEP_1) | instskip(NEXT) | instid1(VALU_DEP_1)
	v_fmac_f32_e32 v93, v92, v174
	v_fmac_f32_e32 v94, v93, v95
	s_delay_alu instid0(VALU_DEP_1) | instskip(SKIP_1) | instid1(VALU_DEP_1)
	v_dual_fmac_f32 v62, v78, v93 :: v_dual_fmac_f32 v63, v79, v94
	v_fmac_f32_e32 v88, v94, v175
	v_fmac_f32_e32 v89, v88, v176
	s_delay_alu instid0(VALU_DEP_1) | instskip(NEXT) | instid1(VALU_DEP_1)
	v_fmac_f32_e32 v90, v89, v177
	v_dual_fmac_f32 v91, v90, v178 :: v_dual_fmac_f32 v60, v76, v81
	s_delay_alu instid0(VALU_DEP_1) | instskip(SKIP_2) | instid1(VALU_DEP_3)
	v_dual_fmac_f32 v61, v77, v92 :: v_dual_fmac_f32 v84, v91, v179
	v_fmac_f32_e32 v59, v75, v91
	v_fmac_f32_e32 v57, v73, v89
	;; [unrolled: 1-line block ×4, first 2 shown]
	s_delay_alu instid0(VALU_DEP_2) | instskip(SKIP_1) | instid1(VALU_DEP_1)
	v_dual_fmac_f32 v52, v68, v84 :: v_dual_fmac_f32 v53, v69, v85
	v_fmac_f32_e32 v86, v85, v181
	v_fmac_f32_e32 v87, v86, v190
	s_delay_alu instid0(VALU_DEP_1) | instskip(NEXT) | instid1(VALU_DEP_1)
	v_fmac_f32_e32 v182, v87, v184
	v_dual_fmac_f32 v55, v71, v87 :: v_dual_fmac_f32 v48, v64, v182
	v_fmac_f32_e32 v183, v182, v186
	s_delay_alu instid0(VALU_DEP_1) | instskip(SKIP_1) | instid1(VALU_DEP_2)
	v_dual_fmac_f32 v58, v74, v90 :: v_dual_fmac_f32 v185, v183, v188
	v_dual_fmac_f32 v54, v70, v86 :: v_dual_fmac_f32 v49, v65, v183
	v_fmac_f32_e32 v50, v66, v185
	v_fmac_f32_e32 v187, v185, v189
	s_delay_alu instid0(VALU_DEP_1)
	v_fmac_f32_e32 v51, v67, v187
	s_cbranch_scc1 .LBB153_88
.LBB153_57:                             ;   Parent Loop BB153_12 Depth=1
                                        ; =>  This Inner Loop Header: Depth=2
	s_lshl_b64 s[34:35], s[56:57], 2
	s_mov_b32 s45, s57
	s_add_u32 s34, s62, s34
	s_addc_u32 s35, s63, s35
	s_lshl_b64 s[80:81], s[44:45], 2
	s_mov_b32 s47, s57
	v_add_co_u32 v76, vcc_lo, v152, s80
	v_add_co_ci_u32_e32 v77, vcc_lo, s81, v153, vcc_lo
	s_lshl_b64 s[80:81], s[46:47], 2
	s_clause 0x3
	global_load_b128 v[64:67], v[76:77], off
	global_load_b128 v[68:71], v[76:77], off offset:512
	global_load_b128 v[72:75], v[76:77], off offset:1024
	;; [unrolled: 1-line block ×3, first 2 shown]
	v_add_co_u32 v80, vcc_lo, v154, s80
	v_add_co_ci_u32_e32 v81, vcc_lo, s81, v155, vcc_lo
	global_load_b32 v171, v98, s[34:35]
	s_and_not1_b32 vcc_lo, exec_lo, s43
	s_waitcnt vmcnt(4)
	ds_store_b128 v99, v[64:67]
	s_waitcnt vmcnt(3)
	ds_store_b128 v100, v[68:71] offset:512
	s_waitcnt vmcnt(2)
	ds_store_b128 v101, v[72:75] offset:1024
	s_waitcnt vmcnt(1)
	ds_store_b128 v102, v[76:79] offset:1536
	; wave barrier
	s_clause 0x3
	global_load_b128 v[64:67], v[80:81], off
	global_load_b128 v[68:71], v[80:81], off offset:512
	global_load_b128 v[72:75], v[80:81], off offset:1024
	;; [unrolled: 1-line block ×3, first 2 shown]
	ds_load_b128 v[92:95], v103
	ds_load_b128 v[88:91], v103 offset:16
	ds_load_b128 v[84:87], v103 offset:32
	ds_load_b128 v[80:83], v103 offset:48
	s_waitcnt vmcnt(3)
	ds_store_b128 v99, v[64:67] offset:8448
	s_waitcnt vmcnt(2)
	ds_store_b128 v104, v[68:71] offset:512
	;; [unrolled: 2-line block ×4, first 2 shown]
	; wave barrier
	ds_load_b128 v[76:79], v103 offset:8448
	ds_load_b128 v[72:75], v107 offset:16
	;; [unrolled: 1-line block ×4, first 2 shown]
	s_cbranch_vccnz .LBB153_59
; %bb.58:                               ;   in Loop: Header=BB153_57 Depth=2
	v_mov_b32_e32 v96, s78
	ds_load_b64 v[96:97], v96
	s_cbranch_execz .LBB153_60
	s_branch .LBB153_63
.LBB153_59:                             ;   in Loop: Header=BB153_57 Depth=2
                                        ; implicit-def: $vgpr96
.LBB153_60:                             ;   in Loop: Header=BB153_57 Depth=2
	s_waitcnt lgkmcnt(0)
	v_mov_b32_e32 v97, 0
	s_and_not1_b32 vcc_lo, exec_lo, s37
	s_cbranch_vccnz .LBB153_62
; %bb.61:                               ;   in Loop: Header=BB153_57 Depth=2
	s_mov_b32 s51, s57
	s_delay_alu instid0(SALU_CYCLE_1) | instskip(NEXT) | instid1(SALU_CYCLE_1)
	s_lshl_b64 s[34:35], s[50:51], 2
	s_add_u32 s34, s66, s34
	s_addc_u32 s35, s67, s35
	global_load_b32 v97, v98, s[34:35]
.LBB153_62:                             ;   in Loop: Header=BB153_57 Depth=2
	v_mov_b32_e32 v96, 1.0
.LBB153_63:                             ;   in Loop: Header=BB153_57 Depth=2
	s_waitcnt lgkmcnt(11)
	v_dual_mul_f32 v185, 0x3fb8aa3b, v171 :: v_dual_mul_f32 v92, v92, v170
	v_dual_mul_f32 v93, v93, v169 :: v_dual_mul_f32 v94, v94, v168
	v_mul_f32_e32 v95, v95, v167
	s_delay_alu instid0(VALU_DEP_3)
	v_mul_f32_e32 v171, v185, v135
	v_mul_f32_e32 v174, v185, v137
	s_waitcnt lgkmcnt(10)
	v_dual_mul_f32 v177, v185, v139 :: v_dual_mul_f32 v88, v88, v166
	s_waitcnt lgkmcnt(9)
	v_dual_mul_f32 v179, v185, v142 :: v_dual_mul_f32 v86, v86, v160
	v_cmp_gt_f32_e32 vcc_lo, 0xc2fc0000, v171
	v_cndmask_b32_e64 v171, 0, v92, s14
	v_mul_f32_e32 v92, v185, v138
	v_cmp_gt_f32_e64 s35, 0xc2fc0000, v174
	v_mul_f32_e32 v186, v185, v147
	v_cndmask_b32_e64 v173, 0, 0x42800000, vcc_lo
	v_cndmask_b32_e64 v88, 0, v88, s21
	v_cmp_gt_f32_e64 s36, 0xc2fc0000, v92
	v_cndmask_b32_e64 v174, 0, 0x42800000, s35
	v_cndmask_b32_e64 v92, 0, v93, s18
	v_cndmask_b32_e64 v93, 1.0, 0x1f800000, vcc_lo
	v_cmp_gt_f32_e32 vcc_lo, 0xc2fc0000, v177
	v_cndmask_b32_e64 v175, 0, 0x42800000, s36
	v_fmac_f32_e32 v174, v185, v137
	v_cndmask_b32_e64 v177, 1.0, 0x1f800000, s36
	v_cndmask_b32_e64 v178, 1.0, 0x1f800000, s35
	v_cmp_gt_f32_e64 s35, 0xc2fc0000, v179
	v_fmac_f32_e32 v175, v185, v138
	v_exp_f32_e32 v174, v174
	v_fmac_f32_e32 v173, v185, v135
	s_waitcnt lgkmcnt(8)
	v_dual_mul_f32 v189, v185, v150 :: v_dual_mul_f32 v82, v82, v156
	v_exp_f32_e32 v175, v175
	v_mul_f32_e32 v172, v185, v136
	v_cndmask_b32_e64 v86, 0, v86, s27
	v_dual_mul_f32 v90, v90, v164 :: v_dual_mul_f32 v91, v91, v163
	s_delay_alu instid0(TRANS32_DEP_2) | instskip(SKIP_2) | instid1(VALU_DEP_3)
	v_dual_mul_f32 v87, v87, v159 :: v_dual_mul_f32 v174, v174, v178
	v_exp_f32_e32 v173, v173
	v_mul_f32_e32 v178, v185, v141
	v_cndmask_b32_e64 v90, 0, v90, s23
	s_delay_alu instid0(TRANS32_DEP_2)
	v_mul_f32_e32 v175, v175, v177
	v_cmp_gt_f32_e64 s34, 0xc2fc0000, v172
	v_cndmask_b32_e64 v174, 1.0, v174, s19
	v_cndmask_b32_e64 v91, 0, v91, s24
	v_cndmask_b32_e64 v87, 0, v87, s28
	v_mul_f32_e32 v84, v84, v162
	v_cndmask_b32_e64 v172, 0, 0x42800000, s34
	v_mul_f32_e32 v93, v173, v93
	v_cndmask_b32_e64 v176, 1.0, 0x1f800000, s34
	v_dual_mul_f32 v83, v83, v151 :: v_dual_mul_f32 v80, v80, v158
	s_delay_alu instid0(VALU_DEP_4) | instskip(NEXT) | instid1(VALU_DEP_4)
	v_fmac_f32_e32 v172, v185, v136
	v_cndmask_b32_e64 v173, 1.0, v93, s14
	v_cndmask_b32_e64 v93, 0, v94, s19
	v_mul_f32_e32 v94, v185, v140
	v_cndmask_b32_e64 v84, 0, v84, s25
	v_exp_f32_e32 v172, v172
	v_mul_f32_e32 v81, v81, v157
	s_delay_alu instid0(VALU_DEP_3) | instskip(SKIP_3) | instid1(VALU_DEP_4)
	v_cmp_gt_f32_e64 s34, 0xc2fc0000, v94
	v_cndmask_b32_e64 v94, 0, v95, s20
	v_cndmask_b32_e64 v95, 1.0, v175, s20
	v_cndmask_b32_e64 v175, 1.0, 0x1f800000, vcc_lo
	v_cndmask_b32_e64 v177, 0, 0x42800000, s34
	v_cndmask_b32_e64 v179, 1.0, 0x1f800000, s34
	s_delay_alu instid0(TRANS32_DEP_1) | instskip(SKIP_2) | instid1(VALU_DEP_3)
	v_mul_f32_e32 v172, v172, v176
	v_cndmask_b32_e64 v176, 0, 0x42800000, vcc_lo
	v_cmp_gt_f32_e32 vcc_lo, 0xc2fc0000, v178
	v_cndmask_b32_e64 v172, 1.0, v172, s18
	s_delay_alu instid0(VALU_DEP_3) | instskip(SKIP_1) | instid1(VALU_DEP_2)
	v_fmac_f32_e32 v176, v185, v139
	v_cndmask_b32_e64 v178, 0, 0x42800000, vcc_lo
	v_exp_f32_e32 v176, v176
	s_delay_alu instid0(VALU_DEP_1) | instskip(NEXT) | instid1(VALU_DEP_1)
	v_fmac_f32_e32 v178, v185, v141
	v_exp_f32_e32 v178, v178
	v_fmac_f32_e32 v177, v185, v140
	s_waitcnt_depctr 0xfff
	v_mul_f32_e32 v175, v176, v175
	v_exp_f32_e32 v176, v177
	v_cndmask_b32_e64 v177, 0, 0x42800000, s35
	s_delay_alu instid0(VALU_DEP_2) | instskip(SKIP_3) | instid1(VALU_DEP_2)
	v_cndmask_b32_e64 v175, 1.0, v175, s21
	s_waitcnt_depctr 0xfff
	v_dual_fmac_f32 v177, v185, v142 :: v_dual_mul_f32 v176, v176, v179
	v_cndmask_b32_e64 v179, 1.0, 0x1f800000, vcc_lo
	v_exp_f32_e32 v180, v177
	v_mul_f32_e32 v177, v185, v143
	s_delay_alu instid0(VALU_DEP_3) | instskip(NEXT) | instid1(VALU_DEP_3)
	v_cndmask_b32_e64 v176, 1.0, v176, s22
	v_mul_f32_e32 v178, v178, v179
	v_cndmask_b32_e64 v179, 1.0, 0x1f800000, s35
	v_mul_f32_e32 v89, v89, v165
	v_cmp_gt_f32_e32 vcc_lo, 0xc2fc0000, v177
	s_delay_alu instid0(VALU_DEP_4)
	v_cndmask_b32_e64 v177, 1.0, v178, s23
	s_delay_alu instid0(TRANS32_DEP_1) | instid1(VALU_DEP_4)
	v_dual_mul_f32 v178, v180, v179 :: v_dual_mul_f32 v179, v185, v144
	v_cndmask_b32_e64 v181, 0, 0x42800000, vcc_lo
	v_mul_f32_e32 v182, v185, v146
	v_cndmask_b32_e64 v183, 1.0, 0x1f800000, vcc_lo
	s_delay_alu instid0(VALU_DEP_4)
	v_cndmask_b32_e64 v178, 1.0, v178, s24
	v_cmp_gt_f32_e64 s34, 0xc2fc0000, v179
	v_fmac_f32_e32 v181, v185, v143
	v_mul_f32_e32 v180, v185, v145
	v_cmp_gt_f32_e32 vcc_lo, 0xc2fc0000, v182
	v_cndmask_b32_e64 v89, 0, v89, s22
	v_cndmask_b32_e64 v179, 0, 0x42800000, s34
	v_exp_f32_e32 v181, v181
	v_cmp_gt_f32_e64 s35, 0xc2fc0000, v180
	v_cndmask_b32_e64 v182, 0, 0x42800000, vcc_lo
	s_delay_alu instid0(VALU_DEP_3) | instskip(NEXT) | instid1(VALU_DEP_3)
	v_fmac_f32_e32 v179, v185, v144
	v_cndmask_b32_e64 v180, 0, 0x42800000, s35
	s_delay_alu instid0(VALU_DEP_3) | instskip(NEXT) | instid1(VALU_DEP_3)
	v_fmac_f32_e32 v182, v185, v146
	v_exp_f32_e32 v184, v179
	s_delay_alu instid0(TRANS32_DEP_2) | instskip(NEXT) | instid1(VALU_DEP_3)
	v_mul_f32_e32 v179, v181, v183
	v_fmac_f32_e32 v180, v185, v145
	v_cndmask_b32_e64 v181, 1.0, 0x1f800000, s34
	v_exp_f32_e32 v182, v182
	v_cndmask_b32_e64 v183, 1.0, 0x1f800000, s35
	v_cndmask_b32_e64 v179, 1.0, v179, s25
	v_exp_f32_e32 v180, v180
	s_delay_alu instid0(TRANS32_DEP_3)
	v_mul_f32_e32 v181, v184, v181
	v_cndmask_b32_e64 v184, 1.0, 0x1f800000, vcc_lo
	v_cmp_gt_f32_e32 vcc_lo, 0xc2fc0000, v186
	v_fma_f32 v186, v172, v171, v92
	s_delay_alu instid0(TRANS32_DEP_2) | instid1(VALU_DEP_3)
	v_mul_f32_e32 v182, v182, v184
	v_mul_f32_e32 v184, v172, v173
	s_delay_alu instid0(TRANS32_DEP_1)
	v_mul_f32_e32 v183, v180, v183
	v_cndmask_b32_e64 v180, 1.0, v181, s26
	v_fma_f32 v186, v186, v174, v93
	v_cndmask_b32_e64 v190, 1.0, v182, s28
	v_mul_f32_e32 v184, v184, v174
	v_cndmask_b32_e64 v181, 1.0, v183, s27
	v_cndmask_b32_e64 v183, 0, 0x42800000, vcc_lo
	v_cndmask_b32_e64 v182, 1.0, 0x1f800000, vcc_lo
	s_delay_alu instid0(VALU_DEP_4) | instskip(SKIP_2) | instid1(VALU_DEP_3)
	v_dual_mul_f32 v187, v185, v148 :: v_dual_mul_f32 v184, v184, v95
	v_mul_f32_e32 v85, v85, v161
	v_fma_f32 v186, v186, v95, v94
	v_cmp_gt_f32_e64 s34, 0xc2fc0000, v187
	s_delay_alu instid0(VALU_DEP_4) | instskip(SKIP_1) | instid1(VALU_DEP_4)
	v_mul_f32_e32 v184, v184, v175
	v_fmac_f32_e32 v183, v185, v147
	v_fma_f32 v186, v186, v175, v88
	v_cndmask_b32_e64 v85, 0, v85, s26
	v_cndmask_b32_e64 v187, 0, 0x42800000, s34
	v_mul_f32_e32 v188, v184, v176
	v_exp_f32_e32 v183, v183
	v_fma_f32 v186, v186, v176, v89
	s_delay_alu instid0(VALU_DEP_1)
	v_fma_f32 v186, v186, v177, v90
	s_waitcnt_depctr 0xfff
	v_mul_f32_e32 v183, v183, v182
	v_cndmask_b32_e64 v182, 0, v80, s29
	v_cndmask_b32_e64 v80, 1.0, 0x1f800000, s34
	v_cmp_gt_f32_e64 s34, 0xc2fc0000, v189
	v_fma_f32 v186, v186, v178, v91
	v_cndmask_b32_e64 v184, 1.0, v183, s29
	v_mul_f32_e32 v183, v188, v177
	v_mul_f32_e32 v188, v185, v149
	s_delay_alu instid0(VALU_DEP_4) | instskip(NEXT) | instid1(VALU_DEP_2)
	v_fma_f32 v186, v186, v179, v84
	v_cmp_gt_f32_e32 vcc_lo, 0xc2fc0000, v188
	s_delay_alu instid0(VALU_DEP_2) | instskip(SKIP_1) | instid1(VALU_DEP_1)
	v_fma_f32 v189, v186, v180, v85
	v_cndmask_b32_e64 v188, 0, 0x42800000, vcc_lo
	v_fmac_f32_e32 v188, v185, v149
	s_delay_alu instid0(VALU_DEP_1) | instskip(SKIP_1) | instid1(VALU_DEP_1)
	v_exp_f32_e32 v188, v188
	v_fmac_f32_e32 v187, v185, v148
	v_exp_f32_e32 v187, v187
	s_waitcnt_depctr 0xfff
	v_mul_f32_e32 v80, v187, v80
	v_mul_f32_e32 v187, v183, v178
	v_cndmask_b32_e64 v183, 0, v81, s30
	s_delay_alu instid0(VALU_DEP_3) | instskip(NEXT) | instid1(VALU_DEP_3)
	v_cndmask_b32_e64 v186, 1.0, v80, s30
	v_mul_f32_e32 v81, v187, v179
	v_cndmask_b32_e64 v187, 0, 0x42800000, s34
	s_delay_alu instid0(VALU_DEP_1) | instskip(SKIP_1) | instid1(VALU_DEP_2)
	v_fmac_f32_e32 v187, v185, v150
	v_cndmask_b32_e64 v185, 1.0, 0x1f800000, vcc_lo
	v_exp_f32_e32 v187, v187
	s_delay_alu instid0(VALU_DEP_1) | instskip(SKIP_3) | instid1(VALU_DEP_4)
	v_mul_f32_e32 v188, v188, v185
	v_cndmask_b32_e64 v185, 0, v82, s31
	v_cndmask_b32_e64 v82, 1.0, 0x1f800000, s34
	v_mul_f32_e32 v81, v81, v180
	v_cndmask_b32_e64 v188, 1.0, v188, s31
	s_waitcnt_depctr 0xfff
	v_mul_f32_e32 v82, v187, v82
	v_mul_f32_e32 v80, v81, v181
	v_fma_f32 v81, v189, v181, v86
	v_cndmask_b32_e64 v187, 0, v83, s33
	s_delay_alu instid0(VALU_DEP_4) | instskip(NEXT) | instid1(VALU_DEP_4)
	v_cndmask_b32_e64 v189, 1.0, v82, s33
	v_mul_f32_e32 v80, v80, v190
	s_delay_alu instid0(VALU_DEP_4) | instskip(NEXT) | instid1(VALU_DEP_2)
	v_fma_f32 v81, v81, v190, v87
	v_mul_f32_e32 v80, v80, v184
	s_delay_alu instid0(VALU_DEP_2) | instskip(NEXT) | instid1(VALU_DEP_2)
	v_fma_f32 v81, v81, v184, v182
	v_mul_f32_e32 v80, v80, v186
	s_delay_alu instid0(VALU_DEP_2) | instskip(NEXT) | instid1(VALU_DEP_2)
	;; [unrolled: 3-line block ×4, first 2 shown]
	v_fma_f32 v81, v81, v189, v187
	v_mov_b32_dpp v83, v80 row_shr:1 row_mask:0xf bank_mask:0xf
	s_delay_alu instid0(VALU_DEP_2)
	v_mov_b32_dpp v82, v81 row_shr:1 row_mask:0xf bank_mask:0xf
	s_and_saveexec_b32 s34, s4
; %bb.64:                               ;   in Loop: Header=BB153_57 Depth=2
	s_delay_alu instid0(VALU_DEP_2) | instskip(NEXT) | instid1(VALU_DEP_1)
	v_mul_f32_e32 v83, v80, v83
	v_dual_fmac_f32 v81, v80, v82 :: v_dual_mov_b32 v80, v83
; %bb.65:                               ;   in Loop: Header=BB153_57 Depth=2
	s_or_b32 exec_lo, exec_lo, s34
	s_delay_alu instid0(VALU_DEP_1) | instskip(NEXT) | instid1(VALU_DEP_2)
	v_mov_b32_dpp v82, v80 row_shr:2 row_mask:0xf bank_mask:0xf
	v_mov_b32_dpp v83, v81 row_shr:2 row_mask:0xf bank_mask:0xf
	s_and_saveexec_b32 s34, s5
; %bb.66:                               ;   in Loop: Header=BB153_57 Depth=2
	s_delay_alu instid0(VALU_DEP_1) | instskip(NEXT) | instid1(VALU_DEP_3)
	v_fmac_f32_e32 v81, v80, v83
	v_mul_f32_e32 v80, v80, v82
; %bb.67:                               ;   in Loop: Header=BB153_57 Depth=2
	s_or_b32 exec_lo, exec_lo, s34
	s_delay_alu instid0(VALU_DEP_1) | instskip(NEXT) | instid1(VALU_DEP_3)
	v_mov_b32_dpp v82, v80 row_shr:4 row_mask:0xf bank_mask:0xf
	v_mov_b32_dpp v83, v81 row_shr:4 row_mask:0xf bank_mask:0xf
	s_and_saveexec_b32 s34, s6
; %bb.68:                               ;   in Loop: Header=BB153_57 Depth=2
	s_delay_alu instid0(VALU_DEP_1) | instskip(NEXT) | instid1(VALU_DEP_3)
	v_fmac_f32_e32 v81, v80, v83
	v_mul_f32_e32 v80, v80, v82
; %bb.69:                               ;   in Loop: Header=BB153_57 Depth=2
	s_or_b32 exec_lo, exec_lo, s34
	s_delay_alu instid0(VALU_DEP_1) | instskip(NEXT) | instid1(VALU_DEP_3)
	v_mov_b32_dpp v82, v80 row_shr:8 row_mask:0xf bank_mask:0xf
	v_mov_b32_dpp v83, v81 row_shr:8 row_mask:0xf bank_mask:0xf
	s_and_saveexec_b32 s34, s7
; %bb.70:                               ;   in Loop: Header=BB153_57 Depth=2
	s_delay_alu instid0(VALU_DEP_1) | instskip(NEXT) | instid1(VALU_DEP_3)
	v_fmac_f32_e32 v81, v80, v83
	v_mul_f32_e32 v80, v80, v82
; %bb.71:                               ;   in Loop: Header=BB153_57 Depth=2
	s_or_b32 exec_lo, exec_lo, s34
	ds_swizzle_b32 v83, v80 offset:swizzle(BROADCAST,32,15)
	ds_swizzle_b32 v82, v81 offset:swizzle(BROADCAST,32,15)
	s_and_saveexec_b32 s34, s8
	s_cbranch_execz .LBB153_73
; %bb.72:                               ;   in Loop: Header=BB153_57 Depth=2
	s_waitcnt lgkmcnt(1)
	v_mul_f32_e32 v83, v80, v83
	s_waitcnt lgkmcnt(0)
	s_delay_alu instid0(VALU_DEP_1)
	v_dual_fmac_f32 v81, v80, v82 :: v_dual_mov_b32 v80, v83
.LBB153_73:                             ;   in Loop: Header=BB153_57 Depth=2
	s_or_b32 exec_lo, exec_lo, s34
	s_and_saveexec_b32 s34, s9
	s_cbranch_execz .LBB153_75
; %bb.74:                               ;   in Loop: Header=BB153_57 Depth=2
	ds_store_b64 v109, v[80:81] offset:16896
.LBB153_75:                             ;   in Loop: Header=BB153_57 Depth=2
	s_or_b32 exec_lo, exec_lo, s34
	s_waitcnt vmcnt(0) lgkmcnt(0)
	s_waitcnt_vscnt null, 0x0
	s_barrier
	buffer_gl0_inv
	s_and_saveexec_b32 s34, s10
	s_cbranch_execz .LBB153_79
; %bb.76:                               ;   in Loop: Header=BB153_57 Depth=2
	ds_load_b64 v[82:83], v110 offset:16896
	s_waitcnt lgkmcnt(0)
	v_mov_b32_dpp v193, v82 row_shr:1 row_mask:0xf bank_mask:0xf
	v_mov_b32_dpp v192, v83 row_shr:1 row_mask:0xf bank_mask:0xf
	v_mov_b32_e32 v191, v82
	s_and_saveexec_b32 s35, s11
; %bb.77:                               ;   in Loop: Header=BB153_57 Depth=2
	s_delay_alu instid0(VALU_DEP_3) | instskip(NEXT) | instid1(VALU_DEP_1)
	v_mul_f32_e32 v191, v82, v193
	v_dual_fmac_f32 v83, v82, v192 :: v_dual_mov_b32 v82, v191
; %bb.78:                               ;   in Loop: Header=BB153_57 Depth=2
	s_or_b32 exec_lo, exec_lo, s35
	v_mov_b32_dpp v191, v191 row_shr:2 row_mask:0xf bank_mask:0xf
	s_delay_alu instid0(VALU_DEP_2) | instskip(NEXT) | instid1(VALU_DEP_2)
	v_mov_b32_dpp v192, v83 row_shr:2 row_mask:0xf bank_mask:0xf
	v_mul_f32_e32 v191, v82, v191
	s_delay_alu instid0(VALU_DEP_2) | instskip(NEXT) | instid1(VALU_DEP_2)
	v_fma_f32 v192, v82, v192, v83
	v_cndmask_b32_e64 v82, v82, v191, s12
	s_delay_alu instid0(VALU_DEP_2)
	v_cndmask_b32_e64 v83, v83, v192, s12
	ds_store_b64 v110, v[82:83] offset:16896
.LBB153_79:                             ;   in Loop: Header=BB153_57 Depth=2
	s_or_b32 exec_lo, exec_lo, s34
	s_waitcnt lgkmcnt(0)
	s_barrier
	buffer_gl0_inv
                                        ; implicit-def: $vgpr83
	s_and_saveexec_b32 s34, s15
	s_cbranch_execz .LBB153_81
; %bb.80:                               ;   in Loop: Header=BB153_57 Depth=2
	ds_load_b64 v[82:83], v109 offset:16888
	s_waitcnt lgkmcnt(0)
	v_mul_f32_e32 v191, v80, v82
	s_delay_alu instid0(VALU_DEP_1)
	v_dual_fmac_f32 v81, v80, v83 :: v_dual_mov_b32 v80, v191
.LBB153_81:                             ;   in Loop: Header=BB153_57 Depth=2
	s_or_b32 exec_lo, exec_lo, s34
	ds_bpermute_b32 v191, v111, v80
	ds_bpermute_b32 v192, v111, v81
	s_and_saveexec_b32 s34, s13
	s_cbranch_execz .LBB153_85
; %bb.82:                               ;   in Loop: Header=BB153_57 Depth=2
	ds_load_b64 v[80:81], v98 offset:16920
	s_and_saveexec_b32 s35, s16
	s_cbranch_execz .LBB153_84
; %bb.83:                               ;   in Loop: Header=BB153_57 Depth=2
	ds_store_b64 v98, v[96:97] offset:16920
.LBB153_84:                             ;   in Loop: Header=BB153_57 Depth=2
	s_or_b32 exec_lo, exec_lo, s35
	s_waitcnt lgkmcnt(0)
	v_fmac_f32_e32 v81, v97, v80
	s_delay_alu instid0(VALU_DEP_1)
	v_dual_mul_f32 v96, v96, v80 :: v_dual_mov_b32 v97, v81
.LBB153_85:                             ;   in Loop: Header=BB153_57 Depth=2
	s_or_b32 exec_lo, exec_lo, s34
	s_waitcnt lgkmcnt(0)
	s_barrier
	buffer_gl0_inv
	ds_load_b32 v80, v98 offset:16924
	s_and_saveexec_b32 s34, s16
	s_cbranch_execz .LBB153_56
; %bb.86:                               ;   in Loop: Header=BB153_57 Depth=2
	v_mov_b32_e32 v81, s78
	s_and_not1_b32 vcc_lo, exec_lo, s76
	ds_store_b64 v81, v[96:97]
	s_cbranch_vccnz .LBB153_56
; %bb.87:                               ;   in Loop: Header=BB153_57 Depth=2
	s_mov_b32 s51, s57
	s_delay_alu instid0(SALU_CYCLE_1) | instskip(NEXT) | instid1(SALU_CYCLE_1)
	s_lshl_b64 s[80:81], s[50:51], 2
	s_add_u32 s80, s66, s80
	s_addc_u32 s81, s67, s81
	global_store_b32 v98, v97, s[80:81]
	s_branch .LBB153_56
.LBB153_88:                             ;   in Loop: Header=BB153_12 Depth=1
	s_waitcnt_vscnt null, 0x0
	s_barrier
	buffer_gl0_inv
	ds_store_b128 v103, v[60:63]
	ds_store_b128 v103, v[56:59] offset:16
	ds_store_b128 v103, v[52:55] offset:32
	;; [unrolled: 1-line block ×3, first 2 shown]
	; wave barrier
	ds_load_b128 v[64:67], v99
	ds_load_b128 v[68:71], v100 offset:512
	ds_load_b128 v[72:75], v101 offset:1024
	;; [unrolled: 1-line block ×3, first 2 shown]
	s_mov_b32 s43, s57
	s_delay_alu instid0(SALU_CYCLE_1) | instskip(NEXT) | instid1(SALU_CYCLE_1)
	s_lshl_b64 s[22:23], s[42:43], 2
	v_add_co_u32 v80, vcc_lo, v112, s22
	v_add_co_ci_u32_e32 v81, vcc_lo, s23, v113, vcc_lo
	s_waitcnt lgkmcnt(3)
	global_store_b128 v[80:81], v[64:67], off
	s_waitcnt lgkmcnt(2)
	global_store_b128 v[80:81], v[68:71], off offset:512
	v_add_co_u32 v64, vcc_lo, v114, s22
	v_add_co_ci_u32_e32 v65, vcc_lo, s23, v115, vcc_lo
	s_waitcnt lgkmcnt(1)
	global_store_b128 v[80:81], v[72:75], off offset:1024
	s_waitcnt lgkmcnt(0)
	global_store_b128 v[80:81], v[76:79], off offset:1536
	s_waitcnt_vscnt null, 0x0
	s_barrier
	buffer_gl0_inv
	s_and_saveexec_b32 s14, s0
	s_cbranch_execnz .LBB153_98
; %bb.89:                               ;   in Loop: Header=BB153_12 Depth=1
	s_or_b32 exec_lo, exec_lo, s14
	s_and_saveexec_b32 s14, s1
	s_cbranch_execnz .LBB153_99
.LBB153_90:                             ;   in Loop: Header=BB153_12 Depth=1
	s_or_b32 exec_lo, exec_lo, s14
	s_and_saveexec_b32 s14, s2
	s_cbranch_execnz .LBB153_100
.LBB153_91:                             ;   in Loop: Header=BB153_12 Depth=1
	s_or_b32 exec_lo, exec_lo, s14
	s_and_saveexec_b32 s14, s3
	s_cbranch_execz .LBB153_11
	s_branch .LBB153_101
.LBB153_92:                             ;   in Loop: Header=BB153_12 Depth=1
	global_load_b128 v[36:39], v[48:49], off
	s_or_b32 exec_lo, exec_lo, s14
	s_and_saveexec_b32 s14, s1
	s_cbranch_execz .LBB153_14
.LBB153_93:                             ;   in Loop: Header=BB153_12 Depth=1
	global_load_b128 v[28:31], v[48:49], off offset:512
	s_or_b32 exec_lo, exec_lo, s14
	s_and_saveexec_b32 s14, s2
	s_cbranch_execz .LBB153_15
.LBB153_94:                             ;   in Loop: Header=BB153_12 Depth=1
	global_load_b128 v[20:23], v[48:49], off offset:1024
	s_or_b32 exec_lo, exec_lo, s14
	s_and_saveexec_b32 s14, s3
	s_cbranch_execnz .LBB153_16
	s_branch .LBB153_17
.LBB153_95:                             ;   in Loop: Header=BB153_12 Depth=1
	global_load_b128 v[32:35], v[48:49], off
	s_or_b32 exec_lo, exec_lo, s14
	s_and_saveexec_b32 s14, s1
	s_cbranch_execz .LBB153_19
.LBB153_96:                             ;   in Loop: Header=BB153_12 Depth=1
	global_load_b128 v[16:19], v[48:49], off offset:512
	s_or_b32 exec_lo, exec_lo, s14
	s_and_saveexec_b32 s14, s2
	s_cbranch_execz .LBB153_20
.LBB153_97:                             ;   in Loop: Header=BB153_12 Depth=1
	global_load_b128 v[4:7], v[48:49], off offset:1024
	s_or_b32 exec_lo, exec_lo, s14
	s_and_saveexec_b32 s14, s3
	s_cbranch_execnz .LBB153_21
	s_branch .LBB153_22
.LBB153_98:                             ;   in Loop: Header=BB153_12 Depth=1
	global_load_b128 v[44:47], v[64:65], off
	s_or_b32 exec_lo, exec_lo, s14
	s_and_saveexec_b32 s14, s1
	s_cbranch_execz .LBB153_90
.LBB153_99:                             ;   in Loop: Header=BB153_12 Depth=1
	global_load_b128 v[40:43], v[64:65], off offset:512
	s_or_b32 exec_lo, exec_lo, s14
	s_and_saveexec_b32 s14, s2
	s_cbranch_execz .LBB153_91
.LBB153_100:                            ;   in Loop: Header=BB153_12 Depth=1
	global_load_b128 v[24:27], v[64:65], off offset:1024
	s_or_b32 exec_lo, exec_lo, s14
	s_and_saveexec_b32 s14, s3
	s_cbranch_execz .LBB153_11
.LBB153_101:                            ;   in Loop: Header=BB153_12 Depth=1
	global_load_b128 v[12:15], v[64:65], off offset:1536
	s_branch .LBB153_11
.LBB153_102:
	s_nop 0
	s_sendmsg sendmsg(MSG_DEALLOC_VGPRS)
	s_endpgm
	.section	.rodata,"a",@progbits
	.p2align	6, 0x0
	.amdhsa_kernel _Z25selective_scan_fwd_kernelI32Selective_Scan_fwd_kernel_traitsILi128ELi16ELi1ELb1ELb1ELb1ELb1ELb0EfffEEv13SSMParamsBase
		.amdhsa_group_segment_fixed_size 0
		.amdhsa_private_segment_fixed_size 0
		.amdhsa_kernarg_size 248
		.amdhsa_user_sgpr_count 14
		.amdhsa_user_sgpr_dispatch_ptr 0
		.amdhsa_user_sgpr_queue_ptr 0
		.amdhsa_user_sgpr_kernarg_segment_ptr 1
		.amdhsa_user_sgpr_dispatch_id 0
		.amdhsa_user_sgpr_private_segment_size 0
		.amdhsa_wavefront_size32 1
		.amdhsa_uses_dynamic_stack 0
		.amdhsa_enable_private_segment 0
		.amdhsa_system_sgpr_workgroup_id_x 1
		.amdhsa_system_sgpr_workgroup_id_y 1
		.amdhsa_system_sgpr_workgroup_id_z 0
		.amdhsa_system_sgpr_workgroup_info 0
		.amdhsa_system_vgpr_workitem_id 0
		.amdhsa_next_free_vgpr 194
		.amdhsa_next_free_sgpr 82
		.amdhsa_reserve_vcc 1
		.amdhsa_float_round_mode_32 0
		.amdhsa_float_round_mode_16_64 0
		.amdhsa_float_denorm_mode_32 3
		.amdhsa_float_denorm_mode_16_64 3
		.amdhsa_dx10_clamp 1
		.amdhsa_ieee_mode 1
		.amdhsa_fp16_overflow 0
		.amdhsa_workgroup_processor_mode 1
		.amdhsa_memory_ordered 1
		.amdhsa_forward_progress 0
		.amdhsa_shared_vgpr_count 0
		.amdhsa_exception_fp_ieee_invalid_op 0
		.amdhsa_exception_fp_denorm_src 0
		.amdhsa_exception_fp_ieee_div_zero 0
		.amdhsa_exception_fp_ieee_overflow 0
		.amdhsa_exception_fp_ieee_underflow 0
		.amdhsa_exception_fp_ieee_inexact 0
		.amdhsa_exception_int_div_zero 0
	.end_amdhsa_kernel
	.section	.text._Z25selective_scan_fwd_kernelI32Selective_Scan_fwd_kernel_traitsILi128ELi16ELi1ELb1ELb1ELb1ELb1ELb0EfffEEv13SSMParamsBase,"axG",@progbits,_Z25selective_scan_fwd_kernelI32Selective_Scan_fwd_kernel_traitsILi128ELi16ELi1ELb1ELb1ELb1ELb1ELb0EfffEEv13SSMParamsBase,comdat
.Lfunc_end153:
	.size	_Z25selective_scan_fwd_kernelI32Selective_Scan_fwd_kernel_traitsILi128ELi16ELi1ELb1ELb1ELb1ELb1ELb0EfffEEv13SSMParamsBase, .Lfunc_end153-_Z25selective_scan_fwd_kernelI32Selective_Scan_fwd_kernel_traitsILi128ELi16ELi1ELb1ELb1ELb1ELb1ELb0EfffEEv13SSMParamsBase
                                        ; -- End function
	.section	.AMDGPU.csdata,"",@progbits
; Kernel info:
; codeLenInByte = 21236
; NumSgprs: 84
; NumVgprs: 194
; ScratchSize: 0
; MemoryBound: 1
; FloatMode: 240
; IeeeMode: 1
; LDSByteSize: 0 bytes/workgroup (compile time only)
; SGPRBlocks: 10
; VGPRBlocks: 24
; NumSGPRsForWavesPerEU: 84
; NumVGPRsForWavesPerEU: 194
; Occupancy: 7
; WaveLimiterHint : 1
; COMPUTE_PGM_RSRC2:SCRATCH_EN: 0
; COMPUTE_PGM_RSRC2:USER_SGPR: 14
; COMPUTE_PGM_RSRC2:TRAP_HANDLER: 0
; COMPUTE_PGM_RSRC2:TGID_X_EN: 1
; COMPUTE_PGM_RSRC2:TGID_Y_EN: 1
; COMPUTE_PGM_RSRC2:TGID_Z_EN: 0
; COMPUTE_PGM_RSRC2:TIDIG_COMP_CNT: 0
	.section	.text._Z25selective_scan_fwd_kernelI32Selective_Scan_fwd_kernel_traitsILi128ELi16ELi1ELb1ELb1ELb1ELb0ELb1EfffEEv13SSMParamsBase,"axG",@progbits,_Z25selective_scan_fwd_kernelI32Selective_Scan_fwd_kernel_traitsILi128ELi16ELi1ELb1ELb1ELb1ELb0ELb1EfffEEv13SSMParamsBase,comdat
	.protected	_Z25selective_scan_fwd_kernelI32Selective_Scan_fwd_kernel_traitsILi128ELi16ELi1ELb1ELb1ELb1ELb0ELb1EfffEEv13SSMParamsBase ; -- Begin function _Z25selective_scan_fwd_kernelI32Selective_Scan_fwd_kernel_traitsILi128ELi16ELi1ELb1ELb1ELb1ELb0ELb1EfffEEv13SSMParamsBase
	.globl	_Z25selective_scan_fwd_kernelI32Selective_Scan_fwd_kernel_traitsILi128ELi16ELi1ELb1ELb1ELb1ELb0ELb1EfffEEv13SSMParamsBase
	.p2align	8
	.type	_Z25selective_scan_fwd_kernelI32Selective_Scan_fwd_kernel_traitsILi128ELi16ELi1ELb1ELb1ELb1ELb0ELb1EfffEEv13SSMParamsBase,@function
_Z25selective_scan_fwd_kernelI32Selective_Scan_fwd_kernel_traitsILi128ELi16ELi1ELb1ELb1ELb1ELb0ELb1EfffEEv13SSMParamsBase: ; @_Z25selective_scan_fwd_kernelI32Selective_Scan_fwd_kernel_traitsILi128ELi16ELi1ELb1ELb1ELb1ELb0ELb1EfffEEv13SSMParamsBase
; %bb.0:
	s_clause 0x2
	s_load_b32 s36, s[0:1], 0x18
	s_load_b128 s[4:7], s[0:1], 0xe0
	s_load_b64 s[10:11], s[0:1], 0xf0
	s_mov_b32 s12, s15
	s_ashr_i32 s15, s14, 31
	s_mov_b32 s66, 0
	s_lshl_b64 s[8:9], s[14:15], 2
	s_waitcnt lgkmcnt(0)
	s_abs_i32 s33, s36
	s_add_u32 s2, s4, s8
	v_cvt_f32_u32_e32 v1, s33
	s_addc_u32 s3, s5, s9
	s_cmp_eq_u64 s[10:11], 0
	s_delay_alu instid0(VALU_DEP_1) | instskip(SKIP_2) | instid1(VALU_DEP_1)
	v_rcp_iflag_f32_e32 v1, v1
	s_waitcnt_depctr 0xfff
	v_mul_f32_e32 v1, 0x4f7ffffe, v1
	v_cvt_u32_f32_e32 v1, v1
	s_delay_alu instid0(VALU_DEP_1)
	v_readfirstlane_b32 s37, v1
	s_cbranch_scc1 .LBB154_2
; %bb.1:
	v_mov_b32_e32 v1, 0
	s_add_u32 s4, s10, s14
	s_addc_u32 s5, s11, s15
	global_load_u8 v1, v1, s[4:5]
	s_waitcnt vmcnt(0)
	v_and_b32_e32 v1, 1, v1
	s_delay_alu instid0(VALU_DEP_1)
	v_cmp_eq_u32_e64 s66, 1, v1
.LBB154_2:
	s_load_b64 s[4:5], s[0:1], 0x20
	s_cmp_eq_u64 s[6:7], 0
	s_cbranch_scc1 .LBB154_4
; %bb.3:
	s_add_u32 s6, s6, s8
	s_addc_u32 s7, s7, s9
	s_load_b32 s14, s[6:7], 0x0
	s_waitcnt lgkmcnt(0)
	s_ashr_i32 s15, s14, 31
.LBB154_4:
	s_waitcnt lgkmcnt(0)
	s_cmp_eq_u64 s[4:5], s[14:15]
	s_cbranch_scc1 .LBB154_238
; %bb.5:
	s_load_b512 s[16:31], s[0:1], 0x88
	s_load_b64 s[34:35], s[2:3], 0x0
	s_mov_b32 s67, 0
	s_mov_b32 s68, 0
	s_waitcnt lgkmcnt(0)
	s_cmp_eq_u64 s[22:23], 0
	s_cbranch_scc1 .LBB154_7
; %bb.6:
	s_ashr_i32 s13, s12, 31
	s_delay_alu instid0(SALU_CYCLE_1) | instskip(NEXT) | instid1(SALU_CYCLE_1)
	s_lshl_b64 s[2:3], s[12:13], 2
	s_add_u32 s2, s22, s2
	s_addc_u32 s3, s23, s3
	s_load_b32 s68, s[2:3], 0x0
.LBB154_7:
	s_cmp_eq_u64 s[28:29], 0
	s_cbranch_scc1 .LBB154_9
; %bb.8:
	s_ashr_i32 s13, s12, 31
	s_delay_alu instid0(SALU_CYCLE_1) | instskip(NEXT) | instid1(SALU_CYCLE_1)
	s_lshl_b64 s[2:3], s[12:13], 2
	s_add_u32 s2, s28, s2
	s_addc_u32 s3, s29, s3
	s_load_b32 s67, s[2:3], 0x0
.LBB154_9:
	s_sub_i32 s69, s35, s34
	s_delay_alu instid0(SALU_CYCLE_1)
	s_cmp_lt_i32 s69, 1
	s_cbranch_scc1 .LBB154_238
; %bb.10:
	s_sub_i32 s2, 0, s33
	s_abs_i32 s5, s12
	s_mul_i32 s4, s2, s37
	s_clause 0x1
	s_load_b64 s[2:3], s[0:1], 0x5c
	s_load_b128 s[56:59], s[0:1], 0x4c
	s_mul_hi_u32 s4, s37, s4
	s_ashr_i32 s7, s36, 31
	s_add_i32 s37, s37, s4
	s_ashr_i32 s4, s12, 31
	s_mul_hi_u32 s6, s5, s37
	s_xor_b32 s7, s4, s7
	s_mul_i32 s8, s6, s33
	s_load_b256 s[48:55], s[0:1], 0x2c
	s_sub_i32 s4, s5, s8
	s_add_i32 s5, s6, 1
	s_sub_i32 s8, s4, s33
	s_cmp_ge_u32 s4, s33
	s_mov_b32 s65, 0
	s_cselect_b32 s5, s5, s6
	s_cselect_b32 s4, s8, s4
	s_add_i32 s6, s5, 1
	s_cmp_ge_u32 s4, s33
	s_load_b128 s[60:63], s[0:1], 0x7c
	s_cselect_b32 s4, s6, s5
	s_waitcnt lgkmcnt(0)
	s_mul_i32 s64, s34, s58
	s_xor_b32 s6, s4, s7
	s_lshl_b64 s[4:5], s[64:65], 2
	s_sub_i32 s6, s6, s7
	s_mul_i32 s64, s59, s12
	s_add_u32 s7, s24, s4
	s_addc_u32 s8, s25, s5
	s_lshl_b64 s[4:5], s[64:65], 2
	s_mul_i32 s64, s34, s2
	s_add_u32 s70, s7, s4
	s_addc_u32 s71, s8, s5
	s_lshl_b64 s[4:5], s[64:65], 2
	s_mul_i32 s64, s3, s12
	s_add_u32 s4, s26, s4
	s_addc_u32 s5, s27, s5
	s_lshl_b64 s[2:3], s[64:65], 2
	s_mul_i32 s64, s48, s12
	s_add_u32 s72, s4, s2
	s_addc_u32 s73, s5, s3
	s_load_b64 s[4:5], s[0:1], 0xc8
	s_lshl_b64 s[2:3], s[64:65], 2
	v_dual_mov_b32 v37, 0 :: v_dual_lshlrev_b32 v34, 4, v0
	s_mul_i32 s64, s34, s50
	s_add_u32 s74, s16, s2
	s_addc_u32 s63, s17, s3
	s_lshl_b64 s[2:3], s[64:65], 2
	s_mul_i32 s64, s6, s53
	s_clause 0x2
	s_load_b64 s[16:17], s[0:1], 0x6c
	s_load_b32 s79, s[0:1], 0xc
	s_load_b32 s0, s[0:1], 0x28
	s_add_u32 s7, s18, s2
	v_mbcnt_lo_u32_b32 v35, -1, 0
	v_and_b32_e32 v1, 0x600, v34
	s_addc_u32 s8, s19, s3
	s_lshl_b64 s[2:3], s[64:65], 2
	s_mul_i32 s64, s34, s54
	s_add_u32 s53, s7, s2
	s_addc_u32 s75, s8, s3
	s_lshl_b64 s[2:3], s[64:65], 2
	s_mul_i32 s64, s6, s57
	v_or_b32_e32 v36, v35, v1
	s_add_u32 s7, s20, s2
	s_addc_u32 s6, s21, s3
	s_lshl_b64 s[2:3], s[64:65], 2
	s_mul_i32 s64, s14, s60
	s_add_u32 s57, s7, s2
	s_addc_u32 s76, s6, s3
	s_lshl_b64 s[2:3], s[64:65], 2
	v_or_b32_e32 v38, 32, v36
	v_lshrrev_b32_e32 v2, 5, v1
	v_and_b32_e32 v14, 0x60, v0
	s_mul_i32 s64, s61, s12
	s_waitcnt lgkmcnt(0)
	s_add_u32 s4, s4, s2
	s_addc_u32 s5, s5, s3
	s_lshl_b64 s[2:3], s[64:65], 2
	v_or_b32_e32 v39, 64, v36
	s_add_u32 s77, s4, s2
	v_or_b32_e32 v40, 0x60, v36
	v_or_b32_e32 v41, 0x80, v36
	v_or_b32_e32 v42, 0xa0, v36
	v_or_b32_e32 v43, 0xc0, v36
	v_or_b32_e32 v44, 0xe0, v36
	v_or_b32_e32 v45, 0x100, v36
	v_or_b32_e32 v46, 0x120, v36
	v_or_b32_e32 v47, 0x140, v36
	v_or_b32_e32 v48, 0x160, v36
	v_or_b32_e32 v49, 0x180, v36
	v_or_b32_e32 v50, 0x1a0, v36
	v_add_nc_u32_e32 v2, v2, v36
	v_lshrrev_b32_e32 v3, 5, v38
	v_or_b32_e32 v51, 0x1c0, v36
	v_or_b32_e32 v52, 0x1e0, v36
	;; [unrolled: 1-line block ×3, first 2 shown]
	s_addc_u32 s78, s5, s3
	s_add_i32 s2, s69, 0x7ff
	v_lshrrev_b32_e32 v4, 5, v39
	s_lshr_b32 s80, s2, 11
	s_bitcmp1_b32 s0, 0
	v_lshl_add_u32 v53, v2, 2, 0
	v_add_lshl_u32 v2, v3, v36, 2
	v_lshrrev_b32_e32 v3, 5, v40
	v_lshrrev_b32_e32 v5, 5, v41
	;; [unrolled: 1-line block ×13, first 2 shown]
	v_lshlrev_b32_e32 v19, 4, v17
	v_bfe_u32 v17, v17, 1, 27
	s_cselect_b32 s81, -1, 0
	s_cmp_gt_i32 s79, 0
	v_add_lshl_u32 v4, v4, v36, 2
	s_cselect_b32 s82, -1, 0
	s_add_i32 s0, 0, 0x2100
	v_add_nc_u32_e32 v54, 0, v2
	v_add_lshl_u32 v3, v3, v36, 2
	v_add_lshl_u32 v5, v5, v36, 2
	;; [unrolled: 1-line block ×14, first 2 shown]
	v_add_nc_u32_e32 v70, s0, v2
	v_and_b32_e32 v2, 15, v35
	s_and_b32 s1, s69, 0x7ff
	v_add_nc_u32_e32 v71, s0, v4
	v_add_nc_u32_e32 v72, s0, v3
	;; [unrolled: 1-line block ×14, first 2 shown]
	s_cmp_eq_u32 s1, 0
	v_add_nc_u32_e32 v85, s0, v17
	v_cmp_ne_u32_e64 s0, 0, v2
	v_cmp_lt_u32_e64 s1, 1, v2
	v_cmp_lt_u32_e64 s2, 3, v2
	;; [unrolled: 1-line block ×3, first 2 shown]
	v_add_nc_u32_e32 v2, -1, v35
	v_add_nc_u32_e32 v56, 0, v3
	v_lshrrev_b32_e32 v3, 2, v0
	v_add_nc_u32_e32 v57, 0, v5
	v_or_b32_e32 v5, 31, v14
	v_cmp_gt_i32_e32 vcc_lo, 0, v2
	s_mul_i32 s64, s34, s16
	v_and_b32_e32 v3, 24, v3
	s_cselect_b32 s83, -1, 0
	s_lshl_b64 s[14:15], s[64:65], 2
	v_cndmask_b32_e32 v2, v2, v35, vcc_lo
	s_add_i32 s84, s80, -1
	s_mul_i32 s64, s17, s12
	v_cmp_eq_u32_e64 s5, v5, v0
	v_cmp_gt_u32_e64 s6, 4, v0
	v_lshl_add_u32 v87, v0, 3, 0
	v_cmp_gt_u32_e64 s9, 32, v0
	v_cmp_lt_u32_e64 s10, 31, v0
	v_cmp_eq_u32_e64 s11, 0, v0
	s_add_u32 s14, s30, s14
	v_lshlrev_b32_e32 v0, 2, v35
	s_addc_u32 s15, s31, s15
	s_lshl_b64 s[12:13], s[64:65], 2
	v_add_nc_u32_e32 v86, 0, v3
	v_and_b32_e32 v3, 3, v35
	s_add_u32 s12, s14, s12
	v_lshlrev_b32_e32 v88, 2, v2
	s_addc_u32 s13, s15, s13
	v_lshlrev_b32_e32 v2, 2, v1
	v_add_co_u32 v0, s12, s12, v0
	v_add_nc_u32_e32 v55, 0, v4
	v_and_b32_e32 v4, 16, v35
	v_cmp_ne_u32_e64 s7, 0, v3
	v_cmp_lt_u32_e64 s8, 1, v3
	v_add_co_ci_u32_e64 v3, null, s13, 0, s12
	v_add_co_u32 v89, vcc_lo, v0, v2
	v_add_nc_u32_e32 v58, 0, v6
	v_add_nc_u32_e32 v59, 0, v7
	;; [unrolled: 1-line block ×12, first 2 shown]
	v_cmp_ne_u32_e64 s4, 0, v4
	v_cmp_eq_u32_e64 s12, 0, v35
	v_add_co_ci_u32_e32 v90, vcc_lo, 0, v3, vcc_lo
	v_or_b32_e32 v91, 1, v34
	v_or_b32_e32 v92, 2, v34
	;; [unrolled: 1-line block ×15, first 2 shown]
	v_lshlrev_b32_e32 v106, 2, v1
	s_mov_b32 s85, 0x3e9b6dac
	s_add_i32 s86, 0, 0x4220
	s_mov_b32 s87, 0
	s_branch .LBB154_12
.LBB154_11:                             ;   in Loop: Header=BB154_12 Depth=1
	s_or_b32 exec_lo, exec_lo, s13
	s_add_u32 s72, s72, 0x2000
	s_addc_u32 s73, s73, 0
	s_add_u32 s70, s70, 0x2000
	s_addc_u32 s71, s71, 0
	;; [unrolled: 2-line block ×4, first 2 shown]
	s_add_i32 s87, s87, 1
	s_delay_alu instid0(SALU_CYCLE_1)
	s_cmp_eq_u32 s87, s80
	s_cbranch_scc1 .LBB154_238
.LBB154_12:                             ; =>This Loop Header: Depth=1
                                        ;     Child Loop BB154_109 Depth 2
	v_lshlrev_b32_e32 v32, 2, v35
	s_lshl_b32 s50, s87, 11
	s_waitcnt lgkmcnt(0)
	v_mov_b32_e32 v2, 0
	s_sub_i32 s41, s69, s50
	v_add_co_u32 v0, s13, s70, v32
	s_delay_alu instid0(VALU_DEP_1) | instskip(SKIP_1) | instid1(VALU_DEP_3)
	v_add_co_ci_u32_e64 v1, null, s71, 0, s13
	v_cmp_gt_u32_e64 s13, s41, v36
	v_add_co_u32 v0, vcc_lo, v0, v106
	s_delay_alu instid0(VALU_DEP_3)
	v_add_co_ci_u32_e32 v1, vcc_lo, 0, v1, vcc_lo
	s_waitcnt_vscnt null, 0x0
	s_barrier
	buffer_gl0_inv
	s_and_saveexec_b32 s14, s13
	s_cbranch_execz .LBB154_14
; %bb.13:                               ;   in Loop: Header=BB154_12 Depth=1
	global_load_b32 v2, v[0:1], off
.LBB154_14:                             ;   in Loop: Header=BB154_12 Depth=1
	s_or_b32 exec_lo, exec_lo, s14
	v_cmp_gt_u32_e64 s14, s41, v38
	v_dual_mov_b32 v3, 0 :: v_dual_mov_b32 v4, 0
	s_delay_alu instid0(VALU_DEP_2)
	s_and_saveexec_b32 s15, s14
	s_cbranch_execz .LBB154_16
; %bb.15:                               ;   in Loop: Header=BB154_12 Depth=1
	global_load_b32 v4, v[0:1], off offset:128
.LBB154_16:                             ;   in Loop: Header=BB154_12 Depth=1
	s_or_b32 exec_lo, exec_lo, s15
	v_cmp_gt_u32_e64 s15, s41, v39
	s_delay_alu instid0(VALU_DEP_1)
	s_and_saveexec_b32 s16, s15
	s_cbranch_execz .LBB154_18
; %bb.17:                               ;   in Loop: Header=BB154_12 Depth=1
	global_load_b32 v3, v[0:1], off offset:256
.LBB154_18:                             ;   in Loop: Header=BB154_12 Depth=1
	s_or_b32 exec_lo, exec_lo, s16
	v_cmp_gt_u32_e64 s16, s41, v40
	v_dual_mov_b32 v5, 0 :: v_dual_mov_b32 v6, 0
	s_delay_alu instid0(VALU_DEP_2)
	s_and_saveexec_b32 s17, s16
	s_cbranch_execz .LBB154_20
; %bb.19:                               ;   in Loop: Header=BB154_12 Depth=1
	global_load_b32 v6, v[0:1], off offset:384
.LBB154_20:                             ;   in Loop: Header=BB154_12 Depth=1
	s_or_b32 exec_lo, exec_lo, s17
	v_cmp_gt_u32_e64 s17, s41, v41
	s_delay_alu instid0(VALU_DEP_1)
	s_and_saveexec_b32 s18, s17
	s_cbranch_execz .LBB154_22
; %bb.21:                               ;   in Loop: Header=BB154_12 Depth=1
	global_load_b32 v5, v[0:1], off offset:512
.LBB154_22:                             ;   in Loop: Header=BB154_12 Depth=1
	;; [unrolled: 17-line block ×7, first 2 shown]
	s_or_b32 exec_lo, exec_lo, s28
	v_cmp_gt_u32_e64 s28, s41, v52
	v_dual_mov_b32 v18, 0 :: v_dual_mov_b32 v17, 0
	s_delay_alu instid0(VALU_DEP_2)
	s_and_saveexec_b32 s29, s28
	s_cbranch_execz .LBB154_44
; %bb.43:                               ;   in Loop: Header=BB154_12 Depth=1
	global_load_b32 v17, v[0:1], off offset:1920
.LBB154_44:                             ;   in Loop: Header=BB154_12 Depth=1
	s_or_b32 exec_lo, exec_lo, s29
	s_waitcnt vmcnt(0)
	ds_store_b32 v53, v2
	ds_store_b32 v54, v4 offset:128
	ds_store_b32 v55, v3 offset:256
	;; [unrolled: 1-line block ×15, first 2 shown]
	; wave barrier
	ds_load_2addr_b32 v[0:1], v69 offset1:1
	ds_load_2addr_b32 v[2:3], v69 offset0:2 offset1:3
	ds_load_2addr_b32 v[4:5], v69 offset0:4 offset1:5
	;; [unrolled: 1-line block ×7, first 2 shown]
	v_add_co_u32 v16, s29, s72, v32
	s_delay_alu instid0(VALU_DEP_1) | instskip(SKIP_1) | instid1(VALU_DEP_2)
	v_add_co_ci_u32_e64 v17, null, s73, 0, s29
	s_waitcnt lgkmcnt(0)
	v_add_co_u32 v16, vcc_lo, v16, v106
	s_delay_alu instid0(VALU_DEP_2)
	v_add_co_ci_u32_e32 v17, vcc_lo, 0, v17, vcc_lo
	s_barrier
	buffer_gl0_inv
	s_and_saveexec_b32 s29, s13
	s_cbranch_execz .LBB154_46
; %bb.45:                               ;   in Loop: Header=BB154_12 Depth=1
	global_load_b32 v18, v[16:17], off
.LBB154_46:                             ;   in Loop: Header=BB154_12 Depth=1
	s_or_b32 exec_lo, exec_lo, s29
	v_dual_mov_b32 v19, 0 :: v_dual_mov_b32 v20, 0
	s_and_saveexec_b32 s29, s14
	s_cbranch_execz .LBB154_48
; %bb.47:                               ;   in Loop: Header=BB154_12 Depth=1
	global_load_b32 v20, v[16:17], off offset:128
.LBB154_48:                             ;   in Loop: Header=BB154_12 Depth=1
	s_or_b32 exec_lo, exec_lo, s29
	s_and_saveexec_b32 s29, s15
	s_cbranch_execz .LBB154_50
; %bb.49:                               ;   in Loop: Header=BB154_12 Depth=1
	global_load_b32 v19, v[16:17], off offset:256
.LBB154_50:                             ;   in Loop: Header=BB154_12 Depth=1
	s_or_b32 exec_lo, exec_lo, s29
	v_dual_mov_b32 v21, 0 :: v_dual_mov_b32 v22, 0
	s_and_saveexec_b32 s29, s16
	s_cbranch_execz .LBB154_52
; %bb.51:                               ;   in Loop: Header=BB154_12 Depth=1
	global_load_b32 v22, v[16:17], off offset:384
.LBB154_52:                             ;   in Loop: Header=BB154_12 Depth=1
	s_or_b32 exec_lo, exec_lo, s29
	s_and_saveexec_b32 s29, s17
	s_cbranch_execz .LBB154_54
; %bb.53:                               ;   in Loop: Header=BB154_12 Depth=1
	global_load_b32 v21, v[16:17], off offset:512
.LBB154_54:                             ;   in Loop: Header=BB154_12 Depth=1
	;; [unrolled: 13-line block ×6, first 2 shown]
	s_or_b32 exec_lo, exec_lo, s29
	v_mov_b32_e32 v31, 0
	v_mov_b32_e32 v33, 0
	s_and_saveexec_b32 s29, s26
	s_cbranch_execnz .LBB154_220
; %bb.71:                               ;   in Loop: Header=BB154_12 Depth=1
	s_or_b32 exec_lo, exec_lo, s29
	s_and_saveexec_b32 s29, s27
	s_cbranch_execnz .LBB154_221
.LBB154_72:                             ;   in Loop: Header=BB154_12 Depth=1
	s_or_b32 exec_lo, exec_lo, s29
	v_mov_b32_e32 v107, 0
	s_and_saveexec_b32 s29, s28
	s_cbranch_execz .LBB154_74
.LBB154_73:                             ;   in Loop: Header=BB154_12 Depth=1
	global_load_b32 v107, v[16:17], off offset:1920
.LBB154_74:                             ;   in Loop: Header=BB154_12 Depth=1
	s_or_b32 exec_lo, exec_lo, s29
	s_waitcnt vmcnt(0)
	ds_store_b32 v53, v18
	ds_store_b32 v54, v20 offset:128
	ds_store_b32 v55, v19 offset:256
	ds_store_b32 v56, v22 offset:384
	ds_store_b32 v57, v21 offset:512
	ds_store_b32 v58, v24 offset:640
	ds_store_b32 v59, v23 offset:768
	ds_store_b32 v60, v26 offset:896
	ds_store_b32 v61, v25 offset:1024
	ds_store_b32 v62, v28 offset:1152
	ds_store_b32 v63, v27 offset:1280
	ds_store_b32 v64, v30 offset:1408
	ds_store_b32 v65, v29 offset:1536
	ds_store_b32 v66, v33 offset:1664
	ds_store_b32 v67, v31 offset:1792
	ds_store_b32 v68, v107 offset:1920
	; wave barrier
	ds_load_2addr_b32 v[30:31], v69 offset1:1
	ds_load_2addr_b32 v[28:29], v69 offset0:2 offset1:3
	ds_load_2addr_b32 v[26:27], v69 offset0:4 offset1:5
	;; [unrolled: 1-line block ×7, first 2 shown]
	s_waitcnt lgkmcnt(7)
	v_add_f32_e32 v107, s67, v30
	s_delay_alu instid0(VALU_DEP_1) | instskip(SKIP_1) | instid1(SALU_CYCLE_1)
	v_cmp_ge_f32_e32 vcc_lo, 0x41a00000, v107
	s_and_b32 s29, s81, vcc_lo
	s_and_saveexec_b32 s30, s29
	s_cbranch_execz .LBB154_76
; %bb.75:                               ;   in Loop: Header=BB154_12 Depth=1
	v_mul_f32_e32 v30, 0x3fb8aa3b, v107
	v_cmp_ngt_f32_e32 vcc_lo, 0xc2ce8ed0, v107
	s_delay_alu instid0(VALU_DEP_2) | instskip(SKIP_1) | instid1(VALU_DEP_2)
	v_rndne_f32_e32 v33, v30
	v_fma_f32 v108, 0x3fb8aa3b, v107, -v30
	v_sub_f32_e32 v30, v30, v33
	s_delay_alu instid0(VALU_DEP_2) | instskip(SKIP_1) | instid1(VALU_DEP_2)
	v_fmac_f32_e32 v108, 0x32a5705f, v107
	v_cvt_i32_f32_e32 v33, v33
	v_add_f32_e32 v30, v30, v108
	s_delay_alu instid0(VALU_DEP_1) | instskip(SKIP_2) | instid1(VALU_DEP_1)
	v_exp_f32_e32 v30, v30
	s_waitcnt_depctr 0xfff
	v_ldexp_f32 v30, v30, v33
	v_cndmask_b32_e32 v30, 0, v30, vcc_lo
	v_cmp_nlt_f32_e32 vcc_lo, 0x42b17218, v107
	s_delay_alu instid0(VALU_DEP_2) | instskip(NEXT) | instid1(VALU_DEP_1)
	v_cndmask_b32_e32 v30, 0x7f800000, v30, vcc_lo
	v_add_f32_e32 v33, 1.0, v30
	s_delay_alu instid0(VALU_DEP_1) | instskip(NEXT) | instid1(VALU_DEP_1)
	v_cvt_f64_f32_e32 v[107:108], v33
	v_frexp_exp_i32_f64_e32 v107, v[107:108]
	v_frexp_mant_f32_e32 v108, v33
	s_delay_alu instid0(VALU_DEP_1) | instskip(SKIP_1) | instid1(VALU_DEP_1)
	v_cmp_gt_f32_e32 vcc_lo, 0x3f2aaaab, v108
	v_add_f32_e32 v108, -1.0, v33
	v_sub_f32_e32 v110, v108, v33
	v_sub_f32_e32 v108, v30, v108
	s_delay_alu instid0(VALU_DEP_2) | instskip(NEXT) | instid1(VALU_DEP_1)
	v_add_f32_e32 v110, 1.0, v110
	v_add_f32_e32 v108, v108, v110
	v_subrev_co_ci_u32_e32 v107, vcc_lo, 0, v107, vcc_lo
	s_delay_alu instid0(VALU_DEP_1) | instskip(SKIP_1) | instid1(VALU_DEP_2)
	v_sub_nc_u32_e32 v109, 0, v107
	v_cvt_f32_i32_e32 v107, v107
	v_ldexp_f32 v33, v33, v109
	v_ldexp_f32 v108, v108, v109
	s_delay_alu instid0(VALU_DEP_2) | instskip(NEXT) | instid1(VALU_DEP_1)
	v_add_f32_e32 v111, 1.0, v33
	v_dual_add_f32 v109, -1.0, v33 :: v_dual_add_f32 v110, -1.0, v111
	s_delay_alu instid0(VALU_DEP_1) | instskip(NEXT) | instid1(VALU_DEP_2)
	v_add_f32_e32 v112, 1.0, v109
	v_sub_f32_e32 v110, v33, v110
	s_delay_alu instid0(VALU_DEP_1) | instskip(NEXT) | instid1(VALU_DEP_1)
	v_dual_sub_f32 v33, v33, v112 :: v_dual_add_f32 v110, v108, v110
	v_dual_add_f32 v33, v108, v33 :: v_dual_add_f32 v112, v111, v110
	s_delay_alu instid0(VALU_DEP_1) | instskip(SKIP_2) | instid1(VALU_DEP_4)
	v_add_f32_e32 v113, v109, v33
	v_cmp_eq_f32_e32 vcc_lo, 0x7f800000, v30
	v_cmp_gt_f32_e64 s29, 0x33800000, v30
	v_rcp_f32_e32 v108, v112
	v_sub_f32_e32 v111, v111, v112
	v_sub_f32_e32 v109, v109, v113
	s_delay_alu instid0(VALU_DEP_3) | instskip(NEXT) | instid1(VALU_DEP_1)
	s_or_b32 vcc_lo, s29, vcc_lo
	v_dual_add_f32 v33, v33, v109 :: v_dual_add_f32 v110, v110, v111
	s_waitcnt_depctr 0xfff
	v_mul_f32_e32 v114, v113, v108
	s_delay_alu instid0(VALU_DEP_1) | instskip(NEXT) | instid1(VALU_DEP_1)
	v_mul_f32_e32 v115, v112, v114
	v_fma_f32 v111, v114, v112, -v115
	s_delay_alu instid0(VALU_DEP_1) | instskip(NEXT) | instid1(VALU_DEP_1)
	v_fmac_f32_e32 v111, v114, v110
	v_add_f32_e32 v116, v115, v111
	s_delay_alu instid0(VALU_DEP_1) | instskip(SKIP_1) | instid1(VALU_DEP_2)
	v_sub_f32_e32 v117, v113, v116
	v_sub_f32_e32 v109, v116, v115
	v_sub_f32_e32 v113, v113, v117
	s_delay_alu instid0(VALU_DEP_2) | instskip(NEXT) | instid1(VALU_DEP_2)
	v_sub_f32_e32 v109, v109, v111
	v_sub_f32_e32 v113, v113, v116
	s_delay_alu instid0(VALU_DEP_1) | instskip(NEXT) | instid1(VALU_DEP_1)
	v_add_f32_e32 v33, v33, v113
	v_add_f32_e32 v33, v109, v33
	s_delay_alu instid0(VALU_DEP_1) | instskip(NEXT) | instid1(VALU_DEP_1)
	v_add_f32_e32 v109, v117, v33
	v_mul_f32_e32 v111, v108, v109
	s_delay_alu instid0(VALU_DEP_1) | instskip(NEXT) | instid1(VALU_DEP_1)
	v_mul_f32_e32 v113, v112, v111
	v_fma_f32 v112, v111, v112, -v113
	s_delay_alu instid0(VALU_DEP_1) | instskip(SKIP_1) | instid1(VALU_DEP_2)
	v_fmac_f32_e32 v112, v111, v110
	v_sub_f32_e32 v116, v117, v109
	v_add_f32_e32 v110, v113, v112
	s_delay_alu instid0(VALU_DEP_2) | instskip(NEXT) | instid1(VALU_DEP_2)
	v_add_f32_e32 v33, v33, v116
	v_sub_f32_e32 v115, v109, v110
	s_delay_alu instid0(VALU_DEP_1) | instskip(NEXT) | instid1(VALU_DEP_1)
	v_sub_f32_e32 v109, v109, v115
	v_sub_f32_e32 v109, v109, v110
	s_delay_alu instid0(VALU_DEP_1) | instskip(SKIP_2) | instid1(VALU_DEP_1)
	v_add_f32_e32 v33, v33, v109
	v_add_f32_e32 v109, v114, v111
	v_sub_f32_e32 v113, v110, v113
	v_sub_f32_e32 v110, v113, v112
	s_delay_alu instid0(VALU_DEP_1) | instskip(NEXT) | instid1(VALU_DEP_1)
	v_dual_add_f32 v33, v110, v33 :: v_dual_sub_f32 v110, v109, v114
	v_add_f32_e32 v33, v115, v33
	s_delay_alu instid0(VALU_DEP_1) | instskip(NEXT) | instid1(VALU_DEP_1)
	v_dual_sub_f32 v110, v111, v110 :: v_dual_mul_f32 v33, v108, v33
	v_add_f32_e32 v33, v110, v33
	s_delay_alu instid0(VALU_DEP_1) | instskip(NEXT) | instid1(VALU_DEP_1)
	v_add_f32_e32 v108, v109, v33
	v_mul_f32_e32 v110, v108, v108
	s_delay_alu instid0(VALU_DEP_1) | instskip(SKIP_1) | instid1(VALU_DEP_2)
	v_fmaak_f32 v111, s85, v110, 0x3ecc95a3
	v_mul_f32_e32 v112, v108, v110
	v_fmaak_f32 v110, v110, v111, 0x3f2aaada
	v_ldexp_f32 v111, v108, 1
	s_delay_alu instid0(VALU_DEP_2) | instskip(SKIP_1) | instid1(VALU_DEP_2)
	v_mul_f32_e32 v110, v112, v110
	v_sub_f32_e32 v108, v108, v109
	v_dual_mul_f32 v112, 0x3f317218, v107 :: v_dual_add_f32 v109, v111, v110
	s_delay_alu instid0(VALU_DEP_2) | instskip(NEXT) | instid1(VALU_DEP_2)
	v_sub_f32_e32 v33, v33, v108
	v_sub_f32_e32 v108, v109, v111
	s_delay_alu instid0(VALU_DEP_3) | instskip(NEXT) | instid1(VALU_DEP_3)
	v_fma_f32 v111, 0x3f317218, v107, -v112
	v_ldexp_f32 v33, v33, 1
	s_delay_alu instid0(VALU_DEP_2) | instskip(NEXT) | instid1(VALU_DEP_1)
	v_dual_sub_f32 v108, v110, v108 :: v_dual_fmac_f32 v111, 0xb102e308, v107
	v_add_f32_e32 v33, v33, v108
	s_delay_alu instid0(VALU_DEP_1) | instskip(NEXT) | instid1(VALU_DEP_1)
	v_dual_add_f32 v107, v112, v111 :: v_dual_add_f32 v108, v109, v33
	v_sub_f32_e32 v112, v107, v112
	s_delay_alu instid0(VALU_DEP_2) | instskip(NEXT) | instid1(VALU_DEP_2)
	v_dual_add_f32 v110, v107, v108 :: v_dual_sub_f32 v109, v108, v109
	v_sub_f32_e32 v111, v111, v112
	s_delay_alu instid0(VALU_DEP_2) | instskip(NEXT) | instid1(VALU_DEP_1)
	v_sub_f32_e32 v113, v110, v107
	v_sub_f32_e32 v114, v110, v113
	;; [unrolled: 1-line block ×4, first 2 shown]
	s_delay_alu instid0(VALU_DEP_1) | instskip(NEXT) | instid1(VALU_DEP_4)
	v_add_f32_e32 v109, v111, v33
	v_sub_f32_e32 v107, v107, v114
	s_delay_alu instid0(VALU_DEP_1) | instskip(NEXT) | instid1(VALU_DEP_3)
	v_add_f32_e32 v107, v108, v107
	v_sub_f32_e32 v108, v109, v111
	s_delay_alu instid0(VALU_DEP_2) | instskip(NEXT) | instid1(VALU_DEP_2)
	v_add_f32_e32 v107, v109, v107
	v_sub_f32_e32 v109, v109, v108
	s_delay_alu instid0(VALU_DEP_2) | instskip(NEXT) | instid1(VALU_DEP_1)
	v_dual_sub_f32 v33, v33, v108 :: v_dual_add_f32 v112, v110, v107
	v_dual_sub_f32 v108, v112, v110 :: v_dual_sub_f32 v109, v111, v109
	s_delay_alu instid0(VALU_DEP_1) | instskip(NEXT) | instid1(VALU_DEP_2)
	v_sub_f32_e32 v107, v107, v108
	v_add_f32_e32 v33, v33, v109
	s_delay_alu instid0(VALU_DEP_1) | instskip(NEXT) | instid1(VALU_DEP_1)
	v_add_f32_e32 v33, v33, v107
	v_add_f32_e32 v33, v112, v33
	s_delay_alu instid0(VALU_DEP_1)
	v_cndmask_b32_e32 v107, v33, v30, vcc_lo
.LBB154_76:                             ;   in Loop: Header=BB154_12 Depth=1
	s_or_b32 exec_lo, exec_lo, s30
	v_add_f32_e32 v108, s67, v31
	s_delay_alu instid0(VALU_DEP_1) | instskip(SKIP_1) | instid1(SALU_CYCLE_1)
	v_cmp_ge_f32_e32 vcc_lo, 0x41a00000, v108
	s_and_b32 s29, s81, vcc_lo
	s_and_saveexec_b32 s30, s29
	s_cbranch_execz .LBB154_78
; %bb.77:                               ;   in Loop: Header=BB154_12 Depth=1
	v_mul_f32_e32 v30, 0x3fb8aa3b, v108
	v_cmp_ngt_f32_e32 vcc_lo, 0xc2ce8ed0, v108
	s_delay_alu instid0(VALU_DEP_2) | instskip(SKIP_1) | instid1(VALU_DEP_1)
	v_rndne_f32_e32 v31, v30
	v_fma_f32 v33, 0x3fb8aa3b, v108, -v30
	v_dual_sub_f32 v30, v30, v31 :: v_dual_fmac_f32 v33, 0x32a5705f, v108
	v_cvt_i32_f32_e32 v31, v31
	s_delay_alu instid0(VALU_DEP_2) | instskip(NEXT) | instid1(VALU_DEP_1)
	v_add_f32_e32 v30, v30, v33
	v_exp_f32_e32 v30, v30
	s_waitcnt_depctr 0xfff
	v_ldexp_f32 v30, v30, v31
	s_delay_alu instid0(VALU_DEP_1) | instskip(SKIP_1) | instid1(VALU_DEP_2)
	v_cndmask_b32_e32 v30, 0, v30, vcc_lo
	v_cmp_nlt_f32_e32 vcc_lo, 0x42b17218, v108
	v_cndmask_b32_e32 v33, 0x7f800000, v30, vcc_lo
	s_delay_alu instid0(VALU_DEP_1) | instskip(NEXT) | instid1(VALU_DEP_1)
	v_add_f32_e32 v108, 1.0, v33
	v_cvt_f64_f32_e32 v[30:31], v108
	s_delay_alu instid0(VALU_DEP_1) | instskip(SKIP_1) | instid1(VALU_DEP_1)
	v_frexp_exp_i32_f64_e32 v30, v[30:31]
	v_frexp_mant_f32_e32 v31, v108
	v_cmp_gt_f32_e32 vcc_lo, 0x3f2aaaab, v31
	v_add_f32_e32 v31, -1.0, v108
	s_delay_alu instid0(VALU_DEP_1) | instskip(SKIP_1) | instid1(VALU_DEP_2)
	v_dual_sub_f32 v110, v31, v108 :: v_dual_sub_f32 v31, v33, v31
	v_cmp_gt_f32_e64 s29, 0x33800000, v33
	v_add_f32_e32 v110, 1.0, v110
	s_delay_alu instid0(VALU_DEP_1) | instskip(SKIP_2) | instid1(VALU_DEP_2)
	v_add_f32_e32 v31, v31, v110
	v_subrev_co_ci_u32_e32 v30, vcc_lo, 0, v30, vcc_lo
	v_cmp_eq_f32_e32 vcc_lo, 0x7f800000, v33
	v_sub_nc_u32_e32 v109, 0, v30
	v_cvt_f32_i32_e32 v30, v30
	s_or_b32 vcc_lo, s29, vcc_lo
	s_delay_alu instid0(VALU_DEP_2) | instskip(SKIP_1) | instid1(VALU_DEP_2)
	v_ldexp_f32 v108, v108, v109
	v_ldexp_f32 v31, v31, v109
	v_add_f32_e32 v109, -1.0, v108
	s_delay_alu instid0(VALU_DEP_1) | instskip(NEXT) | instid1(VALU_DEP_1)
	v_dual_add_f32 v111, 1.0, v108 :: v_dual_add_f32 v112, 1.0, v109
	v_add_f32_e32 v110, -1.0, v111
	s_delay_alu instid0(VALU_DEP_1) | instskip(NEXT) | instid1(VALU_DEP_3)
	v_sub_f32_e32 v110, v108, v110
	v_sub_f32_e32 v108, v108, v112
	s_delay_alu instid0(VALU_DEP_2) | instskip(NEXT) | instid1(VALU_DEP_2)
	v_add_f32_e32 v110, v31, v110
	v_add_f32_e32 v31, v31, v108
	s_delay_alu instid0(VALU_DEP_1) | instskip(NEXT) | instid1(VALU_DEP_1)
	v_dual_add_f32 v113, v109, v31 :: v_dual_add_f32 v112, v111, v110
	v_sub_f32_e32 v109, v109, v113
	s_delay_alu instid0(VALU_DEP_2) | instskip(SKIP_1) | instid1(VALU_DEP_1)
	v_rcp_f32_e32 v108, v112
	v_sub_f32_e32 v111, v111, v112
	v_dual_add_f32 v31, v31, v109 :: v_dual_add_f32 v110, v110, v111
	s_waitcnt_depctr 0xfff
	v_mul_f32_e32 v114, v113, v108
	s_delay_alu instid0(VALU_DEP_1) | instskip(NEXT) | instid1(VALU_DEP_1)
	v_mul_f32_e32 v115, v112, v114
	v_fma_f32 v111, v114, v112, -v115
	s_delay_alu instid0(VALU_DEP_1) | instskip(NEXT) | instid1(VALU_DEP_1)
	v_fmac_f32_e32 v111, v114, v110
	v_add_f32_e32 v116, v115, v111
	s_delay_alu instid0(VALU_DEP_1) | instskip(SKIP_1) | instid1(VALU_DEP_2)
	v_sub_f32_e32 v117, v113, v116
	v_sub_f32_e32 v109, v116, v115
	;; [unrolled: 1-line block ×3, first 2 shown]
	s_delay_alu instid0(VALU_DEP_2) | instskip(NEXT) | instid1(VALU_DEP_2)
	v_sub_f32_e32 v109, v109, v111
	v_sub_f32_e32 v113, v113, v116
	s_delay_alu instid0(VALU_DEP_1) | instskip(NEXT) | instid1(VALU_DEP_1)
	v_add_f32_e32 v31, v31, v113
	v_add_f32_e32 v31, v109, v31
	s_delay_alu instid0(VALU_DEP_1) | instskip(NEXT) | instid1(VALU_DEP_1)
	v_add_f32_e32 v109, v117, v31
	v_mul_f32_e32 v111, v108, v109
	s_delay_alu instid0(VALU_DEP_1) | instskip(NEXT) | instid1(VALU_DEP_1)
	v_dual_sub_f32 v116, v117, v109 :: v_dual_mul_f32 v113, v112, v111
	v_add_f32_e32 v31, v31, v116
	s_delay_alu instid0(VALU_DEP_2) | instskip(NEXT) | instid1(VALU_DEP_1)
	v_fma_f32 v112, v111, v112, -v113
	v_fmac_f32_e32 v112, v111, v110
	s_delay_alu instid0(VALU_DEP_1) | instskip(NEXT) | instid1(VALU_DEP_1)
	v_add_f32_e32 v110, v113, v112
	v_sub_f32_e32 v115, v109, v110
	s_delay_alu instid0(VALU_DEP_1) | instskip(NEXT) | instid1(VALU_DEP_1)
	v_sub_f32_e32 v109, v109, v115
	v_sub_f32_e32 v109, v109, v110
	s_delay_alu instid0(VALU_DEP_1) | instskip(SKIP_2) | instid1(VALU_DEP_1)
	v_add_f32_e32 v31, v31, v109
	v_add_f32_e32 v109, v114, v111
	v_sub_f32_e32 v113, v110, v113
	v_sub_f32_e32 v110, v113, v112
	s_delay_alu instid0(VALU_DEP_1) | instskip(NEXT) | instid1(VALU_DEP_1)
	v_dual_add_f32 v31, v110, v31 :: v_dual_sub_f32 v110, v109, v114
	v_add_f32_e32 v31, v115, v31
	s_delay_alu instid0(VALU_DEP_1) | instskip(NEXT) | instid1(VALU_DEP_1)
	v_dual_sub_f32 v110, v111, v110 :: v_dual_mul_f32 v31, v108, v31
	v_add_f32_e32 v31, v110, v31
	s_delay_alu instid0(VALU_DEP_1) | instskip(NEXT) | instid1(VALU_DEP_1)
	v_add_f32_e32 v108, v109, v31
	v_mul_f32_e32 v110, v108, v108
	s_delay_alu instid0(VALU_DEP_1) | instskip(SKIP_1) | instid1(VALU_DEP_2)
	v_fmaak_f32 v111, s85, v110, 0x3ecc95a3
	v_mul_f32_e32 v112, v108, v110
	v_fmaak_f32 v110, v110, v111, 0x3f2aaada
	v_ldexp_f32 v111, v108, 1
	v_sub_f32_e32 v108, v108, v109
	s_delay_alu instid0(VALU_DEP_3) | instskip(NEXT) | instid1(VALU_DEP_2)
	v_mul_f32_e32 v110, v112, v110
	v_dual_mul_f32 v112, 0x3f317218, v30 :: v_dual_sub_f32 v31, v31, v108
	s_delay_alu instid0(VALU_DEP_2) | instskip(NEXT) | instid1(VALU_DEP_2)
	v_add_f32_e32 v109, v111, v110
	v_ldexp_f32 v31, v31, 1
	s_delay_alu instid0(VALU_DEP_2) | instskip(NEXT) | instid1(VALU_DEP_4)
	v_sub_f32_e32 v108, v109, v111
	v_fma_f32 v111, 0x3f317218, v30, -v112
	s_delay_alu instid0(VALU_DEP_1) | instskip(NEXT) | instid1(VALU_DEP_1)
	v_dual_sub_f32 v108, v110, v108 :: v_dual_fmac_f32 v111, 0xb102e308, v30
	v_add_f32_e32 v30, v31, v108
	s_delay_alu instid0(VALU_DEP_1) | instskip(NEXT) | instid1(VALU_DEP_1)
	v_add_f32_e32 v108, v109, v30
	v_sub_f32_e32 v109, v108, v109
	s_delay_alu instid0(VALU_DEP_1) | instskip(NEXT) | instid1(VALU_DEP_1)
	v_dual_sub_f32 v30, v30, v109 :: v_dual_add_f32 v31, v112, v111
	v_add_f32_e32 v110, v31, v108
	s_delay_alu instid0(VALU_DEP_1) | instskip(NEXT) | instid1(VALU_DEP_1)
	v_dual_sub_f32 v112, v31, v112 :: v_dual_sub_f32 v113, v110, v31
	v_dual_sub_f32 v111, v111, v112 :: v_dual_sub_f32 v114, v110, v113
	s_delay_alu instid0(VALU_DEP_1) | instskip(NEXT) | instid1(VALU_DEP_2)
	v_dual_sub_f32 v108, v108, v113 :: v_dual_add_f32 v109, v111, v30
	v_sub_f32_e32 v31, v31, v114
	s_delay_alu instid0(VALU_DEP_1) | instskip(NEXT) | instid1(VALU_DEP_3)
	v_add_f32_e32 v31, v108, v31
	v_sub_f32_e32 v108, v109, v111
	s_delay_alu instid0(VALU_DEP_2) | instskip(NEXT) | instid1(VALU_DEP_2)
	v_add_f32_e32 v31, v109, v31
	v_sub_f32_e32 v109, v109, v108
	v_sub_f32_e32 v30, v30, v108
	s_delay_alu instid0(VALU_DEP_2) | instskip(NEXT) | instid1(VALU_DEP_1)
	v_dual_add_f32 v112, v110, v31 :: v_dual_sub_f32 v109, v111, v109
	v_sub_f32_e32 v108, v112, v110
	s_delay_alu instid0(VALU_DEP_1) | instskip(NEXT) | instid1(VALU_DEP_1)
	v_dual_add_f32 v30, v30, v109 :: v_dual_sub_f32 v31, v31, v108
	v_add_f32_e32 v30, v30, v31
	s_delay_alu instid0(VALU_DEP_1) | instskip(NEXT) | instid1(VALU_DEP_1)
	v_add_f32_e32 v30, v112, v30
	v_cndmask_b32_e32 v108, v30, v33, vcc_lo
.LBB154_78:                             ;   in Loop: Header=BB154_12 Depth=1
	s_or_b32 exec_lo, exec_lo, s30
	s_waitcnt lgkmcnt(6)
	v_add_f32_e32 v109, s67, v28
	s_delay_alu instid0(VALU_DEP_1) | instskip(SKIP_1) | instid1(SALU_CYCLE_1)
	v_cmp_ge_f32_e32 vcc_lo, 0x41a00000, v109
	s_and_b32 s29, s81, vcc_lo
	s_and_saveexec_b32 s30, s29
	s_cbranch_execz .LBB154_80
; %bb.79:                               ;   in Loop: Header=BB154_12 Depth=1
	v_mul_f32_e32 v28, 0x3fb8aa3b, v109
	v_cmp_ngt_f32_e32 vcc_lo, 0xc2ce8ed0, v109
	s_delay_alu instid0(VALU_DEP_2) | instskip(SKIP_1) | instid1(VALU_DEP_1)
	v_rndne_f32_e32 v30, v28
	v_fma_f32 v31, 0x3fb8aa3b, v109, -v28
	v_dual_sub_f32 v28, v28, v30 :: v_dual_fmac_f32 v31, 0x32a5705f, v109
	v_cvt_i32_f32_e32 v30, v30
	s_delay_alu instid0(VALU_DEP_2) | instskip(NEXT) | instid1(VALU_DEP_1)
	v_add_f32_e32 v28, v28, v31
	v_exp_f32_e32 v28, v28
	s_waitcnt_depctr 0xfff
	v_ldexp_f32 v28, v28, v30
	s_delay_alu instid0(VALU_DEP_1) | instskip(SKIP_1) | instid1(VALU_DEP_2)
	v_cndmask_b32_e32 v28, 0, v28, vcc_lo
	v_cmp_nlt_f32_e32 vcc_lo, 0x42b17218, v109
	v_cndmask_b32_e32 v28, 0x7f800000, v28, vcc_lo
	s_delay_alu instid0(VALU_DEP_1) | instskip(NEXT) | instid1(VALU_DEP_1)
	v_add_f32_e32 v33, 1.0, v28
	v_cvt_f64_f32_e32 v[30:31], v33
	s_delay_alu instid0(VALU_DEP_1) | instskip(SKIP_1) | instid1(VALU_DEP_1)
	v_frexp_exp_i32_f64_e32 v30, v[30:31]
	v_frexp_mant_f32_e32 v31, v33
	v_cmp_gt_f32_e32 vcc_lo, 0x3f2aaaab, v31
	v_add_f32_e32 v31, -1.0, v33
	s_delay_alu instid0(VALU_DEP_1) | instskip(NEXT) | instid1(VALU_DEP_1)
	v_dual_sub_f32 v110, v31, v33 :: v_dual_sub_f32 v31, v28, v31
	v_add_f32_e32 v110, 1.0, v110
	s_delay_alu instid0(VALU_DEP_1) | instskip(SKIP_1) | instid1(VALU_DEP_1)
	v_add_f32_e32 v31, v31, v110
	v_subrev_co_ci_u32_e32 v30, vcc_lo, 0, v30, vcc_lo
	v_sub_nc_u32_e32 v109, 0, v30
	v_cvt_f32_i32_e32 v30, v30
	s_delay_alu instid0(VALU_DEP_2) | instskip(SKIP_1) | instid1(VALU_DEP_2)
	v_ldexp_f32 v33, v33, v109
	v_ldexp_f32 v31, v31, v109
	v_add_f32_e32 v111, 1.0, v33
	v_add_f32_e32 v109, -1.0, v33
	v_cmp_eq_f32_e32 vcc_lo, 0x7f800000, v28
	v_cmp_gt_f32_e64 s29, 0x33800000, v28
	s_delay_alu instid0(VALU_DEP_3) | instskip(SKIP_1) | instid1(VALU_DEP_3)
	v_add_f32_e32 v112, 1.0, v109
	v_add_f32_e32 v110, -1.0, v111
	s_or_b32 vcc_lo, s29, vcc_lo
	s_delay_alu instid0(VALU_DEP_1) | instskip(NEXT) | instid1(VALU_DEP_1)
	v_sub_f32_e32 v110, v33, v110
	v_dual_sub_f32 v33, v33, v112 :: v_dual_add_f32 v110, v31, v110
	s_delay_alu instid0(VALU_DEP_1) | instskip(NEXT) | instid1(VALU_DEP_1)
	v_add_f32_e32 v31, v31, v33
	v_dual_add_f32 v113, v109, v31 :: v_dual_add_f32 v112, v111, v110
	s_delay_alu instid0(VALU_DEP_1) | instskip(NEXT) | instid1(VALU_DEP_2)
	v_sub_f32_e32 v109, v109, v113
	v_rcp_f32_e32 v33, v112
	v_sub_f32_e32 v111, v111, v112
	s_delay_alu instid0(VALU_DEP_1) | instskip(SKIP_2) | instid1(VALU_DEP_1)
	v_dual_add_f32 v31, v31, v109 :: v_dual_add_f32 v110, v110, v111
	s_waitcnt_depctr 0xfff
	v_mul_f32_e32 v114, v113, v33
	v_mul_f32_e32 v115, v112, v114
	s_delay_alu instid0(VALU_DEP_1) | instskip(NEXT) | instid1(VALU_DEP_1)
	v_fma_f32 v111, v114, v112, -v115
	v_fmac_f32_e32 v111, v114, v110
	s_delay_alu instid0(VALU_DEP_1) | instskip(NEXT) | instid1(VALU_DEP_1)
	v_add_f32_e32 v116, v115, v111
	v_sub_f32_e32 v117, v113, v116
	s_delay_alu instid0(VALU_DEP_1) | instskip(SKIP_1) | instid1(VALU_DEP_2)
	v_sub_f32_e32 v113, v113, v117
	v_sub_f32_e32 v109, v116, v115
	;; [unrolled: 1-line block ×3, first 2 shown]
	s_delay_alu instid0(VALU_DEP_2) | instskip(NEXT) | instid1(VALU_DEP_2)
	v_sub_f32_e32 v109, v109, v111
	v_add_f32_e32 v31, v31, v113
	s_delay_alu instid0(VALU_DEP_1) | instskip(NEXT) | instid1(VALU_DEP_1)
	v_add_f32_e32 v31, v109, v31
	v_add_f32_e32 v109, v117, v31
	s_delay_alu instid0(VALU_DEP_1) | instskip(NEXT) | instid1(VALU_DEP_1)
	v_mul_f32_e32 v111, v33, v109
	v_dual_sub_f32 v116, v117, v109 :: v_dual_mul_f32 v113, v112, v111
	s_delay_alu instid0(VALU_DEP_1) | instskip(NEXT) | instid1(VALU_DEP_2)
	v_add_f32_e32 v31, v31, v116
	v_fma_f32 v112, v111, v112, -v113
	s_delay_alu instid0(VALU_DEP_1) | instskip(NEXT) | instid1(VALU_DEP_1)
	v_fmac_f32_e32 v112, v111, v110
	v_add_f32_e32 v110, v113, v112
	s_delay_alu instid0(VALU_DEP_1) | instskip(SKIP_1) | instid1(VALU_DEP_2)
	v_sub_f32_e32 v115, v109, v110
	v_sub_f32_e32 v113, v110, v113
	;; [unrolled: 1-line block ×3, first 2 shown]
	s_delay_alu instid0(VALU_DEP_1) | instskip(NEXT) | instid1(VALU_DEP_1)
	v_sub_f32_e32 v109, v109, v110
	v_dual_sub_f32 v110, v113, v112 :: v_dual_add_f32 v31, v31, v109
	v_add_f32_e32 v109, v114, v111
	s_delay_alu instid0(VALU_DEP_1) | instskip(NEXT) | instid1(VALU_DEP_1)
	v_dual_add_f32 v31, v110, v31 :: v_dual_sub_f32 v110, v109, v114
	v_add_f32_e32 v31, v115, v31
	s_delay_alu instid0(VALU_DEP_1) | instskip(NEXT) | instid1(VALU_DEP_1)
	v_dual_sub_f32 v110, v111, v110 :: v_dual_mul_f32 v31, v33, v31
	v_add_f32_e32 v31, v110, v31
	s_delay_alu instid0(VALU_DEP_1) | instskip(NEXT) | instid1(VALU_DEP_1)
	v_add_f32_e32 v33, v109, v31
	v_mul_f32_e32 v110, v33, v33
	s_delay_alu instid0(VALU_DEP_1) | instskip(SKIP_1) | instid1(VALU_DEP_2)
	v_fmaak_f32 v111, s85, v110, 0x3ecc95a3
	v_mul_f32_e32 v112, v33, v110
	v_fmaak_f32 v110, v110, v111, 0x3f2aaada
	v_ldexp_f32 v111, v33, 1
	s_delay_alu instid0(VALU_DEP_2) | instskip(NEXT) | instid1(VALU_DEP_1)
	v_dual_sub_f32 v33, v33, v109 :: v_dual_mul_f32 v110, v112, v110
	v_dual_mul_f32 v112, 0x3f317218, v30 :: v_dual_sub_f32 v31, v31, v33
	s_delay_alu instid0(VALU_DEP_2) | instskip(NEXT) | instid1(VALU_DEP_2)
	v_add_f32_e32 v109, v111, v110
	v_ldexp_f32 v31, v31, 1
	s_delay_alu instid0(VALU_DEP_2) | instskip(NEXT) | instid1(VALU_DEP_4)
	v_sub_f32_e32 v33, v109, v111
	v_fma_f32 v111, 0x3f317218, v30, -v112
	s_delay_alu instid0(VALU_DEP_2) | instskip(NEXT) | instid1(VALU_DEP_1)
	v_sub_f32_e32 v33, v110, v33
	v_dual_fmac_f32 v111, 0xb102e308, v30 :: v_dual_add_f32 v30, v31, v33
	s_delay_alu instid0(VALU_DEP_1) | instskip(NEXT) | instid1(VALU_DEP_1)
	v_add_f32_e32 v31, v112, v111
	v_dual_add_f32 v33, v109, v30 :: v_dual_sub_f32 v112, v31, v112
	s_delay_alu instid0(VALU_DEP_1) | instskip(SKIP_1) | instid1(VALU_DEP_3)
	v_add_f32_e32 v110, v31, v33
	v_sub_f32_e32 v109, v33, v109
	v_sub_f32_e32 v111, v111, v112
	s_delay_alu instid0(VALU_DEP_3) | instskip(NEXT) | instid1(VALU_DEP_3)
	v_sub_f32_e32 v113, v110, v31
	v_sub_f32_e32 v30, v30, v109
	s_delay_alu instid0(VALU_DEP_2) | instskip(SKIP_1) | instid1(VALU_DEP_3)
	v_sub_f32_e32 v114, v110, v113
	v_sub_f32_e32 v33, v33, v113
	v_add_f32_e32 v109, v111, v30
	s_delay_alu instid0(VALU_DEP_3) | instskip(NEXT) | instid1(VALU_DEP_1)
	v_sub_f32_e32 v31, v31, v114
	v_add_f32_e32 v31, v33, v31
	s_delay_alu instid0(VALU_DEP_3) | instskip(NEXT) | instid1(VALU_DEP_2)
	v_sub_f32_e32 v33, v109, v111
	v_add_f32_e32 v31, v109, v31
	s_delay_alu instid0(VALU_DEP_2) | instskip(SKIP_1) | instid1(VALU_DEP_2)
	v_sub_f32_e32 v109, v109, v33
	v_sub_f32_e32 v30, v30, v33
	v_dual_add_f32 v112, v110, v31 :: v_dual_sub_f32 v109, v111, v109
	s_delay_alu instid0(VALU_DEP_1) | instskip(NEXT) | instid1(VALU_DEP_1)
	v_dual_sub_f32 v33, v112, v110 :: v_dual_add_f32 v30, v30, v109
	v_sub_f32_e32 v31, v31, v33
	s_delay_alu instid0(VALU_DEP_1) | instskip(NEXT) | instid1(VALU_DEP_1)
	v_add_f32_e32 v30, v30, v31
	v_add_f32_e32 v30, v112, v30
	s_delay_alu instid0(VALU_DEP_1)
	v_cndmask_b32_e32 v109, v30, v28, vcc_lo
.LBB154_80:                             ;   in Loop: Header=BB154_12 Depth=1
	s_or_b32 exec_lo, exec_lo, s30
	v_add_f32_e32 v110, s67, v29
	s_delay_alu instid0(VALU_DEP_1) | instskip(SKIP_1) | instid1(SALU_CYCLE_1)
	v_cmp_ge_f32_e32 vcc_lo, 0x41a00000, v110
	s_and_b32 s29, s81, vcc_lo
	s_and_saveexec_b32 s30, s29
	s_cbranch_execz .LBB154_82
; %bb.81:                               ;   in Loop: Header=BB154_12 Depth=1
	v_mul_f32_e32 v28, 0x3fb8aa3b, v110
	v_cmp_ngt_f32_e32 vcc_lo, 0xc2ce8ed0, v110
	s_delay_alu instid0(VALU_DEP_2) | instskip(SKIP_1) | instid1(VALU_DEP_2)
	v_rndne_f32_e32 v29, v28
	v_fma_f32 v30, 0x3fb8aa3b, v110, -v28
	v_sub_f32_e32 v28, v28, v29
	s_delay_alu instid0(VALU_DEP_2) | instskip(SKIP_1) | instid1(VALU_DEP_2)
	v_fmac_f32_e32 v30, 0x32a5705f, v110
	v_cvt_i32_f32_e32 v29, v29
	v_add_f32_e32 v28, v28, v30
	s_delay_alu instid0(VALU_DEP_1) | instskip(SKIP_2) | instid1(VALU_DEP_1)
	v_exp_f32_e32 v28, v28
	s_waitcnt_depctr 0xfff
	v_ldexp_f32 v28, v28, v29
	v_cndmask_b32_e32 v28, 0, v28, vcc_lo
	v_cmp_nlt_f32_e32 vcc_lo, 0x42b17218, v110
	s_delay_alu instid0(VALU_DEP_2) | instskip(NEXT) | instid1(VALU_DEP_1)
	v_cndmask_b32_e32 v30, 0x7f800000, v28, vcc_lo
	v_add_f32_e32 v31, 1.0, v30
	s_delay_alu instid0(VALU_DEP_1) | instskip(NEXT) | instid1(VALU_DEP_1)
	v_cvt_f64_f32_e32 v[28:29], v31
	v_frexp_exp_i32_f64_e32 v28, v[28:29]
	v_frexp_mant_f32_e32 v29, v31
	s_delay_alu instid0(VALU_DEP_1) | instskip(SKIP_1) | instid1(VALU_DEP_1)
	v_cmp_gt_f32_e32 vcc_lo, 0x3f2aaaab, v29
	v_add_f32_e32 v29, -1.0, v31
	v_dual_sub_f32 v110, v29, v31 :: v_dual_sub_f32 v29, v30, v29
	s_delay_alu instid0(VALU_DEP_1) | instskip(NEXT) | instid1(VALU_DEP_1)
	v_add_f32_e32 v110, 1.0, v110
	v_add_f32_e32 v29, v29, v110
	v_subrev_co_ci_u32_e32 v28, vcc_lo, 0, v28, vcc_lo
	s_delay_alu instid0(VALU_DEP_1) | instskip(SKIP_1) | instid1(VALU_DEP_2)
	v_sub_nc_u32_e32 v33, 0, v28
	v_cvt_f32_i32_e32 v28, v28
	v_ldexp_f32 v31, v31, v33
	v_ldexp_f32 v29, v29, v33
	s_delay_alu instid0(VALU_DEP_2) | instskip(SKIP_3) | instid1(VALU_DEP_4)
	v_add_f32_e32 v111, 1.0, v31
	v_add_f32_e32 v33, -1.0, v31
	v_cmp_eq_f32_e32 vcc_lo, 0x7f800000, v30
	v_cmp_gt_f32_e64 s29, 0x33800000, v30
	v_add_f32_e32 v110, -1.0, v111
	s_delay_alu instid0(VALU_DEP_4) | instskip(NEXT) | instid1(VALU_DEP_3)
	v_add_f32_e32 v112, 1.0, v33
	s_or_b32 vcc_lo, s29, vcc_lo
	s_delay_alu instid0(VALU_DEP_2) | instskip(NEXT) | instid1(VALU_DEP_1)
	v_sub_f32_e32 v110, v31, v110
	v_dual_sub_f32 v31, v31, v112 :: v_dual_add_f32 v110, v29, v110
	s_delay_alu instid0(VALU_DEP_1) | instskip(NEXT) | instid1(VALU_DEP_1)
	v_add_f32_e32 v29, v29, v31
	v_dual_add_f32 v113, v33, v29 :: v_dual_add_f32 v112, v111, v110
	s_delay_alu instid0(VALU_DEP_1) | instskip(NEXT) | instid1(VALU_DEP_2)
	v_sub_f32_e32 v33, v33, v113
	v_rcp_f32_e32 v31, v112
	v_sub_f32_e32 v111, v111, v112
	s_delay_alu instid0(VALU_DEP_1) | instskip(SKIP_2) | instid1(VALU_DEP_1)
	v_dual_add_f32 v110, v110, v111 :: v_dual_add_f32 v29, v29, v33
	s_waitcnt_depctr 0xfff
	v_mul_f32_e32 v114, v113, v31
	v_mul_f32_e32 v115, v112, v114
	s_delay_alu instid0(VALU_DEP_1) | instskip(NEXT) | instid1(VALU_DEP_1)
	v_fma_f32 v111, v114, v112, -v115
	v_fmac_f32_e32 v111, v114, v110
	s_delay_alu instid0(VALU_DEP_1) | instskip(NEXT) | instid1(VALU_DEP_1)
	v_add_f32_e32 v116, v115, v111
	v_sub_f32_e32 v117, v113, v116
	s_delay_alu instid0(VALU_DEP_1) | instskip(SKIP_1) | instid1(VALU_DEP_2)
	v_sub_f32_e32 v113, v113, v117
	v_sub_f32_e32 v33, v116, v115
	;; [unrolled: 1-line block ×3, first 2 shown]
	s_delay_alu instid0(VALU_DEP_2) | instskip(NEXT) | instid1(VALU_DEP_2)
	v_sub_f32_e32 v33, v33, v111
	v_add_f32_e32 v29, v29, v113
	s_delay_alu instid0(VALU_DEP_1) | instskip(NEXT) | instid1(VALU_DEP_1)
	v_add_f32_e32 v29, v33, v29
	v_add_f32_e32 v33, v117, v29
	s_delay_alu instid0(VALU_DEP_1) | instskip(NEXT) | instid1(VALU_DEP_1)
	v_mul_f32_e32 v111, v31, v33
	v_dual_sub_f32 v116, v117, v33 :: v_dual_mul_f32 v113, v112, v111
	s_delay_alu instid0(VALU_DEP_1) | instskip(NEXT) | instid1(VALU_DEP_2)
	v_add_f32_e32 v29, v29, v116
	v_fma_f32 v112, v111, v112, -v113
	s_delay_alu instid0(VALU_DEP_1) | instskip(NEXT) | instid1(VALU_DEP_1)
	v_fmac_f32_e32 v112, v111, v110
	v_add_f32_e32 v110, v113, v112
	s_delay_alu instid0(VALU_DEP_1) | instskip(NEXT) | instid1(VALU_DEP_1)
	v_sub_f32_e32 v115, v33, v110
	v_sub_f32_e32 v33, v33, v115
	s_delay_alu instid0(VALU_DEP_1) | instskip(NEXT) | instid1(VALU_DEP_1)
	v_sub_f32_e32 v33, v33, v110
	v_add_f32_e32 v29, v29, v33
	v_add_f32_e32 v33, v114, v111
	v_sub_f32_e32 v113, v110, v113
	s_delay_alu instid0(VALU_DEP_1) | instskip(NEXT) | instid1(VALU_DEP_1)
	v_sub_f32_e32 v110, v113, v112
	v_dual_add_f32 v29, v110, v29 :: v_dual_sub_f32 v110, v33, v114
	s_delay_alu instid0(VALU_DEP_1) | instskip(NEXT) | instid1(VALU_DEP_2)
	v_add_f32_e32 v29, v115, v29
	v_sub_f32_e32 v110, v111, v110
	s_delay_alu instid0(VALU_DEP_2) | instskip(NEXT) | instid1(VALU_DEP_1)
	v_mul_f32_e32 v29, v31, v29
	v_add_f32_e32 v29, v110, v29
	s_delay_alu instid0(VALU_DEP_1) | instskip(NEXT) | instid1(VALU_DEP_1)
	v_add_f32_e32 v31, v33, v29
	v_mul_f32_e32 v110, v31, v31
	s_delay_alu instid0(VALU_DEP_1) | instskip(SKIP_1) | instid1(VALU_DEP_2)
	v_fmaak_f32 v111, s85, v110, 0x3ecc95a3
	v_mul_f32_e32 v112, v31, v110
	v_fmaak_f32 v110, v110, v111, 0x3f2aaada
	v_ldexp_f32 v111, v31, 1
	s_delay_alu instid0(VALU_DEP_2) | instskip(NEXT) | instid1(VALU_DEP_1)
	v_dual_sub_f32 v31, v31, v33 :: v_dual_mul_f32 v110, v112, v110
	v_dual_mul_f32 v112, 0x3f317218, v28 :: v_dual_sub_f32 v29, v29, v31
	s_delay_alu instid0(VALU_DEP_2) | instskip(NEXT) | instid1(VALU_DEP_2)
	v_add_f32_e32 v33, v111, v110
	v_ldexp_f32 v29, v29, 1
	s_delay_alu instid0(VALU_DEP_2) | instskip(NEXT) | instid1(VALU_DEP_4)
	v_sub_f32_e32 v31, v33, v111
	v_fma_f32 v111, 0x3f317218, v28, -v112
	s_delay_alu instid0(VALU_DEP_2) | instskip(NEXT) | instid1(VALU_DEP_1)
	v_sub_f32_e32 v31, v110, v31
	v_dual_fmac_f32 v111, 0xb102e308, v28 :: v_dual_add_f32 v28, v29, v31
	s_delay_alu instid0(VALU_DEP_1) | instskip(NEXT) | instid1(VALU_DEP_2)
	v_add_f32_e32 v29, v112, v111
	v_add_f32_e32 v31, v33, v28
	s_delay_alu instid0(VALU_DEP_2) | instskip(NEXT) | instid1(VALU_DEP_2)
	v_sub_f32_e32 v112, v29, v112
	v_dual_add_f32 v110, v29, v31 :: v_dual_sub_f32 v33, v31, v33
	s_delay_alu instid0(VALU_DEP_2) | instskip(NEXT) | instid1(VALU_DEP_2)
	v_sub_f32_e32 v111, v111, v112
	v_sub_f32_e32 v113, v110, v29
	s_delay_alu instid0(VALU_DEP_3) | instskip(NEXT) | instid1(VALU_DEP_2)
	v_sub_f32_e32 v28, v28, v33
	v_sub_f32_e32 v114, v110, v113
	v_sub_f32_e32 v31, v31, v113
	s_delay_alu instid0(VALU_DEP_3) | instskip(NEXT) | instid1(VALU_DEP_3)
	v_add_f32_e32 v33, v111, v28
	v_sub_f32_e32 v29, v29, v114
	s_delay_alu instid0(VALU_DEP_1) | instskip(NEXT) | instid1(VALU_DEP_3)
	v_add_f32_e32 v29, v31, v29
	v_sub_f32_e32 v31, v33, v111
	s_delay_alu instid0(VALU_DEP_2) | instskip(NEXT) | instid1(VALU_DEP_2)
	v_add_f32_e32 v29, v33, v29
	v_sub_f32_e32 v33, v33, v31
	v_sub_f32_e32 v28, v28, v31
	s_delay_alu instid0(VALU_DEP_3) | instskip(NEXT) | instid1(VALU_DEP_3)
	v_add_f32_e32 v112, v110, v29
	v_sub_f32_e32 v33, v111, v33
	s_delay_alu instid0(VALU_DEP_2) | instskip(NEXT) | instid1(VALU_DEP_1)
	v_sub_f32_e32 v31, v112, v110
	v_dual_add_f32 v28, v28, v33 :: v_dual_sub_f32 v29, v29, v31
	s_delay_alu instid0(VALU_DEP_1) | instskip(NEXT) | instid1(VALU_DEP_1)
	v_add_f32_e32 v28, v28, v29
	v_add_f32_e32 v28, v112, v28
	s_delay_alu instid0(VALU_DEP_1)
	v_cndmask_b32_e32 v110, v28, v30, vcc_lo
.LBB154_82:                             ;   in Loop: Header=BB154_12 Depth=1
	s_or_b32 exec_lo, exec_lo, s30
	s_waitcnt lgkmcnt(5)
	v_add_f32_e32 v111, s67, v26
	s_delay_alu instid0(VALU_DEP_1) | instskip(SKIP_1) | instid1(SALU_CYCLE_1)
	v_cmp_ge_f32_e32 vcc_lo, 0x41a00000, v111
	s_and_b32 s29, s81, vcc_lo
	s_and_saveexec_b32 s30, s29
	s_cbranch_execz .LBB154_84
; %bb.83:                               ;   in Loop: Header=BB154_12 Depth=1
	v_mul_f32_e32 v26, 0x3fb8aa3b, v111
	v_cmp_ngt_f32_e32 vcc_lo, 0xc2ce8ed0, v111
	s_delay_alu instid0(VALU_DEP_2) | instskip(SKIP_1) | instid1(VALU_DEP_1)
	v_rndne_f32_e32 v28, v26
	v_fma_f32 v29, 0x3fb8aa3b, v111, -v26
	v_dual_sub_f32 v26, v26, v28 :: v_dual_fmac_f32 v29, 0x32a5705f, v111
	v_cvt_i32_f32_e32 v28, v28
	s_delay_alu instid0(VALU_DEP_2) | instskip(NEXT) | instid1(VALU_DEP_1)
	v_add_f32_e32 v26, v26, v29
	v_exp_f32_e32 v26, v26
	s_waitcnt_depctr 0xfff
	v_ldexp_f32 v26, v26, v28
	s_delay_alu instid0(VALU_DEP_1) | instskip(SKIP_1) | instid1(VALU_DEP_2)
	v_cndmask_b32_e32 v26, 0, v26, vcc_lo
	v_cmp_nlt_f32_e32 vcc_lo, 0x42b17218, v111
	v_cndmask_b32_e32 v26, 0x7f800000, v26, vcc_lo
	s_delay_alu instid0(VALU_DEP_1) | instskip(NEXT) | instid1(VALU_DEP_1)
	v_add_f32_e32 v30, 1.0, v26
	v_cvt_f64_f32_e32 v[28:29], v30
	s_delay_alu instid0(VALU_DEP_1) | instskip(SKIP_1) | instid1(VALU_DEP_1)
	v_frexp_exp_i32_f64_e32 v28, v[28:29]
	v_frexp_mant_f32_e32 v29, v30
	v_cmp_gt_f32_e32 vcc_lo, 0x3f2aaaab, v29
	v_add_f32_e32 v29, -1.0, v30
	s_delay_alu instid0(VALU_DEP_1) | instskip(SKIP_1) | instid1(VALU_DEP_2)
	v_sub_f32_e32 v33, v29, v30
	v_sub_f32_e32 v29, v26, v29
	v_add_f32_e32 v33, 1.0, v33
	s_delay_alu instid0(VALU_DEP_1) | instskip(SKIP_3) | instid1(VALU_DEP_2)
	v_add_f32_e32 v29, v29, v33
	v_cmp_gt_f32_e64 s29, 0x33800000, v26
	v_subrev_co_ci_u32_e32 v28, vcc_lo, 0, v28, vcc_lo
	v_cmp_eq_f32_e32 vcc_lo, 0x7f800000, v26
	v_sub_nc_u32_e32 v31, 0, v28
	v_cvt_f32_i32_e32 v28, v28
	s_or_b32 vcc_lo, s29, vcc_lo
	s_delay_alu instid0(VALU_DEP_2) | instskip(SKIP_1) | instid1(VALU_DEP_2)
	v_ldexp_f32 v30, v30, v31
	v_ldexp_f32 v29, v29, v31
	v_add_f32_e32 v31, -1.0, v30
	s_delay_alu instid0(VALU_DEP_1) | instskip(NEXT) | instid1(VALU_DEP_1)
	v_dual_add_f32 v111, 1.0, v30 :: v_dual_add_f32 v112, 1.0, v31
	v_add_f32_e32 v33, -1.0, v111
	s_delay_alu instid0(VALU_DEP_1) | instskip(NEXT) | instid1(VALU_DEP_1)
	v_sub_f32_e32 v33, v30, v33
	v_dual_sub_f32 v30, v30, v112 :: v_dual_add_f32 v33, v29, v33
	s_delay_alu instid0(VALU_DEP_1) | instskip(NEXT) | instid1(VALU_DEP_1)
	v_add_f32_e32 v112, v111, v33
	v_sub_f32_e32 v111, v111, v112
	s_delay_alu instid0(VALU_DEP_1) | instskip(NEXT) | instid1(VALU_DEP_4)
	v_add_f32_e32 v33, v33, v111
	v_add_f32_e32 v29, v29, v30
	v_rcp_f32_e32 v30, v112
	s_delay_alu instid0(VALU_DEP_1) | instskip(SKIP_2) | instid1(VALU_DEP_1)
	v_add_f32_e32 v113, v31, v29
	s_waitcnt_depctr 0xfff
	v_dual_sub_f32 v31, v31, v113 :: v_dual_mul_f32 v114, v113, v30
	v_add_f32_e32 v29, v29, v31
	s_delay_alu instid0(VALU_DEP_2) | instskip(NEXT) | instid1(VALU_DEP_1)
	v_mul_f32_e32 v115, v112, v114
	v_fma_f32 v111, v114, v112, -v115
	s_delay_alu instid0(VALU_DEP_1) | instskip(NEXT) | instid1(VALU_DEP_1)
	v_fmac_f32_e32 v111, v114, v33
	v_add_f32_e32 v116, v115, v111
	s_delay_alu instid0(VALU_DEP_1) | instskip(SKIP_1) | instid1(VALU_DEP_2)
	v_sub_f32_e32 v117, v113, v116
	v_sub_f32_e32 v31, v116, v115
	;; [unrolled: 1-line block ×3, first 2 shown]
	s_delay_alu instid0(VALU_DEP_2) | instskip(NEXT) | instid1(VALU_DEP_2)
	v_sub_f32_e32 v31, v31, v111
	v_sub_f32_e32 v113, v113, v116
	s_delay_alu instid0(VALU_DEP_1) | instskip(NEXT) | instid1(VALU_DEP_1)
	v_add_f32_e32 v29, v29, v113
	v_add_f32_e32 v29, v31, v29
	s_delay_alu instid0(VALU_DEP_1) | instskip(NEXT) | instid1(VALU_DEP_1)
	v_add_f32_e32 v31, v117, v29
	v_mul_f32_e32 v111, v30, v31
	v_sub_f32_e32 v116, v117, v31
	s_delay_alu instid0(VALU_DEP_2) | instskip(NEXT) | instid1(VALU_DEP_2)
	v_mul_f32_e32 v113, v112, v111
	v_add_f32_e32 v29, v29, v116
	s_delay_alu instid0(VALU_DEP_2) | instskip(NEXT) | instid1(VALU_DEP_1)
	v_fma_f32 v112, v111, v112, -v113
	v_fmac_f32_e32 v112, v111, v33
	s_delay_alu instid0(VALU_DEP_1) | instskip(NEXT) | instid1(VALU_DEP_1)
	v_add_f32_e32 v33, v113, v112
	v_sub_f32_e32 v115, v31, v33
	v_sub_f32_e32 v113, v33, v113
	s_delay_alu instid0(VALU_DEP_2) | instskip(NEXT) | instid1(VALU_DEP_1)
	v_sub_f32_e32 v31, v31, v115
	v_sub_f32_e32 v31, v31, v33
	s_delay_alu instid0(VALU_DEP_3) | instskip(NEXT) | instid1(VALU_DEP_2)
	v_sub_f32_e32 v33, v113, v112
	v_add_f32_e32 v29, v29, v31
	v_add_f32_e32 v31, v114, v111
	s_delay_alu instid0(VALU_DEP_2) | instskip(NEXT) | instid1(VALU_DEP_2)
	v_add_f32_e32 v29, v33, v29
	v_sub_f32_e32 v33, v31, v114
	s_delay_alu instid0(VALU_DEP_2) | instskip(NEXT) | instid1(VALU_DEP_2)
	v_add_f32_e32 v29, v115, v29
	v_sub_f32_e32 v33, v111, v33
	s_delay_alu instid0(VALU_DEP_2) | instskip(NEXT) | instid1(VALU_DEP_1)
	v_mul_f32_e32 v29, v30, v29
	v_add_f32_e32 v29, v33, v29
	s_delay_alu instid0(VALU_DEP_1) | instskip(NEXT) | instid1(VALU_DEP_1)
	v_add_f32_e32 v30, v31, v29
	v_mul_f32_e32 v33, v30, v30
	s_delay_alu instid0(VALU_DEP_1) | instskip(NEXT) | instid1(VALU_DEP_1)
	v_fmaak_f32 v111, s85, v33, 0x3ecc95a3
	v_dual_mul_f32 v112, v30, v33 :: v_dual_fmaak_f32 v33, v33, v111, 0x3f2aaada
	v_ldexp_f32 v111, v30, 1
	s_delay_alu instid0(VALU_DEP_2) | instskip(NEXT) | instid1(VALU_DEP_1)
	v_dual_sub_f32 v30, v30, v31 :: v_dual_mul_f32 v33, v112, v33
	v_dual_mul_f32 v112, 0x3f317218, v28 :: v_dual_sub_f32 v29, v29, v30
	s_delay_alu instid0(VALU_DEP_2) | instskip(NEXT) | instid1(VALU_DEP_2)
	v_add_f32_e32 v31, v111, v33
	v_ldexp_f32 v29, v29, 1
	s_delay_alu instid0(VALU_DEP_2) | instskip(NEXT) | instid1(VALU_DEP_4)
	v_sub_f32_e32 v30, v31, v111
	v_fma_f32 v111, 0x3f317218, v28, -v112
	s_delay_alu instid0(VALU_DEP_1) | instskip(NEXT) | instid1(VALU_DEP_1)
	v_dual_sub_f32 v30, v33, v30 :: v_dual_fmac_f32 v111, 0xb102e308, v28
	v_dual_add_f32 v28, v29, v30 :: v_dual_add_f32 v29, v112, v111
	s_delay_alu instid0(VALU_DEP_1) | instskip(NEXT) | instid1(VALU_DEP_2)
	v_add_f32_e32 v30, v31, v28
	v_sub_f32_e32 v112, v29, v112
	s_delay_alu instid0(VALU_DEP_2) | instskip(SKIP_1) | instid1(VALU_DEP_3)
	v_add_f32_e32 v33, v29, v30
	v_sub_f32_e32 v31, v30, v31
	v_sub_f32_e32 v111, v111, v112
	s_delay_alu instid0(VALU_DEP_2) | instskip(NEXT) | instid1(VALU_DEP_1)
	v_dual_sub_f32 v113, v33, v29 :: v_dual_sub_f32 v28, v28, v31
	v_sub_f32_e32 v114, v33, v113
	s_delay_alu instid0(VALU_DEP_2) | instskip(NEXT) | instid1(VALU_DEP_2)
	v_dual_sub_f32 v30, v30, v113 :: v_dual_add_f32 v31, v111, v28
	v_sub_f32_e32 v29, v29, v114
	s_delay_alu instid0(VALU_DEP_1) | instskip(NEXT) | instid1(VALU_DEP_1)
	v_dual_add_f32 v29, v30, v29 :: v_dual_sub_f32 v30, v31, v111
	v_add_f32_e32 v29, v31, v29
	s_delay_alu instid0(VALU_DEP_2) | instskip(SKIP_1) | instid1(VALU_DEP_2)
	v_sub_f32_e32 v31, v31, v30
	v_sub_f32_e32 v28, v28, v30
	v_dual_add_f32 v112, v33, v29 :: v_dual_sub_f32 v31, v111, v31
	s_delay_alu instid0(VALU_DEP_1) | instskip(NEXT) | instid1(VALU_DEP_1)
	v_sub_f32_e32 v30, v112, v33
	v_dual_add_f32 v28, v28, v31 :: v_dual_sub_f32 v29, v29, v30
	s_delay_alu instid0(VALU_DEP_1) | instskip(NEXT) | instid1(VALU_DEP_1)
	v_add_f32_e32 v28, v28, v29
	v_add_f32_e32 v28, v112, v28
	s_delay_alu instid0(VALU_DEP_1)
	v_cndmask_b32_e32 v111, v28, v26, vcc_lo
.LBB154_84:                             ;   in Loop: Header=BB154_12 Depth=1
	s_or_b32 exec_lo, exec_lo, s30
	v_add_f32_e32 v112, s67, v27
	s_delay_alu instid0(VALU_DEP_1) | instskip(SKIP_1) | instid1(SALU_CYCLE_1)
	v_cmp_ge_f32_e32 vcc_lo, 0x41a00000, v112
	s_and_b32 s29, s81, vcc_lo
	s_and_saveexec_b32 s30, s29
	s_cbranch_execz .LBB154_86
; %bb.85:                               ;   in Loop: Header=BB154_12 Depth=1
	v_mul_f32_e32 v26, 0x3fb8aa3b, v112
	v_cmp_ngt_f32_e32 vcc_lo, 0xc2ce8ed0, v112
	s_delay_alu instid0(VALU_DEP_2) | instskip(SKIP_1) | instid1(VALU_DEP_2)
	v_rndne_f32_e32 v27, v26
	v_fma_f32 v28, 0x3fb8aa3b, v112, -v26
	v_sub_f32_e32 v26, v26, v27
	s_delay_alu instid0(VALU_DEP_2) | instskip(SKIP_1) | instid1(VALU_DEP_2)
	v_fmac_f32_e32 v28, 0x32a5705f, v112
	v_cvt_i32_f32_e32 v27, v27
	v_add_f32_e32 v26, v26, v28
	s_delay_alu instid0(VALU_DEP_1) | instskip(SKIP_2) | instid1(VALU_DEP_1)
	v_exp_f32_e32 v26, v26
	s_waitcnt_depctr 0xfff
	v_ldexp_f32 v26, v26, v27
	v_cndmask_b32_e32 v26, 0, v26, vcc_lo
	v_cmp_nlt_f32_e32 vcc_lo, 0x42b17218, v112
	s_delay_alu instid0(VALU_DEP_2) | instskip(NEXT) | instid1(VALU_DEP_1)
	v_cndmask_b32_e32 v28, 0x7f800000, v26, vcc_lo
	v_add_f32_e32 v29, 1.0, v28
	s_delay_alu instid0(VALU_DEP_1) | instskip(NEXT) | instid1(VALU_DEP_1)
	v_cvt_f64_f32_e32 v[26:27], v29
	v_frexp_exp_i32_f64_e32 v26, v[26:27]
	v_frexp_mant_f32_e32 v27, v29
	s_delay_alu instid0(VALU_DEP_1) | instskip(SKIP_1) | instid1(VALU_DEP_1)
	v_cmp_gt_f32_e32 vcc_lo, 0x3f2aaaab, v27
	v_add_f32_e32 v27, -1.0, v29
	v_sub_f32_e32 v31, v27, v29
	s_delay_alu instid0(VALU_DEP_1) | instskip(SKIP_1) | instid1(VALU_DEP_1)
	v_add_f32_e32 v31, 1.0, v31
	v_subrev_co_ci_u32_e32 v26, vcc_lo, 0, v26, vcc_lo
	v_sub_nc_u32_e32 v30, 0, v26
	v_cvt_f32_i32_e32 v26, v26
	s_delay_alu instid0(VALU_DEP_2) | instskip(NEXT) | instid1(VALU_DEP_1)
	v_ldexp_f32 v29, v29, v30
	v_add_f32_e32 v33, 1.0, v29
	v_sub_f32_e32 v27, v28, v27
	v_cmp_eq_f32_e32 vcc_lo, 0x7f800000, v28
	v_cmp_gt_f32_e64 s29, 0x33800000, v28
	s_delay_alu instid0(VALU_DEP_3) | instskip(NEXT) | instid1(VALU_DEP_2)
	v_add_f32_e32 v27, v27, v31
	s_or_b32 vcc_lo, s29, vcc_lo
	s_delay_alu instid0(VALU_DEP_1) | instskip(SKIP_1) | instid1(VALU_DEP_1)
	v_ldexp_f32 v27, v27, v30
	v_add_f32_e32 v30, -1.0, v29
	v_dual_add_f32 v31, -1.0, v33 :: v_dual_add_f32 v112, 1.0, v30
	s_delay_alu instid0(VALU_DEP_1) | instskip(NEXT) | instid1(VALU_DEP_2)
	v_sub_f32_e32 v31, v29, v31
	v_sub_f32_e32 v29, v29, v112
	s_delay_alu instid0(VALU_DEP_2) | instskip(NEXT) | instid1(VALU_DEP_1)
	v_add_f32_e32 v31, v27, v31
	v_dual_add_f32 v27, v27, v29 :: v_dual_add_f32 v112, v33, v31
	s_delay_alu instid0(VALU_DEP_1) | instskip(NEXT) | instid1(VALU_DEP_2)
	v_add_f32_e32 v113, v30, v27
	v_rcp_f32_e32 v29, v112
	s_delay_alu instid0(VALU_DEP_1) | instskip(SKIP_2) | instid1(VALU_DEP_1)
	v_sub_f32_e32 v30, v30, v113
	s_waitcnt_depctr 0xfff
	v_mul_f32_e32 v114, v113, v29
	v_mul_f32_e32 v115, v112, v114
	v_sub_f32_e32 v33, v33, v112
	s_delay_alu instid0(VALU_DEP_1) | instskip(NEXT) | instid1(VALU_DEP_3)
	v_add_f32_e32 v31, v31, v33
	v_fma_f32 v33, v114, v112, -v115
	v_add_f32_e32 v27, v27, v30
	s_delay_alu instid0(VALU_DEP_2) | instskip(NEXT) | instid1(VALU_DEP_1)
	v_fmac_f32_e32 v33, v114, v31
	v_add_f32_e32 v116, v115, v33
	s_delay_alu instid0(VALU_DEP_1) | instskip(NEXT) | instid1(VALU_DEP_1)
	v_dual_sub_f32 v117, v113, v116 :: v_dual_sub_f32 v30, v116, v115
	v_sub_f32_e32 v113, v113, v117
	s_delay_alu instid0(VALU_DEP_1) | instskip(NEXT) | instid1(VALU_DEP_1)
	v_dual_sub_f32 v30, v30, v33 :: v_dual_sub_f32 v113, v113, v116
	v_add_f32_e32 v27, v27, v113
	s_delay_alu instid0(VALU_DEP_1) | instskip(NEXT) | instid1(VALU_DEP_1)
	v_add_f32_e32 v27, v30, v27
	v_add_f32_e32 v30, v117, v27
	s_delay_alu instid0(VALU_DEP_1) | instskip(NEXT) | instid1(VALU_DEP_1)
	v_mul_f32_e32 v33, v29, v30
	v_dual_sub_f32 v116, v117, v30 :: v_dual_mul_f32 v113, v112, v33
	s_delay_alu instid0(VALU_DEP_1) | instskip(NEXT) | instid1(VALU_DEP_2)
	v_add_f32_e32 v27, v27, v116
	v_fma_f32 v112, v33, v112, -v113
	s_delay_alu instid0(VALU_DEP_1) | instskip(NEXT) | instid1(VALU_DEP_1)
	v_fmac_f32_e32 v112, v33, v31
	v_add_f32_e32 v31, v113, v112
	s_delay_alu instid0(VALU_DEP_1) | instskip(NEXT) | instid1(VALU_DEP_1)
	v_sub_f32_e32 v115, v30, v31
	v_dual_sub_f32 v113, v31, v113 :: v_dual_sub_f32 v30, v30, v115
	s_delay_alu instid0(VALU_DEP_1) | instskip(NEXT) | instid1(VALU_DEP_1)
	v_dual_sub_f32 v30, v30, v31 :: v_dual_sub_f32 v31, v113, v112
	v_dual_add_f32 v27, v27, v30 :: v_dual_add_f32 v30, v114, v33
	s_delay_alu instid0(VALU_DEP_1) | instskip(NEXT) | instid1(VALU_DEP_2)
	v_add_f32_e32 v27, v31, v27
	v_sub_f32_e32 v31, v30, v114
	s_delay_alu instid0(VALU_DEP_2) | instskip(NEXT) | instid1(VALU_DEP_2)
	v_add_f32_e32 v27, v115, v27
	v_sub_f32_e32 v31, v33, v31
	s_delay_alu instid0(VALU_DEP_2) | instskip(NEXT) | instid1(VALU_DEP_1)
	v_mul_f32_e32 v27, v29, v27
	v_add_f32_e32 v27, v31, v27
	s_delay_alu instid0(VALU_DEP_1) | instskip(NEXT) | instid1(VALU_DEP_1)
	v_add_f32_e32 v29, v30, v27
	v_mul_f32_e32 v31, v29, v29
	s_delay_alu instid0(VALU_DEP_1) | instskip(NEXT) | instid1(VALU_DEP_1)
	v_fmaak_f32 v33, s85, v31, 0x3ecc95a3
	v_dual_mul_f32 v112, v29, v31 :: v_dual_fmaak_f32 v31, v31, v33, 0x3f2aaada
	v_ldexp_f32 v33, v29, 1
	v_sub_f32_e32 v29, v29, v30
	s_delay_alu instid0(VALU_DEP_3) | instskip(NEXT) | instid1(VALU_DEP_1)
	v_dual_mul_f32 v31, v112, v31 :: v_dual_mul_f32 v112, 0x3f317218, v26
	v_dual_sub_f32 v27, v27, v29 :: v_dual_add_f32 v30, v33, v31
	s_delay_alu instid0(VALU_DEP_1) | instskip(NEXT) | instid1(VALU_DEP_2)
	v_ldexp_f32 v27, v27, 1
	v_sub_f32_e32 v29, v30, v33
	s_delay_alu instid0(VALU_DEP_4) | instskip(NEXT) | instid1(VALU_DEP_2)
	v_fma_f32 v33, 0x3f317218, v26, -v112
	v_sub_f32_e32 v29, v31, v29
	s_delay_alu instid0(VALU_DEP_1) | instskip(NEXT) | instid1(VALU_DEP_1)
	v_dual_fmac_f32 v33, 0xb102e308, v26 :: v_dual_add_f32 v26, v27, v29
	v_add_f32_e32 v27, v112, v33
	s_delay_alu instid0(VALU_DEP_1) | instskip(NEXT) | instid1(VALU_DEP_1)
	v_dual_add_f32 v29, v30, v26 :: v_dual_sub_f32 v112, v27, v112
	v_dual_add_f32 v31, v27, v29 :: v_dual_sub_f32 v30, v29, v30
	s_delay_alu instid0(VALU_DEP_2) | instskip(NEXT) | instid1(VALU_DEP_2)
	v_sub_f32_e32 v33, v33, v112
	v_dual_sub_f32 v113, v31, v27 :: v_dual_sub_f32 v26, v26, v30
	s_delay_alu instid0(VALU_DEP_1) | instskip(SKIP_1) | instid1(VALU_DEP_3)
	v_sub_f32_e32 v114, v31, v113
	v_sub_f32_e32 v29, v29, v113
	v_add_f32_e32 v30, v33, v26
	s_delay_alu instid0(VALU_DEP_3) | instskip(NEXT) | instid1(VALU_DEP_1)
	v_sub_f32_e32 v27, v27, v114
	v_add_f32_e32 v27, v29, v27
	s_delay_alu instid0(VALU_DEP_3) | instskip(NEXT) | instid1(VALU_DEP_2)
	v_sub_f32_e32 v29, v30, v33
	v_add_f32_e32 v27, v30, v27
	s_delay_alu instid0(VALU_DEP_2) | instskip(SKIP_1) | instid1(VALU_DEP_3)
	v_sub_f32_e32 v30, v30, v29
	v_sub_f32_e32 v26, v26, v29
	v_add_f32_e32 v112, v31, v27
	s_delay_alu instid0(VALU_DEP_1) | instskip(NEXT) | instid1(VALU_DEP_1)
	v_dual_sub_f32 v30, v33, v30 :: v_dual_sub_f32 v29, v112, v31
	v_dual_add_f32 v26, v26, v30 :: v_dual_sub_f32 v27, v27, v29
	s_delay_alu instid0(VALU_DEP_1) | instskip(NEXT) | instid1(VALU_DEP_1)
	v_add_f32_e32 v26, v26, v27
	v_add_f32_e32 v26, v112, v26
	s_delay_alu instid0(VALU_DEP_1)
	v_cndmask_b32_e32 v112, v26, v28, vcc_lo
.LBB154_86:                             ;   in Loop: Header=BB154_12 Depth=1
	s_or_b32 exec_lo, exec_lo, s30
	s_waitcnt lgkmcnt(4)
	v_add_f32_e32 v113, s67, v24
	s_delay_alu instid0(VALU_DEP_1) | instskip(SKIP_1) | instid1(SALU_CYCLE_1)
	v_cmp_ge_f32_e32 vcc_lo, 0x41a00000, v113
	s_and_b32 s29, s81, vcc_lo
	s_and_saveexec_b32 s30, s29
	s_cbranch_execz .LBB154_88
; %bb.87:                               ;   in Loop: Header=BB154_12 Depth=1
	v_mul_f32_e32 v24, 0x3fb8aa3b, v113
	v_cmp_ngt_f32_e32 vcc_lo, 0xc2ce8ed0, v113
	s_delay_alu instid0(VALU_DEP_2) | instskip(SKIP_1) | instid1(VALU_DEP_1)
	v_rndne_f32_e32 v26, v24
	v_fma_f32 v27, 0x3fb8aa3b, v113, -v24
	v_dual_sub_f32 v24, v24, v26 :: v_dual_fmac_f32 v27, 0x32a5705f, v113
	v_cvt_i32_f32_e32 v26, v26
	s_delay_alu instid0(VALU_DEP_2) | instskip(NEXT) | instid1(VALU_DEP_1)
	v_add_f32_e32 v24, v24, v27
	v_exp_f32_e32 v24, v24
	s_waitcnt_depctr 0xfff
	v_ldexp_f32 v24, v24, v26
	s_delay_alu instid0(VALU_DEP_1) | instskip(SKIP_1) | instid1(VALU_DEP_2)
	v_cndmask_b32_e32 v24, 0, v24, vcc_lo
	v_cmp_nlt_f32_e32 vcc_lo, 0x42b17218, v113
	v_cndmask_b32_e32 v24, 0x7f800000, v24, vcc_lo
	s_delay_alu instid0(VALU_DEP_1) | instskip(NEXT) | instid1(VALU_DEP_1)
	v_add_f32_e32 v28, 1.0, v24
	v_cvt_f64_f32_e32 v[26:27], v28
	s_delay_alu instid0(VALU_DEP_1) | instskip(SKIP_1) | instid1(VALU_DEP_1)
	v_frexp_exp_i32_f64_e32 v26, v[26:27]
	v_frexp_mant_f32_e32 v27, v28
	v_cmp_gt_f32_e32 vcc_lo, 0x3f2aaaab, v27
	v_add_f32_e32 v27, -1.0, v28
	s_delay_alu instid0(VALU_DEP_1) | instskip(SKIP_1) | instid1(VALU_DEP_1)
	v_dual_sub_f32 v30, v27, v28 :: v_dual_sub_f32 v27, v24, v27
	v_subrev_co_ci_u32_e32 v26, vcc_lo, 0, v26, vcc_lo
	v_sub_nc_u32_e32 v29, 0, v26
	v_cvt_f32_i32_e32 v26, v26
	s_delay_alu instid0(VALU_DEP_2) | instskip(NEXT) | instid1(VALU_DEP_1)
	v_ldexp_f32 v28, v28, v29
	v_dual_add_f32 v30, 1.0, v30 :: v_dual_add_f32 v31, 1.0, v28
	s_delay_alu instid0(VALU_DEP_1) | instskip(NEXT) | instid1(VALU_DEP_1)
	v_add_f32_e32 v27, v27, v30
	v_ldexp_f32 v27, v27, v29
	s_delay_alu instid0(VALU_DEP_3) | instskip(NEXT) | instid1(VALU_DEP_1)
	v_dual_add_f32 v29, -1.0, v28 :: v_dual_add_f32 v30, -1.0, v31
	v_dual_add_f32 v33, 1.0, v29 :: v_dual_sub_f32 v30, v28, v30
	v_cmp_eq_f32_e32 vcc_lo, 0x7f800000, v24
	v_cmp_gt_f32_e64 s29, 0x33800000, v24
	s_delay_alu instid0(VALU_DEP_3) | instskip(NEXT) | instid1(VALU_DEP_4)
	v_add_f32_e32 v30, v27, v30
	v_sub_f32_e32 v28, v28, v33
	s_delay_alu instid0(VALU_DEP_3) | instskip(NEXT) | instid1(VALU_DEP_2)
	s_or_b32 vcc_lo, s29, vcc_lo
	v_add_f32_e32 v33, v31, v30
	s_delay_alu instid0(VALU_DEP_2) | instskip(NEXT) | instid1(VALU_DEP_2)
	v_add_f32_e32 v27, v27, v28
	v_rcp_f32_e32 v28, v33
	s_delay_alu instid0(VALU_DEP_1) | instskip(SKIP_1) | instid1(VALU_DEP_1)
	v_add_f32_e32 v113, v29, v27
	v_sub_f32_e32 v31, v31, v33
	v_dual_sub_f32 v29, v29, v113 :: v_dual_add_f32 v30, v30, v31
	s_waitcnt_depctr 0xfff
	v_dual_mul_f32 v114, v113, v28 :: v_dual_add_f32 v27, v27, v29
	s_delay_alu instid0(VALU_DEP_1) | instskip(NEXT) | instid1(VALU_DEP_1)
	v_mul_f32_e32 v115, v33, v114
	v_fma_f32 v31, v114, v33, -v115
	s_delay_alu instid0(VALU_DEP_1) | instskip(NEXT) | instid1(VALU_DEP_1)
	v_fmac_f32_e32 v31, v114, v30
	v_add_f32_e32 v116, v115, v31
	s_delay_alu instid0(VALU_DEP_1) | instskip(NEXT) | instid1(VALU_DEP_1)
	v_sub_f32_e32 v117, v113, v116
	v_sub_f32_e32 v113, v113, v117
	;; [unrolled: 1-line block ×3, first 2 shown]
	s_delay_alu instid0(VALU_DEP_2) | instskip(NEXT) | instid1(VALU_DEP_2)
	v_sub_f32_e32 v113, v113, v116
	v_sub_f32_e32 v29, v29, v31
	s_delay_alu instid0(VALU_DEP_2) | instskip(NEXT) | instid1(VALU_DEP_1)
	v_add_f32_e32 v27, v27, v113
	v_add_f32_e32 v27, v29, v27
	s_delay_alu instid0(VALU_DEP_1) | instskip(NEXT) | instid1(VALU_DEP_1)
	v_add_f32_e32 v29, v117, v27
	v_mul_f32_e32 v31, v28, v29
	v_sub_f32_e32 v116, v117, v29
	s_delay_alu instid0(VALU_DEP_2) | instskip(NEXT) | instid1(VALU_DEP_2)
	v_mul_f32_e32 v113, v33, v31
	v_add_f32_e32 v27, v27, v116
	s_delay_alu instid0(VALU_DEP_2) | instskip(NEXT) | instid1(VALU_DEP_1)
	v_fma_f32 v33, v31, v33, -v113
	v_fmac_f32_e32 v33, v31, v30
	s_delay_alu instid0(VALU_DEP_1) | instskip(NEXT) | instid1(VALU_DEP_1)
	v_add_f32_e32 v30, v113, v33
	v_sub_f32_e32 v115, v29, v30
	v_sub_f32_e32 v113, v30, v113
	s_delay_alu instid0(VALU_DEP_2) | instskip(NEXT) | instid1(VALU_DEP_1)
	v_sub_f32_e32 v29, v29, v115
	v_sub_f32_e32 v29, v29, v30
	s_delay_alu instid0(VALU_DEP_3) | instskip(NEXT) | instid1(VALU_DEP_2)
	v_sub_f32_e32 v30, v113, v33
	v_add_f32_e32 v27, v27, v29
	v_add_f32_e32 v29, v114, v31
	s_delay_alu instid0(VALU_DEP_1) | instskip(NEXT) | instid1(VALU_DEP_1)
	v_dual_add_f32 v27, v30, v27 :: v_dual_sub_f32 v30, v29, v114
	v_add_f32_e32 v27, v115, v27
	s_delay_alu instid0(VALU_DEP_1) | instskip(NEXT) | instid1(VALU_DEP_1)
	v_dual_sub_f32 v30, v31, v30 :: v_dual_mul_f32 v27, v28, v27
	v_add_f32_e32 v27, v30, v27
	s_delay_alu instid0(VALU_DEP_1) | instskip(NEXT) | instid1(VALU_DEP_1)
	v_add_f32_e32 v28, v29, v27
	v_mul_f32_e32 v30, v28, v28
	s_delay_alu instid0(VALU_DEP_1) | instskip(NEXT) | instid1(VALU_DEP_1)
	v_fmaak_f32 v31, s85, v30, 0x3ecc95a3
	v_dual_mul_f32 v33, v28, v30 :: v_dual_fmaak_f32 v30, v30, v31, 0x3f2aaada
	v_ldexp_f32 v31, v28, 1
	v_sub_f32_e32 v28, v28, v29
	s_delay_alu instid0(VALU_DEP_3) | instskip(SKIP_1) | instid1(VALU_DEP_3)
	v_mul_f32_e32 v30, v33, v30
	v_mul_f32_e32 v33, 0x3f317218, v26
	v_sub_f32_e32 v27, v27, v28
	s_delay_alu instid0(VALU_DEP_3) | instskip(NEXT) | instid1(VALU_DEP_2)
	v_add_f32_e32 v29, v31, v30
	v_ldexp_f32 v27, v27, 1
	s_delay_alu instid0(VALU_DEP_2) | instskip(SKIP_1) | instid1(VALU_DEP_1)
	v_sub_f32_e32 v28, v29, v31
	v_fma_f32 v31, 0x3f317218, v26, -v33
	v_dual_sub_f32 v28, v30, v28 :: v_dual_fmac_f32 v31, 0xb102e308, v26
	s_delay_alu instid0(VALU_DEP_1) | instskip(NEXT) | instid1(VALU_DEP_1)
	v_dual_add_f32 v26, v27, v28 :: v_dual_add_f32 v27, v33, v31
	v_dual_add_f32 v28, v29, v26 :: v_dual_sub_f32 v33, v27, v33
	s_delay_alu instid0(VALU_DEP_1) | instskip(NEXT) | instid1(VALU_DEP_2)
	v_dual_add_f32 v30, v27, v28 :: v_dual_sub_f32 v29, v28, v29
	v_sub_f32_e32 v31, v31, v33
	s_delay_alu instid0(VALU_DEP_2) | instskip(NEXT) | instid1(VALU_DEP_3)
	v_sub_f32_e32 v113, v30, v27
	v_sub_f32_e32 v26, v26, v29
	s_delay_alu instid0(VALU_DEP_2) | instskip(NEXT) | instid1(VALU_DEP_2)
	v_sub_f32_e32 v114, v30, v113
	v_dual_sub_f32 v28, v28, v113 :: v_dual_add_f32 v29, v31, v26
	s_delay_alu instid0(VALU_DEP_2) | instskip(NEXT) | instid1(VALU_DEP_1)
	v_sub_f32_e32 v27, v27, v114
	v_add_f32_e32 v27, v28, v27
	s_delay_alu instid0(VALU_DEP_3) | instskip(NEXT) | instid1(VALU_DEP_2)
	v_sub_f32_e32 v28, v29, v31
	v_add_f32_e32 v27, v29, v27
	s_delay_alu instid0(VALU_DEP_2) | instskip(SKIP_1) | instid1(VALU_DEP_3)
	v_sub_f32_e32 v29, v29, v28
	v_sub_f32_e32 v26, v26, v28
	v_add_f32_e32 v33, v30, v27
	s_delay_alu instid0(VALU_DEP_1) | instskip(NEXT) | instid1(VALU_DEP_1)
	v_dual_sub_f32 v29, v31, v29 :: v_dual_sub_f32 v28, v33, v30
	v_dual_add_f32 v26, v26, v29 :: v_dual_sub_f32 v27, v27, v28
	s_delay_alu instid0(VALU_DEP_1) | instskip(NEXT) | instid1(VALU_DEP_1)
	v_add_f32_e32 v26, v26, v27
	v_add_f32_e32 v26, v33, v26
	s_delay_alu instid0(VALU_DEP_1)
	v_cndmask_b32_e32 v113, v26, v24, vcc_lo
.LBB154_88:                             ;   in Loop: Header=BB154_12 Depth=1
	s_or_b32 exec_lo, exec_lo, s30
	v_add_f32_e32 v114, s67, v25
	s_delay_alu instid0(VALU_DEP_1) | instskip(SKIP_1) | instid1(SALU_CYCLE_1)
	v_cmp_ge_f32_e32 vcc_lo, 0x41a00000, v114
	s_and_b32 s29, s81, vcc_lo
	s_and_saveexec_b32 s30, s29
	s_cbranch_execz .LBB154_90
; %bb.89:                               ;   in Loop: Header=BB154_12 Depth=1
	v_mul_f32_e32 v24, 0x3fb8aa3b, v114
	v_cmp_ngt_f32_e32 vcc_lo, 0xc2ce8ed0, v114
	s_delay_alu instid0(VALU_DEP_2) | instskip(SKIP_1) | instid1(VALU_DEP_2)
	v_rndne_f32_e32 v25, v24
	v_fma_f32 v26, 0x3fb8aa3b, v114, -v24
	v_sub_f32_e32 v24, v24, v25
	s_delay_alu instid0(VALU_DEP_2) | instskip(SKIP_1) | instid1(VALU_DEP_2)
	v_fmac_f32_e32 v26, 0x32a5705f, v114
	v_cvt_i32_f32_e32 v25, v25
	v_add_f32_e32 v24, v24, v26
	s_delay_alu instid0(VALU_DEP_1) | instskip(SKIP_2) | instid1(VALU_DEP_1)
	v_exp_f32_e32 v24, v24
	s_waitcnt_depctr 0xfff
	v_ldexp_f32 v24, v24, v25
	v_cndmask_b32_e32 v24, 0, v24, vcc_lo
	v_cmp_nlt_f32_e32 vcc_lo, 0x42b17218, v114
	s_delay_alu instid0(VALU_DEP_2) | instskip(NEXT) | instid1(VALU_DEP_1)
	v_cndmask_b32_e32 v26, 0x7f800000, v24, vcc_lo
	v_add_f32_e32 v27, 1.0, v26
	s_delay_alu instid0(VALU_DEP_1) | instskip(NEXT) | instid1(VALU_DEP_1)
	v_cvt_f64_f32_e32 v[24:25], v27
	v_frexp_exp_i32_f64_e32 v24, v[24:25]
	v_frexp_mant_f32_e32 v25, v27
	s_delay_alu instid0(VALU_DEP_1) | instskip(SKIP_1) | instid1(VALU_DEP_1)
	v_cmp_gt_f32_e32 vcc_lo, 0x3f2aaaab, v25
	v_add_f32_e32 v25, -1.0, v27
	v_sub_f32_e32 v29, v25, v27
	v_sub_f32_e32 v25, v26, v25
	s_delay_alu instid0(VALU_DEP_2) | instskip(NEXT) | instid1(VALU_DEP_1)
	v_add_f32_e32 v29, 1.0, v29
	v_add_f32_e32 v25, v25, v29
	v_cmp_gt_f32_e64 s29, 0x33800000, v26
	v_subrev_co_ci_u32_e32 v24, vcc_lo, 0, v24, vcc_lo
	v_cmp_eq_f32_e32 vcc_lo, 0x7f800000, v26
	s_delay_alu instid0(VALU_DEP_2) | instskip(SKIP_2) | instid1(VALU_DEP_2)
	v_sub_nc_u32_e32 v28, 0, v24
	v_cvt_f32_i32_e32 v24, v24
	s_or_b32 vcc_lo, s29, vcc_lo
	v_ldexp_f32 v27, v27, v28
	v_ldexp_f32 v25, v25, v28
	s_delay_alu instid0(VALU_DEP_2) | instskip(NEXT) | instid1(VALU_DEP_1)
	v_add_f32_e32 v30, 1.0, v27
	v_dual_add_f32 v28, -1.0, v27 :: v_dual_add_f32 v29, -1.0, v30
	s_delay_alu instid0(VALU_DEP_1) | instskip(NEXT) | instid1(VALU_DEP_2)
	v_add_f32_e32 v31, 1.0, v28
	v_sub_f32_e32 v29, v27, v29
	s_delay_alu instid0(VALU_DEP_2) | instskip(NEXT) | instid1(VALU_DEP_2)
	v_sub_f32_e32 v27, v27, v31
	v_add_f32_e32 v29, v25, v29
	s_delay_alu instid0(VALU_DEP_2) | instskip(NEXT) | instid1(VALU_DEP_2)
	v_add_f32_e32 v25, v25, v27
	v_add_f32_e32 v31, v30, v29
	s_delay_alu instid0(VALU_DEP_1) | instskip(NEXT) | instid1(VALU_DEP_2)
	v_rcp_f32_e32 v27, v31
	v_dual_add_f32 v33, v28, v25 :: v_dual_sub_f32 v30, v30, v31
	s_delay_alu instid0(VALU_DEP_1) | instskip(SKIP_3) | instid1(VALU_DEP_2)
	v_sub_f32_e32 v28, v28, v33
	s_waitcnt_depctr 0xfff
	v_mul_f32_e32 v114, v33, v27
	v_add_f32_e32 v25, v25, v28
	v_mul_f32_e32 v115, v31, v114
	v_add_f32_e32 v29, v29, v30
	s_delay_alu instid0(VALU_DEP_2) | instskip(NEXT) | instid1(VALU_DEP_1)
	v_fma_f32 v30, v114, v31, -v115
	v_fmac_f32_e32 v30, v114, v29
	s_delay_alu instid0(VALU_DEP_1) | instskip(NEXT) | instid1(VALU_DEP_1)
	v_add_f32_e32 v116, v115, v30
	v_dual_sub_f32 v28, v116, v115 :: v_dual_sub_f32 v117, v33, v116
	s_delay_alu instid0(VALU_DEP_1) | instskip(NEXT) | instid1(VALU_DEP_1)
	v_dual_sub_f32 v28, v28, v30 :: v_dual_sub_f32 v33, v33, v117
	v_sub_f32_e32 v33, v33, v116
	s_delay_alu instid0(VALU_DEP_1) | instskip(NEXT) | instid1(VALU_DEP_1)
	v_add_f32_e32 v25, v25, v33
	v_add_f32_e32 v25, v28, v25
	s_delay_alu instid0(VALU_DEP_1) | instskip(NEXT) | instid1(VALU_DEP_1)
	v_add_f32_e32 v28, v117, v25
	v_sub_f32_e32 v116, v117, v28
	v_mul_f32_e32 v30, v27, v28
	s_delay_alu instid0(VALU_DEP_2) | instskip(NEXT) | instid1(VALU_DEP_2)
	v_add_f32_e32 v25, v25, v116
	v_mul_f32_e32 v33, v31, v30
	s_delay_alu instid0(VALU_DEP_1) | instskip(NEXT) | instid1(VALU_DEP_1)
	v_fma_f32 v31, v30, v31, -v33
	v_fmac_f32_e32 v31, v30, v29
	s_delay_alu instid0(VALU_DEP_1) | instskip(NEXT) | instid1(VALU_DEP_1)
	v_add_f32_e32 v29, v33, v31
	v_sub_f32_e32 v115, v28, v29
	s_delay_alu instid0(VALU_DEP_1) | instskip(NEXT) | instid1(VALU_DEP_1)
	v_dual_sub_f32 v33, v29, v33 :: v_dual_sub_f32 v28, v28, v115
	v_dual_sub_f32 v28, v28, v29 :: v_dual_sub_f32 v29, v33, v31
	s_delay_alu instid0(VALU_DEP_1) | instskip(NEXT) | instid1(VALU_DEP_1)
	v_dual_add_f32 v25, v25, v28 :: v_dual_add_f32 v28, v114, v30
	v_add_f32_e32 v25, v29, v25
	s_delay_alu instid0(VALU_DEP_2) | instskip(NEXT) | instid1(VALU_DEP_2)
	v_sub_f32_e32 v29, v28, v114
	v_add_f32_e32 v25, v115, v25
	s_delay_alu instid0(VALU_DEP_2) | instskip(NEXT) | instid1(VALU_DEP_2)
	v_sub_f32_e32 v29, v30, v29
	v_mul_f32_e32 v25, v27, v25
	s_delay_alu instid0(VALU_DEP_1) | instskip(NEXT) | instid1(VALU_DEP_1)
	v_add_f32_e32 v25, v29, v25
	v_add_f32_e32 v27, v28, v25
	s_delay_alu instid0(VALU_DEP_1) | instskip(NEXT) | instid1(VALU_DEP_1)
	v_mul_f32_e32 v29, v27, v27
	v_fmaak_f32 v30, s85, v29, 0x3ecc95a3
	v_mul_f32_e32 v31, v27, v29
	s_delay_alu instid0(VALU_DEP_2) | instskip(SKIP_2) | instid1(VALU_DEP_3)
	v_fmaak_f32 v29, v29, v30, 0x3f2aaada
	v_ldexp_f32 v30, v27, 1
	v_sub_f32_e32 v27, v27, v28
	v_mul_f32_e32 v29, v31, v29
	v_mul_f32_e32 v31, 0x3f317218, v24
	s_delay_alu instid0(VALU_DEP_2) | instskip(NEXT) | instid1(VALU_DEP_1)
	v_dual_sub_f32 v25, v25, v27 :: v_dual_add_f32 v28, v30, v29
	v_ldexp_f32 v25, v25, 1
	s_delay_alu instid0(VALU_DEP_2) | instskip(NEXT) | instid1(VALU_DEP_4)
	v_sub_f32_e32 v27, v28, v30
	v_fma_f32 v30, 0x3f317218, v24, -v31
	s_delay_alu instid0(VALU_DEP_1) | instskip(NEXT) | instid1(VALU_DEP_1)
	v_dual_sub_f32 v27, v29, v27 :: v_dual_fmac_f32 v30, 0xb102e308, v24
	v_dual_add_f32 v24, v25, v27 :: v_dual_add_f32 v25, v31, v30
	s_delay_alu instid0(VALU_DEP_1) | instskip(NEXT) | instid1(VALU_DEP_2)
	v_add_f32_e32 v27, v28, v24
	v_sub_f32_e32 v31, v25, v31
	s_delay_alu instid0(VALU_DEP_2) | instskip(NEXT) | instid1(VALU_DEP_1)
	v_dual_add_f32 v29, v25, v27 :: v_dual_sub_f32 v28, v27, v28
	v_dual_sub_f32 v30, v30, v31 :: v_dual_sub_f32 v33, v29, v25
	s_delay_alu instid0(VALU_DEP_2) | instskip(NEXT) | instid1(VALU_DEP_2)
	v_sub_f32_e32 v24, v24, v28
	v_sub_f32_e32 v114, v29, v33
	s_delay_alu instid0(VALU_DEP_2) | instskip(NEXT) | instid1(VALU_DEP_2)
	v_dual_sub_f32 v27, v27, v33 :: v_dual_add_f32 v28, v30, v24
	v_sub_f32_e32 v25, v25, v114
	s_delay_alu instid0(VALU_DEP_1) | instskip(NEXT) | instid1(VALU_DEP_3)
	v_add_f32_e32 v25, v27, v25
	v_sub_f32_e32 v27, v28, v30
	s_delay_alu instid0(VALU_DEP_2) | instskip(NEXT) | instid1(VALU_DEP_2)
	v_add_f32_e32 v25, v28, v25
	v_sub_f32_e32 v28, v28, v27
	s_delay_alu instid0(VALU_DEP_2) | instskip(NEXT) | instid1(VALU_DEP_1)
	v_dual_sub_f32 v24, v24, v27 :: v_dual_add_f32 v31, v29, v25
	v_dual_sub_f32 v28, v30, v28 :: v_dual_sub_f32 v27, v31, v29
	s_delay_alu instid0(VALU_DEP_1) | instskip(NEXT) | instid1(VALU_DEP_1)
	v_dual_add_f32 v24, v24, v28 :: v_dual_sub_f32 v25, v25, v27
	v_add_f32_e32 v24, v24, v25
	s_delay_alu instid0(VALU_DEP_1) | instskip(NEXT) | instid1(VALU_DEP_1)
	v_add_f32_e32 v24, v31, v24
	v_cndmask_b32_e32 v114, v24, v26, vcc_lo
.LBB154_90:                             ;   in Loop: Header=BB154_12 Depth=1
	s_or_b32 exec_lo, exec_lo, s30
	s_waitcnt lgkmcnt(3)
	v_add_f32_e32 v115, s67, v22
	s_delay_alu instid0(VALU_DEP_1) | instskip(SKIP_1) | instid1(SALU_CYCLE_1)
	v_cmp_ge_f32_e32 vcc_lo, 0x41a00000, v115
	s_and_b32 s29, s81, vcc_lo
	s_and_saveexec_b32 s30, s29
	s_cbranch_execz .LBB154_92
; %bb.91:                               ;   in Loop: Header=BB154_12 Depth=1
	v_mul_f32_e32 v22, 0x3fb8aa3b, v115
	v_cmp_ngt_f32_e32 vcc_lo, 0xc2ce8ed0, v115
	s_delay_alu instid0(VALU_DEP_2) | instskip(SKIP_1) | instid1(VALU_DEP_1)
	v_rndne_f32_e32 v24, v22
	v_fma_f32 v25, 0x3fb8aa3b, v115, -v22
	v_dual_sub_f32 v22, v22, v24 :: v_dual_fmac_f32 v25, 0x32a5705f, v115
	v_cvt_i32_f32_e32 v24, v24
	s_delay_alu instid0(VALU_DEP_2) | instskip(NEXT) | instid1(VALU_DEP_1)
	v_add_f32_e32 v22, v22, v25
	v_exp_f32_e32 v22, v22
	s_waitcnt_depctr 0xfff
	v_ldexp_f32 v22, v22, v24
	s_delay_alu instid0(VALU_DEP_1) | instskip(SKIP_1) | instid1(VALU_DEP_2)
	v_cndmask_b32_e32 v22, 0, v22, vcc_lo
	v_cmp_nlt_f32_e32 vcc_lo, 0x42b17218, v115
	v_cndmask_b32_e32 v22, 0x7f800000, v22, vcc_lo
	s_delay_alu instid0(VALU_DEP_1) | instskip(NEXT) | instid1(VALU_DEP_1)
	v_add_f32_e32 v26, 1.0, v22
	v_cvt_f64_f32_e32 v[24:25], v26
	s_delay_alu instid0(VALU_DEP_1) | instskip(SKIP_1) | instid1(VALU_DEP_1)
	v_frexp_exp_i32_f64_e32 v24, v[24:25]
	v_frexp_mant_f32_e32 v25, v26
	v_cmp_gt_f32_e32 vcc_lo, 0x3f2aaaab, v25
	v_add_f32_e32 v25, -1.0, v26
	s_delay_alu instid0(VALU_DEP_1) | instskip(SKIP_1) | instid1(VALU_DEP_1)
	v_dual_sub_f32 v28, v25, v26 :: v_dual_sub_f32 v25, v22, v25
	v_subrev_co_ci_u32_e32 v24, vcc_lo, 0, v24, vcc_lo
	v_sub_nc_u32_e32 v27, 0, v24
	v_cvt_f32_i32_e32 v24, v24
	s_delay_alu instid0(VALU_DEP_2) | instskip(NEXT) | instid1(VALU_DEP_1)
	v_ldexp_f32 v26, v26, v27
	v_dual_add_f32 v28, 1.0, v28 :: v_dual_add_f32 v29, 1.0, v26
	s_delay_alu instid0(VALU_DEP_1) | instskip(NEXT) | instid1(VALU_DEP_1)
	v_add_f32_e32 v25, v25, v28
	v_ldexp_f32 v25, v25, v27
	s_delay_alu instid0(VALU_DEP_3) | instskip(NEXT) | instid1(VALU_DEP_1)
	v_dual_add_f32 v27, -1.0, v26 :: v_dual_add_f32 v28, -1.0, v29
	v_add_f32_e32 v30, 1.0, v27
	s_delay_alu instid0(VALU_DEP_2) | instskip(NEXT) | instid1(VALU_DEP_2)
	v_sub_f32_e32 v28, v26, v28
	v_sub_f32_e32 v26, v26, v30
	s_delay_alu instid0(VALU_DEP_2) | instskip(NEXT) | instid1(VALU_DEP_2)
	v_add_f32_e32 v28, v25, v28
	v_add_f32_e32 v25, v25, v26
	s_delay_alu instid0(VALU_DEP_1) | instskip(SKIP_2) | instid1(VALU_DEP_3)
	v_add_f32_e32 v31, v27, v25
	v_cmp_eq_f32_e32 vcc_lo, 0x7f800000, v22
	v_cmp_gt_f32_e64 s29, 0x33800000, v22
	v_dual_sub_f32 v27, v27, v31 :: v_dual_add_f32 v30, v29, v28
	s_delay_alu instid0(VALU_DEP_2) | instskip(NEXT) | instid1(VALU_DEP_1)
	s_or_b32 vcc_lo, s29, vcc_lo
	v_add_f32_e32 v25, v25, v27
	s_delay_alu instid0(VALU_DEP_2) | instskip(SKIP_3) | instid1(VALU_DEP_2)
	v_rcp_f32_e32 v26, v30
	s_waitcnt_depctr 0xfff
	v_mul_f32_e32 v33, v31, v26
	v_sub_f32_e32 v29, v29, v30
	v_mul_f32_e32 v115, v30, v33
	s_delay_alu instid0(VALU_DEP_2) | instskip(NEXT) | instid1(VALU_DEP_2)
	v_add_f32_e32 v28, v28, v29
	v_fma_f32 v29, v33, v30, -v115
	s_delay_alu instid0(VALU_DEP_1) | instskip(NEXT) | instid1(VALU_DEP_1)
	v_fmac_f32_e32 v29, v33, v28
	v_add_f32_e32 v116, v115, v29
	s_delay_alu instid0(VALU_DEP_1) | instskip(NEXT) | instid1(VALU_DEP_1)
	v_sub_f32_e32 v117, v31, v116
	v_sub_f32_e32 v31, v31, v117
	s_delay_alu instid0(VALU_DEP_1) | instskip(NEXT) | instid1(VALU_DEP_1)
	v_sub_f32_e32 v31, v31, v116
	v_add_f32_e32 v25, v25, v31
	v_sub_f32_e32 v27, v116, v115
	s_delay_alu instid0(VALU_DEP_1) | instskip(NEXT) | instid1(VALU_DEP_1)
	v_sub_f32_e32 v27, v27, v29
	v_add_f32_e32 v25, v27, v25
	s_delay_alu instid0(VALU_DEP_1) | instskip(NEXT) | instid1(VALU_DEP_1)
	v_add_f32_e32 v27, v117, v25
	v_mul_f32_e32 v29, v26, v27
	s_delay_alu instid0(VALU_DEP_1) | instskip(NEXT) | instid1(VALU_DEP_1)
	v_mul_f32_e32 v31, v30, v29
	v_fma_f32 v30, v29, v30, -v31
	s_delay_alu instid0(VALU_DEP_1) | instskip(NEXT) | instid1(VALU_DEP_1)
	v_fmac_f32_e32 v30, v29, v28
	v_add_f32_e32 v28, v31, v30
	s_delay_alu instid0(VALU_DEP_1) | instskip(NEXT) | instid1(VALU_DEP_1)
	v_dual_sub_f32 v116, v117, v27 :: v_dual_sub_f32 v115, v27, v28
	v_add_f32_e32 v25, v25, v116
	v_sub_f32_e32 v31, v28, v31
	s_delay_alu instid0(VALU_DEP_3) | instskip(NEXT) | instid1(VALU_DEP_1)
	v_sub_f32_e32 v27, v27, v115
	v_sub_f32_e32 v27, v27, v28
	s_delay_alu instid0(VALU_DEP_1) | instskip(SKIP_1) | instid1(VALU_DEP_2)
	v_dual_sub_f32 v28, v31, v30 :: v_dual_add_f32 v25, v25, v27
	v_add_f32_e32 v27, v33, v29
	v_add_f32_e32 v25, v28, v25
	s_delay_alu instid0(VALU_DEP_2) | instskip(NEXT) | instid1(VALU_DEP_1)
	v_sub_f32_e32 v28, v27, v33
	v_dual_add_f32 v25, v115, v25 :: v_dual_sub_f32 v28, v29, v28
	s_delay_alu instid0(VALU_DEP_1) | instskip(NEXT) | instid1(VALU_DEP_1)
	v_mul_f32_e32 v25, v26, v25
	v_add_f32_e32 v25, v28, v25
	s_delay_alu instid0(VALU_DEP_1) | instskip(NEXT) | instid1(VALU_DEP_1)
	v_add_f32_e32 v26, v27, v25
	v_mul_f32_e32 v28, v26, v26
	s_delay_alu instid0(VALU_DEP_1) | instskip(SKIP_1) | instid1(VALU_DEP_2)
	v_fmaak_f32 v29, s85, v28, 0x3ecc95a3
	v_mul_f32_e32 v30, v26, v28
	v_fmaak_f32 v28, v28, v29, 0x3f2aaada
	v_ldexp_f32 v29, v26, 1
	v_sub_f32_e32 v26, v26, v27
	s_delay_alu instid0(VALU_DEP_3) | instskip(SKIP_1) | instid1(VALU_DEP_2)
	v_mul_f32_e32 v28, v30, v28
	v_mul_f32_e32 v30, 0x3f317218, v24
	v_add_f32_e32 v27, v29, v28
	s_delay_alu instid0(VALU_DEP_1) | instskip(NEXT) | instid1(VALU_DEP_3)
	v_dual_sub_f32 v25, v25, v26 :: v_dual_sub_f32 v26, v27, v29
	v_fma_f32 v29, 0x3f317218, v24, -v30
	s_delay_alu instid0(VALU_DEP_2) | instskip(NEXT) | instid1(VALU_DEP_2)
	v_ldexp_f32 v25, v25, 1
	v_dual_sub_f32 v26, v28, v26 :: v_dual_fmac_f32 v29, 0xb102e308, v24
	s_delay_alu instid0(VALU_DEP_1) | instskip(NEXT) | instid1(VALU_DEP_1)
	v_dual_add_f32 v24, v25, v26 :: v_dual_add_f32 v25, v30, v29
	v_add_f32_e32 v26, v27, v24
	s_delay_alu instid0(VALU_DEP_2) | instskip(NEXT) | instid1(VALU_DEP_2)
	v_sub_f32_e32 v30, v25, v30
	v_dual_add_f32 v28, v25, v26 :: v_dual_sub_f32 v27, v26, v27
	s_delay_alu instid0(VALU_DEP_2) | instskip(NEXT) | instid1(VALU_DEP_2)
	v_sub_f32_e32 v29, v29, v30
	v_sub_f32_e32 v31, v28, v25
	s_delay_alu instid0(VALU_DEP_3) | instskip(NEXT) | instid1(VALU_DEP_1)
	v_sub_f32_e32 v24, v24, v27
	v_dual_sub_f32 v26, v26, v31 :: v_dual_add_f32 v27, v29, v24
	v_sub_f32_e32 v33, v28, v31
	s_delay_alu instid0(VALU_DEP_1) | instskip(NEXT) | instid1(VALU_DEP_1)
	v_sub_f32_e32 v25, v25, v33
	v_add_f32_e32 v25, v26, v25
	s_delay_alu instid0(VALU_DEP_4) | instskip(NEXT) | instid1(VALU_DEP_2)
	v_sub_f32_e32 v26, v27, v29
	v_add_f32_e32 v25, v27, v25
	s_delay_alu instid0(VALU_DEP_2) | instskip(SKIP_1) | instid1(VALU_DEP_2)
	v_sub_f32_e32 v27, v27, v26
	v_sub_f32_e32 v24, v24, v26
	v_dual_add_f32 v30, v28, v25 :: v_dual_sub_f32 v27, v29, v27
	s_delay_alu instid0(VALU_DEP_1) | instskip(NEXT) | instid1(VALU_DEP_1)
	v_sub_f32_e32 v26, v30, v28
	v_dual_add_f32 v24, v24, v27 :: v_dual_sub_f32 v25, v25, v26
	s_delay_alu instid0(VALU_DEP_1) | instskip(NEXT) | instid1(VALU_DEP_1)
	v_add_f32_e32 v24, v24, v25
	v_add_f32_e32 v24, v30, v24
	s_delay_alu instid0(VALU_DEP_1)
	v_cndmask_b32_e32 v115, v24, v22, vcc_lo
.LBB154_92:                             ;   in Loop: Header=BB154_12 Depth=1
	s_or_b32 exec_lo, exec_lo, s30
	v_add_f32_e32 v116, s67, v23
	s_delay_alu instid0(VALU_DEP_1) | instskip(SKIP_1) | instid1(SALU_CYCLE_1)
	v_cmp_ge_f32_e32 vcc_lo, 0x41a00000, v116
	s_and_b32 s29, s81, vcc_lo
	s_and_saveexec_b32 s30, s29
	s_cbranch_execz .LBB154_94
; %bb.93:                               ;   in Loop: Header=BB154_12 Depth=1
	v_mul_f32_e32 v22, 0x3fb8aa3b, v116
	v_cmp_ngt_f32_e32 vcc_lo, 0xc2ce8ed0, v116
	s_delay_alu instid0(VALU_DEP_2) | instskip(SKIP_1) | instid1(VALU_DEP_2)
	v_rndne_f32_e32 v23, v22
	v_fma_f32 v24, 0x3fb8aa3b, v116, -v22
	v_sub_f32_e32 v22, v22, v23
	s_delay_alu instid0(VALU_DEP_2) | instskip(SKIP_1) | instid1(VALU_DEP_2)
	v_fmac_f32_e32 v24, 0x32a5705f, v116
	v_cvt_i32_f32_e32 v23, v23
	v_add_f32_e32 v22, v22, v24
	s_delay_alu instid0(VALU_DEP_1) | instskip(SKIP_2) | instid1(VALU_DEP_1)
	v_exp_f32_e32 v22, v22
	s_waitcnt_depctr 0xfff
	v_ldexp_f32 v22, v22, v23
	v_cndmask_b32_e32 v22, 0, v22, vcc_lo
	v_cmp_nlt_f32_e32 vcc_lo, 0x42b17218, v116
	s_delay_alu instid0(VALU_DEP_2) | instskip(NEXT) | instid1(VALU_DEP_1)
	v_cndmask_b32_e32 v24, 0x7f800000, v22, vcc_lo
	v_add_f32_e32 v25, 1.0, v24
	s_delay_alu instid0(VALU_DEP_1) | instskip(NEXT) | instid1(VALU_DEP_1)
	v_cvt_f64_f32_e32 v[22:23], v25
	v_frexp_exp_i32_f64_e32 v22, v[22:23]
	v_frexp_mant_f32_e32 v23, v25
	s_delay_alu instid0(VALU_DEP_1) | instskip(SKIP_1) | instid1(VALU_DEP_1)
	v_cmp_gt_f32_e32 vcc_lo, 0x3f2aaaab, v23
	v_add_f32_e32 v23, -1.0, v25
	v_sub_f32_e32 v27, v23, v25
	v_sub_f32_e32 v23, v24, v23
	s_delay_alu instid0(VALU_DEP_2) | instskip(NEXT) | instid1(VALU_DEP_1)
	v_add_f32_e32 v27, 1.0, v27
	v_add_f32_e32 v23, v23, v27
	v_cmp_gt_f32_e64 s29, 0x33800000, v24
	v_subrev_co_ci_u32_e32 v22, vcc_lo, 0, v22, vcc_lo
	v_cmp_eq_f32_e32 vcc_lo, 0x7f800000, v24
	s_delay_alu instid0(VALU_DEP_2) | instskip(SKIP_2) | instid1(VALU_DEP_2)
	v_sub_nc_u32_e32 v26, 0, v22
	v_cvt_f32_i32_e32 v22, v22
	s_or_b32 vcc_lo, s29, vcc_lo
	v_ldexp_f32 v25, v25, v26
	v_ldexp_f32 v23, v23, v26
	s_delay_alu instid0(VALU_DEP_2) | instskip(NEXT) | instid1(VALU_DEP_1)
	v_add_f32_e32 v28, 1.0, v25
	v_dual_add_f32 v26, -1.0, v25 :: v_dual_add_f32 v27, -1.0, v28
	s_delay_alu instid0(VALU_DEP_1) | instskip(NEXT) | instid1(VALU_DEP_2)
	v_add_f32_e32 v29, 1.0, v26
	v_sub_f32_e32 v27, v25, v27
	s_delay_alu instid0(VALU_DEP_2) | instskip(NEXT) | instid1(VALU_DEP_2)
	v_sub_f32_e32 v25, v25, v29
	v_add_f32_e32 v27, v23, v27
	s_delay_alu instid0(VALU_DEP_2) | instskip(NEXT) | instid1(VALU_DEP_2)
	v_add_f32_e32 v23, v23, v25
	v_add_f32_e32 v29, v28, v27
	s_delay_alu instid0(VALU_DEP_2) | instskip(NEXT) | instid1(VALU_DEP_2)
	v_add_f32_e32 v30, v26, v23
	v_rcp_f32_e32 v25, v29
	v_sub_f32_e32 v28, v28, v29
	s_delay_alu instid0(VALU_DEP_2) | instskip(SKIP_2) | instid1(VALU_DEP_1)
	v_sub_f32_e32 v26, v26, v30
	s_waitcnt_depctr 0xfff
	v_mul_f32_e32 v31, v30, v25
	v_mul_f32_e32 v33, v29, v31
	v_add_f32_e32 v27, v27, v28
	s_delay_alu instid0(VALU_DEP_2) | instskip(NEXT) | instid1(VALU_DEP_1)
	v_fma_f32 v28, v31, v29, -v33
	v_fmac_f32_e32 v28, v31, v27
	s_delay_alu instid0(VALU_DEP_1) | instskip(NEXT) | instid1(VALU_DEP_1)
	v_add_f32_e32 v116, v33, v28
	v_sub_f32_e32 v117, v30, v116
	s_delay_alu instid0(VALU_DEP_1) | instskip(SKIP_1) | instid1(VALU_DEP_2)
	v_dual_sub_f32 v30, v30, v117 :: v_dual_add_f32 v23, v23, v26
	v_sub_f32_e32 v26, v116, v33
	v_sub_f32_e32 v30, v30, v116
	s_delay_alu instid0(VALU_DEP_1) | instskip(NEXT) | instid1(VALU_DEP_1)
	v_dual_sub_f32 v26, v26, v28 :: v_dual_add_f32 v23, v23, v30
	v_add_f32_e32 v23, v26, v23
	s_delay_alu instid0(VALU_DEP_1) | instskip(NEXT) | instid1(VALU_DEP_1)
	v_add_f32_e32 v26, v117, v23
	v_mul_f32_e32 v28, v25, v26
	v_sub_f32_e32 v116, v117, v26
	s_delay_alu instid0(VALU_DEP_2) | instskip(NEXT) | instid1(VALU_DEP_2)
	v_mul_f32_e32 v30, v29, v28
	v_add_f32_e32 v23, v23, v116
	s_delay_alu instid0(VALU_DEP_2) | instskip(NEXT) | instid1(VALU_DEP_1)
	v_fma_f32 v29, v28, v29, -v30
	v_fmac_f32_e32 v29, v28, v27
	s_delay_alu instid0(VALU_DEP_1) | instskip(NEXT) | instid1(VALU_DEP_1)
	v_add_f32_e32 v27, v30, v29
	v_sub_f32_e32 v33, v26, v27
	s_delay_alu instid0(VALU_DEP_1) | instskip(NEXT) | instid1(VALU_DEP_1)
	v_sub_f32_e32 v26, v26, v33
	v_sub_f32_e32 v26, v26, v27
	s_delay_alu instid0(VALU_DEP_1) | instskip(SKIP_2) | instid1(VALU_DEP_1)
	v_add_f32_e32 v23, v23, v26
	v_add_f32_e32 v26, v31, v28
	v_sub_f32_e32 v30, v27, v30
	v_sub_f32_e32 v27, v30, v29
	s_delay_alu instid0(VALU_DEP_1) | instskip(NEXT) | instid1(VALU_DEP_4)
	v_add_f32_e32 v23, v27, v23
	v_sub_f32_e32 v27, v26, v31
	s_delay_alu instid0(VALU_DEP_2) | instskip(NEXT) | instid1(VALU_DEP_2)
	v_add_f32_e32 v23, v33, v23
	v_sub_f32_e32 v27, v28, v27
	s_delay_alu instid0(VALU_DEP_2) | instskip(NEXT) | instid1(VALU_DEP_1)
	v_mul_f32_e32 v23, v25, v23
	v_add_f32_e32 v23, v27, v23
	s_delay_alu instid0(VALU_DEP_1) | instskip(NEXT) | instid1(VALU_DEP_1)
	v_add_f32_e32 v25, v26, v23
	v_mul_f32_e32 v27, v25, v25
	s_delay_alu instid0(VALU_DEP_1) | instskip(SKIP_1) | instid1(VALU_DEP_2)
	v_fmaak_f32 v28, s85, v27, 0x3ecc95a3
	v_mul_f32_e32 v29, v25, v27
	v_fmaak_f32 v27, v27, v28, 0x3f2aaada
	v_ldexp_f32 v28, v25, 1
	s_delay_alu instid0(VALU_DEP_2) | instskip(SKIP_1) | instid1(VALU_DEP_2)
	v_mul_f32_e32 v27, v29, v27
	v_sub_f32_e32 v25, v25, v26
	v_dual_mul_f32 v29, 0x3f317218, v22 :: v_dual_add_f32 v26, v28, v27
	s_delay_alu instid0(VALU_DEP_2) | instskip(NEXT) | instid1(VALU_DEP_2)
	v_sub_f32_e32 v23, v23, v25
	v_sub_f32_e32 v25, v26, v28
	s_delay_alu instid0(VALU_DEP_3) | instskip(NEXT) | instid1(VALU_DEP_3)
	v_fma_f32 v28, 0x3f317218, v22, -v29
	v_ldexp_f32 v23, v23, 1
	s_delay_alu instid0(VALU_DEP_2) | instskip(NEXT) | instid1(VALU_DEP_1)
	v_dual_sub_f32 v25, v27, v25 :: v_dual_fmac_f32 v28, 0xb102e308, v22
	v_dual_add_f32 v22, v23, v25 :: v_dual_add_f32 v23, v29, v28
	s_delay_alu instid0(VALU_DEP_1) | instskip(NEXT) | instid1(VALU_DEP_1)
	v_add_f32_e32 v25, v26, v22
	v_dual_add_f32 v27, v23, v25 :: v_dual_sub_f32 v26, v25, v26
	s_delay_alu instid0(VALU_DEP_1) | instskip(NEXT) | instid1(VALU_DEP_2)
	v_sub_f32_e32 v30, v27, v23
	v_dual_sub_f32 v29, v23, v29 :: v_dual_sub_f32 v22, v22, v26
	s_delay_alu instid0(VALU_DEP_1) | instskip(SKIP_1) | instid1(VALU_DEP_2)
	v_dual_sub_f32 v31, v27, v30 :: v_dual_sub_f32 v28, v28, v29
	v_sub_f32_e32 v25, v25, v30
	v_dual_sub_f32 v23, v23, v31 :: v_dual_add_f32 v26, v28, v22
	s_delay_alu instid0(VALU_DEP_1) | instskip(NEXT) | instid1(VALU_DEP_2)
	v_add_f32_e32 v23, v25, v23
	v_sub_f32_e32 v25, v26, v28
	s_delay_alu instid0(VALU_DEP_2) | instskip(NEXT) | instid1(VALU_DEP_2)
	v_add_f32_e32 v23, v26, v23
	v_sub_f32_e32 v26, v26, v25
	s_delay_alu instid0(VALU_DEP_2) | instskip(NEXT) | instid1(VALU_DEP_1)
	v_dual_sub_f32 v22, v22, v25 :: v_dual_add_f32 v29, v27, v23
	v_dual_sub_f32 v26, v28, v26 :: v_dual_sub_f32 v25, v29, v27
	s_delay_alu instid0(VALU_DEP_1) | instskip(NEXT) | instid1(VALU_DEP_1)
	v_dual_add_f32 v22, v22, v26 :: v_dual_sub_f32 v23, v23, v25
	v_add_f32_e32 v22, v22, v23
	s_delay_alu instid0(VALU_DEP_1) | instskip(NEXT) | instid1(VALU_DEP_1)
	v_add_f32_e32 v22, v29, v22
	v_cndmask_b32_e32 v116, v22, v24, vcc_lo
.LBB154_94:                             ;   in Loop: Header=BB154_12 Depth=1
	s_or_b32 exec_lo, exec_lo, s30
	s_waitcnt lgkmcnt(2)
	v_add_f32_e32 v117, s67, v20
	s_delay_alu instid0(VALU_DEP_1) | instskip(SKIP_1) | instid1(SALU_CYCLE_1)
	v_cmp_ge_f32_e32 vcc_lo, 0x41a00000, v117
	s_and_b32 s29, s81, vcc_lo
	s_and_saveexec_b32 s30, s29
	s_cbranch_execz .LBB154_96
; %bb.95:                               ;   in Loop: Header=BB154_12 Depth=1
	v_mul_f32_e32 v20, 0x3fb8aa3b, v117
	v_cmp_ngt_f32_e32 vcc_lo, 0xc2ce8ed0, v117
	s_delay_alu instid0(VALU_DEP_2) | instskip(SKIP_1) | instid1(VALU_DEP_1)
	v_rndne_f32_e32 v22, v20
	v_fma_f32 v23, 0x3fb8aa3b, v117, -v20
	v_dual_sub_f32 v20, v20, v22 :: v_dual_fmac_f32 v23, 0x32a5705f, v117
	v_cvt_i32_f32_e32 v22, v22
	s_delay_alu instid0(VALU_DEP_2) | instskip(NEXT) | instid1(VALU_DEP_1)
	v_add_f32_e32 v20, v20, v23
	v_exp_f32_e32 v20, v20
	s_waitcnt_depctr 0xfff
	v_ldexp_f32 v20, v20, v22
	s_delay_alu instid0(VALU_DEP_1) | instskip(SKIP_1) | instid1(VALU_DEP_2)
	v_cndmask_b32_e32 v20, 0, v20, vcc_lo
	v_cmp_nlt_f32_e32 vcc_lo, 0x42b17218, v117
	v_cndmask_b32_e32 v20, 0x7f800000, v20, vcc_lo
	s_delay_alu instid0(VALU_DEP_1) | instskip(NEXT) | instid1(VALU_DEP_1)
	v_add_f32_e32 v24, 1.0, v20
	v_cvt_f64_f32_e32 v[22:23], v24
	s_delay_alu instid0(VALU_DEP_1) | instskip(SKIP_1) | instid1(VALU_DEP_1)
	v_frexp_exp_i32_f64_e32 v22, v[22:23]
	v_frexp_mant_f32_e32 v23, v24
	v_cmp_gt_f32_e32 vcc_lo, 0x3f2aaaab, v23
	v_add_f32_e32 v23, -1.0, v24
	s_delay_alu instid0(VALU_DEP_1) | instskip(SKIP_1) | instid1(VALU_DEP_1)
	v_dual_sub_f32 v26, v23, v24 :: v_dual_sub_f32 v23, v20, v23
	v_subrev_co_ci_u32_e32 v22, vcc_lo, 0, v22, vcc_lo
	v_sub_nc_u32_e32 v25, 0, v22
	v_cvt_f32_i32_e32 v22, v22
	s_delay_alu instid0(VALU_DEP_2) | instskip(NEXT) | instid1(VALU_DEP_1)
	v_ldexp_f32 v24, v24, v25
	v_dual_add_f32 v26, 1.0, v26 :: v_dual_add_f32 v27, 1.0, v24
	s_delay_alu instid0(VALU_DEP_1) | instskip(NEXT) | instid1(VALU_DEP_1)
	v_add_f32_e32 v23, v23, v26
	v_ldexp_f32 v23, v23, v25
	s_delay_alu instid0(VALU_DEP_3) | instskip(NEXT) | instid1(VALU_DEP_1)
	v_dual_add_f32 v25, -1.0, v24 :: v_dual_add_f32 v26, -1.0, v27
	v_add_f32_e32 v28, 1.0, v25
	s_delay_alu instid0(VALU_DEP_2) | instskip(NEXT) | instid1(VALU_DEP_2)
	v_sub_f32_e32 v26, v24, v26
	v_sub_f32_e32 v24, v24, v28
	s_delay_alu instid0(VALU_DEP_2) | instskip(NEXT) | instid1(VALU_DEP_2)
	v_add_f32_e32 v26, v23, v26
	v_add_f32_e32 v23, v23, v24
	s_delay_alu instid0(VALU_DEP_1) | instskip(SKIP_2) | instid1(VALU_DEP_3)
	v_dual_add_f32 v29, v25, v23 :: v_dual_add_f32 v28, v27, v26
	v_cmp_eq_f32_e32 vcc_lo, 0x7f800000, v20
	v_cmp_gt_f32_e64 s29, 0x33800000, v20
	v_sub_f32_e32 v25, v25, v29
	s_delay_alu instid0(VALU_DEP_4) | instskip(SKIP_1) | instid1(VALU_DEP_3)
	v_rcp_f32_e32 v24, v28
	v_sub_f32_e32 v27, v27, v28
	s_or_b32 vcc_lo, s29, vcc_lo
	s_delay_alu instid0(VALU_DEP_1) | instskip(SKIP_2) | instid1(VALU_DEP_1)
	v_dual_add_f32 v23, v23, v25 :: v_dual_add_f32 v26, v26, v27
	s_waitcnt_depctr 0xfff
	v_mul_f32_e32 v30, v29, v24
	v_mul_f32_e32 v31, v28, v30
	s_delay_alu instid0(VALU_DEP_1) | instskip(NEXT) | instid1(VALU_DEP_1)
	v_fma_f32 v27, v30, v28, -v31
	v_fmac_f32_e32 v27, v30, v26
	s_delay_alu instid0(VALU_DEP_1) | instskip(NEXT) | instid1(VALU_DEP_1)
	v_add_f32_e32 v33, v31, v27
	v_sub_f32_e32 v117, v29, v33
	s_delay_alu instid0(VALU_DEP_1) | instskip(SKIP_1) | instid1(VALU_DEP_2)
	v_sub_f32_e32 v29, v29, v117
	v_sub_f32_e32 v25, v33, v31
	;; [unrolled: 1-line block ×3, first 2 shown]
	s_delay_alu instid0(VALU_DEP_2) | instskip(NEXT) | instid1(VALU_DEP_2)
	v_sub_f32_e32 v25, v25, v27
	v_add_f32_e32 v23, v23, v29
	s_delay_alu instid0(VALU_DEP_1) | instskip(NEXT) | instid1(VALU_DEP_1)
	v_add_f32_e32 v23, v25, v23
	v_add_f32_e32 v25, v117, v23
	s_delay_alu instid0(VALU_DEP_1) | instskip(SKIP_1) | instid1(VALU_DEP_2)
	v_mul_f32_e32 v27, v24, v25
	v_sub_f32_e32 v33, v117, v25
	v_mul_f32_e32 v29, v28, v27
	s_delay_alu instid0(VALU_DEP_2) | instskip(NEXT) | instid1(VALU_DEP_2)
	v_add_f32_e32 v23, v23, v33
	v_fma_f32 v28, v27, v28, -v29
	s_delay_alu instid0(VALU_DEP_1) | instskip(NEXT) | instid1(VALU_DEP_1)
	v_fmac_f32_e32 v28, v27, v26
	v_add_f32_e32 v26, v29, v28
	s_delay_alu instid0(VALU_DEP_1) | instskip(SKIP_1) | instid1(VALU_DEP_2)
	v_sub_f32_e32 v31, v25, v26
	v_sub_f32_e32 v29, v26, v29
	;; [unrolled: 1-line block ×3, first 2 shown]
	s_delay_alu instid0(VALU_DEP_1) | instskip(NEXT) | instid1(VALU_DEP_1)
	v_sub_f32_e32 v25, v25, v26
	v_dual_sub_f32 v26, v29, v28 :: v_dual_add_f32 v23, v23, v25
	v_add_f32_e32 v25, v30, v27
	s_delay_alu instid0(VALU_DEP_1) | instskip(NEXT) | instid1(VALU_DEP_1)
	v_dual_add_f32 v23, v26, v23 :: v_dual_sub_f32 v26, v25, v30
	v_add_f32_e32 v23, v31, v23
	s_delay_alu instid0(VALU_DEP_1) | instskip(NEXT) | instid1(VALU_DEP_1)
	v_dual_sub_f32 v26, v27, v26 :: v_dual_mul_f32 v23, v24, v23
	v_add_f32_e32 v23, v26, v23
	s_delay_alu instid0(VALU_DEP_1) | instskip(NEXT) | instid1(VALU_DEP_1)
	v_add_f32_e32 v24, v25, v23
	v_mul_f32_e32 v26, v24, v24
	s_delay_alu instid0(VALU_DEP_1) | instskip(SKIP_1) | instid1(VALU_DEP_2)
	v_fmaak_f32 v27, s85, v26, 0x3ecc95a3
	v_mul_f32_e32 v28, v24, v26
	v_fmaak_f32 v26, v26, v27, 0x3f2aaada
	v_ldexp_f32 v27, v24, 1
	v_sub_f32_e32 v24, v24, v25
	s_delay_alu instid0(VALU_DEP_3) | instskip(NEXT) | instid1(VALU_DEP_2)
	v_mul_f32_e32 v26, v28, v26
	v_dual_mul_f32 v28, 0x3f317218, v22 :: v_dual_sub_f32 v23, v23, v24
	s_delay_alu instid0(VALU_DEP_2) | instskip(NEXT) | instid1(VALU_DEP_2)
	v_add_f32_e32 v25, v27, v26
	v_ldexp_f32 v23, v23, 1
	s_delay_alu instid0(VALU_DEP_2) | instskip(NEXT) | instid1(VALU_DEP_4)
	v_sub_f32_e32 v24, v25, v27
	v_fma_f32 v27, 0x3f317218, v22, -v28
	s_delay_alu instid0(VALU_DEP_1) | instskip(NEXT) | instid1(VALU_DEP_1)
	v_dual_sub_f32 v24, v26, v24 :: v_dual_fmac_f32 v27, 0xb102e308, v22
	v_dual_add_f32 v22, v23, v24 :: v_dual_add_f32 v23, v28, v27
	s_delay_alu instid0(VALU_DEP_1) | instskip(NEXT) | instid1(VALU_DEP_2)
	v_add_f32_e32 v24, v25, v22
	v_sub_f32_e32 v28, v23, v28
	s_delay_alu instid0(VALU_DEP_2) | instskip(NEXT) | instid1(VALU_DEP_2)
	v_dual_add_f32 v26, v23, v24 :: v_dual_sub_f32 v25, v24, v25
	v_sub_f32_e32 v27, v27, v28
	s_delay_alu instid0(VALU_DEP_2) | instskip(NEXT) | instid1(VALU_DEP_3)
	v_sub_f32_e32 v29, v26, v23
	v_sub_f32_e32 v22, v22, v25
	s_delay_alu instid0(VALU_DEP_2) | instskip(NEXT) | instid1(VALU_DEP_2)
	v_sub_f32_e32 v30, v26, v29
	v_dual_sub_f32 v24, v24, v29 :: v_dual_add_f32 v25, v27, v22
	s_delay_alu instid0(VALU_DEP_2) | instskip(NEXT) | instid1(VALU_DEP_1)
	v_sub_f32_e32 v23, v23, v30
	v_add_f32_e32 v23, v24, v23
	s_delay_alu instid0(VALU_DEP_3) | instskip(NEXT) | instid1(VALU_DEP_2)
	v_sub_f32_e32 v24, v25, v27
	v_add_f32_e32 v23, v25, v23
	s_delay_alu instid0(VALU_DEP_2) | instskip(SKIP_1) | instid1(VALU_DEP_2)
	v_sub_f32_e32 v25, v25, v24
	v_sub_f32_e32 v22, v22, v24
	v_dual_add_f32 v28, v26, v23 :: v_dual_sub_f32 v25, v27, v25
	s_delay_alu instid0(VALU_DEP_1) | instskip(NEXT) | instid1(VALU_DEP_1)
	v_sub_f32_e32 v24, v28, v26
	v_dual_add_f32 v22, v22, v25 :: v_dual_sub_f32 v23, v23, v24
	s_delay_alu instid0(VALU_DEP_1) | instskip(NEXT) | instid1(VALU_DEP_1)
	v_add_f32_e32 v22, v22, v23
	v_add_f32_e32 v22, v28, v22
	s_delay_alu instid0(VALU_DEP_1)
	v_cndmask_b32_e32 v117, v22, v20, vcc_lo
.LBB154_96:                             ;   in Loop: Header=BB154_12 Depth=1
	s_or_b32 exec_lo, exec_lo, s30
	v_add_f32_e32 v118, s67, v21
	s_delay_alu instid0(VALU_DEP_1) | instskip(SKIP_1) | instid1(SALU_CYCLE_1)
	v_cmp_ge_f32_e32 vcc_lo, 0x41a00000, v118
	s_and_b32 s29, s81, vcc_lo
	s_and_saveexec_b32 s30, s29
	s_cbranch_execz .LBB154_98
; %bb.97:                               ;   in Loop: Header=BB154_12 Depth=1
	v_mul_f32_e32 v20, 0x3fb8aa3b, v118
	v_cmp_ngt_f32_e32 vcc_lo, 0xc2ce8ed0, v118
	s_delay_alu instid0(VALU_DEP_2) | instskip(SKIP_1) | instid1(VALU_DEP_2)
	v_rndne_f32_e32 v21, v20
	v_fma_f32 v22, 0x3fb8aa3b, v118, -v20
	v_sub_f32_e32 v20, v20, v21
	s_delay_alu instid0(VALU_DEP_2) | instskip(SKIP_1) | instid1(VALU_DEP_2)
	v_fmac_f32_e32 v22, 0x32a5705f, v118
	v_cvt_i32_f32_e32 v21, v21
	v_add_f32_e32 v20, v20, v22
	s_delay_alu instid0(VALU_DEP_1) | instskip(SKIP_2) | instid1(VALU_DEP_1)
	v_exp_f32_e32 v20, v20
	s_waitcnt_depctr 0xfff
	v_ldexp_f32 v20, v20, v21
	v_cndmask_b32_e32 v20, 0, v20, vcc_lo
	v_cmp_nlt_f32_e32 vcc_lo, 0x42b17218, v118
	s_delay_alu instid0(VALU_DEP_2) | instskip(NEXT) | instid1(VALU_DEP_1)
	v_cndmask_b32_e32 v22, 0x7f800000, v20, vcc_lo
	v_add_f32_e32 v23, 1.0, v22
	s_delay_alu instid0(VALU_DEP_1) | instskip(NEXT) | instid1(VALU_DEP_1)
	v_cvt_f64_f32_e32 v[20:21], v23
	v_frexp_exp_i32_f64_e32 v20, v[20:21]
	v_frexp_mant_f32_e32 v21, v23
	s_delay_alu instid0(VALU_DEP_1) | instskip(SKIP_1) | instid1(VALU_DEP_1)
	v_cmp_gt_f32_e32 vcc_lo, 0x3f2aaaab, v21
	v_add_f32_e32 v21, -1.0, v23
	v_sub_f32_e32 v25, v21, v23
	v_sub_f32_e32 v21, v22, v21
	s_delay_alu instid0(VALU_DEP_2) | instskip(NEXT) | instid1(VALU_DEP_1)
	v_add_f32_e32 v25, 1.0, v25
	v_add_f32_e32 v21, v21, v25
	v_cmp_gt_f32_e64 s29, 0x33800000, v22
	v_subrev_co_ci_u32_e32 v20, vcc_lo, 0, v20, vcc_lo
	v_cmp_eq_f32_e32 vcc_lo, 0x7f800000, v22
	s_delay_alu instid0(VALU_DEP_2) | instskip(SKIP_2) | instid1(VALU_DEP_2)
	v_sub_nc_u32_e32 v24, 0, v20
	v_cvt_f32_i32_e32 v20, v20
	s_or_b32 vcc_lo, s29, vcc_lo
	v_ldexp_f32 v23, v23, v24
	v_ldexp_f32 v21, v21, v24
	s_delay_alu instid0(VALU_DEP_2) | instskip(NEXT) | instid1(VALU_DEP_1)
	v_add_f32_e32 v26, 1.0, v23
	v_dual_add_f32 v24, -1.0, v23 :: v_dual_add_f32 v25, -1.0, v26
	s_delay_alu instid0(VALU_DEP_1) | instskip(NEXT) | instid1(VALU_DEP_2)
	v_add_f32_e32 v27, 1.0, v24
	v_sub_f32_e32 v25, v23, v25
	s_delay_alu instid0(VALU_DEP_2) | instskip(NEXT) | instid1(VALU_DEP_2)
	v_sub_f32_e32 v23, v23, v27
	v_add_f32_e32 v25, v21, v25
	s_delay_alu instid0(VALU_DEP_2) | instskip(NEXT) | instid1(VALU_DEP_1)
	v_add_f32_e32 v21, v21, v23
	v_add_f32_e32 v28, v24, v21
	s_delay_alu instid0(VALU_DEP_1) | instskip(NEXT) | instid1(VALU_DEP_1)
	v_dual_add_f32 v27, v26, v25 :: v_dual_sub_f32 v24, v24, v28
	v_rcp_f32_e32 v23, v27
	v_sub_f32_e32 v26, v26, v27
	s_delay_alu instid0(VALU_DEP_1) | instskip(SKIP_2) | instid1(VALU_DEP_1)
	v_add_f32_e32 v25, v25, v26
	s_waitcnt_depctr 0xfff
	v_mul_f32_e32 v29, v28, v23
	v_mul_f32_e32 v30, v27, v29
	s_delay_alu instid0(VALU_DEP_1) | instskip(NEXT) | instid1(VALU_DEP_1)
	v_fma_f32 v26, v29, v27, -v30
	v_fmac_f32_e32 v26, v29, v25
	s_delay_alu instid0(VALU_DEP_1) | instskip(NEXT) | instid1(VALU_DEP_1)
	v_add_f32_e32 v31, v30, v26
	v_sub_f32_e32 v33, v28, v31
	s_delay_alu instid0(VALU_DEP_1) | instskip(SKIP_1) | instid1(VALU_DEP_2)
	v_dual_sub_f32 v28, v28, v33 :: v_dual_add_f32 v21, v21, v24
	v_sub_f32_e32 v24, v31, v30
	v_sub_f32_e32 v28, v28, v31
	s_delay_alu instid0(VALU_DEP_1) | instskip(NEXT) | instid1(VALU_DEP_1)
	v_dual_sub_f32 v24, v24, v26 :: v_dual_add_f32 v21, v21, v28
	v_add_f32_e32 v21, v24, v21
	s_delay_alu instid0(VALU_DEP_1) | instskip(NEXT) | instid1(VALU_DEP_1)
	v_add_f32_e32 v24, v33, v21
	v_mul_f32_e32 v26, v23, v24
	s_delay_alu instid0(VALU_DEP_1) | instskip(NEXT) | instid1(VALU_DEP_1)
	v_dual_sub_f32 v31, v33, v24 :: v_dual_mul_f32 v28, v27, v26
	v_fma_f32 v27, v26, v27, -v28
	s_delay_alu instid0(VALU_DEP_1) | instskip(NEXT) | instid1(VALU_DEP_1)
	v_fmac_f32_e32 v27, v26, v25
	v_add_f32_e32 v25, v28, v27
	s_delay_alu instid0(VALU_DEP_1) | instskip(NEXT) | instid1(VALU_DEP_1)
	v_sub_f32_e32 v30, v24, v25
	v_dual_sub_f32 v24, v24, v30 :: v_dual_add_f32 v21, v21, v31
	s_delay_alu instid0(VALU_DEP_1) | instskip(NEXT) | instid1(VALU_DEP_1)
	v_sub_f32_e32 v24, v24, v25
	v_add_f32_e32 v21, v21, v24
	v_add_f32_e32 v24, v29, v26
	v_sub_f32_e32 v28, v25, v28
	s_delay_alu instid0(VALU_DEP_1) | instskip(NEXT) | instid1(VALU_DEP_1)
	v_sub_f32_e32 v25, v28, v27
	v_add_f32_e32 v21, v25, v21
	s_delay_alu instid0(VALU_DEP_4) | instskip(NEXT) | instid1(VALU_DEP_2)
	v_sub_f32_e32 v25, v24, v29
	v_add_f32_e32 v21, v30, v21
	s_delay_alu instid0(VALU_DEP_2) | instskip(NEXT) | instid1(VALU_DEP_2)
	v_sub_f32_e32 v25, v26, v25
	v_mul_f32_e32 v21, v23, v21
	s_delay_alu instid0(VALU_DEP_1) | instskip(NEXT) | instid1(VALU_DEP_1)
	v_add_f32_e32 v21, v25, v21
	v_add_f32_e32 v23, v24, v21
	s_delay_alu instid0(VALU_DEP_1) | instskip(NEXT) | instid1(VALU_DEP_1)
	v_mul_f32_e32 v25, v23, v23
	v_fmaak_f32 v26, s85, v25, 0x3ecc95a3
	v_mul_f32_e32 v27, v23, v25
	s_delay_alu instid0(VALU_DEP_2) | instskip(SKIP_1) | instid1(VALU_DEP_2)
	v_fmaak_f32 v25, v25, v26, 0x3f2aaada
	v_ldexp_f32 v26, v23, 1
	v_mul_f32_e32 v25, v27, v25
	v_sub_f32_e32 v23, v23, v24
	s_delay_alu instid0(VALU_DEP_2) | instskip(NEXT) | instid1(VALU_DEP_2)
	v_dual_mul_f32 v27, 0x3f317218, v20 :: v_dual_add_f32 v24, v26, v25
	v_sub_f32_e32 v21, v21, v23
	s_delay_alu instid0(VALU_DEP_2) | instskip(NEXT) | instid1(VALU_DEP_3)
	v_sub_f32_e32 v23, v24, v26
	v_fma_f32 v26, 0x3f317218, v20, -v27
	s_delay_alu instid0(VALU_DEP_3) | instskip(NEXT) | instid1(VALU_DEP_2)
	v_ldexp_f32 v21, v21, 1
	v_dual_sub_f32 v23, v25, v23 :: v_dual_fmac_f32 v26, 0xb102e308, v20
	s_delay_alu instid0(VALU_DEP_1) | instskip(NEXT) | instid1(VALU_DEP_1)
	v_dual_add_f32 v20, v21, v23 :: v_dual_add_f32 v21, v27, v26
	v_add_f32_e32 v23, v24, v20
	s_delay_alu instid0(VALU_DEP_1) | instskip(NEXT) | instid1(VALU_DEP_1)
	v_dual_add_f32 v25, v21, v23 :: v_dual_sub_f32 v24, v23, v24
	v_sub_f32_e32 v28, v25, v21
	s_delay_alu instid0(VALU_DEP_2) | instskip(NEXT) | instid1(VALU_DEP_1)
	v_dual_sub_f32 v27, v21, v27 :: v_dual_sub_f32 v20, v20, v24
	v_dual_sub_f32 v29, v25, v28 :: v_dual_sub_f32 v26, v26, v27
	v_sub_f32_e32 v23, v23, v28
	s_delay_alu instid0(VALU_DEP_2) | instskip(NEXT) | instid1(VALU_DEP_1)
	v_dual_sub_f32 v21, v21, v29 :: v_dual_add_f32 v24, v26, v20
	v_add_f32_e32 v21, v23, v21
	s_delay_alu instid0(VALU_DEP_2) | instskip(NEXT) | instid1(VALU_DEP_2)
	v_sub_f32_e32 v23, v24, v26
	v_add_f32_e32 v21, v24, v21
	s_delay_alu instid0(VALU_DEP_2) | instskip(NEXT) | instid1(VALU_DEP_2)
	v_sub_f32_e32 v24, v24, v23
	v_dual_sub_f32 v20, v20, v23 :: v_dual_add_f32 v27, v25, v21
	s_delay_alu instid0(VALU_DEP_1) | instskip(NEXT) | instid1(VALU_DEP_1)
	v_dual_sub_f32 v24, v26, v24 :: v_dual_sub_f32 v23, v27, v25
	v_dual_add_f32 v20, v20, v24 :: v_dual_sub_f32 v21, v21, v23
	s_delay_alu instid0(VALU_DEP_1) | instskip(NEXT) | instid1(VALU_DEP_1)
	v_add_f32_e32 v20, v20, v21
	v_add_f32_e32 v20, v27, v20
	s_delay_alu instid0(VALU_DEP_1)
	v_cndmask_b32_e32 v118, v20, v22, vcc_lo
.LBB154_98:                             ;   in Loop: Header=BB154_12 Depth=1
	s_or_b32 exec_lo, exec_lo, s30
	s_waitcnt lgkmcnt(1)
	v_add_f32_e32 v119, s67, v18
	s_delay_alu instid0(VALU_DEP_1) | instskip(SKIP_1) | instid1(SALU_CYCLE_1)
	v_cmp_ge_f32_e32 vcc_lo, 0x41a00000, v119
	s_and_b32 s29, s81, vcc_lo
	s_and_saveexec_b32 s30, s29
	s_cbranch_execz .LBB154_100
; %bb.99:                               ;   in Loop: Header=BB154_12 Depth=1
	v_mul_f32_e32 v18, 0x3fb8aa3b, v119
	v_cmp_ngt_f32_e32 vcc_lo, 0xc2ce8ed0, v119
	s_delay_alu instid0(VALU_DEP_2) | instskip(SKIP_1) | instid1(VALU_DEP_1)
	v_rndne_f32_e32 v20, v18
	v_fma_f32 v21, 0x3fb8aa3b, v119, -v18
	v_dual_sub_f32 v18, v18, v20 :: v_dual_fmac_f32 v21, 0x32a5705f, v119
	v_cvt_i32_f32_e32 v20, v20
	s_delay_alu instid0(VALU_DEP_2) | instskip(NEXT) | instid1(VALU_DEP_1)
	v_add_f32_e32 v18, v18, v21
	v_exp_f32_e32 v18, v18
	s_waitcnt_depctr 0xfff
	v_ldexp_f32 v18, v18, v20
	s_delay_alu instid0(VALU_DEP_1) | instskip(SKIP_1) | instid1(VALU_DEP_2)
	v_cndmask_b32_e32 v18, 0, v18, vcc_lo
	v_cmp_nlt_f32_e32 vcc_lo, 0x42b17218, v119
	v_cndmask_b32_e32 v18, 0x7f800000, v18, vcc_lo
	s_delay_alu instid0(VALU_DEP_1) | instskip(NEXT) | instid1(VALU_DEP_1)
	v_add_f32_e32 v22, 1.0, v18
	v_cvt_f64_f32_e32 v[20:21], v22
	s_delay_alu instid0(VALU_DEP_1) | instskip(SKIP_1) | instid1(VALU_DEP_1)
	v_frexp_exp_i32_f64_e32 v20, v[20:21]
	v_frexp_mant_f32_e32 v21, v22
	v_cmp_gt_f32_e32 vcc_lo, 0x3f2aaaab, v21
	v_add_f32_e32 v21, -1.0, v22
	s_delay_alu instid0(VALU_DEP_1) | instskip(SKIP_1) | instid1(VALU_DEP_1)
	v_dual_sub_f32 v24, v21, v22 :: v_dual_sub_f32 v21, v18, v21
	v_subrev_co_ci_u32_e32 v20, vcc_lo, 0, v20, vcc_lo
	v_sub_nc_u32_e32 v23, 0, v20
	v_cvt_f32_i32_e32 v20, v20
	s_delay_alu instid0(VALU_DEP_2) | instskip(NEXT) | instid1(VALU_DEP_1)
	v_ldexp_f32 v22, v22, v23
	v_dual_add_f32 v24, 1.0, v24 :: v_dual_add_f32 v25, 1.0, v22
	s_delay_alu instid0(VALU_DEP_1) | instskip(NEXT) | instid1(VALU_DEP_1)
	v_add_f32_e32 v21, v21, v24
	v_ldexp_f32 v21, v21, v23
	s_delay_alu instid0(VALU_DEP_3) | instskip(NEXT) | instid1(VALU_DEP_1)
	v_dual_add_f32 v23, -1.0, v22 :: v_dual_add_f32 v24, -1.0, v25
	v_add_f32_e32 v26, 1.0, v23
	s_delay_alu instid0(VALU_DEP_2) | instskip(NEXT) | instid1(VALU_DEP_2)
	v_sub_f32_e32 v24, v22, v24
	v_sub_f32_e32 v22, v22, v26
	s_delay_alu instid0(VALU_DEP_2) | instskip(NEXT) | instid1(VALU_DEP_2)
	v_add_f32_e32 v24, v21, v24
	v_add_f32_e32 v21, v21, v22
	s_delay_alu instid0(VALU_DEP_1) | instskip(SKIP_2) | instid1(VALU_DEP_3)
	v_dual_add_f32 v27, v23, v21 :: v_dual_add_f32 v26, v25, v24
	v_cmp_eq_f32_e32 vcc_lo, 0x7f800000, v18
	v_cmp_gt_f32_e64 s29, 0x33800000, v18
	v_sub_f32_e32 v23, v23, v27
	s_delay_alu instid0(VALU_DEP_4) | instskip(SKIP_1) | instid1(VALU_DEP_3)
	v_rcp_f32_e32 v22, v26
	v_sub_f32_e32 v25, v25, v26
	s_or_b32 vcc_lo, s29, vcc_lo
	s_delay_alu instid0(VALU_DEP_1) | instskip(SKIP_2) | instid1(VALU_DEP_1)
	v_dual_add_f32 v21, v21, v23 :: v_dual_add_f32 v24, v24, v25
	s_waitcnt_depctr 0xfff
	v_mul_f32_e32 v28, v27, v22
	v_mul_f32_e32 v29, v26, v28
	s_delay_alu instid0(VALU_DEP_1) | instskip(NEXT) | instid1(VALU_DEP_1)
	v_fma_f32 v25, v28, v26, -v29
	v_fmac_f32_e32 v25, v28, v24
	s_delay_alu instid0(VALU_DEP_1) | instskip(NEXT) | instid1(VALU_DEP_1)
	v_add_f32_e32 v30, v29, v25
	v_sub_f32_e32 v31, v27, v30
	s_delay_alu instid0(VALU_DEP_1) | instskip(NEXT) | instid1(VALU_DEP_1)
	v_sub_f32_e32 v27, v27, v31
	v_sub_f32_e32 v27, v27, v30
	;; [unrolled: 1-line block ×3, first 2 shown]
	s_delay_alu instid0(VALU_DEP_2) | instskip(NEXT) | instid1(VALU_DEP_2)
	v_add_f32_e32 v21, v21, v27
	v_sub_f32_e32 v23, v23, v25
	s_delay_alu instid0(VALU_DEP_1) | instskip(NEXT) | instid1(VALU_DEP_1)
	v_add_f32_e32 v21, v23, v21
	v_add_f32_e32 v23, v31, v21
	s_delay_alu instid0(VALU_DEP_1) | instskip(NEXT) | instid1(VALU_DEP_1)
	v_mul_f32_e32 v25, v22, v23
	v_dual_sub_f32 v30, v31, v23 :: v_dual_mul_f32 v27, v26, v25
	s_delay_alu instid0(VALU_DEP_1) | instskip(NEXT) | instid1(VALU_DEP_2)
	v_add_f32_e32 v21, v21, v30
	v_fma_f32 v26, v25, v26, -v27
	s_delay_alu instid0(VALU_DEP_1) | instskip(NEXT) | instid1(VALU_DEP_1)
	v_fmac_f32_e32 v26, v25, v24
	v_add_f32_e32 v24, v27, v26
	s_delay_alu instid0(VALU_DEP_1) | instskip(NEXT) | instid1(VALU_DEP_1)
	v_sub_f32_e32 v29, v23, v24
	v_sub_f32_e32 v23, v23, v29
	s_delay_alu instid0(VALU_DEP_1) | instskip(NEXT) | instid1(VALU_DEP_1)
	v_sub_f32_e32 v23, v23, v24
	v_add_f32_e32 v21, v21, v23
	v_add_f32_e32 v23, v28, v25
	v_sub_f32_e32 v27, v24, v27
	s_delay_alu instid0(VALU_DEP_1) | instskip(NEXT) | instid1(VALU_DEP_1)
	v_sub_f32_e32 v24, v27, v26
	v_dual_add_f32 v21, v24, v21 :: v_dual_sub_f32 v24, v23, v28
	s_delay_alu instid0(VALU_DEP_1) | instskip(NEXT) | instid1(VALU_DEP_1)
	v_add_f32_e32 v21, v29, v21
	v_dual_sub_f32 v24, v25, v24 :: v_dual_mul_f32 v21, v22, v21
	s_delay_alu instid0(VALU_DEP_1) | instskip(NEXT) | instid1(VALU_DEP_1)
	v_add_f32_e32 v21, v24, v21
	v_add_f32_e32 v22, v23, v21
	s_delay_alu instid0(VALU_DEP_1) | instskip(NEXT) | instid1(VALU_DEP_1)
	v_mul_f32_e32 v24, v22, v22
	v_fmaak_f32 v25, s85, v24, 0x3ecc95a3
	v_mul_f32_e32 v26, v22, v24
	s_delay_alu instid0(VALU_DEP_2) | instskip(SKIP_2) | instid1(VALU_DEP_3)
	v_fmaak_f32 v24, v24, v25, 0x3f2aaada
	v_ldexp_f32 v25, v22, 1
	v_sub_f32_e32 v22, v22, v23
	v_mul_f32_e32 v24, v26, v24
	v_mul_f32_e32 v26, 0x3f317218, v20
	s_delay_alu instid0(VALU_DEP_2) | instskip(NEXT) | instid1(VALU_DEP_1)
	v_add_f32_e32 v23, v25, v24
	v_dual_sub_f32 v21, v21, v22 :: v_dual_sub_f32 v22, v23, v25
	s_delay_alu instid0(VALU_DEP_3) | instskip(NEXT) | instid1(VALU_DEP_2)
	v_fma_f32 v25, 0x3f317218, v20, -v26
	v_ldexp_f32 v21, v21, 1
	s_delay_alu instid0(VALU_DEP_2) | instskip(NEXT) | instid1(VALU_DEP_1)
	v_dual_sub_f32 v22, v24, v22 :: v_dual_fmac_f32 v25, 0xb102e308, v20
	v_dual_add_f32 v20, v21, v22 :: v_dual_add_f32 v21, v26, v25
	s_delay_alu instid0(VALU_DEP_1) | instskip(NEXT) | instid1(VALU_DEP_1)
	v_add_f32_e32 v22, v23, v20
	v_add_f32_e32 v24, v21, v22
	s_delay_alu instid0(VALU_DEP_1) | instskip(NEXT) | instid1(VALU_DEP_1)
	v_sub_f32_e32 v27, v24, v21
	v_sub_f32_e32 v28, v24, v27
	;; [unrolled: 1-line block ×4, first 2 shown]
	s_delay_alu instid0(VALU_DEP_2) | instskip(SKIP_1) | instid1(VALU_DEP_1)
	v_sub_f32_e32 v20, v20, v23
	v_sub_f32_e32 v26, v21, v26
	;; [unrolled: 1-line block ×3, first 2 shown]
	s_delay_alu instid0(VALU_DEP_1) | instskip(SKIP_1) | instid1(VALU_DEP_1)
	v_add_f32_e32 v23, v25, v20
	v_sub_f32_e32 v21, v21, v28
	v_add_f32_e32 v21, v22, v21
	s_delay_alu instid0(VALU_DEP_3) | instskip(NEXT) | instid1(VALU_DEP_1)
	v_sub_f32_e32 v22, v23, v25
	v_dual_sub_f32 v20, v20, v22 :: v_dual_add_f32 v21, v23, v21
	s_delay_alu instid0(VALU_DEP_1) | instskip(NEXT) | instid1(VALU_DEP_1)
	v_dual_sub_f32 v23, v23, v22 :: v_dual_add_f32 v26, v24, v21
	v_dual_sub_f32 v23, v25, v23 :: v_dual_sub_f32 v22, v26, v24
	s_delay_alu instid0(VALU_DEP_1) | instskip(NEXT) | instid1(VALU_DEP_1)
	v_dual_add_f32 v20, v20, v23 :: v_dual_sub_f32 v21, v21, v22
	v_add_f32_e32 v20, v20, v21
	s_delay_alu instid0(VALU_DEP_1) | instskip(NEXT) | instid1(VALU_DEP_1)
	v_add_f32_e32 v20, v26, v20
	v_cndmask_b32_e32 v119, v20, v18, vcc_lo
.LBB154_100:                            ;   in Loop: Header=BB154_12 Depth=1
	s_or_b32 exec_lo, exec_lo, s30
	v_add_f32_e32 v120, s67, v19
	s_delay_alu instid0(VALU_DEP_1) | instskip(SKIP_1) | instid1(SALU_CYCLE_1)
	v_cmp_ge_f32_e32 vcc_lo, 0x41a00000, v120
	s_and_b32 s29, s81, vcc_lo
	s_and_saveexec_b32 s30, s29
	s_cbranch_execz .LBB154_102
; %bb.101:                              ;   in Loop: Header=BB154_12 Depth=1
	v_mul_f32_e32 v18, 0x3fb8aa3b, v120
	v_cmp_ngt_f32_e32 vcc_lo, 0xc2ce8ed0, v120
	s_delay_alu instid0(VALU_DEP_2) | instskip(SKIP_1) | instid1(VALU_DEP_2)
	v_rndne_f32_e32 v19, v18
	v_fma_f32 v20, 0x3fb8aa3b, v120, -v18
	v_sub_f32_e32 v18, v18, v19
	s_delay_alu instid0(VALU_DEP_2) | instskip(SKIP_1) | instid1(VALU_DEP_2)
	v_fmac_f32_e32 v20, 0x32a5705f, v120
	v_cvt_i32_f32_e32 v19, v19
	v_add_f32_e32 v18, v18, v20
	s_delay_alu instid0(VALU_DEP_1) | instskip(SKIP_2) | instid1(VALU_DEP_1)
	v_exp_f32_e32 v18, v18
	s_waitcnt_depctr 0xfff
	v_ldexp_f32 v18, v18, v19
	v_cndmask_b32_e32 v18, 0, v18, vcc_lo
	v_cmp_nlt_f32_e32 vcc_lo, 0x42b17218, v120
	s_delay_alu instid0(VALU_DEP_2) | instskip(NEXT) | instid1(VALU_DEP_1)
	v_cndmask_b32_e32 v20, 0x7f800000, v18, vcc_lo
	v_add_f32_e32 v21, 1.0, v20
	s_delay_alu instid0(VALU_DEP_1) | instskip(NEXT) | instid1(VALU_DEP_1)
	v_cvt_f64_f32_e32 v[18:19], v21
	v_frexp_exp_i32_f64_e32 v18, v[18:19]
	v_frexp_mant_f32_e32 v19, v21
	s_delay_alu instid0(VALU_DEP_1) | instskip(SKIP_1) | instid1(VALU_DEP_1)
	v_cmp_gt_f32_e32 vcc_lo, 0x3f2aaaab, v19
	v_add_f32_e32 v19, -1.0, v21
	v_sub_f32_e32 v23, v19, v21
	v_sub_f32_e32 v19, v20, v19
	s_delay_alu instid0(VALU_DEP_2) | instskip(NEXT) | instid1(VALU_DEP_1)
	v_add_f32_e32 v23, 1.0, v23
	v_add_f32_e32 v19, v19, v23
	v_cmp_gt_f32_e64 s29, 0x33800000, v20
	v_subrev_co_ci_u32_e32 v18, vcc_lo, 0, v18, vcc_lo
	v_cmp_eq_f32_e32 vcc_lo, 0x7f800000, v20
	s_delay_alu instid0(VALU_DEP_2) | instskip(SKIP_2) | instid1(VALU_DEP_2)
	v_sub_nc_u32_e32 v22, 0, v18
	v_cvt_f32_i32_e32 v18, v18
	s_or_b32 vcc_lo, s29, vcc_lo
	v_ldexp_f32 v21, v21, v22
	v_ldexp_f32 v19, v19, v22
	s_delay_alu instid0(VALU_DEP_2) | instskip(NEXT) | instid1(VALU_DEP_1)
	v_add_f32_e32 v24, 1.0, v21
	v_dual_add_f32 v22, -1.0, v21 :: v_dual_add_f32 v23, -1.0, v24
	s_delay_alu instid0(VALU_DEP_1) | instskip(NEXT) | instid1(VALU_DEP_2)
	v_add_f32_e32 v25, 1.0, v22
	v_sub_f32_e32 v23, v21, v23
	s_delay_alu instid0(VALU_DEP_2) | instskip(NEXT) | instid1(VALU_DEP_2)
	v_sub_f32_e32 v21, v21, v25
	v_add_f32_e32 v23, v19, v23
	s_delay_alu instid0(VALU_DEP_2) | instskip(NEXT) | instid1(VALU_DEP_1)
	v_add_f32_e32 v19, v19, v21
	v_add_f32_e32 v26, v22, v19
	s_delay_alu instid0(VALU_DEP_1) | instskip(NEXT) | instid1(VALU_DEP_1)
	v_dual_add_f32 v25, v24, v23 :: v_dual_sub_f32 v22, v22, v26
	v_rcp_f32_e32 v21, v25
	v_sub_f32_e32 v24, v24, v25
	s_delay_alu instid0(VALU_DEP_1) | instskip(SKIP_2) | instid1(VALU_DEP_1)
	v_add_f32_e32 v23, v23, v24
	s_waitcnt_depctr 0xfff
	v_mul_f32_e32 v27, v26, v21
	v_mul_f32_e32 v28, v25, v27
	s_delay_alu instid0(VALU_DEP_1) | instskip(NEXT) | instid1(VALU_DEP_1)
	v_fma_f32 v24, v27, v25, -v28
	v_fmac_f32_e32 v24, v27, v23
	s_delay_alu instid0(VALU_DEP_1) | instskip(NEXT) | instid1(VALU_DEP_1)
	v_add_f32_e32 v29, v28, v24
	v_sub_f32_e32 v30, v26, v29
	s_delay_alu instid0(VALU_DEP_1) | instskip(SKIP_1) | instid1(VALU_DEP_2)
	v_sub_f32_e32 v26, v26, v30
	v_dual_add_f32 v19, v19, v22 :: v_dual_sub_f32 v22, v29, v28
	v_sub_f32_e32 v26, v26, v29
	s_delay_alu instid0(VALU_DEP_1) | instskip(NEXT) | instid1(VALU_DEP_1)
	v_dual_sub_f32 v22, v22, v24 :: v_dual_add_f32 v19, v19, v26
	v_add_f32_e32 v19, v22, v19
	s_delay_alu instid0(VALU_DEP_1) | instskip(NEXT) | instid1(VALU_DEP_1)
	v_add_f32_e32 v22, v30, v19
	v_mul_f32_e32 v24, v21, v22
	s_delay_alu instid0(VALU_DEP_1) | instskip(NEXT) | instid1(VALU_DEP_1)
	v_dual_sub_f32 v29, v30, v22 :: v_dual_mul_f32 v26, v25, v24
	v_add_f32_e32 v19, v19, v29
	s_delay_alu instid0(VALU_DEP_2) | instskip(NEXT) | instid1(VALU_DEP_1)
	v_fma_f32 v25, v24, v25, -v26
	v_fmac_f32_e32 v25, v24, v23
	s_delay_alu instid0(VALU_DEP_1) | instskip(NEXT) | instid1(VALU_DEP_1)
	v_add_f32_e32 v23, v26, v25
	v_sub_f32_e32 v28, v22, v23
	s_delay_alu instid0(VALU_DEP_1) | instskip(NEXT) | instid1(VALU_DEP_1)
	v_sub_f32_e32 v22, v22, v28
	v_sub_f32_e32 v22, v22, v23
	s_delay_alu instid0(VALU_DEP_1) | instskip(SKIP_2) | instid1(VALU_DEP_1)
	v_add_f32_e32 v19, v19, v22
	v_add_f32_e32 v22, v27, v24
	v_sub_f32_e32 v26, v23, v26
	v_sub_f32_e32 v23, v26, v25
	s_delay_alu instid0(VALU_DEP_1) | instskip(NEXT) | instid1(VALU_DEP_4)
	v_add_f32_e32 v19, v23, v19
	v_sub_f32_e32 v23, v22, v27
	s_delay_alu instid0(VALU_DEP_2) | instskip(NEXT) | instid1(VALU_DEP_2)
	v_add_f32_e32 v19, v28, v19
	v_sub_f32_e32 v23, v24, v23
	s_delay_alu instid0(VALU_DEP_2) | instskip(NEXT) | instid1(VALU_DEP_1)
	v_mul_f32_e32 v19, v21, v19
	v_add_f32_e32 v19, v23, v19
	s_delay_alu instid0(VALU_DEP_1) | instskip(NEXT) | instid1(VALU_DEP_1)
	v_add_f32_e32 v21, v22, v19
	v_mul_f32_e32 v23, v21, v21
	s_delay_alu instid0(VALU_DEP_1) | instskip(SKIP_1) | instid1(VALU_DEP_2)
	v_fmaak_f32 v24, s85, v23, 0x3ecc95a3
	v_mul_f32_e32 v25, v21, v23
	v_fmaak_f32 v23, v23, v24, 0x3f2aaada
	v_ldexp_f32 v24, v21, 1
	s_delay_alu instid0(VALU_DEP_2) | instskip(SKIP_1) | instid1(VALU_DEP_2)
	v_mul_f32_e32 v23, v25, v23
	v_sub_f32_e32 v21, v21, v22
	v_dual_mul_f32 v25, 0x3f317218, v18 :: v_dual_add_f32 v22, v24, v23
	s_delay_alu instid0(VALU_DEP_2) | instskip(NEXT) | instid1(VALU_DEP_2)
	v_sub_f32_e32 v19, v19, v21
	v_sub_f32_e32 v21, v22, v24
	s_delay_alu instid0(VALU_DEP_3) | instskip(NEXT) | instid1(VALU_DEP_3)
	v_fma_f32 v24, 0x3f317218, v18, -v25
	v_ldexp_f32 v19, v19, 1
	s_delay_alu instid0(VALU_DEP_2) | instskip(NEXT) | instid1(VALU_DEP_1)
	v_dual_sub_f32 v21, v23, v21 :: v_dual_fmac_f32 v24, 0xb102e308, v18
	v_dual_add_f32 v18, v19, v21 :: v_dual_add_f32 v19, v25, v24
	s_delay_alu instid0(VALU_DEP_1) | instskip(NEXT) | instid1(VALU_DEP_1)
	v_add_f32_e32 v21, v22, v18
	v_dual_add_f32 v23, v19, v21 :: v_dual_sub_f32 v22, v21, v22
	s_delay_alu instid0(VALU_DEP_1) | instskip(NEXT) | instid1(VALU_DEP_2)
	v_sub_f32_e32 v26, v23, v19
	v_dual_sub_f32 v25, v19, v25 :: v_dual_sub_f32 v18, v18, v22
	s_delay_alu instid0(VALU_DEP_1) | instskip(SKIP_1) | instid1(VALU_DEP_2)
	v_dual_sub_f32 v27, v23, v26 :: v_dual_sub_f32 v24, v24, v25
	v_sub_f32_e32 v21, v21, v26
	v_dual_sub_f32 v19, v19, v27 :: v_dual_add_f32 v22, v24, v18
	s_delay_alu instid0(VALU_DEP_1) | instskip(NEXT) | instid1(VALU_DEP_2)
	v_add_f32_e32 v19, v21, v19
	v_sub_f32_e32 v21, v22, v24
	s_delay_alu instid0(VALU_DEP_2) | instskip(NEXT) | instid1(VALU_DEP_2)
	v_add_f32_e32 v19, v22, v19
	v_sub_f32_e32 v22, v22, v21
	s_delay_alu instid0(VALU_DEP_2) | instskip(NEXT) | instid1(VALU_DEP_1)
	v_dual_sub_f32 v18, v18, v21 :: v_dual_add_f32 v25, v23, v19
	v_dual_sub_f32 v22, v24, v22 :: v_dual_sub_f32 v21, v25, v23
	s_delay_alu instid0(VALU_DEP_1) | instskip(NEXT) | instid1(VALU_DEP_1)
	v_dual_add_f32 v18, v18, v22 :: v_dual_sub_f32 v19, v19, v21
	v_add_f32_e32 v18, v18, v19
	s_delay_alu instid0(VALU_DEP_1) | instskip(NEXT) | instid1(VALU_DEP_1)
	v_add_f32_e32 v18, v25, v18
	v_cndmask_b32_e32 v120, v18, v20, vcc_lo
.LBB154_102:                            ;   in Loop: Header=BB154_12 Depth=1
	s_or_b32 exec_lo, exec_lo, s30
	s_waitcnt lgkmcnt(0)
	v_add_f32_e32 v121, s67, v16
	s_delay_alu instid0(VALU_DEP_1) | instskip(SKIP_1) | instid1(SALU_CYCLE_1)
	v_cmp_ge_f32_e32 vcc_lo, 0x41a00000, v121
	s_and_b32 s29, s81, vcc_lo
	s_and_saveexec_b32 s30, s29
	s_cbranch_execz .LBB154_104
; %bb.103:                              ;   in Loop: Header=BB154_12 Depth=1
	v_mul_f32_e32 v16, 0x3fb8aa3b, v121
	v_cmp_ngt_f32_e32 vcc_lo, 0xc2ce8ed0, v121
	s_delay_alu instid0(VALU_DEP_2) | instskip(SKIP_1) | instid1(VALU_DEP_1)
	v_rndne_f32_e32 v18, v16
	v_fma_f32 v19, 0x3fb8aa3b, v121, -v16
	v_dual_sub_f32 v16, v16, v18 :: v_dual_fmac_f32 v19, 0x32a5705f, v121
	v_cvt_i32_f32_e32 v18, v18
	s_delay_alu instid0(VALU_DEP_2) | instskip(NEXT) | instid1(VALU_DEP_1)
	v_add_f32_e32 v16, v16, v19
	v_exp_f32_e32 v16, v16
	s_waitcnt_depctr 0xfff
	v_ldexp_f32 v16, v16, v18
	s_delay_alu instid0(VALU_DEP_1) | instskip(SKIP_1) | instid1(VALU_DEP_2)
	v_cndmask_b32_e32 v16, 0, v16, vcc_lo
	v_cmp_nlt_f32_e32 vcc_lo, 0x42b17218, v121
	v_cndmask_b32_e32 v16, 0x7f800000, v16, vcc_lo
	s_delay_alu instid0(VALU_DEP_1) | instskip(NEXT) | instid1(VALU_DEP_1)
	v_add_f32_e32 v20, 1.0, v16
	v_cvt_f64_f32_e32 v[18:19], v20
	s_delay_alu instid0(VALU_DEP_1) | instskip(SKIP_1) | instid1(VALU_DEP_1)
	v_frexp_exp_i32_f64_e32 v18, v[18:19]
	v_frexp_mant_f32_e32 v19, v20
	v_cmp_gt_f32_e32 vcc_lo, 0x3f2aaaab, v19
	v_add_f32_e32 v19, -1.0, v20
	s_delay_alu instid0(VALU_DEP_1) | instskip(SKIP_1) | instid1(VALU_DEP_1)
	v_dual_sub_f32 v22, v19, v20 :: v_dual_sub_f32 v19, v16, v19
	v_subrev_co_ci_u32_e32 v18, vcc_lo, 0, v18, vcc_lo
	v_sub_nc_u32_e32 v21, 0, v18
	v_cvt_f32_i32_e32 v18, v18
	s_delay_alu instid0(VALU_DEP_2) | instskip(NEXT) | instid1(VALU_DEP_1)
	v_ldexp_f32 v20, v20, v21
	v_dual_add_f32 v22, 1.0, v22 :: v_dual_add_f32 v23, 1.0, v20
	s_delay_alu instid0(VALU_DEP_1) | instskip(NEXT) | instid1(VALU_DEP_1)
	v_add_f32_e32 v19, v19, v22
	v_ldexp_f32 v19, v19, v21
	s_delay_alu instid0(VALU_DEP_3) | instskip(NEXT) | instid1(VALU_DEP_1)
	v_dual_add_f32 v21, -1.0, v20 :: v_dual_add_f32 v22, -1.0, v23
	v_add_f32_e32 v24, 1.0, v21
	s_delay_alu instid0(VALU_DEP_2) | instskip(NEXT) | instid1(VALU_DEP_2)
	v_sub_f32_e32 v22, v20, v22
	v_sub_f32_e32 v20, v20, v24
	s_delay_alu instid0(VALU_DEP_2) | instskip(NEXT) | instid1(VALU_DEP_2)
	v_add_f32_e32 v22, v19, v22
	v_add_f32_e32 v19, v19, v20
	s_delay_alu instid0(VALU_DEP_1) | instskip(SKIP_2) | instid1(VALU_DEP_3)
	v_dual_add_f32 v25, v21, v19 :: v_dual_add_f32 v24, v23, v22
	v_cmp_eq_f32_e32 vcc_lo, 0x7f800000, v16
	v_cmp_gt_f32_e64 s29, 0x33800000, v16
	v_sub_f32_e32 v21, v21, v25
	s_delay_alu instid0(VALU_DEP_4) | instskip(SKIP_1) | instid1(VALU_DEP_3)
	v_rcp_f32_e32 v20, v24
	v_sub_f32_e32 v23, v23, v24
	s_or_b32 vcc_lo, s29, vcc_lo
	s_delay_alu instid0(VALU_DEP_1) | instskip(SKIP_2) | instid1(VALU_DEP_1)
	v_dual_add_f32 v19, v19, v21 :: v_dual_add_f32 v22, v22, v23
	s_waitcnt_depctr 0xfff
	v_mul_f32_e32 v26, v25, v20
	v_mul_f32_e32 v27, v24, v26
	s_delay_alu instid0(VALU_DEP_1) | instskip(NEXT) | instid1(VALU_DEP_1)
	v_fma_f32 v23, v26, v24, -v27
	v_fmac_f32_e32 v23, v26, v22
	s_delay_alu instid0(VALU_DEP_1) | instskip(NEXT) | instid1(VALU_DEP_1)
	v_add_f32_e32 v28, v27, v23
	v_sub_f32_e32 v29, v25, v28
	s_delay_alu instid0(VALU_DEP_1) | instskip(NEXT) | instid1(VALU_DEP_1)
	v_sub_f32_e32 v25, v25, v29
	v_sub_f32_e32 v25, v25, v28
	;; [unrolled: 1-line block ×3, first 2 shown]
	s_delay_alu instid0(VALU_DEP_2) | instskip(NEXT) | instid1(VALU_DEP_2)
	v_add_f32_e32 v19, v19, v25
	v_sub_f32_e32 v21, v21, v23
	s_delay_alu instid0(VALU_DEP_1) | instskip(NEXT) | instid1(VALU_DEP_1)
	v_add_f32_e32 v19, v21, v19
	v_add_f32_e32 v21, v29, v19
	s_delay_alu instid0(VALU_DEP_1) | instskip(NEXT) | instid1(VALU_DEP_1)
	v_mul_f32_e32 v23, v20, v21
	v_dual_sub_f32 v28, v29, v21 :: v_dual_mul_f32 v25, v24, v23
	s_delay_alu instid0(VALU_DEP_1) | instskip(NEXT) | instid1(VALU_DEP_2)
	v_add_f32_e32 v19, v19, v28
	v_fma_f32 v24, v23, v24, -v25
	s_delay_alu instid0(VALU_DEP_1) | instskip(NEXT) | instid1(VALU_DEP_1)
	v_fmac_f32_e32 v24, v23, v22
	v_add_f32_e32 v22, v25, v24
	s_delay_alu instid0(VALU_DEP_1) | instskip(NEXT) | instid1(VALU_DEP_1)
	v_sub_f32_e32 v27, v21, v22
	v_sub_f32_e32 v21, v21, v27
	s_delay_alu instid0(VALU_DEP_1) | instskip(NEXT) | instid1(VALU_DEP_1)
	v_sub_f32_e32 v21, v21, v22
	v_add_f32_e32 v19, v19, v21
	v_add_f32_e32 v21, v26, v23
	v_sub_f32_e32 v25, v22, v25
	s_delay_alu instid0(VALU_DEP_1) | instskip(NEXT) | instid1(VALU_DEP_1)
	v_sub_f32_e32 v22, v25, v24
	v_dual_add_f32 v19, v22, v19 :: v_dual_sub_f32 v22, v21, v26
	s_delay_alu instid0(VALU_DEP_1) | instskip(NEXT) | instid1(VALU_DEP_1)
	v_add_f32_e32 v19, v27, v19
	v_dual_sub_f32 v22, v23, v22 :: v_dual_mul_f32 v19, v20, v19
	s_delay_alu instid0(VALU_DEP_1) | instskip(NEXT) | instid1(VALU_DEP_1)
	v_add_f32_e32 v19, v22, v19
	v_add_f32_e32 v20, v21, v19
	s_delay_alu instid0(VALU_DEP_1) | instskip(NEXT) | instid1(VALU_DEP_1)
	v_mul_f32_e32 v22, v20, v20
	v_fmaak_f32 v23, s85, v22, 0x3ecc95a3
	v_mul_f32_e32 v24, v20, v22
	s_delay_alu instid0(VALU_DEP_2) | instskip(SKIP_2) | instid1(VALU_DEP_3)
	v_fmaak_f32 v22, v22, v23, 0x3f2aaada
	v_ldexp_f32 v23, v20, 1
	v_sub_f32_e32 v20, v20, v21
	v_mul_f32_e32 v22, v24, v22
	v_mul_f32_e32 v24, 0x3f317218, v18
	s_delay_alu instid0(VALU_DEP_2) | instskip(NEXT) | instid1(VALU_DEP_1)
	v_add_f32_e32 v21, v23, v22
	v_dual_sub_f32 v19, v19, v20 :: v_dual_sub_f32 v20, v21, v23
	s_delay_alu instid0(VALU_DEP_3) | instskip(NEXT) | instid1(VALU_DEP_2)
	v_fma_f32 v23, 0x3f317218, v18, -v24
	v_ldexp_f32 v19, v19, 1
	s_delay_alu instid0(VALU_DEP_2) | instskip(NEXT) | instid1(VALU_DEP_1)
	v_dual_sub_f32 v20, v22, v20 :: v_dual_fmac_f32 v23, 0xb102e308, v18
	v_dual_add_f32 v18, v19, v20 :: v_dual_add_f32 v19, v24, v23
	s_delay_alu instid0(VALU_DEP_1) | instskip(NEXT) | instid1(VALU_DEP_1)
	v_add_f32_e32 v20, v21, v18
	v_add_f32_e32 v22, v19, v20
	s_delay_alu instid0(VALU_DEP_1) | instskip(NEXT) | instid1(VALU_DEP_1)
	v_sub_f32_e32 v25, v22, v19
	v_sub_f32_e32 v26, v22, v25
	;; [unrolled: 1-line block ×4, first 2 shown]
	s_delay_alu instid0(VALU_DEP_2) | instskip(SKIP_1) | instid1(VALU_DEP_1)
	v_sub_f32_e32 v18, v18, v21
	v_sub_f32_e32 v24, v19, v24
	;; [unrolled: 1-line block ×3, first 2 shown]
	s_delay_alu instid0(VALU_DEP_1) | instskip(SKIP_1) | instid1(VALU_DEP_1)
	v_add_f32_e32 v21, v23, v18
	v_sub_f32_e32 v19, v19, v26
	v_add_f32_e32 v19, v20, v19
	s_delay_alu instid0(VALU_DEP_3) | instskip(NEXT) | instid1(VALU_DEP_1)
	v_sub_f32_e32 v20, v21, v23
	v_dual_sub_f32 v18, v18, v20 :: v_dual_add_f32 v19, v21, v19
	s_delay_alu instid0(VALU_DEP_1) | instskip(NEXT) | instid1(VALU_DEP_1)
	v_dual_sub_f32 v21, v21, v20 :: v_dual_add_f32 v24, v22, v19
	v_dual_sub_f32 v21, v23, v21 :: v_dual_sub_f32 v20, v24, v22
	s_delay_alu instid0(VALU_DEP_1) | instskip(NEXT) | instid1(VALU_DEP_1)
	v_dual_add_f32 v18, v18, v21 :: v_dual_sub_f32 v19, v19, v20
	v_add_f32_e32 v18, v18, v19
	s_delay_alu instid0(VALU_DEP_1) | instskip(NEXT) | instid1(VALU_DEP_1)
	v_add_f32_e32 v18, v24, v18
	v_cndmask_b32_e32 v121, v18, v16, vcc_lo
.LBB154_104:                            ;   in Loop: Header=BB154_12 Depth=1
	s_or_b32 exec_lo, exec_lo, s30
	v_add_f32_e32 v138, s67, v17
	s_delay_alu instid0(VALU_DEP_1) | instskip(SKIP_1) | instid1(SALU_CYCLE_1)
	v_cmp_ge_f32_e32 vcc_lo, 0x41a00000, v138
	s_and_b32 s29, s81, vcc_lo
	s_and_saveexec_b32 s30, s29
	s_cbranch_execz .LBB154_106
; %bb.105:                              ;   in Loop: Header=BB154_12 Depth=1
	v_mul_f32_e32 v16, 0x3fb8aa3b, v138
	v_cmp_ngt_f32_e32 vcc_lo, 0xc2ce8ed0, v138
	s_delay_alu instid0(VALU_DEP_2) | instskip(SKIP_1) | instid1(VALU_DEP_2)
	v_rndne_f32_e32 v17, v16
	v_fma_f32 v18, 0x3fb8aa3b, v138, -v16
	v_sub_f32_e32 v16, v16, v17
	s_delay_alu instid0(VALU_DEP_2) | instskip(SKIP_1) | instid1(VALU_DEP_2)
	v_fmac_f32_e32 v18, 0x32a5705f, v138
	v_cvt_i32_f32_e32 v17, v17
	v_add_f32_e32 v16, v16, v18
	s_delay_alu instid0(VALU_DEP_1) | instskip(SKIP_2) | instid1(VALU_DEP_1)
	v_exp_f32_e32 v16, v16
	s_waitcnt_depctr 0xfff
	v_ldexp_f32 v16, v16, v17
	v_cndmask_b32_e32 v16, 0, v16, vcc_lo
	v_cmp_nlt_f32_e32 vcc_lo, 0x42b17218, v138
	s_delay_alu instid0(VALU_DEP_2) | instskip(NEXT) | instid1(VALU_DEP_1)
	v_cndmask_b32_e32 v18, 0x7f800000, v16, vcc_lo
	v_add_f32_e32 v19, 1.0, v18
	s_delay_alu instid0(VALU_DEP_1) | instskip(NEXT) | instid1(VALU_DEP_1)
	v_cvt_f64_f32_e32 v[16:17], v19
	v_frexp_exp_i32_f64_e32 v16, v[16:17]
	v_frexp_mant_f32_e32 v17, v19
	s_delay_alu instid0(VALU_DEP_1) | instskip(SKIP_1) | instid1(VALU_DEP_1)
	v_cmp_gt_f32_e32 vcc_lo, 0x3f2aaaab, v17
	v_add_f32_e32 v17, -1.0, v19
	v_sub_f32_e32 v21, v17, v19
	v_sub_f32_e32 v17, v18, v17
	s_delay_alu instid0(VALU_DEP_2) | instskip(NEXT) | instid1(VALU_DEP_1)
	v_add_f32_e32 v21, 1.0, v21
	v_add_f32_e32 v17, v17, v21
	v_cmp_gt_f32_e64 s29, 0x33800000, v18
	v_subrev_co_ci_u32_e32 v16, vcc_lo, 0, v16, vcc_lo
	v_cmp_eq_f32_e32 vcc_lo, 0x7f800000, v18
	s_delay_alu instid0(VALU_DEP_2) | instskip(SKIP_2) | instid1(VALU_DEP_2)
	v_sub_nc_u32_e32 v20, 0, v16
	v_cvt_f32_i32_e32 v16, v16
	s_or_b32 vcc_lo, s29, vcc_lo
	v_ldexp_f32 v19, v19, v20
	v_ldexp_f32 v17, v17, v20
	s_delay_alu instid0(VALU_DEP_2) | instskip(NEXT) | instid1(VALU_DEP_1)
	v_add_f32_e32 v22, 1.0, v19
	v_dual_add_f32 v20, -1.0, v19 :: v_dual_add_f32 v21, -1.0, v22
	s_delay_alu instid0(VALU_DEP_1) | instskip(NEXT) | instid1(VALU_DEP_2)
	v_add_f32_e32 v23, 1.0, v20
	v_sub_f32_e32 v21, v19, v21
	s_delay_alu instid0(VALU_DEP_2) | instskip(NEXT) | instid1(VALU_DEP_2)
	v_sub_f32_e32 v19, v19, v23
	v_add_f32_e32 v21, v17, v21
	s_delay_alu instid0(VALU_DEP_2) | instskip(NEXT) | instid1(VALU_DEP_1)
	v_add_f32_e32 v17, v17, v19
	v_add_f32_e32 v24, v20, v17
	s_delay_alu instid0(VALU_DEP_1) | instskip(NEXT) | instid1(VALU_DEP_1)
	v_dual_add_f32 v23, v22, v21 :: v_dual_sub_f32 v20, v20, v24
	v_rcp_f32_e32 v19, v23
	v_sub_f32_e32 v22, v22, v23
	s_delay_alu instid0(VALU_DEP_1) | instskip(SKIP_2) | instid1(VALU_DEP_1)
	v_add_f32_e32 v21, v21, v22
	s_waitcnt_depctr 0xfff
	v_mul_f32_e32 v25, v24, v19
	v_mul_f32_e32 v26, v23, v25
	s_delay_alu instid0(VALU_DEP_1) | instskip(NEXT) | instid1(VALU_DEP_1)
	v_fma_f32 v22, v25, v23, -v26
	v_fmac_f32_e32 v22, v25, v21
	s_delay_alu instid0(VALU_DEP_1) | instskip(NEXT) | instid1(VALU_DEP_1)
	v_add_f32_e32 v27, v26, v22
	v_sub_f32_e32 v28, v24, v27
	s_delay_alu instid0(VALU_DEP_1) | instskip(SKIP_1) | instid1(VALU_DEP_2)
	v_sub_f32_e32 v24, v24, v28
	v_dual_add_f32 v17, v17, v20 :: v_dual_sub_f32 v20, v27, v26
	v_sub_f32_e32 v24, v24, v27
	s_delay_alu instid0(VALU_DEP_1) | instskip(NEXT) | instid1(VALU_DEP_1)
	v_dual_sub_f32 v20, v20, v22 :: v_dual_add_f32 v17, v17, v24
	v_add_f32_e32 v17, v20, v17
	s_delay_alu instid0(VALU_DEP_1) | instskip(NEXT) | instid1(VALU_DEP_1)
	v_add_f32_e32 v20, v28, v17
	v_mul_f32_e32 v22, v19, v20
	s_delay_alu instid0(VALU_DEP_1) | instskip(NEXT) | instid1(VALU_DEP_1)
	v_dual_sub_f32 v27, v28, v20 :: v_dual_mul_f32 v24, v23, v22
	v_add_f32_e32 v17, v17, v27
	s_delay_alu instid0(VALU_DEP_2) | instskip(NEXT) | instid1(VALU_DEP_1)
	v_fma_f32 v23, v22, v23, -v24
	v_fmac_f32_e32 v23, v22, v21
	s_delay_alu instid0(VALU_DEP_1) | instskip(NEXT) | instid1(VALU_DEP_1)
	v_add_f32_e32 v21, v24, v23
	v_sub_f32_e32 v26, v20, v21
	s_delay_alu instid0(VALU_DEP_1) | instskip(NEXT) | instid1(VALU_DEP_1)
	v_sub_f32_e32 v20, v20, v26
	v_sub_f32_e32 v20, v20, v21
	s_delay_alu instid0(VALU_DEP_1) | instskip(SKIP_2) | instid1(VALU_DEP_1)
	v_add_f32_e32 v17, v17, v20
	v_add_f32_e32 v20, v25, v22
	v_sub_f32_e32 v24, v21, v24
	v_sub_f32_e32 v21, v24, v23
	s_delay_alu instid0(VALU_DEP_1) | instskip(NEXT) | instid1(VALU_DEP_4)
	v_add_f32_e32 v17, v21, v17
	v_sub_f32_e32 v21, v20, v25
	s_delay_alu instid0(VALU_DEP_2) | instskip(NEXT) | instid1(VALU_DEP_2)
	v_add_f32_e32 v17, v26, v17
	v_sub_f32_e32 v21, v22, v21
	s_delay_alu instid0(VALU_DEP_2) | instskip(NEXT) | instid1(VALU_DEP_1)
	v_mul_f32_e32 v17, v19, v17
	v_add_f32_e32 v17, v21, v17
	s_delay_alu instid0(VALU_DEP_1) | instskip(NEXT) | instid1(VALU_DEP_1)
	v_add_f32_e32 v19, v20, v17
	v_mul_f32_e32 v21, v19, v19
	s_delay_alu instid0(VALU_DEP_1) | instskip(SKIP_1) | instid1(VALU_DEP_2)
	v_fmaak_f32 v22, s85, v21, 0x3ecc95a3
	v_mul_f32_e32 v23, v19, v21
	v_fmaak_f32 v21, v21, v22, 0x3f2aaada
	v_ldexp_f32 v22, v19, 1
	s_delay_alu instid0(VALU_DEP_2) | instskip(SKIP_1) | instid1(VALU_DEP_2)
	v_mul_f32_e32 v21, v23, v21
	v_sub_f32_e32 v19, v19, v20
	v_dual_mul_f32 v23, 0x3f317218, v16 :: v_dual_add_f32 v20, v22, v21
	s_delay_alu instid0(VALU_DEP_2) | instskip(NEXT) | instid1(VALU_DEP_2)
	v_sub_f32_e32 v17, v17, v19
	v_sub_f32_e32 v19, v20, v22
	s_delay_alu instid0(VALU_DEP_3) | instskip(NEXT) | instid1(VALU_DEP_3)
	v_fma_f32 v22, 0x3f317218, v16, -v23
	v_ldexp_f32 v17, v17, 1
	s_delay_alu instid0(VALU_DEP_2) | instskip(NEXT) | instid1(VALU_DEP_1)
	v_dual_sub_f32 v19, v21, v19 :: v_dual_fmac_f32 v22, 0xb102e308, v16
	v_dual_add_f32 v16, v17, v19 :: v_dual_add_f32 v17, v23, v22
	s_delay_alu instid0(VALU_DEP_1) | instskip(NEXT) | instid1(VALU_DEP_1)
	v_add_f32_e32 v19, v20, v16
	v_dual_add_f32 v21, v17, v19 :: v_dual_sub_f32 v20, v19, v20
	s_delay_alu instid0(VALU_DEP_1) | instskip(NEXT) | instid1(VALU_DEP_2)
	v_sub_f32_e32 v24, v21, v17
	v_dual_sub_f32 v23, v17, v23 :: v_dual_sub_f32 v16, v16, v20
	s_delay_alu instid0(VALU_DEP_1) | instskip(SKIP_1) | instid1(VALU_DEP_2)
	v_dual_sub_f32 v25, v21, v24 :: v_dual_sub_f32 v22, v22, v23
	v_sub_f32_e32 v19, v19, v24
	v_dual_sub_f32 v17, v17, v25 :: v_dual_add_f32 v20, v22, v16
	s_delay_alu instid0(VALU_DEP_1) | instskip(NEXT) | instid1(VALU_DEP_2)
	v_add_f32_e32 v17, v19, v17
	v_sub_f32_e32 v19, v20, v22
	s_delay_alu instid0(VALU_DEP_2) | instskip(NEXT) | instid1(VALU_DEP_2)
	v_add_f32_e32 v17, v20, v17
	v_sub_f32_e32 v20, v20, v19
	s_delay_alu instid0(VALU_DEP_2) | instskip(NEXT) | instid1(VALU_DEP_1)
	v_dual_sub_f32 v16, v16, v19 :: v_dual_add_f32 v23, v21, v17
	v_dual_sub_f32 v20, v22, v20 :: v_dual_sub_f32 v19, v23, v21
	s_delay_alu instid0(VALU_DEP_1) | instskip(NEXT) | instid1(VALU_DEP_1)
	v_dual_add_f32 v16, v16, v20 :: v_dual_sub_f32 v17, v17, v19
	v_add_f32_e32 v16, v16, v17
	s_delay_alu instid0(VALU_DEP_1) | instskip(NEXT) | instid1(VALU_DEP_1)
	v_add_f32_e32 v16, v23, v16
	v_cndmask_b32_e32 v138, v16, v18, vcc_lo
.LBB154_106:                            ;   in Loop: Header=BB154_12 Depth=1
	s_or_b32 exec_lo, exec_lo, s30
	v_dual_mul_f32 v122, s68, v14 :: v_dual_mul_f32 v123, s68, v13
	v_dual_mul_f32 v124, s68, v12 :: v_dual_mul_f32 v125, s68, v11
	;; [unrolled: 1-line block ×8, first 2 shown]
	s_and_b32 vcc_lo, exec_lo, s82
	s_barrier
	buffer_gl0_inv
	s_cbranch_vccz .LBB154_204
; %bb.107:                              ;   in Loop: Header=BB154_12 Depth=1
	v_dual_mul_f32 v139, v15, v138 :: v_dual_mul_f32 v144, v14, v121
	v_add_co_u32 v15, s29, s53, v32
	s_delay_alu instid0(VALU_DEP_1) | instskip(SKIP_1) | instid1(VALU_DEP_1)
	v_add_co_ci_u32_e64 v16, null, s75, 0, s29
	v_add_co_u32 v17, s29, s57, v32
	v_add_co_ci_u32_e64 v18, null, s76, 0, s29
	s_delay_alu instid0(VALU_DEP_4) | instskip(NEXT) | instid1(VALU_DEP_4)
	v_add_co_u32 v140, vcc_lo, v15, v106
	v_add_co_ci_u32_e32 v141, vcc_lo, 0, v16, vcc_lo
	s_delay_alu instid0(VALU_DEP_4) | instskip(NEXT) | instid1(VALU_DEP_4)
	v_add_co_u32 v142, vcc_lo, v17, v106
	v_add_co_ci_u32_e32 v143, vcc_lo, 0, v18, vcc_lo
	v_cmp_gt_u32_e32 vcc_lo, s41, v34
	s_cmp_lg_u32 s87, 0
	v_cmp_gt_u32_e64 s31, s41, v92
	s_cselect_b32 s51, -1, 0
	s_cmp_eq_u32 s87, s84
	v_cmp_gt_u32_e64 s33, s41, v93
	s_cselect_b32 s88, -1, 0
	s_or_b32 s29, s83, vcc_lo
	v_cmp_gt_u32_e32 vcc_lo, s41, v91
	v_cmp_gt_u32_e64 s34, s41, v94
	v_cmp_gt_u32_e64 s35, s41, v95
	;; [unrolled: 1-line block ×4, first 2 shown]
	s_or_b32 s30, s83, vcc_lo
	v_cmp_gt_u32_e32 vcc_lo, s41, v96
	v_cmp_gt_u32_e64 s39, s41, v99
	v_cmp_gt_u32_e64 s40, s41, v100
	;; [unrolled: 1-line block ×4, first 2 shown]
	s_or_b32 s36, s83, vcc_lo
	v_cmp_gt_u32_e32 vcc_lo, s41, v101
	v_cmp_gt_u32_e64 s44, s41, v104
	v_cmp_gt_u32_e64 s45, s41, v105
	v_dual_mul_f32 v145, v13, v120 :: v_dual_mul_f32 v146, v12, v119
	v_dual_mul_f32 v147, v11, v118 :: v_dual_mul_f32 v148, v10, v117
	v_dual_mul_f32 v149, v9, v116 :: v_dual_mul_f32 v150, v8, v115
	v_dual_mul_f32 v151, v7, v114 :: v_dual_mul_f32 v152, v6, v113
	v_dual_mul_f32 v153, v5, v112 :: v_dual_mul_f32 v154, v4, v111
	v_dual_mul_f32 v155, v3, v110 :: v_dual_mul_f32 v156, v2, v109
	v_dual_mul_f32 v157, v1, v108 :: v_dual_mul_f32 v158, v0, v107
	s_mov_b32 s64, 0
	s_or_b32 s31, s83, s31
	s_or_b32 s33, s83, s33
	;; [unrolled: 1-line block ×8, first 2 shown]
	s_or_b32 s41, s83, vcc_lo
	s_or_b32 s42, s83, s42
	s_or_b32 s43, s83, s43
	;; [unrolled: 1-line block ×4, first 2 shown]
	s_mov_b32 s54, s64
	s_mov_b32 s58, s64
	;; [unrolled: 1-line block ×5, first 2 shown]
	s_branch .LBB154_109
.LBB154_108:                            ;   in Loop: Header=BB154_109 Depth=2
	s_or_b32 exec_lo, exec_lo, s46
	v_cndmask_b32_e64 v16, v180, v21, s12
	v_cndmask_b32_e64 v17, v179, v20, s12
	s_add_i32 s89, s89, -1
	s_add_i32 s90, s90, 8
	s_add_i32 s60, s60, s62
	v_fma_f32 v16, v16, v160, v33
	v_mul_f32_e32 v17, v17, v160
	s_add_i32 s58, s58, s56
	s_add_i32 s54, s54, s52
	;; [unrolled: 1-line block ×3, first 2 shown]
	v_cndmask_b32_e64 v16, v16, v33, s11
	v_cndmask_b32_e64 v17, v17, v160, s11
	s_cmp_eq_u32 s89, 0
	s_waitcnt lgkmcnt(0)
	s_delay_alu instid0(VALU_DEP_1) | instskip(NEXT) | instid1(VALU_DEP_1)
	v_fmac_f32_e32 v16, v18, v17
	v_fmac_f32_e32 v30, v16, v159
	s_delay_alu instid0(VALU_DEP_1) | instskip(NEXT) | instid1(VALU_DEP_1)
	v_fmac_f32_e32 v32, v30, v161
	v_fmac_f32_e32 v31, v32, v162
	s_delay_alu instid0(VALU_DEP_1) | instskip(NEXT) | instid1(VALU_DEP_1)
	v_dual_fmac_f32 v137, v14, v16 :: v_dual_fmac_f32 v28, v31, v163
	v_dual_fmac_f32 v134, v13, v31 :: v_dual_fmac_f32 v29, v28, v164
	;; [unrolled: 1-line block ×3, first 2 shown]
	s_delay_alu instid0(VALU_DEP_2) | instskip(SKIP_1) | instid1(VALU_DEP_2)
	v_fmac_f32_e32 v26, v29, v165
	v_fmac_f32_e32 v131, v11, v29
	;; [unrolled: 1-line block ×4, first 2 shown]
	s_delay_alu instid0(VALU_DEP_2) | instskip(SKIP_1) | instid1(VALU_DEP_2)
	v_fmac_f32_e32 v24, v27, v167
	v_fmac_f32_e32 v129, v9, v27
	;; [unrolled: 1-line block ×3, first 2 shown]
	s_delay_alu instid0(VALU_DEP_1) | instskip(SKIP_1) | instid1(VALU_DEP_2)
	v_fmac_f32_e32 v22, v25, v169
	v_fmac_f32_e32 v127, v7, v25
	;; [unrolled: 1-line block ×4, first 2 shown]
	s_delay_alu instid0(VALU_DEP_2) | instskip(NEXT) | instid1(VALU_DEP_1)
	v_dual_fmac_f32 v170, v23, v172 :: v_dual_fmac_f32 v125, v5, v23
	v_fmac_f32_e32 v124, v0, v170
	v_fmac_f32_e32 v171, v170, v174
	s_delay_alu instid0(VALU_DEP_1) | instskip(SKIP_1) | instid1(VALU_DEP_2)
	v_dual_fmac_f32 v130, v8, v26 :: v_dual_fmac_f32 v173, v171, v176
	v_dual_fmac_f32 v126, v4, v22 :: v_dual_fmac_f32 v123, v1, v171
	v_fmac_f32_e32 v122, v2, v173
	v_fmac_f32_e32 v175, v173, v177
	s_delay_alu instid0(VALU_DEP_1)
	v_fmac_f32_e32 v133, v3, v175
	s_cbranch_scc1 .LBB154_204
.LBB154_109:                            ;   Parent Loop BB154_12 Depth=1
                                        ; =>  This Inner Loop Header: Depth=2
	s_lshl_b64 s[46:47], s[64:65], 2
	s_mov_b32 s55, s65
	s_add_u32 s46, s74, s46
	s_addc_u32 s47, s63, s47
	v_dual_mov_b32 v2, 0 :: v_dual_mov_b32 v3, 0
	global_load_b32 v159, v37, s[46:47]
	s_lshl_b64 s[46:47], s[54:55], 2
	s_delay_alu instid0(SALU_CYCLE_1)
	v_add_co_u32 v0, vcc_lo, v140, s46
	v_add_co_ci_u32_e32 v1, vcc_lo, s47, v141, vcc_lo
	s_and_saveexec_b32 s46, s13
	s_cbranch_execz .LBB154_111
; %bb.110:                              ;   in Loop: Header=BB154_109 Depth=2
	global_load_b32 v3, v[0:1], off
.LBB154_111:                            ;   in Loop: Header=BB154_109 Depth=2
	s_or_b32 exec_lo, exec_lo, s46
	s_and_saveexec_b32 s46, s14
	s_cbranch_execz .LBB154_113
; %bb.112:                              ;   in Loop: Header=BB154_109 Depth=2
	global_load_b32 v2, v[0:1], off offset:128
.LBB154_113:                            ;   in Loop: Header=BB154_109 Depth=2
	s_or_b32 exec_lo, exec_lo, s46
	v_dual_mov_b32 v4, 0 :: v_dual_mov_b32 v5, 0
	s_and_saveexec_b32 s46, s15
	s_cbranch_execz .LBB154_115
; %bb.114:                              ;   in Loop: Header=BB154_109 Depth=2
	global_load_b32 v5, v[0:1], off offset:256
.LBB154_115:                            ;   in Loop: Header=BB154_109 Depth=2
	s_or_b32 exec_lo, exec_lo, s46
	s_and_saveexec_b32 s46, s16
	s_cbranch_execz .LBB154_117
; %bb.116:                              ;   in Loop: Header=BB154_109 Depth=2
	global_load_b32 v4, v[0:1], off offset:384
.LBB154_117:                            ;   in Loop: Header=BB154_109 Depth=2
	s_or_b32 exec_lo, exec_lo, s46
	v_dual_mov_b32 v6, 0 :: v_dual_mov_b32 v7, 0
	s_and_saveexec_b32 s46, s17
	s_cbranch_execz .LBB154_119
; %bb.118:                              ;   in Loop: Header=BB154_109 Depth=2
	global_load_b32 v7, v[0:1], off offset:512
.LBB154_119:                            ;   in Loop: Header=BB154_109 Depth=2
	;; [unrolled: 13-line block ×7, first 2 shown]
	s_or_b32 exec_lo, exec_lo, s46
	s_and_saveexec_b32 s46, s28
	s_cbranch_execz .LBB154_141
; %bb.140:                              ;   in Loop: Header=BB154_109 Depth=2
	global_load_b32 v16, v[0:1], off offset:1920
.LBB154_141:                            ;   in Loop: Header=BB154_109 Depth=2
	s_or_b32 exec_lo, exec_lo, s46
	s_waitcnt vmcnt(0)
	ds_store_b32 v53, v3
	ds_store_b32 v54, v2 offset:128
	ds_store_b32 v55, v5 offset:256
	;; [unrolled: 1-line block ×15, first 2 shown]
	; wave barrier
	ds_load_2addr_b32 v[32:33], v69 offset1:1
	ds_load_2addr_b32 v[30:31], v69 offset0:2 offset1:3
	ds_load_2addr_b32 v[28:29], v69 offset0:4 offset1:5
	ds_load_2addr_b32 v[26:27], v69 offset0:6 offset1:7
	ds_load_2addr_b32 v[24:25], v69 offset0:8 offset1:9
	ds_load_2addr_b32 v[22:23], v69 offset0:10 offset1:11
	ds_load_2addr_b32 v[20:21], v69 offset0:12 offset1:13
	ds_load_2addr_b32 v[18:19], v69 offset0:14 offset1:15
	s_mov_b32 s59, s65
	v_dual_mov_b32 v2, 0 :: v_dual_mov_b32 v3, 0
	s_lshl_b64 s[46:47], s[58:59], 2
	s_delay_alu instid0(SALU_CYCLE_1)
	v_add_co_u32 v0, vcc_lo, v142, s46
	v_add_co_ci_u32_e32 v1, vcc_lo, s47, v143, vcc_lo
	s_and_saveexec_b32 s46, s13
	s_cbranch_execz .LBB154_143
; %bb.142:                              ;   in Loop: Header=BB154_109 Depth=2
	global_load_b32 v3, v[0:1], off
.LBB154_143:                            ;   in Loop: Header=BB154_109 Depth=2
	s_or_b32 exec_lo, exec_lo, s46
	s_and_saveexec_b32 s46, s14
	s_cbranch_execz .LBB154_145
; %bb.144:                              ;   in Loop: Header=BB154_109 Depth=2
	global_load_b32 v2, v[0:1], off offset:128
.LBB154_145:                            ;   in Loop: Header=BB154_109 Depth=2
	s_or_b32 exec_lo, exec_lo, s46
	v_dual_mov_b32 v4, 0 :: v_dual_mov_b32 v5, 0
	s_and_saveexec_b32 s46, s15
	s_cbranch_execz .LBB154_147
; %bb.146:                              ;   in Loop: Header=BB154_109 Depth=2
	global_load_b32 v5, v[0:1], off offset:256
.LBB154_147:                            ;   in Loop: Header=BB154_109 Depth=2
	s_or_b32 exec_lo, exec_lo, s46
	s_and_saveexec_b32 s46, s16
	s_cbranch_execz .LBB154_149
; %bb.148:                              ;   in Loop: Header=BB154_109 Depth=2
	global_load_b32 v4, v[0:1], off offset:384
.LBB154_149:                            ;   in Loop: Header=BB154_109 Depth=2
	s_or_b32 exec_lo, exec_lo, s46
	v_dual_mov_b32 v6, 0 :: v_dual_mov_b32 v7, 0
	s_and_saveexec_b32 s46, s17
	s_cbranch_execz .LBB154_151
; %bb.150:                              ;   in Loop: Header=BB154_109 Depth=2
	global_load_b32 v7, v[0:1], off offset:512
.LBB154_151:                            ;   in Loop: Header=BB154_109 Depth=2
	;; [unrolled: 13-line block ×7, first 2 shown]
	s_or_b32 exec_lo, exec_lo, s46
	s_and_saveexec_b32 s46, s28
	s_cbranch_execz .LBB154_173
; %bb.172:                              ;   in Loop: Header=BB154_109 Depth=2
	global_load_b32 v16, v[0:1], off offset:1920
.LBB154_173:                            ;   in Loop: Header=BB154_109 Depth=2
	s_or_b32 exec_lo, exec_lo, s46
	s_waitcnt vmcnt(0)
	ds_store_b32 v53, v3 offset:8448
	ds_store_b32 v70, v2 offset:128
	;; [unrolled: 1-line block ×16, first 2 shown]
	v_add_nc_u32_e32 v2, 0x2100, v69
	; wave barrier
	ds_load_2addr_b32 v[12:13], v85 offset0:2 offset1:3
	ds_load_2addr_b32 v[10:11], v85 offset0:4 offset1:5
	;; [unrolled: 1-line block ×6, first 2 shown]
	ds_load_2addr_b32 v[14:15], v2 offset1:1
	ds_load_2addr_b32 v[2:3], v85 offset0:14 offset1:15
	s_and_not1_b32 vcc_lo, exec_lo, s51
	s_cbranch_vccnz .LBB154_175
; %bb.174:                              ;   in Loop: Header=BB154_109 Depth=2
	v_mov_b32_e32 v16, s90
	ds_load_b64 v[16:17], v16
	s_cbranch_execz .LBB154_176
	s_branch .LBB154_179
.LBB154_175:                            ;   in Loop: Header=BB154_109 Depth=2
                                        ; implicit-def: $vgpr16
.LBB154_176:                            ;   in Loop: Header=BB154_109 Depth=2
	s_waitcnt lgkmcnt(0)
	v_mov_b32_e32 v17, 0
	s_and_not1_b32 vcc_lo, exec_lo, s66
	s_cbranch_vccnz .LBB154_178
; %bb.177:                              ;   in Loop: Header=BB154_109 Depth=2
	s_mov_b32 s61, s65
	s_delay_alu instid0(SALU_CYCLE_1) | instskip(NEXT) | instid1(SALU_CYCLE_1)
	s_lshl_b64 s[46:47], s[60:61], 2
	s_add_u32 s46, s77, s46
	s_addc_u32 s47, s78, s47
	global_load_b32 v17, v37, s[46:47]
.LBB154_178:                            ;   in Loop: Header=BB154_109 Depth=2
	v_mov_b32_e32 v16, 1.0
.LBB154_179:                            ;   in Loop: Header=BB154_109 Depth=2
	s_waitcnt lgkmcnt(31)
	v_dual_mul_f32 v173, 0x3fb8aa3b, v159 :: v_dual_mul_f32 v32, v32, v158
	s_waitcnt lgkmcnt(29)
	v_dual_mul_f32 v161, v33, v157 :: v_dual_mul_f32 v28, v28, v154
	s_delay_alu instid0(VALU_DEP_2) | instskip(NEXT) | instid1(VALU_DEP_3)
	v_dual_mul_f32 v162, v30, v156 :: v_dual_mul_f32 v159, v173, v107
	v_cndmask_b32_e64 v33, 0, v32, s29
	v_mul_f32_e32 v32, v173, v110
	s_waitcnt lgkmcnt(26)
	v_dual_mul_f32 v167, v173, v114 :: v_dual_mul_f32 v22, v22, v148
	v_cmp_gt_f32_e32 vcc_lo, 0xc2fc0000, v159
	v_mul_f32_e32 v174, v173, v119
	v_cmp_gt_f32_e64 s48, 0xc2fc0000, v32
	v_cndmask_b32_e64 v28, 0, v28, s34
	s_waitcnt lgkmcnt(24)
	v_dual_mul_f32 v177, v173, v138 :: v_dual_mul_f32 v18, v18, v144
	v_cndmask_b32_e64 v30, 0, 0x42800000, vcc_lo
	v_cndmask_b32_e64 v32, 0, 0x42800000, s48
	v_cndmask_b32_e64 v22, 0, v22, s40
	v_dual_mul_f32 v31, v31, v155 :: v_dual_mul_f32 v26, v26, v152
	s_delay_alu instid0(VALU_DEP_4) | instskip(SKIP_2) | instid1(VALU_DEP_4)
	v_fmac_f32_e32 v30, v173, v107
	v_mul_f32_e32 v27, v27, v151
	v_mul_f32_e32 v23, v23, v147
	v_cndmask_b32_e64 v31, 0, v31, s33
	v_cndmask_b32_e64 v26, 0, v26, s36
	v_exp_f32_e32 v163, v30
	v_cndmask_b32_e64 v30, 0, v161, s30
	v_cndmask_b32_e64 v161, 1.0, 0x1f800000, vcc_lo
	v_mul_f32_e32 v160, v173, v108
	v_cndmask_b32_e64 v27, 0, v27, s37
	v_cndmask_b32_e64 v23, 0, v23, s41
	v_mul_f32_e32 v24, v24, v150
	v_dual_mul_f32 v20, v20, v146 :: v_dual_mul_f32 v19, v19, v139
	v_mul_f32_e32 v21, v21, v145
	s_delay_alu instid0(TRANS32_DEP_1) | instskip(SKIP_2) | instid1(VALU_DEP_2)
	v_mul_f32_e32 v161, v163, v161
	v_cmp_gt_f32_e64 s46, 0xc2fc0000, v160
	v_cndmask_b32_e64 v24, 0, v24, s38
	v_cndmask_b32_e64 v159, 0, 0x42800000, s46
	v_cndmask_b32_e64 v164, 1.0, 0x1f800000, s46
	s_delay_alu instid0(VALU_DEP_2) | instskip(NEXT) | instid1(VALU_DEP_1)
	v_fmac_f32_e32 v159, v173, v108
	v_exp_f32_e32 v159, v159
	s_waitcnt_depctr 0xfff
	v_dual_mul_f32 v160, v173, v109 :: v_dual_mul_f32 v159, v159, v164
	s_delay_alu instid0(VALU_DEP_1) | instskip(NEXT) | instid1(VALU_DEP_2)
	v_cmp_gt_f32_e64 s47, 0xc2fc0000, v160
	v_cndmask_b32_e64 v159, 1.0, v159, s30
	s_delay_alu instid0(VALU_DEP_2) | instskip(SKIP_2) | instid1(VALU_DEP_3)
	v_cndmask_b32_e64 v160, 0, 0x42800000, s47
	v_cndmask_b32_e64 v166, 1.0, 0x1f800000, s47
	v_cmp_gt_f32_e64 s47, 0xc2fc0000, v167
	v_fmac_f32_e32 v160, v173, v109
	s_delay_alu instid0(VALU_DEP_1) | instskip(SKIP_1) | instid1(VALU_DEP_1)
	v_exp_f32_e32 v165, v160
	v_mul_f32_e32 v160, v173, v111
	v_cmp_gt_f32_e32 vcc_lo, 0xc2fc0000, v160
	v_cndmask_b32_e64 v160, 1.0, v161, s29
	s_waitcnt_depctr 0xfff
	v_mul_f32_e32 v161, v165, v166
	v_cndmask_b32_e64 v164, 0, 0x42800000, vcc_lo
	v_cndmask_b32_e64 v165, 1.0, 0x1f800000, s48
	v_mul_f32_e32 v166, v173, v113
	s_delay_alu instid0(VALU_DEP_4) | instskip(NEXT) | instid1(VALU_DEP_4)
	v_cndmask_b32_e64 v161, 1.0, v161, s31
	v_fmac_f32_e32 v164, v173, v111
	s_delay_alu instid0(VALU_DEP_1) | instskip(SKIP_1) | instid1(VALU_DEP_1)
	v_exp_f32_e32 v164, v164
	v_fmac_f32_e32 v32, v173, v110
	v_exp_f32_e32 v163, v32
	v_cndmask_b32_e64 v32, 0, v162, s31
	v_mul_f32_e32 v162, v173, v112
	s_delay_alu instid0(VALU_DEP_1) | instskip(SKIP_4) | instid1(VALU_DEP_3)
	v_cmp_gt_f32_e64 s46, 0xc2fc0000, v162
	s_waitcnt_depctr 0xfff
	v_mul_f32_e32 v163, v163, v165
	v_cndmask_b32_e64 v165, 0, 0x42800000, s46
	v_cndmask_b32_e64 v167, 1.0, 0x1f800000, s46
	v_cndmask_b32_e64 v162, 1.0, v163, s33
	v_cndmask_b32_e64 v163, 1.0, 0x1f800000, vcc_lo
	v_cmp_gt_f32_e32 vcc_lo, 0xc2fc0000, v166
	s_delay_alu instid0(VALU_DEP_2) | instskip(SKIP_1) | instid1(VALU_DEP_2)
	v_mul_f32_e32 v163, v164, v163
	v_cndmask_b32_e64 v166, 0, 0x42800000, vcc_lo
	v_cndmask_b32_e64 v163, 1.0, v163, s34
	s_delay_alu instid0(VALU_DEP_2) | instskip(NEXT) | instid1(VALU_DEP_1)
	v_fmac_f32_e32 v166, v173, v113
	v_exp_f32_e32 v166, v166
	v_fmac_f32_e32 v165, v173, v112
	s_delay_alu instid0(VALU_DEP_1) | instskip(SKIP_4) | instid1(VALU_DEP_2)
	v_exp_f32_e32 v164, v165
	v_cndmask_b32_e64 v165, 0, 0x42800000, s47
	s_waitcnt_depctr 0xfff
	v_dual_fmac_f32 v165, v173, v114 :: v_dual_mul_f32 v164, v164, v167
	v_cndmask_b32_e64 v167, 1.0, 0x1f800000, vcc_lo
	v_exp_f32_e32 v168, v165
	v_mul_f32_e32 v165, v173, v115
	s_delay_alu instid0(VALU_DEP_3) | instskip(NEXT) | instid1(VALU_DEP_3)
	v_cndmask_b32_e64 v164, 1.0, v164, s35
	v_mul_f32_e32 v166, v166, v167
	v_cndmask_b32_e64 v167, 1.0, 0x1f800000, s47
	s_delay_alu instid0(VALU_DEP_4) | instskip(SKIP_1) | instid1(VALU_DEP_4)
	v_cmp_gt_f32_e32 vcc_lo, 0xc2fc0000, v165
	v_mul_f32_e32 v29, v29, v153
	v_cndmask_b32_e64 v165, 1.0, v166, s36
	s_delay_alu instid0(TRANS32_DEP_1) | instid1(VALU_DEP_4)
	v_mul_f32_e32 v166, v168, v167
	v_cndmask_b32_e64 v169, 0, 0x42800000, vcc_lo
	v_mul_f32_e32 v167, v173, v116
	v_cndmask_b32_e64 v171, 1.0, 0x1f800000, vcc_lo
	v_cndmask_b32_e64 v29, 0, v29, s35
	v_cndmask_b32_e64 v166, 1.0, v166, s37
	v_fmac_f32_e32 v169, v173, v115
	v_cmp_gt_f32_e64 s46, 0xc2fc0000, v167
	v_mul_f32_e32 v168, v173, v117
	s_delay_alu instid0(VALU_DEP_3) | instskip(NEXT) | instid1(VALU_DEP_2)
	v_exp_f32_e32 v169, v169
	v_cndmask_b32_e64 v167, 0, 0x42800000, s46
	s_delay_alu instid0(VALU_DEP_2) | instskip(NEXT) | instid1(VALU_DEP_2)
	v_cmp_gt_f32_e64 s47, 0xc2fc0000, v168
	v_fmac_f32_e32 v167, v173, v116
	s_delay_alu instid0(VALU_DEP_2) | instskip(NEXT) | instid1(VALU_DEP_2)
	v_cndmask_b32_e64 v168, 0, 0x42800000, s47
	v_exp_f32_e32 v172, v167
	s_waitcnt_depctr 0xfff
	v_mul_f32_e32 v167, v169, v171
	v_fmac_f32_e32 v168, v173, v117
	v_cndmask_b32_e64 v169, 1.0, 0x1f800000, s46
	v_cndmask_b32_e64 v171, 1.0, 0x1f800000, s47
	s_delay_alu instid0(VALU_DEP_4) | instskip(SKIP_3) | instid1(VALU_DEP_2)
	v_cndmask_b32_e64 v167, 1.0, v167, s38
	v_mul_f32_e32 v170, v173, v118
	v_exp_f32_e32 v168, v168
	v_mul_f32_e32 v169, v172, v169
	v_cmp_gt_f32_e32 vcc_lo, 0xc2fc0000, v170
	v_cndmask_b32_e64 v170, 0, 0x42800000, vcc_lo
	v_cndmask_b32_e64 v172, 1.0, 0x1f800000, vcc_lo
	s_waitcnt_depctr 0xfff
	v_mul_f32_e32 v171, v168, v171
	v_cmp_gt_f32_e32 vcc_lo, 0xc2fc0000, v174
	v_cndmask_b32_e64 v168, 1.0, v169, s39
	v_fmac_f32_e32 v170, v173, v118
	v_fma_f32 v174, v159, v33, v30
	v_cndmask_b32_e64 v169, 1.0, v171, s40
	v_cndmask_b32_e64 v171, 0, 0x42800000, vcc_lo
	s_delay_alu instid0(VALU_DEP_4) | instskip(NEXT) | instid1(VALU_DEP_3)
	v_exp_f32_e32 v170, v170
	v_fma_f32 v174, v174, v161, v32
	s_delay_alu instid0(VALU_DEP_1) | instskip(SKIP_4) | instid1(VALU_DEP_3)
	v_fma_f32 v174, v174, v162, v31
	s_waitcnt_depctr 0xfff
	v_mul_f32_e32 v170, v170, v172
	v_mul_f32_e32 v172, v159, v160
	v_fma_f32 v174, v174, v163, v28
	v_cndmask_b32_e64 v178, 1.0, v170, s41
	s_delay_alu instid0(VALU_DEP_3) | instskip(SKIP_3) | instid1(VALU_DEP_4)
	v_mul_f32_e32 v172, v172, v161
	v_cndmask_b32_e64 v170, 1.0, 0x1f800000, vcc_lo
	v_mul_f32_e32 v175, v173, v120
	v_fma_f32 v174, v174, v164, v29
	v_dual_mul_f32 v172, v172, v162 :: v_dual_mul_f32 v25, v25, v149
	s_delay_alu instid0(VALU_DEP_3) | instskip(NEXT) | instid1(VALU_DEP_3)
	v_cmp_gt_f32_e64 s46, 0xc2fc0000, v175
	v_fma_f32 v174, v174, v165, v26
	s_delay_alu instid0(VALU_DEP_3) | instskip(SKIP_1) | instid1(VALU_DEP_4)
	v_mul_f32_e32 v172, v172, v163
	v_fmac_f32_e32 v171, v173, v119
	v_cndmask_b32_e64 v175, 0, 0x42800000, s46
	s_delay_alu instid0(VALU_DEP_4) | instskip(SKIP_3) | instid1(VALU_DEP_3)
	v_fma_f32 v174, v174, v166, v27
	v_cndmask_b32_e64 v25, 0, v25, s39
	v_mul_f32_e32 v176, v172, v164
	v_exp_f32_e32 v171, v171
	v_fma_f32 v174, v174, v167, v24
	s_waitcnt_depctr 0xfff
	v_mul_f32_e32 v171, v171, v170
	v_cndmask_b32_e64 v170, 0, v20, s42
	v_cndmask_b32_e64 v20, 1.0, 0x1f800000, s46
	v_cmp_gt_f32_e64 s46, 0xc2fc0000, v177
	v_fma_f32 v177, v174, v168, v25
	v_cndmask_b32_e64 v172, 1.0, v171, s42
	v_mul_f32_e32 v171, v176, v165
	v_mul_f32_e32 v176, v173, v121
	s_delay_alu instid0(VALU_DEP_1) | instskip(SKIP_1) | instid1(VALU_DEP_1)
	v_cmp_gt_f32_e32 vcc_lo, 0xc2fc0000, v176
	v_cndmask_b32_e64 v176, 0, 0x42800000, vcc_lo
	v_fmac_f32_e32 v176, v173, v121
	s_delay_alu instid0(VALU_DEP_1) | instskip(SKIP_1) | instid1(VALU_DEP_1)
	v_exp_f32_e32 v176, v176
	v_fmac_f32_e32 v175, v173, v120
	v_exp_f32_e32 v175, v175
	s_waitcnt_depctr 0xfff
	v_mul_f32_e32 v20, v175, v20
	v_mul_f32_e32 v175, v171, v166
	v_cndmask_b32_e64 v171, 0, v21, s43
	s_delay_alu instid0(VALU_DEP_3) | instskip(NEXT) | instid1(VALU_DEP_3)
	v_cndmask_b32_e64 v174, 1.0, v20, s43
	v_mul_f32_e32 v21, v175, v167
	v_cndmask_b32_e64 v175, 0, 0x42800000, s46
	s_delay_alu instid0(VALU_DEP_1) | instskip(SKIP_1) | instid1(VALU_DEP_2)
	v_fmac_f32_e32 v175, v173, v138
	v_cndmask_b32_e64 v173, 1.0, 0x1f800000, vcc_lo
	v_exp_f32_e32 v175, v175
	s_delay_alu instid0(VALU_DEP_1) | instskip(SKIP_3) | instid1(VALU_DEP_4)
	v_mul_f32_e32 v176, v176, v173
	v_cndmask_b32_e64 v173, 0, v18, s44
	v_cndmask_b32_e64 v18, 1.0, 0x1f800000, s46
	v_mul_f32_e32 v21, v21, v168
	v_cndmask_b32_e64 v176, 1.0, v176, s44
	s_waitcnt_depctr 0xfff
	v_mul_f32_e32 v18, v175, v18
	v_mul_f32_e32 v20, v21, v169
	v_fma_f32 v21, v177, v169, v22
	v_cndmask_b32_e64 v175, 0, v19, s45
	s_delay_alu instid0(VALU_DEP_4) | instskip(NEXT) | instid1(VALU_DEP_4)
	v_cndmask_b32_e64 v177, 1.0, v18, s45
	v_mul_f32_e32 v20, v20, v178
	s_delay_alu instid0(VALU_DEP_4) | instskip(NEXT) | instid1(VALU_DEP_2)
	v_fma_f32 v21, v21, v178, v23
	v_mul_f32_e32 v20, v20, v172
	s_delay_alu instid0(VALU_DEP_2) | instskip(NEXT) | instid1(VALU_DEP_2)
	v_fma_f32 v21, v21, v172, v170
	v_mul_f32_e32 v20, v20, v174
	s_delay_alu instid0(VALU_DEP_2) | instskip(NEXT) | instid1(VALU_DEP_2)
	;; [unrolled: 3-line block ×4, first 2 shown]
	v_fma_f32 v19, v19, v177, v175
	v_mov_b32_dpp v21, v18 row_shr:1 row_mask:0xf bank_mask:0xf
	s_delay_alu instid0(VALU_DEP_2)
	v_mov_b32_dpp v20, v19 row_shr:1 row_mask:0xf bank_mask:0xf
	s_and_saveexec_b32 s46, s0
; %bb.180:                              ;   in Loop: Header=BB154_109 Depth=2
	s_delay_alu instid0(VALU_DEP_2) | instskip(NEXT) | instid1(VALU_DEP_1)
	v_mul_f32_e32 v21, v18, v21
	v_dual_fmac_f32 v19, v18, v20 :: v_dual_mov_b32 v18, v21
; %bb.181:                              ;   in Loop: Header=BB154_109 Depth=2
	s_or_b32 exec_lo, exec_lo, s46
	s_delay_alu instid0(VALU_DEP_1) | instskip(NEXT) | instid1(VALU_DEP_2)
	v_mov_b32_dpp v20, v18 row_shr:2 row_mask:0xf bank_mask:0xf
	v_mov_b32_dpp v21, v19 row_shr:2 row_mask:0xf bank_mask:0xf
	s_and_saveexec_b32 s46, s1
; %bb.182:                              ;   in Loop: Header=BB154_109 Depth=2
	s_delay_alu instid0(VALU_DEP_1) | instskip(NEXT) | instid1(VALU_DEP_3)
	v_fmac_f32_e32 v19, v18, v21
	v_mul_f32_e32 v18, v18, v20
; %bb.183:                              ;   in Loop: Header=BB154_109 Depth=2
	s_or_b32 exec_lo, exec_lo, s46
	s_delay_alu instid0(VALU_DEP_1) | instskip(NEXT) | instid1(VALU_DEP_3)
	v_mov_b32_dpp v20, v18 row_shr:4 row_mask:0xf bank_mask:0xf
	v_mov_b32_dpp v21, v19 row_shr:4 row_mask:0xf bank_mask:0xf
	s_and_saveexec_b32 s46, s2
; %bb.184:                              ;   in Loop: Header=BB154_109 Depth=2
	s_delay_alu instid0(VALU_DEP_1) | instskip(NEXT) | instid1(VALU_DEP_3)
	v_fmac_f32_e32 v19, v18, v21
	v_mul_f32_e32 v18, v18, v20
; %bb.185:                              ;   in Loop: Header=BB154_109 Depth=2
	s_or_b32 exec_lo, exec_lo, s46
	s_delay_alu instid0(VALU_DEP_1) | instskip(NEXT) | instid1(VALU_DEP_3)
	v_mov_b32_dpp v20, v18 row_shr:8 row_mask:0xf bank_mask:0xf
	v_mov_b32_dpp v21, v19 row_shr:8 row_mask:0xf bank_mask:0xf
	s_and_saveexec_b32 s46, s3
; %bb.186:                              ;   in Loop: Header=BB154_109 Depth=2
	s_delay_alu instid0(VALU_DEP_1) | instskip(NEXT) | instid1(VALU_DEP_3)
	v_fmac_f32_e32 v19, v18, v21
	v_mul_f32_e32 v18, v18, v20
; %bb.187:                              ;   in Loop: Header=BB154_109 Depth=2
	s_or_b32 exec_lo, exec_lo, s46
	ds_swizzle_b32 v21, v18 offset:swizzle(BROADCAST,32,15)
	ds_swizzle_b32 v20, v19 offset:swizzle(BROADCAST,32,15)
	s_and_saveexec_b32 s46, s4
	s_cbranch_execz .LBB154_189
; %bb.188:                              ;   in Loop: Header=BB154_109 Depth=2
	s_waitcnt lgkmcnt(1)
	v_mul_f32_e32 v21, v18, v21
	s_waitcnt lgkmcnt(0)
	s_delay_alu instid0(VALU_DEP_1)
	v_dual_fmac_f32 v19, v18, v20 :: v_dual_mov_b32 v18, v21
.LBB154_189:                            ;   in Loop: Header=BB154_109 Depth=2
	s_or_b32 exec_lo, exec_lo, s46
	s_and_saveexec_b32 s46, s5
	s_cbranch_execz .LBB154_191
; %bb.190:                              ;   in Loop: Header=BB154_109 Depth=2
	ds_store_b64 v86, v[18:19] offset:16896
.LBB154_191:                            ;   in Loop: Header=BB154_109 Depth=2
	s_or_b32 exec_lo, exec_lo, s46
	s_waitcnt vmcnt(0) lgkmcnt(0)
	s_waitcnt_vscnt null, 0x0
	s_barrier
	buffer_gl0_inv
	s_and_saveexec_b32 s46, s6
	s_cbranch_execz .LBB154_195
; %bb.192:                              ;   in Loop: Header=BB154_109 Depth=2
	ds_load_b64 v[20:21], v87 offset:16896
	s_waitcnt lgkmcnt(0)
	v_mov_b32_dpp v181, v20 row_shr:1 row_mask:0xf bank_mask:0xf
	v_mov_b32_dpp v180, v21 row_shr:1 row_mask:0xf bank_mask:0xf
	v_mov_b32_e32 v179, v20
	s_and_saveexec_b32 s47, s7
; %bb.193:                              ;   in Loop: Header=BB154_109 Depth=2
	s_delay_alu instid0(VALU_DEP_3) | instskip(NEXT) | instid1(VALU_DEP_1)
	v_mul_f32_e32 v179, v20, v181
	v_dual_fmac_f32 v21, v20, v180 :: v_dual_mov_b32 v20, v179
; %bb.194:                              ;   in Loop: Header=BB154_109 Depth=2
	s_or_b32 exec_lo, exec_lo, s47
	v_mov_b32_dpp v179, v179 row_shr:2 row_mask:0xf bank_mask:0xf
	s_delay_alu instid0(VALU_DEP_2) | instskip(NEXT) | instid1(VALU_DEP_2)
	v_mov_b32_dpp v180, v21 row_shr:2 row_mask:0xf bank_mask:0xf
	v_mul_f32_e32 v179, v20, v179
	s_delay_alu instid0(VALU_DEP_2) | instskip(NEXT) | instid1(VALU_DEP_2)
	v_fma_f32 v180, v20, v180, v21
	v_cndmask_b32_e64 v20, v20, v179, s8
	s_delay_alu instid0(VALU_DEP_2)
	v_cndmask_b32_e64 v21, v21, v180, s8
	ds_store_b64 v87, v[20:21] offset:16896
.LBB154_195:                            ;   in Loop: Header=BB154_109 Depth=2
	s_or_b32 exec_lo, exec_lo, s46
	s_waitcnt lgkmcnt(0)
	s_barrier
	buffer_gl0_inv
                                        ; implicit-def: $vgpr21
	s_and_saveexec_b32 s46, s10
	s_cbranch_execz .LBB154_197
; %bb.196:                              ;   in Loop: Header=BB154_109 Depth=2
	ds_load_b64 v[20:21], v86 offset:16888
	s_waitcnt lgkmcnt(0)
	v_mul_f32_e32 v179, v18, v20
	s_delay_alu instid0(VALU_DEP_1)
	v_dual_fmac_f32 v19, v18, v21 :: v_dual_mov_b32 v18, v179
.LBB154_197:                            ;   in Loop: Header=BB154_109 Depth=2
	s_or_b32 exec_lo, exec_lo, s46
	ds_bpermute_b32 v179, v88, v18
	ds_bpermute_b32 v180, v88, v19
	s_and_saveexec_b32 s46, s9
	s_cbranch_execz .LBB154_201
; %bb.198:                              ;   in Loop: Header=BB154_109 Depth=2
	ds_load_b64 v[18:19], v37 offset:16920
	s_and_saveexec_b32 s47, s11
	s_cbranch_execz .LBB154_200
; %bb.199:                              ;   in Loop: Header=BB154_109 Depth=2
	ds_store_b64 v37, v[16:17] offset:16920
.LBB154_200:                            ;   in Loop: Header=BB154_109 Depth=2
	s_or_b32 exec_lo, exec_lo, s47
	s_waitcnt lgkmcnt(0)
	v_fmac_f32_e32 v19, v17, v18
	s_delay_alu instid0(VALU_DEP_1)
	v_dual_mul_f32 v16, v16, v18 :: v_dual_mov_b32 v17, v19
.LBB154_201:                            ;   in Loop: Header=BB154_109 Depth=2
	s_or_b32 exec_lo, exec_lo, s46
	s_waitcnt lgkmcnt(0)
	s_barrier
	buffer_gl0_inv
	ds_load_b32 v18, v37 offset:16924
	s_and_saveexec_b32 s46, s11
	s_cbranch_execz .LBB154_108
; %bb.202:                              ;   in Loop: Header=BB154_109 Depth=2
	v_mov_b32_e32 v19, s90
	s_and_not1_b32 vcc_lo, exec_lo, s88
	ds_store_b64 v19, v[16:17]
	s_cbranch_vccnz .LBB154_108
; %bb.203:                              ;   in Loop: Header=BB154_109 Depth=2
	s_mov_b32 s61, s65
	s_delay_alu instid0(SALU_CYCLE_1) | instskip(NEXT) | instid1(SALU_CYCLE_1)
	s_lshl_b64 s[92:93], s[60:61], 2
	s_add_u32 s92, s77, s92
	s_addc_u32 s93, s78, s93
	global_store_b32 v37, v17, s[92:93]
	s_branch .LBB154_108
.LBB154_204:                            ;   in Loop: Header=BB154_12 Depth=1
	s_waitcnt_vscnt null, 0x0
	s_barrier
	buffer_gl0_inv
	ds_store_2addr_b32 v69, v137, v136 offset1:1
	ds_store_2addr_b32 v69, v135, v134 offset0:2 offset1:3
	ds_store_2addr_b32 v69, v132, v131 offset0:4 offset1:5
	;; [unrolled: 1-line block ×7, first 2 shown]
	; wave barrier
	ds_load_b32 v16, v54 offset:128
	ds_load_b32 v15, v55 offset:256
	;; [unrolled: 1-line block ×15, first 2 shown]
	s_mov_b32 s51, s65
	s_delay_alu instid0(SALU_CYCLE_1) | instskip(NEXT) | instid1(SALU_CYCLE_1)
	s_lshl_b64 s[30:31], s[50:51], 2
	v_add_co_u32 v0, vcc_lo, v89, s30
	v_add_co_ci_u32_e32 v1, vcc_lo, s31, v90, vcc_lo
	s_and_saveexec_b32 s29, s13
	s_cbranch_execnz .LBB154_222
; %bb.205:                              ;   in Loop: Header=BB154_12 Depth=1
	s_or_b32 exec_lo, exec_lo, s29
	s_and_saveexec_b32 s13, s14
	s_cbranch_execnz .LBB154_223
.LBB154_206:                            ;   in Loop: Header=BB154_12 Depth=1
	s_or_b32 exec_lo, exec_lo, s13
	s_and_saveexec_b32 s13, s15
	s_cbranch_execnz .LBB154_224
.LBB154_207:                            ;   in Loop: Header=BB154_12 Depth=1
	s_or_b32 exec_lo, exec_lo, s13
	s_and_saveexec_b32 s13, s16
	s_cbranch_execnz .LBB154_225
.LBB154_208:                            ;   in Loop: Header=BB154_12 Depth=1
	s_or_b32 exec_lo, exec_lo, s13
	s_and_saveexec_b32 s13, s17
	s_cbranch_execnz .LBB154_226
.LBB154_209:                            ;   in Loop: Header=BB154_12 Depth=1
	s_or_b32 exec_lo, exec_lo, s13
	s_and_saveexec_b32 s13, s18
	s_cbranch_execnz .LBB154_227
.LBB154_210:                            ;   in Loop: Header=BB154_12 Depth=1
	s_or_b32 exec_lo, exec_lo, s13
	s_and_saveexec_b32 s13, s19
	s_cbranch_execnz .LBB154_228
.LBB154_211:                            ;   in Loop: Header=BB154_12 Depth=1
	s_or_b32 exec_lo, exec_lo, s13
	s_and_saveexec_b32 s13, s20
	s_cbranch_execnz .LBB154_229
.LBB154_212:                            ;   in Loop: Header=BB154_12 Depth=1
	s_or_b32 exec_lo, exec_lo, s13
	s_and_saveexec_b32 s13, s21
	s_cbranch_execnz .LBB154_230
.LBB154_213:                            ;   in Loop: Header=BB154_12 Depth=1
	s_or_b32 exec_lo, exec_lo, s13
	s_and_saveexec_b32 s13, s22
	s_cbranch_execnz .LBB154_231
.LBB154_214:                            ;   in Loop: Header=BB154_12 Depth=1
	s_or_b32 exec_lo, exec_lo, s13
	s_and_saveexec_b32 s13, s23
	s_cbranch_execnz .LBB154_232
.LBB154_215:                            ;   in Loop: Header=BB154_12 Depth=1
	s_or_b32 exec_lo, exec_lo, s13
	s_and_saveexec_b32 s13, s24
	s_cbranch_execnz .LBB154_233
.LBB154_216:                            ;   in Loop: Header=BB154_12 Depth=1
	s_or_b32 exec_lo, exec_lo, s13
	s_and_saveexec_b32 s13, s25
	s_cbranch_execnz .LBB154_234
.LBB154_217:                            ;   in Loop: Header=BB154_12 Depth=1
	s_or_b32 exec_lo, exec_lo, s13
	s_and_saveexec_b32 s13, s26
	s_cbranch_execnz .LBB154_235
.LBB154_218:                            ;   in Loop: Header=BB154_12 Depth=1
	s_or_b32 exec_lo, exec_lo, s13
	s_and_saveexec_b32 s13, s27
	s_cbranch_execnz .LBB154_236
.LBB154_219:                            ;   in Loop: Header=BB154_12 Depth=1
	s_or_b32 exec_lo, exec_lo, s13
	s_and_saveexec_b32 s13, s28
	s_cbranch_execz .LBB154_11
	s_branch .LBB154_237
.LBB154_220:                            ;   in Loop: Header=BB154_12 Depth=1
	global_load_b32 v33, v[16:17], off offset:1664
	s_or_b32 exec_lo, exec_lo, s29
	s_and_saveexec_b32 s29, s27
	s_cbranch_execz .LBB154_72
.LBB154_221:                            ;   in Loop: Header=BB154_12 Depth=1
	global_load_b32 v31, v[16:17], off offset:1792
	s_or_b32 exec_lo, exec_lo, s29
	v_mov_b32_e32 v107, 0
	s_and_saveexec_b32 s29, s28
	s_cbranch_execnz .LBB154_73
	s_branch .LBB154_74
.LBB154_222:                            ;   in Loop: Header=BB154_12 Depth=1
	ds_load_b32 v17, v53
	s_waitcnt lgkmcnt(0)
	global_store_b32 v[0:1], v17, off
	s_or_b32 exec_lo, exec_lo, s29
	s_and_saveexec_b32 s13, s14
	s_cbranch_execz .LBB154_206
.LBB154_223:                            ;   in Loop: Header=BB154_12 Depth=1
	s_waitcnt lgkmcnt(14)
	global_store_b32 v[0:1], v16, off offset:128
	s_or_b32 exec_lo, exec_lo, s13
	s_and_saveexec_b32 s13, s15
	s_cbranch_execz .LBB154_207
.LBB154_224:                            ;   in Loop: Header=BB154_12 Depth=1
	s_waitcnt lgkmcnt(13)
	global_store_b32 v[0:1], v15, off offset:256
	s_or_b32 exec_lo, exec_lo, s13
	s_and_saveexec_b32 s13, s16
	s_cbranch_execz .LBB154_208
.LBB154_225:                            ;   in Loop: Header=BB154_12 Depth=1
	s_waitcnt lgkmcnt(12)
	global_store_b32 v[0:1], v14, off offset:384
	s_or_b32 exec_lo, exec_lo, s13
	s_and_saveexec_b32 s13, s17
	s_cbranch_execz .LBB154_209
.LBB154_226:                            ;   in Loop: Header=BB154_12 Depth=1
	s_waitcnt lgkmcnt(11)
	global_store_b32 v[0:1], v13, off offset:512
	s_or_b32 exec_lo, exec_lo, s13
	s_and_saveexec_b32 s13, s18
	s_cbranch_execz .LBB154_210
.LBB154_227:                            ;   in Loop: Header=BB154_12 Depth=1
	s_waitcnt lgkmcnt(10)
	global_store_b32 v[0:1], v12, off offset:640
	s_or_b32 exec_lo, exec_lo, s13
	s_and_saveexec_b32 s13, s19
	s_cbranch_execz .LBB154_211
.LBB154_228:                            ;   in Loop: Header=BB154_12 Depth=1
	s_waitcnt lgkmcnt(9)
	global_store_b32 v[0:1], v11, off offset:768
	s_or_b32 exec_lo, exec_lo, s13
	s_and_saveexec_b32 s13, s20
	s_cbranch_execz .LBB154_212
.LBB154_229:                            ;   in Loop: Header=BB154_12 Depth=1
	s_waitcnt lgkmcnt(8)
	global_store_b32 v[0:1], v10, off offset:896
	s_or_b32 exec_lo, exec_lo, s13
	s_and_saveexec_b32 s13, s21
	s_cbranch_execz .LBB154_213
.LBB154_230:                            ;   in Loop: Header=BB154_12 Depth=1
	s_waitcnt lgkmcnt(7)
	global_store_b32 v[0:1], v9, off offset:1024
	s_or_b32 exec_lo, exec_lo, s13
	s_and_saveexec_b32 s13, s22
	s_cbranch_execz .LBB154_214
.LBB154_231:                            ;   in Loop: Header=BB154_12 Depth=1
	s_waitcnt lgkmcnt(6)
	global_store_b32 v[0:1], v8, off offset:1152
	s_or_b32 exec_lo, exec_lo, s13
	s_and_saveexec_b32 s13, s23
	s_cbranch_execz .LBB154_215
.LBB154_232:                            ;   in Loop: Header=BB154_12 Depth=1
	s_waitcnt lgkmcnt(5)
	global_store_b32 v[0:1], v7, off offset:1280
	s_or_b32 exec_lo, exec_lo, s13
	s_and_saveexec_b32 s13, s24
	s_cbranch_execz .LBB154_216
.LBB154_233:                            ;   in Loop: Header=BB154_12 Depth=1
	s_waitcnt lgkmcnt(4)
	global_store_b32 v[0:1], v6, off offset:1408
	s_or_b32 exec_lo, exec_lo, s13
	s_and_saveexec_b32 s13, s25
	s_cbranch_execz .LBB154_217
.LBB154_234:                            ;   in Loop: Header=BB154_12 Depth=1
	s_waitcnt lgkmcnt(3)
	global_store_b32 v[0:1], v5, off offset:1536
	s_or_b32 exec_lo, exec_lo, s13
	s_and_saveexec_b32 s13, s26
	s_cbranch_execz .LBB154_218
.LBB154_235:                            ;   in Loop: Header=BB154_12 Depth=1
	s_waitcnt lgkmcnt(2)
	global_store_b32 v[0:1], v4, off offset:1664
	s_or_b32 exec_lo, exec_lo, s13
	s_and_saveexec_b32 s13, s27
	s_cbranch_execz .LBB154_219
.LBB154_236:                            ;   in Loop: Header=BB154_12 Depth=1
	s_waitcnt lgkmcnt(1)
	global_store_b32 v[0:1], v3, off offset:1792
	s_or_b32 exec_lo, exec_lo, s13
	s_and_saveexec_b32 s13, s28
	s_cbranch_execz .LBB154_11
.LBB154_237:                            ;   in Loop: Header=BB154_12 Depth=1
	s_waitcnt lgkmcnt(0)
	global_store_b32 v[0:1], v2, off offset:1920
	s_branch .LBB154_11
.LBB154_238:
	s_nop 0
	s_sendmsg sendmsg(MSG_DEALLOC_VGPRS)
	s_endpgm
	.section	.rodata,"a",@progbits
	.p2align	6, 0x0
	.amdhsa_kernel _Z25selective_scan_fwd_kernelI32Selective_Scan_fwd_kernel_traitsILi128ELi16ELi1ELb1ELb1ELb1ELb0ELb1EfffEEv13SSMParamsBase
		.amdhsa_group_segment_fixed_size 0
		.amdhsa_private_segment_fixed_size 0
		.amdhsa_kernarg_size 248
		.amdhsa_user_sgpr_count 14
		.amdhsa_user_sgpr_dispatch_ptr 0
		.amdhsa_user_sgpr_queue_ptr 0
		.amdhsa_user_sgpr_kernarg_segment_ptr 1
		.amdhsa_user_sgpr_dispatch_id 0
		.amdhsa_user_sgpr_private_segment_size 0
		.amdhsa_wavefront_size32 1
		.amdhsa_uses_dynamic_stack 0
		.amdhsa_enable_private_segment 0
		.amdhsa_system_sgpr_workgroup_id_x 1
		.amdhsa_system_sgpr_workgroup_id_y 1
		.amdhsa_system_sgpr_workgroup_id_z 0
		.amdhsa_system_sgpr_workgroup_info 0
		.amdhsa_system_vgpr_workitem_id 0
		.amdhsa_next_free_vgpr 182
		.amdhsa_next_free_sgpr 94
		.amdhsa_reserve_vcc 1
		.amdhsa_float_round_mode_32 0
		.amdhsa_float_round_mode_16_64 0
		.amdhsa_float_denorm_mode_32 3
		.amdhsa_float_denorm_mode_16_64 3
		.amdhsa_dx10_clamp 1
		.amdhsa_ieee_mode 1
		.amdhsa_fp16_overflow 0
		.amdhsa_workgroup_processor_mode 1
		.amdhsa_memory_ordered 1
		.amdhsa_forward_progress 0
		.amdhsa_shared_vgpr_count 0
		.amdhsa_exception_fp_ieee_invalid_op 0
		.amdhsa_exception_fp_denorm_src 0
		.amdhsa_exception_fp_ieee_div_zero 0
		.amdhsa_exception_fp_ieee_overflow 0
		.amdhsa_exception_fp_ieee_underflow 0
		.amdhsa_exception_fp_ieee_inexact 0
		.amdhsa_exception_int_div_zero 0
	.end_amdhsa_kernel
	.section	.text._Z25selective_scan_fwd_kernelI32Selective_Scan_fwd_kernel_traitsILi128ELi16ELi1ELb1ELb1ELb1ELb0ELb1EfffEEv13SSMParamsBase,"axG",@progbits,_Z25selective_scan_fwd_kernelI32Selective_Scan_fwd_kernel_traitsILi128ELi16ELi1ELb1ELb1ELb1ELb0ELb1EfffEEv13SSMParamsBase,comdat
.Lfunc_end154:
	.size	_Z25selective_scan_fwd_kernelI32Selective_Scan_fwd_kernel_traitsILi128ELi16ELi1ELb1ELb1ELb1ELb0ELb1EfffEEv13SSMParamsBase, .Lfunc_end154-_Z25selective_scan_fwd_kernelI32Selective_Scan_fwd_kernel_traitsILi128ELi16ELi1ELb1ELb1ELb1ELb0ELb1EfffEEv13SSMParamsBase
                                        ; -- End function
	.section	.AMDGPU.csdata,"",@progbits
; Kernel info:
; codeLenInByte = 20616
; NumSgprs: 96
; NumVgprs: 182
; ScratchSize: 0
; MemoryBound: 0
; FloatMode: 240
; IeeeMode: 1
; LDSByteSize: 0 bytes/workgroup (compile time only)
; SGPRBlocks: 11
; VGPRBlocks: 22
; NumSGPRsForWavesPerEU: 96
; NumVGPRsForWavesPerEU: 182
; Occupancy: 8
; WaveLimiterHint : 1
; COMPUTE_PGM_RSRC2:SCRATCH_EN: 0
; COMPUTE_PGM_RSRC2:USER_SGPR: 14
; COMPUTE_PGM_RSRC2:TRAP_HANDLER: 0
; COMPUTE_PGM_RSRC2:TGID_X_EN: 1
; COMPUTE_PGM_RSRC2:TGID_Y_EN: 1
; COMPUTE_PGM_RSRC2:TGID_Z_EN: 0
; COMPUTE_PGM_RSRC2:TIDIG_COMP_CNT: 0
	.section	.text._Z25selective_scan_fwd_kernelI32Selective_Scan_fwd_kernel_traitsILi128ELi16ELi1ELb1ELb1ELb1ELb0ELb0EfffEEv13SSMParamsBase,"axG",@progbits,_Z25selective_scan_fwd_kernelI32Selective_Scan_fwd_kernel_traitsILi128ELi16ELi1ELb1ELb1ELb1ELb0ELb0EfffEEv13SSMParamsBase,comdat
	.protected	_Z25selective_scan_fwd_kernelI32Selective_Scan_fwd_kernel_traitsILi128ELi16ELi1ELb1ELb1ELb1ELb0ELb0EfffEEv13SSMParamsBase ; -- Begin function _Z25selective_scan_fwd_kernelI32Selective_Scan_fwd_kernel_traitsILi128ELi16ELi1ELb1ELb1ELb1ELb0ELb0EfffEEv13SSMParamsBase
	.globl	_Z25selective_scan_fwd_kernelI32Selective_Scan_fwd_kernel_traitsILi128ELi16ELi1ELb1ELb1ELb1ELb0ELb0EfffEEv13SSMParamsBase
	.p2align	8
	.type	_Z25selective_scan_fwd_kernelI32Selective_Scan_fwd_kernel_traitsILi128ELi16ELi1ELb1ELb1ELb1ELb0ELb0EfffEEv13SSMParamsBase,@function
_Z25selective_scan_fwd_kernelI32Selective_Scan_fwd_kernel_traitsILi128ELi16ELi1ELb1ELb1ELb1ELb0ELb0EfffEEv13SSMParamsBase: ; @_Z25selective_scan_fwd_kernelI32Selective_Scan_fwd_kernel_traitsILi128ELi16ELi1ELb1ELb1ELb1ELb0ELb0EfffEEv13SSMParamsBase
; %bb.0:
	s_clause 0x1
	s_load_b32 s9, s[0:1], 0x18
	s_load_b128 s[4:7], s[0:1], 0xe8
	s_mov_b32 s34, s15
	s_mov_b32 s56, 0
	s_waitcnt lgkmcnt(0)
	s_abs_i32 s8, s9
	s_cmp_eq_u64 s[6:7], 0
	v_cvt_f32_u32_e32 v1, s8
	s_delay_alu instid0(VALU_DEP_1) | instskip(SKIP_2) | instid1(VALU_DEP_1)
	v_rcp_iflag_f32_e32 v1, v1
	s_waitcnt_depctr 0xfff
	v_mul_f32_e32 v1, 0x4f7ffffe, v1
	v_cvt_u32_f32_e32 v1, v1
	s_delay_alu instid0(VALU_DEP_1)
	v_readfirstlane_b32 s10, v1
	s_cbranch_scc1 .LBB155_2
; %bb.1:
	v_mov_b32_e32 v1, 0
	s_ashr_i32 s3, s14, 31
	s_add_u32 s2, s6, s14
	s_addc_u32 s3, s7, s3
	global_load_u8 v1, v1, s[2:3]
	s_waitcnt vmcnt(0)
	v_and_b32_e32 v1, 1, v1
	s_delay_alu instid0(VALU_DEP_1)
	v_cmp_eq_u32_e64 s56, 1, v1
.LBB155_2:
	s_load_b64 s[6:7], s[0:1], 0x20
	s_cmp_eq_u64 s[4:5], 0
	s_cbranch_scc1 .LBB155_4
; %bb.3:
	s_ashr_i32 s15, s14, 31
	s_delay_alu instid0(SALU_CYCLE_1) | instskip(NEXT) | instid1(SALU_CYCLE_1)
	s_lshl_b64 s[2:3], s[14:15], 2
	s_add_u32 s2, s4, s2
	s_addc_u32 s3, s5, s3
	s_load_b32 s2, s[2:3], 0x0
	s_waitcnt lgkmcnt(0)
	s_ashr_i32 s3, s2, 31
	s_delay_alu instid0(SALU_CYCLE_1)
	s_cmp_eq_u64 s[6:7], s[2:3]
	s_cbranch_scc0 .LBB155_5
	s_branch .LBB155_94
.LBB155_4:
	s_mov_b32 s2, s14
	s_delay_alu instid0(SALU_CYCLE_1)
	s_ashr_i32 s3, s2, 31
	s_waitcnt lgkmcnt(0)
	s_cmp_eq_u64 s[6:7], s[2:3]
	s_cbranch_scc1 .LBB155_94
.LBB155_5:
	s_clause 0x1
	s_load_b512 s[16:31], s[0:1], 0x88
	s_load_b64 s[52:53], s[0:1], 0x8
	s_mov_b32 s57, 0
	s_mov_b32 s58, 0
	s_waitcnt lgkmcnt(0)
	s_cmp_eq_u64 s[22:23], 0
	s_cbranch_scc1 .LBB155_7
; %bb.6:
	s_ashr_i32 s35, s34, 31
	s_delay_alu instid0(SALU_CYCLE_1) | instskip(NEXT) | instid1(SALU_CYCLE_1)
	s_lshl_b64 s[4:5], s[34:35], 2
	s_add_u32 s4, s22, s4
	s_addc_u32 s5, s23, s5
	s_load_b32 s58, s[4:5], 0x0
.LBB155_7:
	s_cmp_eq_u64 s[28:29], 0
	s_cbranch_scc1 .LBB155_9
; %bb.8:
	s_ashr_i32 s35, s34, 31
	s_delay_alu instid0(SALU_CYCLE_1) | instskip(NEXT) | instid1(SALU_CYCLE_1)
	s_lshl_b64 s[4:5], s[34:35], 2
	s_add_u32 s4, s28, s4
	s_addc_u32 s5, s29, s5
	s_load_b32 s57, s[4:5], 0x0
.LBB155_9:
	s_cmp_lt_i32 s52, 1
	s_cbranch_scc1 .LBB155_94
; %bb.10:
	s_sub_i32 s3, 0, s8
	s_clause 0x1
	s_load_b64 s[4:5], s[0:1], 0x5c
	s_load_b128 s[44:47], s[0:1], 0x4c
	s_mul_i32 s3, s3, s10
	s_abs_i32 s6, s34
	s_mul_hi_u32 s3, s10, s3
	s_ashr_i32 s9, s9, 31
	s_add_i32 s10, s10, s3
	s_ashr_i32 s3, s34, 31
	s_mul_hi_u32 s7, s6, s10
	s_xor_b32 s3, s3, s9
	s_mul_i32 s10, s7, s8
	s_add_i32 s9, s7, 1
	s_sub_i32 s6, s6, s10
	s_load_b256 s[36:43], s[0:1], 0x2c
	s_sub_i32 s10, s6, s8
	s_cmp_ge_u32 s6, s8
	s_mov_b32 s55, 0
	s_cselect_b32 s7, s9, s7
	s_cselect_b32 s6, s10, s6
	s_add_i32 s9, s7, 1
	s_cmp_ge_u32 s6, s8
	s_waitcnt lgkmcnt(0)
	s_mul_i32 s54, s46, s14
	s_cselect_b32 s6, s9, s7
	s_load_b128 s[48:51], s[0:1], 0x7c
	s_xor_b32 s8, s6, s3
	s_lshl_b64 s[6:7], s[54:55], 2
	s_sub_i32 s3, s8, s3
	s_mul_i32 s54, s47, s34
	s_add_u32 s8, s24, s6
	s_addc_u32 s9, s25, s7
	s_lshl_b64 s[6:7], s[54:55], 2
	s_mul_i32 s54, s4, s14
	s_add_u32 s59, s8, s6
	s_addc_u32 s60, s9, s7
	s_lshl_b64 s[6:7], s[54:55], 2
	;; [unrolled: 4-line block ×3, first 2 shown]
	s_mul_i32 s54, s36, s34
	s_add_u32 s61, s6, s4
	s_addc_u32 s62, s7, s5
	s_load_b64 s[6:7], s[0:1], 0xc8
	s_lshl_b64 s[4:5], s[54:55], 2
	s_mul_i32 s54, s38, s14
	s_add_u32 s63, s16, s4
	s_waitcnt lgkmcnt(0)
	s_addc_u32 s51, s17, s5
	s_load_b64 s[16:17], s[0:1], 0x6c
	s_lshl_b64 s[4:5], s[54:55], 2
	s_mul_i32 s54, s3, s41
	s_add_u32 s8, s18, s4
	s_addc_u32 s9, s19, s5
	s_lshl_b64 s[4:5], s[54:55], 2
	s_mul_i32 s54, s42, s14
	s_add_u32 s41, s8, s4
	s_addc_u32 s64, s9, s5
	;; [unrolled: 4-line block ×4, first 2 shown]
	s_lshl_b64 s[2:3], s[54:55], 2
	v_dual_mov_b32 v82, 0 :: v_dual_lshlrev_b32 v1, 2, v0
	s_mul_i32 s54, s49, s34
	s_add_u32 s4, s6, s2
	s_addc_u32 s5, s7, s3
	s_lshl_b64 s[2:3], s[54:55], 2
	v_mbcnt_lo_u32_b32 v2, -1, 0
	s_add_u32 s66, s4, s2
	s_load_b32 s4, s[0:1], 0x28
	v_and_b32_e32 v1, 0x180, v1
	v_and_b32_e32 v8, 0x60, v0
	s_addc_u32 s67, s5, s3
	s_add_i32 s2, s52, 0x7ff
	s_waitcnt lgkmcnt(0)
	s_mul_i32 s54, s16, s14
	v_or_b32_e32 v3, v2, v1
	v_lshrrev_b32_e32 v6, 5, v1
	s_lshr_b32 s68, s2, 11
	v_or_b32_e32 v9, v2, v8
	v_lshlrev_b32_e32 v92, 4, v0
	v_or_b32_e32 v4, 32, v3
	v_or_b32_e32 v5, 64, v3
	;; [unrolled: 1-line block ×3, first 2 shown]
	v_add_nc_u32_e32 v6, v6, v3
	v_cmp_gt_u32_e64 s0, 0x200, v3
	v_cmp_gt_u32_e64 s1, 0x200, v4
	;; [unrolled: 1-line block ×3, first 2 shown]
	v_lshrrev_b32_e32 v4, 5, v4
	v_lshrrev_b32_e32 v5, 5, v5
	v_lshl_add_u32 v83, v6, 4, 0
	v_lshrrev_b32_e32 v6, 5, v7
	s_bitcmp1_b32 s4, 0
	v_cmp_gt_u32_e64 s3, 0x200, v7
	v_add_lshl_u32 v4, v4, v3, 4
	v_add_lshl_u32 v5, v5, v3, 4
	v_lshlrev_b32_e32 v7, 2, v9
	v_bfe_u32 v9, v9, 3, 27
	v_add_lshl_u32 v3, v6, v3, 4
	s_cselect_b32 s69, -1, 0
	s_cmp_gt_i32 s53, 0
	v_add_nc_u32_e32 v84, 0, v4
	s_cselect_b32 s70, -1, 0
	s_add_i32 s4, 0, 0x2100
	v_add_lshl_u32 v6, v9, v7, 4
	v_add_nc_u32_e32 v86, 0, v3
	v_add_nc_u32_e32 v90, s4, v3
	v_and_b32_e32 v3, 15, v2
	s_and_b32 s5, s52, 0x7ff
	v_add_nc_u32_e32 v88, s4, v4
	v_add_nc_u32_e32 v89, s4, v5
	s_cmp_eq_u32 s5, 0
	v_add_nc_u32_e32 v91, s4, v6
	v_cmp_ne_u32_e64 s4, 0, v3
	v_cmp_lt_u32_e64 s5, 1, v3
	v_cmp_lt_u32_e64 s6, 3, v3
	;; [unrolled: 1-line block ×3, first 2 shown]
	v_add_nc_u32_e32 v3, -1, v2
	v_lshrrev_b32_e32 v4, 2, v0
	v_add_nc_u32_e32 v87, 0, v6
	s_cselect_b32 s71, -1, 0
	s_lshl_b64 s[18:19], s[54:55], 2
	v_cmp_gt_i32_e32 vcc_lo, 0, v3
	v_and_b32_e32 v4, 24, v4
	s_add_i32 s72, s68, -1
	s_mul_i32 s54, s17, s34
	v_cmp_gt_u32_e64 s10, 4, v0
	v_cndmask_b32_e32 v3, v3, v2, vcc_lo
	v_or_b32_e32 v6, 31, v8
	v_lshl_add_u32 v94, v0, 3, 0
	v_cmp_gt_u32_e64 s13, 32, v0
	v_cmp_lt_u32_e64 s15, 31, v0
	v_cmp_eq_u32_e64 s14, 0, v0
	v_cmp_eq_u32_e64 s9, v6, v0
	s_add_u32 s18, s30, s18
	v_lshlrev_b32_e32 v0, 4, v2
	s_addc_u32 s19, s31, s19
	s_lshl_b64 s[16:17], s[54:55], 2
	v_add_nc_u32_e32 v93, 0, v4
	v_and_b32_e32 v4, 3, v2
	s_add_u32 s16, s18, s16
	v_lshlrev_b32_e32 v95, 2, v3
	s_addc_u32 s17, s19, s17
	v_lshlrev_b32_e32 v3, 4, v1
	v_add_co_u32 v0, s16, s16, v0
	v_add_nc_u32_e32 v85, 0, v5
	v_and_b32_e32 v5, 16, v2
	v_cmp_ne_u32_e64 s11, 0, v4
	v_cmp_lt_u32_e64 s12, 1, v4
	v_add_co_ci_u32_e64 v4, null, s17, 0, s16
	v_add_co_u32 v96, vcc_lo, v0, v3
	v_cmp_ne_u32_e64 s8, 0, v5
	v_cmp_eq_u32_e64 s16, 0, v2
	s_delay_alu instid0(VALU_DEP_4)
	v_add_co_ci_u32_e32 v97, vcc_lo, 0, v4, vcc_lo
	v_or_b32_e32 v98, 1, v92
	v_or_b32_e32 v99, 2, v92
	;; [unrolled: 1-line block ×15, first 2 shown]
	v_lshlrev_b32_e32 v113, 4, v2
	v_lshlrev_b32_e32 v114, 4, v1
	s_mov_b32 s73, 0x3e9b6dac
	s_add_i32 s74, 0, 0x4220
	s_mov_b32 s75, 0
                                        ; implicit-def: $vgpr3
                                        ; implicit-def: $vgpr7
                                        ; implicit-def: $vgpr15
                                        ; implicit-def: $vgpr27
                                        ; implicit-def: $vgpr28
                                        ; implicit-def: $vgpr20
                                        ; implicit-def: $vgpr16
                                        ; implicit-def: $vgpr8
	s_branch .LBB155_12
.LBB155_11:                             ;   in Loop: Header=BB155_12 Depth=1
	s_waitcnt_vscnt null, 0x0
	s_barrier
	buffer_gl0_inv
	ds_store_b128 v87, v[44:47]
	ds_store_b128 v87, v[40:43] offset:16
	ds_store_b128 v87, v[36:39] offset:32
	ds_store_b128 v87, v[32:35] offset:48
	; wave barrier
	ds_load_b128 v[32:35], v83
	ds_load_b128 v[36:39], v84 offset:512
	ds_load_b128 v[40:43], v85 offset:1024
	;; [unrolled: 1-line block ×3, first 2 shown]
	s_add_u32 s61, s61, 0x2000
	s_addc_u32 s62, s62, 0
	s_mov_b32 s39, s55
	s_add_u32 s59, s59, 0x2000
	s_addc_u32 s60, s60, 0
	s_lshl_b64 s[18:19], s[38:39], 2
	s_add_u32 s41, s41, 0x2000
	v_add_co_u32 v48, vcc_lo, v96, s18
	s_addc_u32 s64, s64, 0
	v_add_co_ci_u32_e32 v49, vcc_lo, s19, v97, vcc_lo
	s_add_u32 s45, s45, 0x2000
	s_addc_u32 s65, s65, 0
	s_add_i32 s75, s75, 1
	s_waitcnt lgkmcnt(3)
	global_store_b128 v[48:49], v[32:35], off
	s_waitcnt lgkmcnt(2)
	global_store_b128 v[48:49], v[36:39], off offset:512
	s_cmp_eq_u32 s75, s68
	s_waitcnt lgkmcnt(1)
	global_store_b128 v[48:49], v[40:43], off offset:1024
	s_waitcnt lgkmcnt(0)
	global_store_b128 v[48:49], v[44:47], off offset:1536
	s_cbranch_scc1 .LBB155_94
.LBB155_12:                             ; =>This Loop Header: Depth=1
                                        ;     Child Loop BB155_57 Depth 2
	v_add_co_u32 v32, s17, s59, v113
	s_delay_alu instid0(VALU_DEP_1) | instskip(NEXT) | instid1(VALU_DEP_2)
	v_add_co_ci_u32_e64 v33, null, s60, 0, s17
	v_add_co_u32 v32, vcc_lo, v32, v114
	s_delay_alu instid0(VALU_DEP_2)
	v_add_co_ci_u32_e32 v33, vcc_lo, 0, v33, vcc_lo
	s_waitcnt_vscnt null, 0x0
	s_barrier
	buffer_gl0_inv
	s_and_saveexec_b32 s17, s0
	s_cbranch_execnz .LBB155_88
; %bb.13:                               ;   in Loop: Header=BB155_12 Depth=1
	s_or_b32 exec_lo, exec_lo, s17
	s_and_saveexec_b32 s17, s1
	s_cbranch_execnz .LBB155_89
.LBB155_14:                             ;   in Loop: Header=BB155_12 Depth=1
	s_or_b32 exec_lo, exec_lo, s17
	s_and_saveexec_b32 s17, s2
	s_cbranch_execnz .LBB155_90
.LBB155_15:                             ;   in Loop: Header=BB155_12 Depth=1
	s_or_b32 exec_lo, exec_lo, s17
	s_and_saveexec_b32 s17, s3
	s_cbranch_execz .LBB155_17
.LBB155_16:                             ;   in Loop: Header=BB155_12 Depth=1
	global_load_b128 v[8:11], v[32:33], off offset:1536
.LBB155_17:                             ;   in Loop: Header=BB155_12 Depth=1
	s_or_b32 exec_lo, exec_lo, s17
	s_waitcnt vmcnt(0)
	ds_store_b128 v83, v[28:31]
	ds_store_b128 v84, v[20:23] offset:512
	ds_store_b128 v85, v[16:19] offset:1024
	;; [unrolled: 1-line block ×3, first 2 shown]
	; wave barrier
	ds_load_b128 v[28:31], v87
	ds_load_b128 v[20:23], v87 offset:16
	ds_load_b128 v[16:19], v87 offset:32
	;; [unrolled: 1-line block ×3, first 2 shown]
	v_add_co_u32 v32, s17, s61, v113
	s_delay_alu instid0(VALU_DEP_1) | instskip(SKIP_1) | instid1(VALU_DEP_2)
	v_add_co_ci_u32_e64 v33, null, s62, 0, s17
	s_waitcnt lgkmcnt(0)
	v_add_co_u32 v32, vcc_lo, v32, v114
	s_delay_alu instid0(VALU_DEP_2)
	v_add_co_ci_u32_e32 v33, vcc_lo, 0, v33, vcc_lo
	s_barrier
	buffer_gl0_inv
	s_and_saveexec_b32 s17, s0
	s_cbranch_execnz .LBB155_91
; %bb.18:                               ;   in Loop: Header=BB155_12 Depth=1
	s_or_b32 exec_lo, exec_lo, s17
	s_and_saveexec_b32 s17, s1
	s_cbranch_execnz .LBB155_92
.LBB155_19:                             ;   in Loop: Header=BB155_12 Depth=1
	s_or_b32 exec_lo, exec_lo, s17
	s_and_saveexec_b32 s17, s2
	s_cbranch_execnz .LBB155_93
.LBB155_20:                             ;   in Loop: Header=BB155_12 Depth=1
	s_or_b32 exec_lo, exec_lo, s17
	s_and_saveexec_b32 s17, s3
	s_cbranch_execz .LBB155_22
.LBB155_21:                             ;   in Loop: Header=BB155_12 Depth=1
	global_load_b128 v[0:3], v[32:33], off offset:1536
.LBB155_22:                             ;   in Loop: Header=BB155_12 Depth=1
	s_or_b32 exec_lo, exec_lo, s17
	s_waitcnt vmcnt(0)
	ds_store_b128 v83, v[24:27]
	ds_store_b128 v84, v[12:15] offset:512
	ds_store_b128 v85, v[4:7] offset:1024
	;; [unrolled: 1-line block ×3, first 2 shown]
	; wave barrier
	ds_load_b128 v[24:27], v87
	ds_load_b128 v[12:15], v87 offset:16
	ds_load_b128 v[4:7], v87 offset:32
	;; [unrolled: 1-line block ×3, first 2 shown]
	s_waitcnt lgkmcnt(3)
	v_add_f32_e32 v115, s57, v24
	s_delay_alu instid0(VALU_DEP_1) | instskip(SKIP_1) | instid1(SALU_CYCLE_1)
	v_cmp_ge_f32_e32 vcc_lo, 0x41a00000, v115
	s_and_b32 s17, s69, vcc_lo
	s_and_saveexec_b32 s18, s17
	s_cbranch_execz .LBB155_24
; %bb.23:                               ;   in Loop: Header=BB155_12 Depth=1
	v_mul_f32_e32 v32, 0x3fb8aa3b, v115
	v_cmp_ngt_f32_e32 vcc_lo, 0xc2ce8ed0, v115
	s_delay_alu instid0(VALU_DEP_2) | instskip(SKIP_1) | instid1(VALU_DEP_2)
	v_rndne_f32_e32 v33, v32
	v_fma_f32 v34, 0x3fb8aa3b, v115, -v32
	v_sub_f32_e32 v32, v32, v33
	s_delay_alu instid0(VALU_DEP_2) | instskip(SKIP_1) | instid1(VALU_DEP_2)
	v_fmac_f32_e32 v34, 0x32a5705f, v115
	v_cvt_i32_f32_e32 v33, v33
	v_add_f32_e32 v32, v32, v34
	s_delay_alu instid0(VALU_DEP_1) | instskip(SKIP_2) | instid1(VALU_DEP_1)
	v_exp_f32_e32 v32, v32
	s_waitcnt_depctr 0xfff
	v_ldexp_f32 v32, v32, v33
	v_cndmask_b32_e32 v32, 0, v32, vcc_lo
	v_cmp_nlt_f32_e32 vcc_lo, 0x42b17218, v115
	s_delay_alu instid0(VALU_DEP_2) | instskip(NEXT) | instid1(VALU_DEP_1)
	v_cndmask_b32_e32 v34, 0x7f800000, v32, vcc_lo
	v_add_f32_e32 v35, 1.0, v34
	s_delay_alu instid0(VALU_DEP_1) | instskip(NEXT) | instid1(VALU_DEP_1)
	v_cvt_f64_f32_e32 v[32:33], v35
	v_frexp_exp_i32_f64_e32 v32, v[32:33]
	v_frexp_mant_f32_e32 v33, v35
	s_delay_alu instid0(VALU_DEP_1) | instskip(SKIP_1) | instid1(VALU_DEP_1)
	v_cmp_gt_f32_e32 vcc_lo, 0x3f2aaaab, v33
	v_add_f32_e32 v33, -1.0, v35
	v_sub_f32_e32 v37, v33, v35
	v_sub_f32_e32 v33, v34, v33
	s_delay_alu instid0(VALU_DEP_2) | instskip(NEXT) | instid1(VALU_DEP_1)
	v_add_f32_e32 v37, 1.0, v37
	v_add_f32_e32 v33, v33, v37
	v_cmp_gt_f32_e64 s17, 0x33800000, v34
	v_subrev_co_ci_u32_e32 v32, vcc_lo, 0, v32, vcc_lo
	v_cmp_eq_f32_e32 vcc_lo, 0x7f800000, v34
	s_delay_alu instid0(VALU_DEP_2) | instskip(SKIP_2) | instid1(VALU_DEP_2)
	v_sub_nc_u32_e32 v36, 0, v32
	v_cvt_f32_i32_e32 v32, v32
	s_or_b32 vcc_lo, s17, vcc_lo
	v_ldexp_f32 v35, v35, v36
	v_ldexp_f32 v33, v33, v36
	s_delay_alu instid0(VALU_DEP_2) | instskip(NEXT) | instid1(VALU_DEP_1)
	v_add_f32_e32 v38, 1.0, v35
	v_dual_add_f32 v36, -1.0, v35 :: v_dual_add_f32 v37, -1.0, v38
	s_delay_alu instid0(VALU_DEP_1) | instskip(NEXT) | instid1(VALU_DEP_2)
	v_add_f32_e32 v39, 1.0, v36
	v_sub_f32_e32 v37, v35, v37
	s_delay_alu instid0(VALU_DEP_2) | instskip(NEXT) | instid1(VALU_DEP_2)
	v_sub_f32_e32 v35, v35, v39
	v_add_f32_e32 v37, v33, v37
	s_delay_alu instid0(VALU_DEP_2) | instskip(NEXT) | instid1(VALU_DEP_1)
	v_add_f32_e32 v33, v33, v35
	v_add_f32_e32 v40, v36, v33
	s_delay_alu instid0(VALU_DEP_1) | instskip(NEXT) | instid1(VALU_DEP_1)
	v_dual_add_f32 v39, v38, v37 :: v_dual_sub_f32 v36, v36, v40
	v_rcp_f32_e32 v35, v39
	v_sub_f32_e32 v38, v38, v39
	s_delay_alu instid0(VALU_DEP_1) | instskip(SKIP_2) | instid1(VALU_DEP_1)
	v_add_f32_e32 v37, v37, v38
	s_waitcnt_depctr 0xfff
	v_mul_f32_e32 v41, v40, v35
	v_mul_f32_e32 v42, v39, v41
	s_delay_alu instid0(VALU_DEP_1) | instskip(NEXT) | instid1(VALU_DEP_1)
	v_fma_f32 v38, v41, v39, -v42
	v_fmac_f32_e32 v38, v41, v37
	s_delay_alu instid0(VALU_DEP_1) | instskip(NEXT) | instid1(VALU_DEP_1)
	v_add_f32_e32 v43, v42, v38
	v_sub_f32_e32 v44, v40, v43
	s_delay_alu instid0(VALU_DEP_1) | instskip(SKIP_1) | instid1(VALU_DEP_2)
	v_sub_f32_e32 v40, v40, v44
	v_dual_add_f32 v33, v33, v36 :: v_dual_sub_f32 v36, v43, v42
	v_sub_f32_e32 v40, v40, v43
	s_delay_alu instid0(VALU_DEP_1) | instskip(NEXT) | instid1(VALU_DEP_1)
	v_dual_sub_f32 v36, v36, v38 :: v_dual_add_f32 v33, v33, v40
	v_add_f32_e32 v33, v36, v33
	s_delay_alu instid0(VALU_DEP_1) | instskip(NEXT) | instid1(VALU_DEP_1)
	v_add_f32_e32 v36, v44, v33
	v_mul_f32_e32 v38, v35, v36
	s_delay_alu instid0(VALU_DEP_1) | instskip(NEXT) | instid1(VALU_DEP_1)
	v_dual_sub_f32 v43, v44, v36 :: v_dual_mul_f32 v40, v39, v38
	v_add_f32_e32 v33, v33, v43
	s_delay_alu instid0(VALU_DEP_2) | instskip(NEXT) | instid1(VALU_DEP_1)
	v_fma_f32 v39, v38, v39, -v40
	v_fmac_f32_e32 v39, v38, v37
	s_delay_alu instid0(VALU_DEP_1) | instskip(NEXT) | instid1(VALU_DEP_1)
	v_add_f32_e32 v37, v40, v39
	v_sub_f32_e32 v42, v36, v37
	s_delay_alu instid0(VALU_DEP_1) | instskip(NEXT) | instid1(VALU_DEP_1)
	v_sub_f32_e32 v36, v36, v42
	v_sub_f32_e32 v36, v36, v37
	s_delay_alu instid0(VALU_DEP_1) | instskip(SKIP_2) | instid1(VALU_DEP_1)
	v_add_f32_e32 v33, v33, v36
	v_add_f32_e32 v36, v41, v38
	v_sub_f32_e32 v40, v37, v40
	v_sub_f32_e32 v37, v40, v39
	s_delay_alu instid0(VALU_DEP_1) | instskip(NEXT) | instid1(VALU_DEP_4)
	v_add_f32_e32 v33, v37, v33
	v_sub_f32_e32 v37, v36, v41
	s_delay_alu instid0(VALU_DEP_2) | instskip(NEXT) | instid1(VALU_DEP_2)
	v_add_f32_e32 v33, v42, v33
	v_sub_f32_e32 v37, v38, v37
	s_delay_alu instid0(VALU_DEP_2) | instskip(NEXT) | instid1(VALU_DEP_1)
	v_mul_f32_e32 v33, v35, v33
	v_add_f32_e32 v33, v37, v33
	s_delay_alu instid0(VALU_DEP_1) | instskip(NEXT) | instid1(VALU_DEP_1)
	v_add_f32_e32 v35, v36, v33
	v_mul_f32_e32 v37, v35, v35
	s_delay_alu instid0(VALU_DEP_1) | instskip(SKIP_1) | instid1(VALU_DEP_2)
	v_fmaak_f32 v38, s73, v37, 0x3ecc95a3
	v_mul_f32_e32 v39, v35, v37
	v_fmaak_f32 v37, v37, v38, 0x3f2aaada
	v_ldexp_f32 v38, v35, 1
	s_delay_alu instid0(VALU_DEP_2) | instskip(SKIP_1) | instid1(VALU_DEP_2)
	v_mul_f32_e32 v37, v39, v37
	v_sub_f32_e32 v35, v35, v36
	v_dual_mul_f32 v39, 0x3f317218, v32 :: v_dual_add_f32 v36, v38, v37
	s_delay_alu instid0(VALU_DEP_2) | instskip(NEXT) | instid1(VALU_DEP_2)
	v_sub_f32_e32 v33, v33, v35
	v_sub_f32_e32 v35, v36, v38
	s_delay_alu instid0(VALU_DEP_3) | instskip(NEXT) | instid1(VALU_DEP_3)
	v_fma_f32 v38, 0x3f317218, v32, -v39
	v_ldexp_f32 v33, v33, 1
	s_delay_alu instid0(VALU_DEP_2) | instskip(NEXT) | instid1(VALU_DEP_1)
	v_dual_sub_f32 v35, v37, v35 :: v_dual_fmac_f32 v38, 0xb102e308, v32
	v_dual_add_f32 v32, v33, v35 :: v_dual_add_f32 v33, v39, v38
	s_delay_alu instid0(VALU_DEP_1) | instskip(NEXT) | instid1(VALU_DEP_1)
	v_add_f32_e32 v35, v36, v32
	v_dual_add_f32 v37, v33, v35 :: v_dual_sub_f32 v36, v35, v36
	s_delay_alu instid0(VALU_DEP_1) | instskip(NEXT) | instid1(VALU_DEP_2)
	v_sub_f32_e32 v40, v37, v33
	v_dual_sub_f32 v39, v33, v39 :: v_dual_sub_f32 v32, v32, v36
	s_delay_alu instid0(VALU_DEP_1) | instskip(SKIP_1) | instid1(VALU_DEP_2)
	v_dual_sub_f32 v41, v37, v40 :: v_dual_sub_f32 v38, v38, v39
	v_sub_f32_e32 v35, v35, v40
	v_dual_sub_f32 v33, v33, v41 :: v_dual_add_f32 v36, v38, v32
	s_delay_alu instid0(VALU_DEP_1) | instskip(NEXT) | instid1(VALU_DEP_2)
	v_add_f32_e32 v33, v35, v33
	v_sub_f32_e32 v35, v36, v38
	s_delay_alu instid0(VALU_DEP_2) | instskip(NEXT) | instid1(VALU_DEP_2)
	v_add_f32_e32 v33, v36, v33
	v_sub_f32_e32 v36, v36, v35
	s_delay_alu instid0(VALU_DEP_2) | instskip(NEXT) | instid1(VALU_DEP_1)
	v_dual_sub_f32 v32, v32, v35 :: v_dual_add_f32 v39, v37, v33
	v_dual_sub_f32 v36, v38, v36 :: v_dual_sub_f32 v35, v39, v37
	s_delay_alu instid0(VALU_DEP_1) | instskip(NEXT) | instid1(VALU_DEP_1)
	v_dual_add_f32 v32, v32, v36 :: v_dual_sub_f32 v33, v33, v35
	v_add_f32_e32 v32, v32, v33
	s_delay_alu instid0(VALU_DEP_1) | instskip(NEXT) | instid1(VALU_DEP_1)
	v_add_f32_e32 v32, v39, v32
	v_cndmask_b32_e32 v115, v32, v34, vcc_lo
.LBB155_24:                             ;   in Loop: Header=BB155_12 Depth=1
	s_or_b32 exec_lo, exec_lo, s18
	v_add_f32_e32 v116, s57, v25
	s_delay_alu instid0(VALU_DEP_1) | instskip(SKIP_1) | instid1(SALU_CYCLE_1)
	v_cmp_ge_f32_e32 vcc_lo, 0x41a00000, v116
	s_and_b32 s17, s69, vcc_lo
	s_and_saveexec_b32 s18, s17
	s_cbranch_execz .LBB155_26
; %bb.25:                               ;   in Loop: Header=BB155_12 Depth=1
	v_mul_f32_e32 v32, 0x3fb8aa3b, v116
	v_cmp_ngt_f32_e32 vcc_lo, 0xc2ce8ed0, v116
	s_delay_alu instid0(VALU_DEP_2) | instskip(SKIP_1) | instid1(VALU_DEP_2)
	v_rndne_f32_e32 v33, v32
	v_fma_f32 v34, 0x3fb8aa3b, v116, -v32
	v_sub_f32_e32 v32, v32, v33
	s_delay_alu instid0(VALU_DEP_2) | instskip(SKIP_1) | instid1(VALU_DEP_2)
	v_fmac_f32_e32 v34, 0x32a5705f, v116
	v_cvt_i32_f32_e32 v33, v33
	v_add_f32_e32 v32, v32, v34
	s_delay_alu instid0(VALU_DEP_1) | instskip(SKIP_2) | instid1(VALU_DEP_1)
	v_exp_f32_e32 v32, v32
	s_waitcnt_depctr 0xfff
	v_ldexp_f32 v32, v32, v33
	v_cndmask_b32_e32 v32, 0, v32, vcc_lo
	v_cmp_nlt_f32_e32 vcc_lo, 0x42b17218, v116
	s_delay_alu instid0(VALU_DEP_2) | instskip(NEXT) | instid1(VALU_DEP_1)
	v_cndmask_b32_e32 v34, 0x7f800000, v32, vcc_lo
	v_add_f32_e32 v35, 1.0, v34
	s_delay_alu instid0(VALU_DEP_1) | instskip(NEXT) | instid1(VALU_DEP_1)
	v_cvt_f64_f32_e32 v[32:33], v35
	v_frexp_exp_i32_f64_e32 v32, v[32:33]
	v_frexp_mant_f32_e32 v33, v35
	s_delay_alu instid0(VALU_DEP_1) | instskip(SKIP_1) | instid1(VALU_DEP_1)
	v_cmp_gt_f32_e32 vcc_lo, 0x3f2aaaab, v33
	v_add_f32_e32 v33, -1.0, v35
	v_sub_f32_e32 v37, v33, v35
	v_sub_f32_e32 v33, v34, v33
	s_delay_alu instid0(VALU_DEP_2) | instskip(NEXT) | instid1(VALU_DEP_1)
	v_add_f32_e32 v37, 1.0, v37
	v_add_f32_e32 v33, v33, v37
	v_cmp_gt_f32_e64 s17, 0x33800000, v34
	v_subrev_co_ci_u32_e32 v32, vcc_lo, 0, v32, vcc_lo
	v_cmp_eq_f32_e32 vcc_lo, 0x7f800000, v34
	s_delay_alu instid0(VALU_DEP_2) | instskip(SKIP_2) | instid1(VALU_DEP_2)
	v_sub_nc_u32_e32 v36, 0, v32
	v_cvt_f32_i32_e32 v32, v32
	s_or_b32 vcc_lo, s17, vcc_lo
	v_ldexp_f32 v35, v35, v36
	v_ldexp_f32 v33, v33, v36
	s_delay_alu instid0(VALU_DEP_2) | instskip(NEXT) | instid1(VALU_DEP_1)
	v_add_f32_e32 v38, 1.0, v35
	v_dual_add_f32 v36, -1.0, v35 :: v_dual_add_f32 v37, -1.0, v38
	s_delay_alu instid0(VALU_DEP_1) | instskip(NEXT) | instid1(VALU_DEP_2)
	v_add_f32_e32 v39, 1.0, v36
	v_sub_f32_e32 v37, v35, v37
	s_delay_alu instid0(VALU_DEP_2) | instskip(NEXT) | instid1(VALU_DEP_2)
	v_sub_f32_e32 v35, v35, v39
	v_add_f32_e32 v37, v33, v37
	s_delay_alu instid0(VALU_DEP_2) | instskip(NEXT) | instid1(VALU_DEP_1)
	v_add_f32_e32 v33, v33, v35
	v_add_f32_e32 v40, v36, v33
	s_delay_alu instid0(VALU_DEP_1) | instskip(NEXT) | instid1(VALU_DEP_1)
	v_dual_add_f32 v39, v38, v37 :: v_dual_sub_f32 v36, v36, v40
	v_rcp_f32_e32 v35, v39
	v_sub_f32_e32 v38, v38, v39
	s_delay_alu instid0(VALU_DEP_1) | instskip(SKIP_2) | instid1(VALU_DEP_1)
	v_add_f32_e32 v37, v37, v38
	s_waitcnt_depctr 0xfff
	v_mul_f32_e32 v41, v40, v35
	v_mul_f32_e32 v42, v39, v41
	s_delay_alu instid0(VALU_DEP_1) | instskip(NEXT) | instid1(VALU_DEP_1)
	v_fma_f32 v38, v41, v39, -v42
	v_fmac_f32_e32 v38, v41, v37
	s_delay_alu instid0(VALU_DEP_1) | instskip(NEXT) | instid1(VALU_DEP_1)
	v_add_f32_e32 v43, v42, v38
	v_sub_f32_e32 v44, v40, v43
	s_delay_alu instid0(VALU_DEP_1) | instskip(SKIP_1) | instid1(VALU_DEP_2)
	v_sub_f32_e32 v40, v40, v44
	v_dual_add_f32 v33, v33, v36 :: v_dual_sub_f32 v36, v43, v42
	v_sub_f32_e32 v40, v40, v43
	s_delay_alu instid0(VALU_DEP_1) | instskip(NEXT) | instid1(VALU_DEP_1)
	v_dual_sub_f32 v36, v36, v38 :: v_dual_add_f32 v33, v33, v40
	v_add_f32_e32 v33, v36, v33
	s_delay_alu instid0(VALU_DEP_1) | instskip(NEXT) | instid1(VALU_DEP_1)
	v_add_f32_e32 v36, v44, v33
	v_mul_f32_e32 v38, v35, v36
	s_delay_alu instid0(VALU_DEP_1) | instskip(NEXT) | instid1(VALU_DEP_1)
	v_dual_sub_f32 v43, v44, v36 :: v_dual_mul_f32 v40, v39, v38
	v_add_f32_e32 v33, v33, v43
	s_delay_alu instid0(VALU_DEP_2) | instskip(NEXT) | instid1(VALU_DEP_1)
	v_fma_f32 v39, v38, v39, -v40
	v_fmac_f32_e32 v39, v38, v37
	s_delay_alu instid0(VALU_DEP_1) | instskip(NEXT) | instid1(VALU_DEP_1)
	v_add_f32_e32 v37, v40, v39
	v_sub_f32_e32 v42, v36, v37
	s_delay_alu instid0(VALU_DEP_1) | instskip(NEXT) | instid1(VALU_DEP_1)
	v_sub_f32_e32 v36, v36, v42
	v_sub_f32_e32 v36, v36, v37
	s_delay_alu instid0(VALU_DEP_1) | instskip(SKIP_2) | instid1(VALU_DEP_1)
	v_add_f32_e32 v33, v33, v36
	v_add_f32_e32 v36, v41, v38
	v_sub_f32_e32 v40, v37, v40
	v_sub_f32_e32 v37, v40, v39
	s_delay_alu instid0(VALU_DEP_1) | instskip(NEXT) | instid1(VALU_DEP_4)
	v_add_f32_e32 v33, v37, v33
	v_sub_f32_e32 v37, v36, v41
	s_delay_alu instid0(VALU_DEP_2) | instskip(NEXT) | instid1(VALU_DEP_2)
	v_add_f32_e32 v33, v42, v33
	v_sub_f32_e32 v37, v38, v37
	s_delay_alu instid0(VALU_DEP_2) | instskip(NEXT) | instid1(VALU_DEP_1)
	v_mul_f32_e32 v33, v35, v33
	v_add_f32_e32 v33, v37, v33
	s_delay_alu instid0(VALU_DEP_1) | instskip(NEXT) | instid1(VALU_DEP_1)
	v_add_f32_e32 v35, v36, v33
	v_mul_f32_e32 v37, v35, v35
	s_delay_alu instid0(VALU_DEP_1) | instskip(SKIP_1) | instid1(VALU_DEP_2)
	v_fmaak_f32 v38, s73, v37, 0x3ecc95a3
	v_mul_f32_e32 v39, v35, v37
	v_fmaak_f32 v37, v37, v38, 0x3f2aaada
	v_ldexp_f32 v38, v35, 1
	s_delay_alu instid0(VALU_DEP_2) | instskip(SKIP_1) | instid1(VALU_DEP_2)
	v_mul_f32_e32 v37, v39, v37
	v_sub_f32_e32 v35, v35, v36
	v_dual_mul_f32 v39, 0x3f317218, v32 :: v_dual_add_f32 v36, v38, v37
	s_delay_alu instid0(VALU_DEP_2) | instskip(NEXT) | instid1(VALU_DEP_2)
	v_sub_f32_e32 v33, v33, v35
	v_sub_f32_e32 v35, v36, v38
	s_delay_alu instid0(VALU_DEP_3) | instskip(NEXT) | instid1(VALU_DEP_3)
	v_fma_f32 v38, 0x3f317218, v32, -v39
	v_ldexp_f32 v33, v33, 1
	s_delay_alu instid0(VALU_DEP_2) | instskip(NEXT) | instid1(VALU_DEP_1)
	v_dual_sub_f32 v35, v37, v35 :: v_dual_fmac_f32 v38, 0xb102e308, v32
	v_dual_add_f32 v32, v33, v35 :: v_dual_add_f32 v33, v39, v38
	s_delay_alu instid0(VALU_DEP_1) | instskip(NEXT) | instid1(VALU_DEP_1)
	v_add_f32_e32 v35, v36, v32
	v_dual_add_f32 v37, v33, v35 :: v_dual_sub_f32 v36, v35, v36
	s_delay_alu instid0(VALU_DEP_1) | instskip(NEXT) | instid1(VALU_DEP_2)
	v_sub_f32_e32 v40, v37, v33
	v_dual_sub_f32 v39, v33, v39 :: v_dual_sub_f32 v32, v32, v36
	s_delay_alu instid0(VALU_DEP_1) | instskip(SKIP_1) | instid1(VALU_DEP_2)
	v_dual_sub_f32 v41, v37, v40 :: v_dual_sub_f32 v38, v38, v39
	v_sub_f32_e32 v35, v35, v40
	v_dual_sub_f32 v33, v33, v41 :: v_dual_add_f32 v36, v38, v32
	s_delay_alu instid0(VALU_DEP_1) | instskip(NEXT) | instid1(VALU_DEP_2)
	v_add_f32_e32 v33, v35, v33
	v_sub_f32_e32 v35, v36, v38
	s_delay_alu instid0(VALU_DEP_2) | instskip(NEXT) | instid1(VALU_DEP_2)
	v_add_f32_e32 v33, v36, v33
	v_sub_f32_e32 v36, v36, v35
	s_delay_alu instid0(VALU_DEP_2) | instskip(NEXT) | instid1(VALU_DEP_1)
	v_dual_sub_f32 v32, v32, v35 :: v_dual_add_f32 v39, v37, v33
	v_dual_sub_f32 v36, v38, v36 :: v_dual_sub_f32 v35, v39, v37
	s_delay_alu instid0(VALU_DEP_1) | instskip(NEXT) | instid1(VALU_DEP_1)
	v_dual_add_f32 v32, v32, v36 :: v_dual_sub_f32 v33, v33, v35
	v_add_f32_e32 v32, v32, v33
	s_delay_alu instid0(VALU_DEP_1) | instskip(NEXT) | instid1(VALU_DEP_1)
	v_add_f32_e32 v32, v39, v32
	v_cndmask_b32_e32 v116, v32, v34, vcc_lo
.LBB155_26:                             ;   in Loop: Header=BB155_12 Depth=1
	s_or_b32 exec_lo, exec_lo, s18
	v_add_f32_e32 v117, s57, v26
	s_delay_alu instid0(VALU_DEP_1) | instskip(SKIP_1) | instid1(SALU_CYCLE_1)
	v_cmp_ge_f32_e32 vcc_lo, 0x41a00000, v117
	s_and_b32 s17, s69, vcc_lo
	s_and_saveexec_b32 s18, s17
	s_cbranch_execz .LBB155_28
; %bb.27:                               ;   in Loop: Header=BB155_12 Depth=1
	v_mul_f32_e32 v32, 0x3fb8aa3b, v117
	v_cmp_ngt_f32_e32 vcc_lo, 0xc2ce8ed0, v117
	s_delay_alu instid0(VALU_DEP_2) | instskip(SKIP_1) | instid1(VALU_DEP_2)
	v_rndne_f32_e32 v33, v32
	v_fma_f32 v34, 0x3fb8aa3b, v117, -v32
	v_sub_f32_e32 v32, v32, v33
	s_delay_alu instid0(VALU_DEP_2) | instskip(SKIP_1) | instid1(VALU_DEP_2)
	v_fmac_f32_e32 v34, 0x32a5705f, v117
	v_cvt_i32_f32_e32 v33, v33
	v_add_f32_e32 v32, v32, v34
	s_delay_alu instid0(VALU_DEP_1) | instskip(SKIP_2) | instid1(VALU_DEP_1)
	v_exp_f32_e32 v32, v32
	s_waitcnt_depctr 0xfff
	v_ldexp_f32 v32, v32, v33
	v_cndmask_b32_e32 v32, 0, v32, vcc_lo
	v_cmp_nlt_f32_e32 vcc_lo, 0x42b17218, v117
	s_delay_alu instid0(VALU_DEP_2) | instskip(NEXT) | instid1(VALU_DEP_1)
	v_cndmask_b32_e32 v34, 0x7f800000, v32, vcc_lo
	v_add_f32_e32 v35, 1.0, v34
	s_delay_alu instid0(VALU_DEP_1) | instskip(NEXT) | instid1(VALU_DEP_1)
	v_cvt_f64_f32_e32 v[32:33], v35
	v_frexp_exp_i32_f64_e32 v32, v[32:33]
	v_frexp_mant_f32_e32 v33, v35
	s_delay_alu instid0(VALU_DEP_1) | instskip(SKIP_1) | instid1(VALU_DEP_1)
	v_cmp_gt_f32_e32 vcc_lo, 0x3f2aaaab, v33
	v_add_f32_e32 v33, -1.0, v35
	v_sub_f32_e32 v37, v33, v35
	v_sub_f32_e32 v33, v34, v33
	s_delay_alu instid0(VALU_DEP_2) | instskip(NEXT) | instid1(VALU_DEP_1)
	v_add_f32_e32 v37, 1.0, v37
	v_add_f32_e32 v33, v33, v37
	v_cmp_gt_f32_e64 s17, 0x33800000, v34
	v_subrev_co_ci_u32_e32 v32, vcc_lo, 0, v32, vcc_lo
	v_cmp_eq_f32_e32 vcc_lo, 0x7f800000, v34
	s_delay_alu instid0(VALU_DEP_2) | instskip(SKIP_2) | instid1(VALU_DEP_2)
	v_sub_nc_u32_e32 v36, 0, v32
	v_cvt_f32_i32_e32 v32, v32
	s_or_b32 vcc_lo, s17, vcc_lo
	v_ldexp_f32 v35, v35, v36
	v_ldexp_f32 v33, v33, v36
	s_delay_alu instid0(VALU_DEP_2) | instskip(NEXT) | instid1(VALU_DEP_1)
	v_add_f32_e32 v38, 1.0, v35
	v_dual_add_f32 v36, -1.0, v35 :: v_dual_add_f32 v37, -1.0, v38
	s_delay_alu instid0(VALU_DEP_1) | instskip(NEXT) | instid1(VALU_DEP_2)
	v_add_f32_e32 v39, 1.0, v36
	v_sub_f32_e32 v37, v35, v37
	s_delay_alu instid0(VALU_DEP_2) | instskip(NEXT) | instid1(VALU_DEP_2)
	v_sub_f32_e32 v35, v35, v39
	v_add_f32_e32 v37, v33, v37
	s_delay_alu instid0(VALU_DEP_2) | instskip(NEXT) | instid1(VALU_DEP_1)
	v_add_f32_e32 v33, v33, v35
	v_add_f32_e32 v40, v36, v33
	s_delay_alu instid0(VALU_DEP_1) | instskip(NEXT) | instid1(VALU_DEP_1)
	v_dual_add_f32 v39, v38, v37 :: v_dual_sub_f32 v36, v36, v40
	v_rcp_f32_e32 v35, v39
	v_sub_f32_e32 v38, v38, v39
	s_delay_alu instid0(VALU_DEP_1) | instskip(SKIP_2) | instid1(VALU_DEP_1)
	v_add_f32_e32 v37, v37, v38
	s_waitcnt_depctr 0xfff
	v_mul_f32_e32 v41, v40, v35
	v_mul_f32_e32 v42, v39, v41
	s_delay_alu instid0(VALU_DEP_1) | instskip(NEXT) | instid1(VALU_DEP_1)
	v_fma_f32 v38, v41, v39, -v42
	v_fmac_f32_e32 v38, v41, v37
	s_delay_alu instid0(VALU_DEP_1) | instskip(NEXT) | instid1(VALU_DEP_1)
	v_add_f32_e32 v43, v42, v38
	v_sub_f32_e32 v44, v40, v43
	s_delay_alu instid0(VALU_DEP_1) | instskip(SKIP_1) | instid1(VALU_DEP_2)
	v_sub_f32_e32 v40, v40, v44
	v_dual_add_f32 v33, v33, v36 :: v_dual_sub_f32 v36, v43, v42
	v_sub_f32_e32 v40, v40, v43
	s_delay_alu instid0(VALU_DEP_1) | instskip(NEXT) | instid1(VALU_DEP_1)
	v_dual_sub_f32 v36, v36, v38 :: v_dual_add_f32 v33, v33, v40
	v_add_f32_e32 v33, v36, v33
	s_delay_alu instid0(VALU_DEP_1) | instskip(NEXT) | instid1(VALU_DEP_1)
	v_add_f32_e32 v36, v44, v33
	v_mul_f32_e32 v38, v35, v36
	s_delay_alu instid0(VALU_DEP_1) | instskip(NEXT) | instid1(VALU_DEP_1)
	v_dual_sub_f32 v43, v44, v36 :: v_dual_mul_f32 v40, v39, v38
	v_add_f32_e32 v33, v33, v43
	s_delay_alu instid0(VALU_DEP_2) | instskip(NEXT) | instid1(VALU_DEP_1)
	v_fma_f32 v39, v38, v39, -v40
	v_fmac_f32_e32 v39, v38, v37
	s_delay_alu instid0(VALU_DEP_1) | instskip(NEXT) | instid1(VALU_DEP_1)
	v_add_f32_e32 v37, v40, v39
	v_sub_f32_e32 v42, v36, v37
	s_delay_alu instid0(VALU_DEP_1) | instskip(NEXT) | instid1(VALU_DEP_1)
	v_sub_f32_e32 v36, v36, v42
	v_sub_f32_e32 v36, v36, v37
	s_delay_alu instid0(VALU_DEP_1) | instskip(SKIP_2) | instid1(VALU_DEP_1)
	v_add_f32_e32 v33, v33, v36
	v_add_f32_e32 v36, v41, v38
	v_sub_f32_e32 v40, v37, v40
	v_sub_f32_e32 v37, v40, v39
	s_delay_alu instid0(VALU_DEP_1) | instskip(NEXT) | instid1(VALU_DEP_4)
	v_add_f32_e32 v33, v37, v33
	v_sub_f32_e32 v37, v36, v41
	s_delay_alu instid0(VALU_DEP_2) | instskip(NEXT) | instid1(VALU_DEP_2)
	v_add_f32_e32 v33, v42, v33
	v_sub_f32_e32 v37, v38, v37
	s_delay_alu instid0(VALU_DEP_2) | instskip(NEXT) | instid1(VALU_DEP_1)
	v_mul_f32_e32 v33, v35, v33
	v_add_f32_e32 v33, v37, v33
	s_delay_alu instid0(VALU_DEP_1) | instskip(NEXT) | instid1(VALU_DEP_1)
	v_add_f32_e32 v35, v36, v33
	v_mul_f32_e32 v37, v35, v35
	s_delay_alu instid0(VALU_DEP_1) | instskip(SKIP_1) | instid1(VALU_DEP_2)
	v_fmaak_f32 v38, s73, v37, 0x3ecc95a3
	v_mul_f32_e32 v39, v35, v37
	v_fmaak_f32 v37, v37, v38, 0x3f2aaada
	v_ldexp_f32 v38, v35, 1
	s_delay_alu instid0(VALU_DEP_2) | instskip(SKIP_1) | instid1(VALU_DEP_2)
	v_mul_f32_e32 v37, v39, v37
	v_sub_f32_e32 v35, v35, v36
	v_dual_mul_f32 v39, 0x3f317218, v32 :: v_dual_add_f32 v36, v38, v37
	s_delay_alu instid0(VALU_DEP_2) | instskip(NEXT) | instid1(VALU_DEP_2)
	v_sub_f32_e32 v33, v33, v35
	v_sub_f32_e32 v35, v36, v38
	s_delay_alu instid0(VALU_DEP_3) | instskip(NEXT) | instid1(VALU_DEP_3)
	v_fma_f32 v38, 0x3f317218, v32, -v39
	v_ldexp_f32 v33, v33, 1
	s_delay_alu instid0(VALU_DEP_2) | instskip(NEXT) | instid1(VALU_DEP_1)
	v_dual_sub_f32 v35, v37, v35 :: v_dual_fmac_f32 v38, 0xb102e308, v32
	v_dual_add_f32 v32, v33, v35 :: v_dual_add_f32 v33, v39, v38
	s_delay_alu instid0(VALU_DEP_1) | instskip(NEXT) | instid1(VALU_DEP_1)
	v_add_f32_e32 v35, v36, v32
	v_dual_add_f32 v37, v33, v35 :: v_dual_sub_f32 v36, v35, v36
	s_delay_alu instid0(VALU_DEP_1) | instskip(NEXT) | instid1(VALU_DEP_2)
	v_sub_f32_e32 v40, v37, v33
	v_dual_sub_f32 v39, v33, v39 :: v_dual_sub_f32 v32, v32, v36
	s_delay_alu instid0(VALU_DEP_1) | instskip(SKIP_1) | instid1(VALU_DEP_2)
	v_dual_sub_f32 v41, v37, v40 :: v_dual_sub_f32 v38, v38, v39
	v_sub_f32_e32 v35, v35, v40
	v_dual_sub_f32 v33, v33, v41 :: v_dual_add_f32 v36, v38, v32
	s_delay_alu instid0(VALU_DEP_1) | instskip(NEXT) | instid1(VALU_DEP_2)
	v_add_f32_e32 v33, v35, v33
	v_sub_f32_e32 v35, v36, v38
	s_delay_alu instid0(VALU_DEP_2) | instskip(NEXT) | instid1(VALU_DEP_2)
	v_add_f32_e32 v33, v36, v33
	v_sub_f32_e32 v36, v36, v35
	s_delay_alu instid0(VALU_DEP_2) | instskip(NEXT) | instid1(VALU_DEP_1)
	v_dual_sub_f32 v32, v32, v35 :: v_dual_add_f32 v39, v37, v33
	v_dual_sub_f32 v36, v38, v36 :: v_dual_sub_f32 v35, v39, v37
	s_delay_alu instid0(VALU_DEP_1) | instskip(NEXT) | instid1(VALU_DEP_1)
	v_dual_add_f32 v32, v32, v36 :: v_dual_sub_f32 v33, v33, v35
	v_add_f32_e32 v32, v32, v33
	s_delay_alu instid0(VALU_DEP_1) | instskip(NEXT) | instid1(VALU_DEP_1)
	v_add_f32_e32 v32, v39, v32
	v_cndmask_b32_e32 v117, v32, v34, vcc_lo
.LBB155_28:                             ;   in Loop: Header=BB155_12 Depth=1
	s_or_b32 exec_lo, exec_lo, s18
	v_add_f32_e32 v118, s57, v27
	s_delay_alu instid0(VALU_DEP_1) | instskip(SKIP_1) | instid1(SALU_CYCLE_1)
	v_cmp_ge_f32_e32 vcc_lo, 0x41a00000, v118
	s_and_b32 s17, s69, vcc_lo
	s_and_saveexec_b32 s18, s17
	s_cbranch_execz .LBB155_30
; %bb.29:                               ;   in Loop: Header=BB155_12 Depth=1
	v_mul_f32_e32 v32, 0x3fb8aa3b, v118
	v_cmp_ngt_f32_e32 vcc_lo, 0xc2ce8ed0, v118
	s_delay_alu instid0(VALU_DEP_2) | instskip(SKIP_1) | instid1(VALU_DEP_2)
	v_rndne_f32_e32 v33, v32
	v_fma_f32 v34, 0x3fb8aa3b, v118, -v32
	v_sub_f32_e32 v32, v32, v33
	s_delay_alu instid0(VALU_DEP_2) | instskip(SKIP_1) | instid1(VALU_DEP_2)
	v_fmac_f32_e32 v34, 0x32a5705f, v118
	v_cvt_i32_f32_e32 v33, v33
	v_add_f32_e32 v32, v32, v34
	s_delay_alu instid0(VALU_DEP_1) | instskip(SKIP_2) | instid1(VALU_DEP_1)
	v_exp_f32_e32 v32, v32
	s_waitcnt_depctr 0xfff
	v_ldexp_f32 v32, v32, v33
	v_cndmask_b32_e32 v32, 0, v32, vcc_lo
	v_cmp_nlt_f32_e32 vcc_lo, 0x42b17218, v118
	s_delay_alu instid0(VALU_DEP_2) | instskip(NEXT) | instid1(VALU_DEP_1)
	v_cndmask_b32_e32 v34, 0x7f800000, v32, vcc_lo
	v_add_f32_e32 v35, 1.0, v34
	s_delay_alu instid0(VALU_DEP_1) | instskip(NEXT) | instid1(VALU_DEP_1)
	v_cvt_f64_f32_e32 v[32:33], v35
	v_frexp_exp_i32_f64_e32 v32, v[32:33]
	v_frexp_mant_f32_e32 v33, v35
	s_delay_alu instid0(VALU_DEP_1) | instskip(SKIP_1) | instid1(VALU_DEP_1)
	v_cmp_gt_f32_e32 vcc_lo, 0x3f2aaaab, v33
	v_add_f32_e32 v33, -1.0, v35
	v_sub_f32_e32 v37, v33, v35
	v_sub_f32_e32 v33, v34, v33
	s_delay_alu instid0(VALU_DEP_2) | instskip(NEXT) | instid1(VALU_DEP_1)
	v_add_f32_e32 v37, 1.0, v37
	v_add_f32_e32 v33, v33, v37
	v_cmp_gt_f32_e64 s17, 0x33800000, v34
	v_subrev_co_ci_u32_e32 v32, vcc_lo, 0, v32, vcc_lo
	v_cmp_eq_f32_e32 vcc_lo, 0x7f800000, v34
	s_delay_alu instid0(VALU_DEP_2) | instskip(SKIP_2) | instid1(VALU_DEP_2)
	v_sub_nc_u32_e32 v36, 0, v32
	v_cvt_f32_i32_e32 v32, v32
	s_or_b32 vcc_lo, s17, vcc_lo
	v_ldexp_f32 v35, v35, v36
	v_ldexp_f32 v33, v33, v36
	s_delay_alu instid0(VALU_DEP_2) | instskip(NEXT) | instid1(VALU_DEP_1)
	v_add_f32_e32 v38, 1.0, v35
	v_dual_add_f32 v36, -1.0, v35 :: v_dual_add_f32 v37, -1.0, v38
	s_delay_alu instid0(VALU_DEP_1) | instskip(NEXT) | instid1(VALU_DEP_2)
	v_add_f32_e32 v39, 1.0, v36
	v_sub_f32_e32 v37, v35, v37
	s_delay_alu instid0(VALU_DEP_2) | instskip(NEXT) | instid1(VALU_DEP_2)
	v_sub_f32_e32 v35, v35, v39
	v_add_f32_e32 v37, v33, v37
	s_delay_alu instid0(VALU_DEP_2) | instskip(NEXT) | instid1(VALU_DEP_1)
	v_add_f32_e32 v33, v33, v35
	v_add_f32_e32 v40, v36, v33
	s_delay_alu instid0(VALU_DEP_1) | instskip(NEXT) | instid1(VALU_DEP_1)
	v_dual_add_f32 v39, v38, v37 :: v_dual_sub_f32 v36, v36, v40
	v_rcp_f32_e32 v35, v39
	v_sub_f32_e32 v38, v38, v39
	s_delay_alu instid0(VALU_DEP_1) | instskip(SKIP_2) | instid1(VALU_DEP_1)
	v_add_f32_e32 v37, v37, v38
	s_waitcnt_depctr 0xfff
	v_mul_f32_e32 v41, v40, v35
	v_mul_f32_e32 v42, v39, v41
	s_delay_alu instid0(VALU_DEP_1) | instskip(NEXT) | instid1(VALU_DEP_1)
	v_fma_f32 v38, v41, v39, -v42
	v_fmac_f32_e32 v38, v41, v37
	s_delay_alu instid0(VALU_DEP_1) | instskip(NEXT) | instid1(VALU_DEP_1)
	v_add_f32_e32 v43, v42, v38
	v_sub_f32_e32 v44, v40, v43
	s_delay_alu instid0(VALU_DEP_1) | instskip(SKIP_1) | instid1(VALU_DEP_2)
	v_sub_f32_e32 v40, v40, v44
	v_dual_add_f32 v33, v33, v36 :: v_dual_sub_f32 v36, v43, v42
	v_sub_f32_e32 v40, v40, v43
	s_delay_alu instid0(VALU_DEP_1) | instskip(NEXT) | instid1(VALU_DEP_1)
	v_dual_sub_f32 v36, v36, v38 :: v_dual_add_f32 v33, v33, v40
	v_add_f32_e32 v33, v36, v33
	s_delay_alu instid0(VALU_DEP_1) | instskip(NEXT) | instid1(VALU_DEP_1)
	v_add_f32_e32 v36, v44, v33
	v_mul_f32_e32 v38, v35, v36
	s_delay_alu instid0(VALU_DEP_1) | instskip(NEXT) | instid1(VALU_DEP_1)
	v_dual_sub_f32 v43, v44, v36 :: v_dual_mul_f32 v40, v39, v38
	v_add_f32_e32 v33, v33, v43
	s_delay_alu instid0(VALU_DEP_2) | instskip(NEXT) | instid1(VALU_DEP_1)
	v_fma_f32 v39, v38, v39, -v40
	v_fmac_f32_e32 v39, v38, v37
	s_delay_alu instid0(VALU_DEP_1) | instskip(NEXT) | instid1(VALU_DEP_1)
	v_add_f32_e32 v37, v40, v39
	v_sub_f32_e32 v42, v36, v37
	s_delay_alu instid0(VALU_DEP_1) | instskip(NEXT) | instid1(VALU_DEP_1)
	v_sub_f32_e32 v36, v36, v42
	v_sub_f32_e32 v36, v36, v37
	s_delay_alu instid0(VALU_DEP_1) | instskip(SKIP_2) | instid1(VALU_DEP_1)
	v_add_f32_e32 v33, v33, v36
	v_add_f32_e32 v36, v41, v38
	v_sub_f32_e32 v40, v37, v40
	v_sub_f32_e32 v37, v40, v39
	s_delay_alu instid0(VALU_DEP_1) | instskip(NEXT) | instid1(VALU_DEP_4)
	v_add_f32_e32 v33, v37, v33
	v_sub_f32_e32 v37, v36, v41
	s_delay_alu instid0(VALU_DEP_2) | instskip(NEXT) | instid1(VALU_DEP_2)
	v_add_f32_e32 v33, v42, v33
	v_sub_f32_e32 v37, v38, v37
	s_delay_alu instid0(VALU_DEP_2) | instskip(NEXT) | instid1(VALU_DEP_1)
	v_mul_f32_e32 v33, v35, v33
	v_add_f32_e32 v33, v37, v33
	s_delay_alu instid0(VALU_DEP_1) | instskip(NEXT) | instid1(VALU_DEP_1)
	v_add_f32_e32 v35, v36, v33
	v_mul_f32_e32 v37, v35, v35
	s_delay_alu instid0(VALU_DEP_1) | instskip(SKIP_1) | instid1(VALU_DEP_2)
	v_fmaak_f32 v38, s73, v37, 0x3ecc95a3
	v_mul_f32_e32 v39, v35, v37
	v_fmaak_f32 v37, v37, v38, 0x3f2aaada
	v_ldexp_f32 v38, v35, 1
	s_delay_alu instid0(VALU_DEP_2) | instskip(SKIP_1) | instid1(VALU_DEP_2)
	v_mul_f32_e32 v37, v39, v37
	v_sub_f32_e32 v35, v35, v36
	v_dual_mul_f32 v39, 0x3f317218, v32 :: v_dual_add_f32 v36, v38, v37
	s_delay_alu instid0(VALU_DEP_2) | instskip(NEXT) | instid1(VALU_DEP_2)
	v_sub_f32_e32 v33, v33, v35
	v_sub_f32_e32 v35, v36, v38
	s_delay_alu instid0(VALU_DEP_3) | instskip(NEXT) | instid1(VALU_DEP_3)
	v_fma_f32 v38, 0x3f317218, v32, -v39
	v_ldexp_f32 v33, v33, 1
	s_delay_alu instid0(VALU_DEP_2) | instskip(NEXT) | instid1(VALU_DEP_1)
	v_dual_sub_f32 v35, v37, v35 :: v_dual_fmac_f32 v38, 0xb102e308, v32
	v_dual_add_f32 v32, v33, v35 :: v_dual_add_f32 v33, v39, v38
	s_delay_alu instid0(VALU_DEP_1) | instskip(NEXT) | instid1(VALU_DEP_1)
	v_add_f32_e32 v35, v36, v32
	v_dual_add_f32 v37, v33, v35 :: v_dual_sub_f32 v36, v35, v36
	s_delay_alu instid0(VALU_DEP_1) | instskip(NEXT) | instid1(VALU_DEP_2)
	v_sub_f32_e32 v40, v37, v33
	v_dual_sub_f32 v39, v33, v39 :: v_dual_sub_f32 v32, v32, v36
	s_delay_alu instid0(VALU_DEP_1) | instskip(SKIP_1) | instid1(VALU_DEP_2)
	v_dual_sub_f32 v41, v37, v40 :: v_dual_sub_f32 v38, v38, v39
	v_sub_f32_e32 v35, v35, v40
	v_dual_sub_f32 v33, v33, v41 :: v_dual_add_f32 v36, v38, v32
	s_delay_alu instid0(VALU_DEP_1) | instskip(NEXT) | instid1(VALU_DEP_2)
	v_add_f32_e32 v33, v35, v33
	v_sub_f32_e32 v35, v36, v38
	s_delay_alu instid0(VALU_DEP_2) | instskip(NEXT) | instid1(VALU_DEP_2)
	v_add_f32_e32 v33, v36, v33
	v_sub_f32_e32 v36, v36, v35
	s_delay_alu instid0(VALU_DEP_2) | instskip(NEXT) | instid1(VALU_DEP_1)
	v_dual_sub_f32 v32, v32, v35 :: v_dual_add_f32 v39, v37, v33
	v_dual_sub_f32 v36, v38, v36 :: v_dual_sub_f32 v35, v39, v37
	s_delay_alu instid0(VALU_DEP_1) | instskip(NEXT) | instid1(VALU_DEP_1)
	v_dual_add_f32 v32, v32, v36 :: v_dual_sub_f32 v33, v33, v35
	v_add_f32_e32 v32, v32, v33
	s_delay_alu instid0(VALU_DEP_1) | instskip(NEXT) | instid1(VALU_DEP_1)
	v_add_f32_e32 v32, v39, v32
	v_cndmask_b32_e32 v118, v32, v34, vcc_lo
.LBB155_30:                             ;   in Loop: Header=BB155_12 Depth=1
	s_or_b32 exec_lo, exec_lo, s18
	s_waitcnt lgkmcnt(2)
	v_add_f32_e32 v119, s57, v12
	s_delay_alu instid0(VALU_DEP_1) | instskip(SKIP_1) | instid1(SALU_CYCLE_1)
	v_cmp_ge_f32_e32 vcc_lo, 0x41a00000, v119
	s_and_b32 s17, s69, vcc_lo
	s_and_saveexec_b32 s18, s17
	s_cbranch_execz .LBB155_32
; %bb.31:                               ;   in Loop: Header=BB155_12 Depth=1
	v_mul_f32_e32 v32, 0x3fb8aa3b, v119
	v_cmp_ngt_f32_e32 vcc_lo, 0xc2ce8ed0, v119
	s_delay_alu instid0(VALU_DEP_2) | instskip(SKIP_1) | instid1(VALU_DEP_2)
	v_rndne_f32_e32 v33, v32
	v_fma_f32 v34, 0x3fb8aa3b, v119, -v32
	v_sub_f32_e32 v32, v32, v33
	s_delay_alu instid0(VALU_DEP_2) | instskip(SKIP_1) | instid1(VALU_DEP_2)
	v_fmac_f32_e32 v34, 0x32a5705f, v119
	v_cvt_i32_f32_e32 v33, v33
	v_add_f32_e32 v32, v32, v34
	s_delay_alu instid0(VALU_DEP_1) | instskip(SKIP_2) | instid1(VALU_DEP_1)
	v_exp_f32_e32 v32, v32
	s_waitcnt_depctr 0xfff
	v_ldexp_f32 v32, v32, v33
	v_cndmask_b32_e32 v32, 0, v32, vcc_lo
	v_cmp_nlt_f32_e32 vcc_lo, 0x42b17218, v119
	s_delay_alu instid0(VALU_DEP_2) | instskip(NEXT) | instid1(VALU_DEP_1)
	v_cndmask_b32_e32 v34, 0x7f800000, v32, vcc_lo
	v_add_f32_e32 v35, 1.0, v34
	s_delay_alu instid0(VALU_DEP_1) | instskip(NEXT) | instid1(VALU_DEP_1)
	v_cvt_f64_f32_e32 v[32:33], v35
	v_frexp_exp_i32_f64_e32 v32, v[32:33]
	v_frexp_mant_f32_e32 v33, v35
	s_delay_alu instid0(VALU_DEP_1) | instskip(SKIP_1) | instid1(VALU_DEP_1)
	v_cmp_gt_f32_e32 vcc_lo, 0x3f2aaaab, v33
	v_add_f32_e32 v33, -1.0, v35
	v_sub_f32_e32 v37, v33, v35
	v_sub_f32_e32 v33, v34, v33
	s_delay_alu instid0(VALU_DEP_2) | instskip(NEXT) | instid1(VALU_DEP_1)
	v_add_f32_e32 v37, 1.0, v37
	v_add_f32_e32 v33, v33, v37
	v_cmp_gt_f32_e64 s17, 0x33800000, v34
	v_subrev_co_ci_u32_e32 v32, vcc_lo, 0, v32, vcc_lo
	v_cmp_eq_f32_e32 vcc_lo, 0x7f800000, v34
	s_delay_alu instid0(VALU_DEP_2) | instskip(SKIP_2) | instid1(VALU_DEP_2)
	v_sub_nc_u32_e32 v36, 0, v32
	v_cvt_f32_i32_e32 v32, v32
	s_or_b32 vcc_lo, s17, vcc_lo
	v_ldexp_f32 v35, v35, v36
	v_ldexp_f32 v33, v33, v36
	s_delay_alu instid0(VALU_DEP_2) | instskip(NEXT) | instid1(VALU_DEP_1)
	v_add_f32_e32 v38, 1.0, v35
	v_dual_add_f32 v36, -1.0, v35 :: v_dual_add_f32 v37, -1.0, v38
	s_delay_alu instid0(VALU_DEP_1) | instskip(NEXT) | instid1(VALU_DEP_2)
	v_add_f32_e32 v39, 1.0, v36
	v_sub_f32_e32 v37, v35, v37
	s_delay_alu instid0(VALU_DEP_2) | instskip(NEXT) | instid1(VALU_DEP_2)
	v_sub_f32_e32 v35, v35, v39
	v_add_f32_e32 v37, v33, v37
	s_delay_alu instid0(VALU_DEP_2) | instskip(NEXT) | instid1(VALU_DEP_1)
	v_add_f32_e32 v33, v33, v35
	v_add_f32_e32 v40, v36, v33
	s_delay_alu instid0(VALU_DEP_1) | instskip(NEXT) | instid1(VALU_DEP_1)
	v_dual_add_f32 v39, v38, v37 :: v_dual_sub_f32 v36, v36, v40
	v_rcp_f32_e32 v35, v39
	v_sub_f32_e32 v38, v38, v39
	s_delay_alu instid0(VALU_DEP_1) | instskip(SKIP_2) | instid1(VALU_DEP_1)
	v_add_f32_e32 v37, v37, v38
	s_waitcnt_depctr 0xfff
	v_mul_f32_e32 v41, v40, v35
	v_mul_f32_e32 v42, v39, v41
	s_delay_alu instid0(VALU_DEP_1) | instskip(NEXT) | instid1(VALU_DEP_1)
	v_fma_f32 v38, v41, v39, -v42
	v_fmac_f32_e32 v38, v41, v37
	s_delay_alu instid0(VALU_DEP_1) | instskip(NEXT) | instid1(VALU_DEP_1)
	v_add_f32_e32 v43, v42, v38
	v_sub_f32_e32 v44, v40, v43
	s_delay_alu instid0(VALU_DEP_1) | instskip(SKIP_1) | instid1(VALU_DEP_2)
	v_sub_f32_e32 v40, v40, v44
	v_dual_add_f32 v33, v33, v36 :: v_dual_sub_f32 v36, v43, v42
	v_sub_f32_e32 v40, v40, v43
	s_delay_alu instid0(VALU_DEP_1) | instskip(NEXT) | instid1(VALU_DEP_1)
	v_dual_sub_f32 v36, v36, v38 :: v_dual_add_f32 v33, v33, v40
	v_add_f32_e32 v33, v36, v33
	s_delay_alu instid0(VALU_DEP_1) | instskip(NEXT) | instid1(VALU_DEP_1)
	v_add_f32_e32 v36, v44, v33
	v_mul_f32_e32 v38, v35, v36
	s_delay_alu instid0(VALU_DEP_1) | instskip(NEXT) | instid1(VALU_DEP_1)
	v_dual_sub_f32 v43, v44, v36 :: v_dual_mul_f32 v40, v39, v38
	v_add_f32_e32 v33, v33, v43
	s_delay_alu instid0(VALU_DEP_2) | instskip(NEXT) | instid1(VALU_DEP_1)
	v_fma_f32 v39, v38, v39, -v40
	v_fmac_f32_e32 v39, v38, v37
	s_delay_alu instid0(VALU_DEP_1) | instskip(NEXT) | instid1(VALU_DEP_1)
	v_add_f32_e32 v37, v40, v39
	v_sub_f32_e32 v42, v36, v37
	s_delay_alu instid0(VALU_DEP_1) | instskip(NEXT) | instid1(VALU_DEP_1)
	v_sub_f32_e32 v36, v36, v42
	v_sub_f32_e32 v36, v36, v37
	s_delay_alu instid0(VALU_DEP_1) | instskip(SKIP_2) | instid1(VALU_DEP_1)
	v_add_f32_e32 v33, v33, v36
	v_add_f32_e32 v36, v41, v38
	v_sub_f32_e32 v40, v37, v40
	v_sub_f32_e32 v37, v40, v39
	s_delay_alu instid0(VALU_DEP_1) | instskip(NEXT) | instid1(VALU_DEP_4)
	v_add_f32_e32 v33, v37, v33
	v_sub_f32_e32 v37, v36, v41
	s_delay_alu instid0(VALU_DEP_2) | instskip(NEXT) | instid1(VALU_DEP_2)
	v_add_f32_e32 v33, v42, v33
	v_sub_f32_e32 v37, v38, v37
	s_delay_alu instid0(VALU_DEP_2) | instskip(NEXT) | instid1(VALU_DEP_1)
	v_mul_f32_e32 v33, v35, v33
	v_add_f32_e32 v33, v37, v33
	s_delay_alu instid0(VALU_DEP_1) | instskip(NEXT) | instid1(VALU_DEP_1)
	v_add_f32_e32 v35, v36, v33
	v_mul_f32_e32 v37, v35, v35
	s_delay_alu instid0(VALU_DEP_1) | instskip(SKIP_1) | instid1(VALU_DEP_2)
	v_fmaak_f32 v38, s73, v37, 0x3ecc95a3
	v_mul_f32_e32 v39, v35, v37
	v_fmaak_f32 v37, v37, v38, 0x3f2aaada
	v_ldexp_f32 v38, v35, 1
	s_delay_alu instid0(VALU_DEP_2) | instskip(SKIP_1) | instid1(VALU_DEP_2)
	v_mul_f32_e32 v37, v39, v37
	v_sub_f32_e32 v35, v35, v36
	v_dual_mul_f32 v39, 0x3f317218, v32 :: v_dual_add_f32 v36, v38, v37
	s_delay_alu instid0(VALU_DEP_2) | instskip(NEXT) | instid1(VALU_DEP_2)
	v_sub_f32_e32 v33, v33, v35
	v_sub_f32_e32 v35, v36, v38
	s_delay_alu instid0(VALU_DEP_3) | instskip(NEXT) | instid1(VALU_DEP_3)
	v_fma_f32 v38, 0x3f317218, v32, -v39
	v_ldexp_f32 v33, v33, 1
	s_delay_alu instid0(VALU_DEP_2) | instskip(NEXT) | instid1(VALU_DEP_1)
	v_dual_sub_f32 v35, v37, v35 :: v_dual_fmac_f32 v38, 0xb102e308, v32
	v_dual_add_f32 v32, v33, v35 :: v_dual_add_f32 v33, v39, v38
	s_delay_alu instid0(VALU_DEP_1) | instskip(NEXT) | instid1(VALU_DEP_1)
	v_add_f32_e32 v35, v36, v32
	v_dual_add_f32 v37, v33, v35 :: v_dual_sub_f32 v36, v35, v36
	s_delay_alu instid0(VALU_DEP_1) | instskip(NEXT) | instid1(VALU_DEP_2)
	v_sub_f32_e32 v40, v37, v33
	v_dual_sub_f32 v39, v33, v39 :: v_dual_sub_f32 v32, v32, v36
	s_delay_alu instid0(VALU_DEP_1) | instskip(SKIP_1) | instid1(VALU_DEP_2)
	v_dual_sub_f32 v41, v37, v40 :: v_dual_sub_f32 v38, v38, v39
	v_sub_f32_e32 v35, v35, v40
	v_dual_sub_f32 v33, v33, v41 :: v_dual_add_f32 v36, v38, v32
	s_delay_alu instid0(VALU_DEP_1) | instskip(NEXT) | instid1(VALU_DEP_2)
	v_add_f32_e32 v33, v35, v33
	v_sub_f32_e32 v35, v36, v38
	s_delay_alu instid0(VALU_DEP_2) | instskip(NEXT) | instid1(VALU_DEP_2)
	v_add_f32_e32 v33, v36, v33
	v_sub_f32_e32 v36, v36, v35
	s_delay_alu instid0(VALU_DEP_2) | instskip(NEXT) | instid1(VALU_DEP_1)
	v_dual_sub_f32 v32, v32, v35 :: v_dual_add_f32 v39, v37, v33
	v_dual_sub_f32 v36, v38, v36 :: v_dual_sub_f32 v35, v39, v37
	s_delay_alu instid0(VALU_DEP_1) | instskip(NEXT) | instid1(VALU_DEP_1)
	v_dual_add_f32 v32, v32, v36 :: v_dual_sub_f32 v33, v33, v35
	v_add_f32_e32 v32, v32, v33
	s_delay_alu instid0(VALU_DEP_1) | instskip(NEXT) | instid1(VALU_DEP_1)
	v_add_f32_e32 v32, v39, v32
	v_cndmask_b32_e32 v119, v32, v34, vcc_lo
.LBB155_32:                             ;   in Loop: Header=BB155_12 Depth=1
	s_or_b32 exec_lo, exec_lo, s18
	v_add_f32_e32 v120, s57, v13
	s_delay_alu instid0(VALU_DEP_1) | instskip(SKIP_1) | instid1(SALU_CYCLE_1)
	v_cmp_ge_f32_e32 vcc_lo, 0x41a00000, v120
	s_and_b32 s17, s69, vcc_lo
	s_and_saveexec_b32 s18, s17
	s_cbranch_execz .LBB155_34
; %bb.33:                               ;   in Loop: Header=BB155_12 Depth=1
	v_mul_f32_e32 v32, 0x3fb8aa3b, v120
	v_cmp_ngt_f32_e32 vcc_lo, 0xc2ce8ed0, v120
	s_delay_alu instid0(VALU_DEP_2) | instskip(SKIP_1) | instid1(VALU_DEP_2)
	v_rndne_f32_e32 v33, v32
	v_fma_f32 v34, 0x3fb8aa3b, v120, -v32
	v_sub_f32_e32 v32, v32, v33
	s_delay_alu instid0(VALU_DEP_2) | instskip(SKIP_1) | instid1(VALU_DEP_2)
	v_fmac_f32_e32 v34, 0x32a5705f, v120
	v_cvt_i32_f32_e32 v33, v33
	v_add_f32_e32 v32, v32, v34
	s_delay_alu instid0(VALU_DEP_1) | instskip(SKIP_2) | instid1(VALU_DEP_1)
	v_exp_f32_e32 v32, v32
	s_waitcnt_depctr 0xfff
	v_ldexp_f32 v32, v32, v33
	v_cndmask_b32_e32 v32, 0, v32, vcc_lo
	v_cmp_nlt_f32_e32 vcc_lo, 0x42b17218, v120
	s_delay_alu instid0(VALU_DEP_2) | instskip(NEXT) | instid1(VALU_DEP_1)
	v_cndmask_b32_e32 v34, 0x7f800000, v32, vcc_lo
	v_add_f32_e32 v35, 1.0, v34
	s_delay_alu instid0(VALU_DEP_1) | instskip(NEXT) | instid1(VALU_DEP_1)
	v_cvt_f64_f32_e32 v[32:33], v35
	v_frexp_exp_i32_f64_e32 v32, v[32:33]
	v_frexp_mant_f32_e32 v33, v35
	s_delay_alu instid0(VALU_DEP_1) | instskip(SKIP_1) | instid1(VALU_DEP_1)
	v_cmp_gt_f32_e32 vcc_lo, 0x3f2aaaab, v33
	v_add_f32_e32 v33, -1.0, v35
	v_sub_f32_e32 v37, v33, v35
	v_sub_f32_e32 v33, v34, v33
	s_delay_alu instid0(VALU_DEP_2) | instskip(NEXT) | instid1(VALU_DEP_1)
	v_add_f32_e32 v37, 1.0, v37
	v_add_f32_e32 v33, v33, v37
	v_cmp_gt_f32_e64 s17, 0x33800000, v34
	v_subrev_co_ci_u32_e32 v32, vcc_lo, 0, v32, vcc_lo
	v_cmp_eq_f32_e32 vcc_lo, 0x7f800000, v34
	s_delay_alu instid0(VALU_DEP_2) | instskip(SKIP_2) | instid1(VALU_DEP_2)
	v_sub_nc_u32_e32 v36, 0, v32
	v_cvt_f32_i32_e32 v32, v32
	s_or_b32 vcc_lo, s17, vcc_lo
	v_ldexp_f32 v35, v35, v36
	v_ldexp_f32 v33, v33, v36
	s_delay_alu instid0(VALU_DEP_2) | instskip(NEXT) | instid1(VALU_DEP_1)
	v_add_f32_e32 v38, 1.0, v35
	v_dual_add_f32 v36, -1.0, v35 :: v_dual_add_f32 v37, -1.0, v38
	s_delay_alu instid0(VALU_DEP_1) | instskip(NEXT) | instid1(VALU_DEP_2)
	v_add_f32_e32 v39, 1.0, v36
	v_sub_f32_e32 v37, v35, v37
	s_delay_alu instid0(VALU_DEP_2) | instskip(NEXT) | instid1(VALU_DEP_2)
	v_sub_f32_e32 v35, v35, v39
	v_add_f32_e32 v37, v33, v37
	s_delay_alu instid0(VALU_DEP_2) | instskip(NEXT) | instid1(VALU_DEP_1)
	v_add_f32_e32 v33, v33, v35
	v_add_f32_e32 v40, v36, v33
	s_delay_alu instid0(VALU_DEP_1) | instskip(NEXT) | instid1(VALU_DEP_1)
	v_dual_add_f32 v39, v38, v37 :: v_dual_sub_f32 v36, v36, v40
	v_rcp_f32_e32 v35, v39
	v_sub_f32_e32 v38, v38, v39
	s_delay_alu instid0(VALU_DEP_1) | instskip(SKIP_2) | instid1(VALU_DEP_1)
	v_add_f32_e32 v37, v37, v38
	s_waitcnt_depctr 0xfff
	v_mul_f32_e32 v41, v40, v35
	v_mul_f32_e32 v42, v39, v41
	s_delay_alu instid0(VALU_DEP_1) | instskip(NEXT) | instid1(VALU_DEP_1)
	v_fma_f32 v38, v41, v39, -v42
	v_fmac_f32_e32 v38, v41, v37
	s_delay_alu instid0(VALU_DEP_1) | instskip(NEXT) | instid1(VALU_DEP_1)
	v_add_f32_e32 v43, v42, v38
	v_sub_f32_e32 v44, v40, v43
	s_delay_alu instid0(VALU_DEP_1) | instskip(SKIP_1) | instid1(VALU_DEP_2)
	v_sub_f32_e32 v40, v40, v44
	v_dual_add_f32 v33, v33, v36 :: v_dual_sub_f32 v36, v43, v42
	v_sub_f32_e32 v40, v40, v43
	s_delay_alu instid0(VALU_DEP_1) | instskip(NEXT) | instid1(VALU_DEP_1)
	v_dual_sub_f32 v36, v36, v38 :: v_dual_add_f32 v33, v33, v40
	v_add_f32_e32 v33, v36, v33
	s_delay_alu instid0(VALU_DEP_1) | instskip(NEXT) | instid1(VALU_DEP_1)
	v_add_f32_e32 v36, v44, v33
	v_mul_f32_e32 v38, v35, v36
	s_delay_alu instid0(VALU_DEP_1) | instskip(NEXT) | instid1(VALU_DEP_1)
	v_dual_sub_f32 v43, v44, v36 :: v_dual_mul_f32 v40, v39, v38
	v_add_f32_e32 v33, v33, v43
	s_delay_alu instid0(VALU_DEP_2) | instskip(NEXT) | instid1(VALU_DEP_1)
	v_fma_f32 v39, v38, v39, -v40
	v_fmac_f32_e32 v39, v38, v37
	s_delay_alu instid0(VALU_DEP_1) | instskip(NEXT) | instid1(VALU_DEP_1)
	v_add_f32_e32 v37, v40, v39
	v_sub_f32_e32 v42, v36, v37
	s_delay_alu instid0(VALU_DEP_1) | instskip(NEXT) | instid1(VALU_DEP_1)
	v_sub_f32_e32 v36, v36, v42
	v_sub_f32_e32 v36, v36, v37
	s_delay_alu instid0(VALU_DEP_1) | instskip(SKIP_2) | instid1(VALU_DEP_1)
	v_add_f32_e32 v33, v33, v36
	v_add_f32_e32 v36, v41, v38
	v_sub_f32_e32 v40, v37, v40
	v_sub_f32_e32 v37, v40, v39
	s_delay_alu instid0(VALU_DEP_1) | instskip(NEXT) | instid1(VALU_DEP_4)
	v_add_f32_e32 v33, v37, v33
	v_sub_f32_e32 v37, v36, v41
	s_delay_alu instid0(VALU_DEP_2) | instskip(NEXT) | instid1(VALU_DEP_2)
	v_add_f32_e32 v33, v42, v33
	v_sub_f32_e32 v37, v38, v37
	s_delay_alu instid0(VALU_DEP_2) | instskip(NEXT) | instid1(VALU_DEP_1)
	v_mul_f32_e32 v33, v35, v33
	v_add_f32_e32 v33, v37, v33
	s_delay_alu instid0(VALU_DEP_1) | instskip(NEXT) | instid1(VALU_DEP_1)
	v_add_f32_e32 v35, v36, v33
	v_mul_f32_e32 v37, v35, v35
	s_delay_alu instid0(VALU_DEP_1) | instskip(SKIP_1) | instid1(VALU_DEP_2)
	v_fmaak_f32 v38, s73, v37, 0x3ecc95a3
	v_mul_f32_e32 v39, v35, v37
	v_fmaak_f32 v37, v37, v38, 0x3f2aaada
	v_ldexp_f32 v38, v35, 1
	s_delay_alu instid0(VALU_DEP_2) | instskip(SKIP_1) | instid1(VALU_DEP_2)
	v_mul_f32_e32 v37, v39, v37
	v_sub_f32_e32 v35, v35, v36
	v_dual_mul_f32 v39, 0x3f317218, v32 :: v_dual_add_f32 v36, v38, v37
	s_delay_alu instid0(VALU_DEP_2) | instskip(NEXT) | instid1(VALU_DEP_2)
	v_sub_f32_e32 v33, v33, v35
	v_sub_f32_e32 v35, v36, v38
	s_delay_alu instid0(VALU_DEP_3) | instskip(NEXT) | instid1(VALU_DEP_3)
	v_fma_f32 v38, 0x3f317218, v32, -v39
	v_ldexp_f32 v33, v33, 1
	s_delay_alu instid0(VALU_DEP_2) | instskip(NEXT) | instid1(VALU_DEP_1)
	v_dual_sub_f32 v35, v37, v35 :: v_dual_fmac_f32 v38, 0xb102e308, v32
	v_dual_add_f32 v32, v33, v35 :: v_dual_add_f32 v33, v39, v38
	s_delay_alu instid0(VALU_DEP_1) | instskip(NEXT) | instid1(VALU_DEP_1)
	v_add_f32_e32 v35, v36, v32
	v_dual_add_f32 v37, v33, v35 :: v_dual_sub_f32 v36, v35, v36
	s_delay_alu instid0(VALU_DEP_1) | instskip(NEXT) | instid1(VALU_DEP_2)
	v_sub_f32_e32 v40, v37, v33
	v_dual_sub_f32 v39, v33, v39 :: v_dual_sub_f32 v32, v32, v36
	s_delay_alu instid0(VALU_DEP_1) | instskip(SKIP_1) | instid1(VALU_DEP_2)
	v_dual_sub_f32 v41, v37, v40 :: v_dual_sub_f32 v38, v38, v39
	v_sub_f32_e32 v35, v35, v40
	v_dual_sub_f32 v33, v33, v41 :: v_dual_add_f32 v36, v38, v32
	s_delay_alu instid0(VALU_DEP_1) | instskip(NEXT) | instid1(VALU_DEP_2)
	v_add_f32_e32 v33, v35, v33
	v_sub_f32_e32 v35, v36, v38
	s_delay_alu instid0(VALU_DEP_2) | instskip(NEXT) | instid1(VALU_DEP_2)
	v_add_f32_e32 v33, v36, v33
	v_sub_f32_e32 v36, v36, v35
	s_delay_alu instid0(VALU_DEP_2) | instskip(NEXT) | instid1(VALU_DEP_1)
	v_dual_sub_f32 v32, v32, v35 :: v_dual_add_f32 v39, v37, v33
	v_dual_sub_f32 v36, v38, v36 :: v_dual_sub_f32 v35, v39, v37
	s_delay_alu instid0(VALU_DEP_1) | instskip(NEXT) | instid1(VALU_DEP_1)
	v_dual_add_f32 v32, v32, v36 :: v_dual_sub_f32 v33, v33, v35
	v_add_f32_e32 v32, v32, v33
	s_delay_alu instid0(VALU_DEP_1) | instskip(NEXT) | instid1(VALU_DEP_1)
	v_add_f32_e32 v32, v39, v32
	v_cndmask_b32_e32 v120, v32, v34, vcc_lo
.LBB155_34:                             ;   in Loop: Header=BB155_12 Depth=1
	s_or_b32 exec_lo, exec_lo, s18
	v_add_f32_e32 v121, s57, v14
	s_delay_alu instid0(VALU_DEP_1) | instskip(SKIP_1) | instid1(SALU_CYCLE_1)
	v_cmp_ge_f32_e32 vcc_lo, 0x41a00000, v121
	s_and_b32 s17, s69, vcc_lo
	s_and_saveexec_b32 s18, s17
	s_cbranch_execz .LBB155_36
; %bb.35:                               ;   in Loop: Header=BB155_12 Depth=1
	v_mul_f32_e32 v32, 0x3fb8aa3b, v121
	v_cmp_ngt_f32_e32 vcc_lo, 0xc2ce8ed0, v121
	s_delay_alu instid0(VALU_DEP_2) | instskip(SKIP_1) | instid1(VALU_DEP_2)
	v_rndne_f32_e32 v33, v32
	v_fma_f32 v34, 0x3fb8aa3b, v121, -v32
	v_sub_f32_e32 v32, v32, v33
	s_delay_alu instid0(VALU_DEP_2) | instskip(SKIP_1) | instid1(VALU_DEP_2)
	v_fmac_f32_e32 v34, 0x32a5705f, v121
	v_cvt_i32_f32_e32 v33, v33
	v_add_f32_e32 v32, v32, v34
	s_delay_alu instid0(VALU_DEP_1) | instskip(SKIP_2) | instid1(VALU_DEP_1)
	v_exp_f32_e32 v32, v32
	s_waitcnt_depctr 0xfff
	v_ldexp_f32 v32, v32, v33
	v_cndmask_b32_e32 v32, 0, v32, vcc_lo
	v_cmp_nlt_f32_e32 vcc_lo, 0x42b17218, v121
	s_delay_alu instid0(VALU_DEP_2) | instskip(NEXT) | instid1(VALU_DEP_1)
	v_cndmask_b32_e32 v34, 0x7f800000, v32, vcc_lo
	v_add_f32_e32 v35, 1.0, v34
	s_delay_alu instid0(VALU_DEP_1) | instskip(NEXT) | instid1(VALU_DEP_1)
	v_cvt_f64_f32_e32 v[32:33], v35
	v_frexp_exp_i32_f64_e32 v32, v[32:33]
	v_frexp_mant_f32_e32 v33, v35
	s_delay_alu instid0(VALU_DEP_1) | instskip(SKIP_1) | instid1(VALU_DEP_1)
	v_cmp_gt_f32_e32 vcc_lo, 0x3f2aaaab, v33
	v_add_f32_e32 v33, -1.0, v35
	v_sub_f32_e32 v37, v33, v35
	v_sub_f32_e32 v33, v34, v33
	s_delay_alu instid0(VALU_DEP_2) | instskip(NEXT) | instid1(VALU_DEP_1)
	v_add_f32_e32 v37, 1.0, v37
	v_add_f32_e32 v33, v33, v37
	v_cmp_gt_f32_e64 s17, 0x33800000, v34
	v_subrev_co_ci_u32_e32 v32, vcc_lo, 0, v32, vcc_lo
	v_cmp_eq_f32_e32 vcc_lo, 0x7f800000, v34
	s_delay_alu instid0(VALU_DEP_2) | instskip(SKIP_2) | instid1(VALU_DEP_2)
	v_sub_nc_u32_e32 v36, 0, v32
	v_cvt_f32_i32_e32 v32, v32
	s_or_b32 vcc_lo, s17, vcc_lo
	v_ldexp_f32 v35, v35, v36
	v_ldexp_f32 v33, v33, v36
	s_delay_alu instid0(VALU_DEP_2) | instskip(NEXT) | instid1(VALU_DEP_1)
	v_add_f32_e32 v38, 1.0, v35
	v_dual_add_f32 v36, -1.0, v35 :: v_dual_add_f32 v37, -1.0, v38
	s_delay_alu instid0(VALU_DEP_1) | instskip(NEXT) | instid1(VALU_DEP_2)
	v_add_f32_e32 v39, 1.0, v36
	v_sub_f32_e32 v37, v35, v37
	s_delay_alu instid0(VALU_DEP_2) | instskip(NEXT) | instid1(VALU_DEP_2)
	v_sub_f32_e32 v35, v35, v39
	v_add_f32_e32 v37, v33, v37
	s_delay_alu instid0(VALU_DEP_2) | instskip(NEXT) | instid1(VALU_DEP_1)
	v_add_f32_e32 v33, v33, v35
	v_add_f32_e32 v40, v36, v33
	s_delay_alu instid0(VALU_DEP_1) | instskip(NEXT) | instid1(VALU_DEP_1)
	v_dual_add_f32 v39, v38, v37 :: v_dual_sub_f32 v36, v36, v40
	v_rcp_f32_e32 v35, v39
	v_sub_f32_e32 v38, v38, v39
	s_delay_alu instid0(VALU_DEP_1) | instskip(SKIP_2) | instid1(VALU_DEP_1)
	v_add_f32_e32 v37, v37, v38
	s_waitcnt_depctr 0xfff
	v_mul_f32_e32 v41, v40, v35
	v_mul_f32_e32 v42, v39, v41
	s_delay_alu instid0(VALU_DEP_1) | instskip(NEXT) | instid1(VALU_DEP_1)
	v_fma_f32 v38, v41, v39, -v42
	v_fmac_f32_e32 v38, v41, v37
	s_delay_alu instid0(VALU_DEP_1) | instskip(NEXT) | instid1(VALU_DEP_1)
	v_add_f32_e32 v43, v42, v38
	v_sub_f32_e32 v44, v40, v43
	s_delay_alu instid0(VALU_DEP_1) | instskip(SKIP_1) | instid1(VALU_DEP_2)
	v_sub_f32_e32 v40, v40, v44
	v_dual_add_f32 v33, v33, v36 :: v_dual_sub_f32 v36, v43, v42
	v_sub_f32_e32 v40, v40, v43
	s_delay_alu instid0(VALU_DEP_1) | instskip(NEXT) | instid1(VALU_DEP_1)
	v_dual_sub_f32 v36, v36, v38 :: v_dual_add_f32 v33, v33, v40
	v_add_f32_e32 v33, v36, v33
	s_delay_alu instid0(VALU_DEP_1) | instskip(NEXT) | instid1(VALU_DEP_1)
	v_add_f32_e32 v36, v44, v33
	v_mul_f32_e32 v38, v35, v36
	s_delay_alu instid0(VALU_DEP_1) | instskip(NEXT) | instid1(VALU_DEP_1)
	v_dual_sub_f32 v43, v44, v36 :: v_dual_mul_f32 v40, v39, v38
	v_add_f32_e32 v33, v33, v43
	s_delay_alu instid0(VALU_DEP_2) | instskip(NEXT) | instid1(VALU_DEP_1)
	v_fma_f32 v39, v38, v39, -v40
	v_fmac_f32_e32 v39, v38, v37
	s_delay_alu instid0(VALU_DEP_1) | instskip(NEXT) | instid1(VALU_DEP_1)
	v_add_f32_e32 v37, v40, v39
	v_sub_f32_e32 v42, v36, v37
	s_delay_alu instid0(VALU_DEP_1) | instskip(NEXT) | instid1(VALU_DEP_1)
	v_sub_f32_e32 v36, v36, v42
	v_sub_f32_e32 v36, v36, v37
	s_delay_alu instid0(VALU_DEP_1) | instskip(SKIP_2) | instid1(VALU_DEP_1)
	v_add_f32_e32 v33, v33, v36
	v_add_f32_e32 v36, v41, v38
	v_sub_f32_e32 v40, v37, v40
	v_sub_f32_e32 v37, v40, v39
	s_delay_alu instid0(VALU_DEP_1) | instskip(NEXT) | instid1(VALU_DEP_4)
	v_add_f32_e32 v33, v37, v33
	v_sub_f32_e32 v37, v36, v41
	s_delay_alu instid0(VALU_DEP_2) | instskip(NEXT) | instid1(VALU_DEP_2)
	v_add_f32_e32 v33, v42, v33
	v_sub_f32_e32 v37, v38, v37
	s_delay_alu instid0(VALU_DEP_2) | instskip(NEXT) | instid1(VALU_DEP_1)
	v_mul_f32_e32 v33, v35, v33
	v_add_f32_e32 v33, v37, v33
	s_delay_alu instid0(VALU_DEP_1) | instskip(NEXT) | instid1(VALU_DEP_1)
	v_add_f32_e32 v35, v36, v33
	v_mul_f32_e32 v37, v35, v35
	s_delay_alu instid0(VALU_DEP_1) | instskip(SKIP_1) | instid1(VALU_DEP_2)
	v_fmaak_f32 v38, s73, v37, 0x3ecc95a3
	v_mul_f32_e32 v39, v35, v37
	v_fmaak_f32 v37, v37, v38, 0x3f2aaada
	v_ldexp_f32 v38, v35, 1
	s_delay_alu instid0(VALU_DEP_2) | instskip(SKIP_1) | instid1(VALU_DEP_2)
	v_mul_f32_e32 v37, v39, v37
	v_sub_f32_e32 v35, v35, v36
	v_dual_mul_f32 v39, 0x3f317218, v32 :: v_dual_add_f32 v36, v38, v37
	s_delay_alu instid0(VALU_DEP_2) | instskip(NEXT) | instid1(VALU_DEP_2)
	v_sub_f32_e32 v33, v33, v35
	v_sub_f32_e32 v35, v36, v38
	s_delay_alu instid0(VALU_DEP_3) | instskip(NEXT) | instid1(VALU_DEP_3)
	v_fma_f32 v38, 0x3f317218, v32, -v39
	v_ldexp_f32 v33, v33, 1
	s_delay_alu instid0(VALU_DEP_2) | instskip(NEXT) | instid1(VALU_DEP_1)
	v_dual_sub_f32 v35, v37, v35 :: v_dual_fmac_f32 v38, 0xb102e308, v32
	v_dual_add_f32 v32, v33, v35 :: v_dual_add_f32 v33, v39, v38
	s_delay_alu instid0(VALU_DEP_1) | instskip(NEXT) | instid1(VALU_DEP_1)
	v_add_f32_e32 v35, v36, v32
	v_dual_add_f32 v37, v33, v35 :: v_dual_sub_f32 v36, v35, v36
	s_delay_alu instid0(VALU_DEP_1) | instskip(NEXT) | instid1(VALU_DEP_2)
	v_sub_f32_e32 v40, v37, v33
	v_dual_sub_f32 v39, v33, v39 :: v_dual_sub_f32 v32, v32, v36
	s_delay_alu instid0(VALU_DEP_1) | instskip(SKIP_1) | instid1(VALU_DEP_2)
	v_dual_sub_f32 v41, v37, v40 :: v_dual_sub_f32 v38, v38, v39
	v_sub_f32_e32 v35, v35, v40
	v_dual_sub_f32 v33, v33, v41 :: v_dual_add_f32 v36, v38, v32
	s_delay_alu instid0(VALU_DEP_1) | instskip(NEXT) | instid1(VALU_DEP_2)
	v_add_f32_e32 v33, v35, v33
	v_sub_f32_e32 v35, v36, v38
	s_delay_alu instid0(VALU_DEP_2) | instskip(NEXT) | instid1(VALU_DEP_2)
	v_add_f32_e32 v33, v36, v33
	v_sub_f32_e32 v36, v36, v35
	s_delay_alu instid0(VALU_DEP_2) | instskip(NEXT) | instid1(VALU_DEP_1)
	v_dual_sub_f32 v32, v32, v35 :: v_dual_add_f32 v39, v37, v33
	v_dual_sub_f32 v36, v38, v36 :: v_dual_sub_f32 v35, v39, v37
	s_delay_alu instid0(VALU_DEP_1) | instskip(NEXT) | instid1(VALU_DEP_1)
	v_dual_add_f32 v32, v32, v36 :: v_dual_sub_f32 v33, v33, v35
	v_add_f32_e32 v32, v32, v33
	s_delay_alu instid0(VALU_DEP_1) | instskip(NEXT) | instid1(VALU_DEP_1)
	v_add_f32_e32 v32, v39, v32
	v_cndmask_b32_e32 v121, v32, v34, vcc_lo
.LBB155_36:                             ;   in Loop: Header=BB155_12 Depth=1
	s_or_b32 exec_lo, exec_lo, s18
	v_add_f32_e32 v122, s57, v15
	s_delay_alu instid0(VALU_DEP_1) | instskip(SKIP_1) | instid1(SALU_CYCLE_1)
	v_cmp_ge_f32_e32 vcc_lo, 0x41a00000, v122
	s_and_b32 s17, s69, vcc_lo
	s_and_saveexec_b32 s18, s17
	s_cbranch_execz .LBB155_38
; %bb.37:                               ;   in Loop: Header=BB155_12 Depth=1
	v_mul_f32_e32 v32, 0x3fb8aa3b, v122
	v_cmp_ngt_f32_e32 vcc_lo, 0xc2ce8ed0, v122
	s_delay_alu instid0(VALU_DEP_2) | instskip(SKIP_1) | instid1(VALU_DEP_2)
	v_rndne_f32_e32 v33, v32
	v_fma_f32 v34, 0x3fb8aa3b, v122, -v32
	v_sub_f32_e32 v32, v32, v33
	s_delay_alu instid0(VALU_DEP_2) | instskip(SKIP_1) | instid1(VALU_DEP_2)
	v_fmac_f32_e32 v34, 0x32a5705f, v122
	v_cvt_i32_f32_e32 v33, v33
	v_add_f32_e32 v32, v32, v34
	s_delay_alu instid0(VALU_DEP_1) | instskip(SKIP_2) | instid1(VALU_DEP_1)
	v_exp_f32_e32 v32, v32
	s_waitcnt_depctr 0xfff
	v_ldexp_f32 v32, v32, v33
	v_cndmask_b32_e32 v32, 0, v32, vcc_lo
	v_cmp_nlt_f32_e32 vcc_lo, 0x42b17218, v122
	s_delay_alu instid0(VALU_DEP_2) | instskip(NEXT) | instid1(VALU_DEP_1)
	v_cndmask_b32_e32 v34, 0x7f800000, v32, vcc_lo
	v_add_f32_e32 v35, 1.0, v34
	s_delay_alu instid0(VALU_DEP_1) | instskip(NEXT) | instid1(VALU_DEP_1)
	v_cvt_f64_f32_e32 v[32:33], v35
	v_frexp_exp_i32_f64_e32 v32, v[32:33]
	v_frexp_mant_f32_e32 v33, v35
	s_delay_alu instid0(VALU_DEP_1) | instskip(SKIP_1) | instid1(VALU_DEP_1)
	v_cmp_gt_f32_e32 vcc_lo, 0x3f2aaaab, v33
	v_add_f32_e32 v33, -1.0, v35
	v_sub_f32_e32 v37, v33, v35
	v_sub_f32_e32 v33, v34, v33
	s_delay_alu instid0(VALU_DEP_2) | instskip(NEXT) | instid1(VALU_DEP_1)
	v_add_f32_e32 v37, 1.0, v37
	v_add_f32_e32 v33, v33, v37
	v_cmp_gt_f32_e64 s17, 0x33800000, v34
	v_subrev_co_ci_u32_e32 v32, vcc_lo, 0, v32, vcc_lo
	v_cmp_eq_f32_e32 vcc_lo, 0x7f800000, v34
	s_delay_alu instid0(VALU_DEP_2) | instskip(SKIP_2) | instid1(VALU_DEP_2)
	v_sub_nc_u32_e32 v36, 0, v32
	v_cvt_f32_i32_e32 v32, v32
	s_or_b32 vcc_lo, s17, vcc_lo
	v_ldexp_f32 v35, v35, v36
	v_ldexp_f32 v33, v33, v36
	s_delay_alu instid0(VALU_DEP_2) | instskip(NEXT) | instid1(VALU_DEP_1)
	v_add_f32_e32 v38, 1.0, v35
	v_dual_add_f32 v36, -1.0, v35 :: v_dual_add_f32 v37, -1.0, v38
	s_delay_alu instid0(VALU_DEP_1) | instskip(NEXT) | instid1(VALU_DEP_2)
	v_add_f32_e32 v39, 1.0, v36
	v_sub_f32_e32 v37, v35, v37
	s_delay_alu instid0(VALU_DEP_2) | instskip(NEXT) | instid1(VALU_DEP_2)
	v_sub_f32_e32 v35, v35, v39
	v_add_f32_e32 v37, v33, v37
	s_delay_alu instid0(VALU_DEP_2) | instskip(NEXT) | instid1(VALU_DEP_1)
	v_add_f32_e32 v33, v33, v35
	v_add_f32_e32 v40, v36, v33
	s_delay_alu instid0(VALU_DEP_1) | instskip(NEXT) | instid1(VALU_DEP_1)
	v_dual_add_f32 v39, v38, v37 :: v_dual_sub_f32 v36, v36, v40
	v_rcp_f32_e32 v35, v39
	v_sub_f32_e32 v38, v38, v39
	s_delay_alu instid0(VALU_DEP_1) | instskip(SKIP_2) | instid1(VALU_DEP_1)
	v_add_f32_e32 v37, v37, v38
	s_waitcnt_depctr 0xfff
	v_mul_f32_e32 v41, v40, v35
	v_mul_f32_e32 v42, v39, v41
	s_delay_alu instid0(VALU_DEP_1) | instskip(NEXT) | instid1(VALU_DEP_1)
	v_fma_f32 v38, v41, v39, -v42
	v_fmac_f32_e32 v38, v41, v37
	s_delay_alu instid0(VALU_DEP_1) | instskip(NEXT) | instid1(VALU_DEP_1)
	v_add_f32_e32 v43, v42, v38
	v_sub_f32_e32 v44, v40, v43
	s_delay_alu instid0(VALU_DEP_1) | instskip(SKIP_1) | instid1(VALU_DEP_2)
	v_sub_f32_e32 v40, v40, v44
	v_dual_add_f32 v33, v33, v36 :: v_dual_sub_f32 v36, v43, v42
	v_sub_f32_e32 v40, v40, v43
	s_delay_alu instid0(VALU_DEP_1) | instskip(NEXT) | instid1(VALU_DEP_1)
	v_dual_sub_f32 v36, v36, v38 :: v_dual_add_f32 v33, v33, v40
	v_add_f32_e32 v33, v36, v33
	s_delay_alu instid0(VALU_DEP_1) | instskip(NEXT) | instid1(VALU_DEP_1)
	v_add_f32_e32 v36, v44, v33
	v_mul_f32_e32 v38, v35, v36
	s_delay_alu instid0(VALU_DEP_1) | instskip(NEXT) | instid1(VALU_DEP_1)
	v_dual_sub_f32 v43, v44, v36 :: v_dual_mul_f32 v40, v39, v38
	v_add_f32_e32 v33, v33, v43
	s_delay_alu instid0(VALU_DEP_2) | instskip(NEXT) | instid1(VALU_DEP_1)
	v_fma_f32 v39, v38, v39, -v40
	v_fmac_f32_e32 v39, v38, v37
	s_delay_alu instid0(VALU_DEP_1) | instskip(NEXT) | instid1(VALU_DEP_1)
	v_add_f32_e32 v37, v40, v39
	v_sub_f32_e32 v42, v36, v37
	s_delay_alu instid0(VALU_DEP_1) | instskip(NEXT) | instid1(VALU_DEP_1)
	v_sub_f32_e32 v36, v36, v42
	v_sub_f32_e32 v36, v36, v37
	s_delay_alu instid0(VALU_DEP_1) | instskip(SKIP_2) | instid1(VALU_DEP_1)
	v_add_f32_e32 v33, v33, v36
	v_add_f32_e32 v36, v41, v38
	v_sub_f32_e32 v40, v37, v40
	v_sub_f32_e32 v37, v40, v39
	s_delay_alu instid0(VALU_DEP_1) | instskip(NEXT) | instid1(VALU_DEP_4)
	v_add_f32_e32 v33, v37, v33
	v_sub_f32_e32 v37, v36, v41
	s_delay_alu instid0(VALU_DEP_2) | instskip(NEXT) | instid1(VALU_DEP_2)
	v_add_f32_e32 v33, v42, v33
	v_sub_f32_e32 v37, v38, v37
	s_delay_alu instid0(VALU_DEP_2) | instskip(NEXT) | instid1(VALU_DEP_1)
	v_mul_f32_e32 v33, v35, v33
	v_add_f32_e32 v33, v37, v33
	s_delay_alu instid0(VALU_DEP_1) | instskip(NEXT) | instid1(VALU_DEP_1)
	v_add_f32_e32 v35, v36, v33
	v_mul_f32_e32 v37, v35, v35
	s_delay_alu instid0(VALU_DEP_1) | instskip(SKIP_1) | instid1(VALU_DEP_2)
	v_fmaak_f32 v38, s73, v37, 0x3ecc95a3
	v_mul_f32_e32 v39, v35, v37
	v_fmaak_f32 v37, v37, v38, 0x3f2aaada
	v_ldexp_f32 v38, v35, 1
	s_delay_alu instid0(VALU_DEP_2) | instskip(SKIP_1) | instid1(VALU_DEP_2)
	v_mul_f32_e32 v37, v39, v37
	v_sub_f32_e32 v35, v35, v36
	v_dual_mul_f32 v39, 0x3f317218, v32 :: v_dual_add_f32 v36, v38, v37
	s_delay_alu instid0(VALU_DEP_2) | instskip(NEXT) | instid1(VALU_DEP_2)
	v_sub_f32_e32 v33, v33, v35
	v_sub_f32_e32 v35, v36, v38
	s_delay_alu instid0(VALU_DEP_3) | instskip(NEXT) | instid1(VALU_DEP_3)
	v_fma_f32 v38, 0x3f317218, v32, -v39
	v_ldexp_f32 v33, v33, 1
	s_delay_alu instid0(VALU_DEP_2) | instskip(NEXT) | instid1(VALU_DEP_1)
	v_dual_sub_f32 v35, v37, v35 :: v_dual_fmac_f32 v38, 0xb102e308, v32
	v_dual_add_f32 v32, v33, v35 :: v_dual_add_f32 v33, v39, v38
	s_delay_alu instid0(VALU_DEP_1) | instskip(NEXT) | instid1(VALU_DEP_1)
	v_add_f32_e32 v35, v36, v32
	v_dual_add_f32 v37, v33, v35 :: v_dual_sub_f32 v36, v35, v36
	s_delay_alu instid0(VALU_DEP_1) | instskip(NEXT) | instid1(VALU_DEP_2)
	v_sub_f32_e32 v40, v37, v33
	v_dual_sub_f32 v39, v33, v39 :: v_dual_sub_f32 v32, v32, v36
	s_delay_alu instid0(VALU_DEP_1) | instskip(SKIP_1) | instid1(VALU_DEP_2)
	v_dual_sub_f32 v41, v37, v40 :: v_dual_sub_f32 v38, v38, v39
	v_sub_f32_e32 v35, v35, v40
	v_dual_sub_f32 v33, v33, v41 :: v_dual_add_f32 v36, v38, v32
	s_delay_alu instid0(VALU_DEP_1) | instskip(NEXT) | instid1(VALU_DEP_2)
	v_add_f32_e32 v33, v35, v33
	v_sub_f32_e32 v35, v36, v38
	s_delay_alu instid0(VALU_DEP_2) | instskip(NEXT) | instid1(VALU_DEP_2)
	v_add_f32_e32 v33, v36, v33
	v_sub_f32_e32 v36, v36, v35
	s_delay_alu instid0(VALU_DEP_2) | instskip(NEXT) | instid1(VALU_DEP_1)
	v_dual_sub_f32 v32, v32, v35 :: v_dual_add_f32 v39, v37, v33
	v_dual_sub_f32 v36, v38, v36 :: v_dual_sub_f32 v35, v39, v37
	s_delay_alu instid0(VALU_DEP_1) | instskip(NEXT) | instid1(VALU_DEP_1)
	v_dual_add_f32 v32, v32, v36 :: v_dual_sub_f32 v33, v33, v35
	v_add_f32_e32 v32, v32, v33
	s_delay_alu instid0(VALU_DEP_1) | instskip(NEXT) | instid1(VALU_DEP_1)
	v_add_f32_e32 v32, v39, v32
	v_cndmask_b32_e32 v122, v32, v34, vcc_lo
.LBB155_38:                             ;   in Loop: Header=BB155_12 Depth=1
	s_or_b32 exec_lo, exec_lo, s18
	s_waitcnt lgkmcnt(1)
	v_add_f32_e32 v123, s57, v4
	s_delay_alu instid0(VALU_DEP_1) | instskip(SKIP_1) | instid1(SALU_CYCLE_1)
	v_cmp_ge_f32_e32 vcc_lo, 0x41a00000, v123
	s_and_b32 s17, s69, vcc_lo
	s_and_saveexec_b32 s18, s17
	s_cbranch_execz .LBB155_40
; %bb.39:                               ;   in Loop: Header=BB155_12 Depth=1
	v_mul_f32_e32 v32, 0x3fb8aa3b, v123
	v_cmp_ngt_f32_e32 vcc_lo, 0xc2ce8ed0, v123
	s_delay_alu instid0(VALU_DEP_2) | instskip(SKIP_1) | instid1(VALU_DEP_2)
	v_rndne_f32_e32 v33, v32
	v_fma_f32 v34, 0x3fb8aa3b, v123, -v32
	v_sub_f32_e32 v32, v32, v33
	s_delay_alu instid0(VALU_DEP_2) | instskip(SKIP_1) | instid1(VALU_DEP_2)
	v_fmac_f32_e32 v34, 0x32a5705f, v123
	v_cvt_i32_f32_e32 v33, v33
	v_add_f32_e32 v32, v32, v34
	s_delay_alu instid0(VALU_DEP_1) | instskip(SKIP_2) | instid1(VALU_DEP_1)
	v_exp_f32_e32 v32, v32
	s_waitcnt_depctr 0xfff
	v_ldexp_f32 v32, v32, v33
	v_cndmask_b32_e32 v32, 0, v32, vcc_lo
	v_cmp_nlt_f32_e32 vcc_lo, 0x42b17218, v123
	s_delay_alu instid0(VALU_DEP_2) | instskip(NEXT) | instid1(VALU_DEP_1)
	v_cndmask_b32_e32 v34, 0x7f800000, v32, vcc_lo
	v_add_f32_e32 v35, 1.0, v34
	s_delay_alu instid0(VALU_DEP_1) | instskip(NEXT) | instid1(VALU_DEP_1)
	v_cvt_f64_f32_e32 v[32:33], v35
	v_frexp_exp_i32_f64_e32 v32, v[32:33]
	v_frexp_mant_f32_e32 v33, v35
	s_delay_alu instid0(VALU_DEP_1) | instskip(SKIP_1) | instid1(VALU_DEP_1)
	v_cmp_gt_f32_e32 vcc_lo, 0x3f2aaaab, v33
	v_add_f32_e32 v33, -1.0, v35
	v_sub_f32_e32 v37, v33, v35
	v_sub_f32_e32 v33, v34, v33
	s_delay_alu instid0(VALU_DEP_2) | instskip(NEXT) | instid1(VALU_DEP_1)
	v_add_f32_e32 v37, 1.0, v37
	v_add_f32_e32 v33, v33, v37
	v_cmp_gt_f32_e64 s17, 0x33800000, v34
	v_subrev_co_ci_u32_e32 v32, vcc_lo, 0, v32, vcc_lo
	v_cmp_eq_f32_e32 vcc_lo, 0x7f800000, v34
	s_delay_alu instid0(VALU_DEP_2) | instskip(SKIP_2) | instid1(VALU_DEP_2)
	v_sub_nc_u32_e32 v36, 0, v32
	v_cvt_f32_i32_e32 v32, v32
	s_or_b32 vcc_lo, s17, vcc_lo
	v_ldexp_f32 v35, v35, v36
	v_ldexp_f32 v33, v33, v36
	s_delay_alu instid0(VALU_DEP_2) | instskip(NEXT) | instid1(VALU_DEP_1)
	v_add_f32_e32 v38, 1.0, v35
	v_dual_add_f32 v36, -1.0, v35 :: v_dual_add_f32 v37, -1.0, v38
	s_delay_alu instid0(VALU_DEP_1) | instskip(NEXT) | instid1(VALU_DEP_2)
	v_add_f32_e32 v39, 1.0, v36
	v_sub_f32_e32 v37, v35, v37
	s_delay_alu instid0(VALU_DEP_2) | instskip(NEXT) | instid1(VALU_DEP_2)
	v_sub_f32_e32 v35, v35, v39
	v_add_f32_e32 v37, v33, v37
	s_delay_alu instid0(VALU_DEP_2) | instskip(NEXT) | instid1(VALU_DEP_1)
	v_add_f32_e32 v33, v33, v35
	v_add_f32_e32 v40, v36, v33
	s_delay_alu instid0(VALU_DEP_1) | instskip(NEXT) | instid1(VALU_DEP_1)
	v_dual_add_f32 v39, v38, v37 :: v_dual_sub_f32 v36, v36, v40
	v_rcp_f32_e32 v35, v39
	v_sub_f32_e32 v38, v38, v39
	s_delay_alu instid0(VALU_DEP_1) | instskip(SKIP_2) | instid1(VALU_DEP_1)
	v_add_f32_e32 v37, v37, v38
	s_waitcnt_depctr 0xfff
	v_mul_f32_e32 v41, v40, v35
	v_mul_f32_e32 v42, v39, v41
	s_delay_alu instid0(VALU_DEP_1) | instskip(NEXT) | instid1(VALU_DEP_1)
	v_fma_f32 v38, v41, v39, -v42
	v_fmac_f32_e32 v38, v41, v37
	s_delay_alu instid0(VALU_DEP_1) | instskip(NEXT) | instid1(VALU_DEP_1)
	v_add_f32_e32 v43, v42, v38
	v_sub_f32_e32 v44, v40, v43
	s_delay_alu instid0(VALU_DEP_1) | instskip(SKIP_1) | instid1(VALU_DEP_2)
	v_sub_f32_e32 v40, v40, v44
	v_dual_add_f32 v33, v33, v36 :: v_dual_sub_f32 v36, v43, v42
	v_sub_f32_e32 v40, v40, v43
	s_delay_alu instid0(VALU_DEP_1) | instskip(NEXT) | instid1(VALU_DEP_1)
	v_dual_sub_f32 v36, v36, v38 :: v_dual_add_f32 v33, v33, v40
	v_add_f32_e32 v33, v36, v33
	s_delay_alu instid0(VALU_DEP_1) | instskip(NEXT) | instid1(VALU_DEP_1)
	v_add_f32_e32 v36, v44, v33
	v_mul_f32_e32 v38, v35, v36
	s_delay_alu instid0(VALU_DEP_1) | instskip(NEXT) | instid1(VALU_DEP_1)
	v_dual_sub_f32 v43, v44, v36 :: v_dual_mul_f32 v40, v39, v38
	v_add_f32_e32 v33, v33, v43
	s_delay_alu instid0(VALU_DEP_2) | instskip(NEXT) | instid1(VALU_DEP_1)
	v_fma_f32 v39, v38, v39, -v40
	v_fmac_f32_e32 v39, v38, v37
	s_delay_alu instid0(VALU_DEP_1) | instskip(NEXT) | instid1(VALU_DEP_1)
	v_add_f32_e32 v37, v40, v39
	v_sub_f32_e32 v42, v36, v37
	s_delay_alu instid0(VALU_DEP_1) | instskip(NEXT) | instid1(VALU_DEP_1)
	v_sub_f32_e32 v36, v36, v42
	v_sub_f32_e32 v36, v36, v37
	s_delay_alu instid0(VALU_DEP_1) | instskip(SKIP_2) | instid1(VALU_DEP_1)
	v_add_f32_e32 v33, v33, v36
	v_add_f32_e32 v36, v41, v38
	v_sub_f32_e32 v40, v37, v40
	v_sub_f32_e32 v37, v40, v39
	s_delay_alu instid0(VALU_DEP_1) | instskip(NEXT) | instid1(VALU_DEP_4)
	v_add_f32_e32 v33, v37, v33
	v_sub_f32_e32 v37, v36, v41
	s_delay_alu instid0(VALU_DEP_2) | instskip(NEXT) | instid1(VALU_DEP_2)
	v_add_f32_e32 v33, v42, v33
	v_sub_f32_e32 v37, v38, v37
	s_delay_alu instid0(VALU_DEP_2) | instskip(NEXT) | instid1(VALU_DEP_1)
	v_mul_f32_e32 v33, v35, v33
	v_add_f32_e32 v33, v37, v33
	s_delay_alu instid0(VALU_DEP_1) | instskip(NEXT) | instid1(VALU_DEP_1)
	v_add_f32_e32 v35, v36, v33
	v_mul_f32_e32 v37, v35, v35
	s_delay_alu instid0(VALU_DEP_1) | instskip(SKIP_1) | instid1(VALU_DEP_2)
	v_fmaak_f32 v38, s73, v37, 0x3ecc95a3
	v_mul_f32_e32 v39, v35, v37
	v_fmaak_f32 v37, v37, v38, 0x3f2aaada
	v_ldexp_f32 v38, v35, 1
	s_delay_alu instid0(VALU_DEP_2) | instskip(SKIP_1) | instid1(VALU_DEP_2)
	v_mul_f32_e32 v37, v39, v37
	v_sub_f32_e32 v35, v35, v36
	v_dual_mul_f32 v39, 0x3f317218, v32 :: v_dual_add_f32 v36, v38, v37
	s_delay_alu instid0(VALU_DEP_2) | instskip(NEXT) | instid1(VALU_DEP_2)
	v_sub_f32_e32 v33, v33, v35
	v_sub_f32_e32 v35, v36, v38
	s_delay_alu instid0(VALU_DEP_3) | instskip(NEXT) | instid1(VALU_DEP_3)
	v_fma_f32 v38, 0x3f317218, v32, -v39
	v_ldexp_f32 v33, v33, 1
	s_delay_alu instid0(VALU_DEP_2) | instskip(NEXT) | instid1(VALU_DEP_1)
	v_dual_sub_f32 v35, v37, v35 :: v_dual_fmac_f32 v38, 0xb102e308, v32
	v_dual_add_f32 v32, v33, v35 :: v_dual_add_f32 v33, v39, v38
	s_delay_alu instid0(VALU_DEP_1) | instskip(NEXT) | instid1(VALU_DEP_1)
	v_add_f32_e32 v35, v36, v32
	v_dual_add_f32 v37, v33, v35 :: v_dual_sub_f32 v36, v35, v36
	s_delay_alu instid0(VALU_DEP_1) | instskip(NEXT) | instid1(VALU_DEP_2)
	v_sub_f32_e32 v40, v37, v33
	v_dual_sub_f32 v39, v33, v39 :: v_dual_sub_f32 v32, v32, v36
	s_delay_alu instid0(VALU_DEP_1) | instskip(SKIP_1) | instid1(VALU_DEP_2)
	v_dual_sub_f32 v41, v37, v40 :: v_dual_sub_f32 v38, v38, v39
	v_sub_f32_e32 v35, v35, v40
	v_dual_sub_f32 v33, v33, v41 :: v_dual_add_f32 v36, v38, v32
	s_delay_alu instid0(VALU_DEP_1) | instskip(NEXT) | instid1(VALU_DEP_2)
	v_add_f32_e32 v33, v35, v33
	v_sub_f32_e32 v35, v36, v38
	s_delay_alu instid0(VALU_DEP_2) | instskip(NEXT) | instid1(VALU_DEP_2)
	v_add_f32_e32 v33, v36, v33
	v_sub_f32_e32 v36, v36, v35
	s_delay_alu instid0(VALU_DEP_2) | instskip(NEXT) | instid1(VALU_DEP_1)
	v_dual_sub_f32 v32, v32, v35 :: v_dual_add_f32 v39, v37, v33
	v_dual_sub_f32 v36, v38, v36 :: v_dual_sub_f32 v35, v39, v37
	s_delay_alu instid0(VALU_DEP_1) | instskip(NEXT) | instid1(VALU_DEP_1)
	v_dual_add_f32 v32, v32, v36 :: v_dual_sub_f32 v33, v33, v35
	v_add_f32_e32 v32, v32, v33
	s_delay_alu instid0(VALU_DEP_1) | instskip(NEXT) | instid1(VALU_DEP_1)
	v_add_f32_e32 v32, v39, v32
	v_cndmask_b32_e32 v123, v32, v34, vcc_lo
.LBB155_40:                             ;   in Loop: Header=BB155_12 Depth=1
	s_or_b32 exec_lo, exec_lo, s18
	v_add_f32_e32 v124, s57, v5
	s_delay_alu instid0(VALU_DEP_1) | instskip(SKIP_1) | instid1(SALU_CYCLE_1)
	v_cmp_ge_f32_e32 vcc_lo, 0x41a00000, v124
	s_and_b32 s17, s69, vcc_lo
	s_and_saveexec_b32 s18, s17
	s_cbranch_execz .LBB155_42
; %bb.41:                               ;   in Loop: Header=BB155_12 Depth=1
	v_mul_f32_e32 v32, 0x3fb8aa3b, v124
	v_cmp_ngt_f32_e32 vcc_lo, 0xc2ce8ed0, v124
	s_delay_alu instid0(VALU_DEP_2) | instskip(SKIP_1) | instid1(VALU_DEP_2)
	v_rndne_f32_e32 v33, v32
	v_fma_f32 v34, 0x3fb8aa3b, v124, -v32
	v_sub_f32_e32 v32, v32, v33
	s_delay_alu instid0(VALU_DEP_2) | instskip(SKIP_1) | instid1(VALU_DEP_2)
	v_fmac_f32_e32 v34, 0x32a5705f, v124
	v_cvt_i32_f32_e32 v33, v33
	v_add_f32_e32 v32, v32, v34
	s_delay_alu instid0(VALU_DEP_1) | instskip(SKIP_2) | instid1(VALU_DEP_1)
	v_exp_f32_e32 v32, v32
	s_waitcnt_depctr 0xfff
	v_ldexp_f32 v32, v32, v33
	v_cndmask_b32_e32 v32, 0, v32, vcc_lo
	v_cmp_nlt_f32_e32 vcc_lo, 0x42b17218, v124
	s_delay_alu instid0(VALU_DEP_2) | instskip(NEXT) | instid1(VALU_DEP_1)
	v_cndmask_b32_e32 v34, 0x7f800000, v32, vcc_lo
	v_add_f32_e32 v35, 1.0, v34
	s_delay_alu instid0(VALU_DEP_1) | instskip(NEXT) | instid1(VALU_DEP_1)
	v_cvt_f64_f32_e32 v[32:33], v35
	v_frexp_exp_i32_f64_e32 v32, v[32:33]
	v_frexp_mant_f32_e32 v33, v35
	s_delay_alu instid0(VALU_DEP_1) | instskip(SKIP_1) | instid1(VALU_DEP_1)
	v_cmp_gt_f32_e32 vcc_lo, 0x3f2aaaab, v33
	v_add_f32_e32 v33, -1.0, v35
	v_sub_f32_e32 v37, v33, v35
	v_sub_f32_e32 v33, v34, v33
	s_delay_alu instid0(VALU_DEP_2) | instskip(NEXT) | instid1(VALU_DEP_1)
	v_add_f32_e32 v37, 1.0, v37
	v_add_f32_e32 v33, v33, v37
	v_cmp_gt_f32_e64 s17, 0x33800000, v34
	v_subrev_co_ci_u32_e32 v32, vcc_lo, 0, v32, vcc_lo
	v_cmp_eq_f32_e32 vcc_lo, 0x7f800000, v34
	s_delay_alu instid0(VALU_DEP_2) | instskip(SKIP_2) | instid1(VALU_DEP_2)
	v_sub_nc_u32_e32 v36, 0, v32
	v_cvt_f32_i32_e32 v32, v32
	s_or_b32 vcc_lo, s17, vcc_lo
	v_ldexp_f32 v35, v35, v36
	v_ldexp_f32 v33, v33, v36
	s_delay_alu instid0(VALU_DEP_2) | instskip(NEXT) | instid1(VALU_DEP_1)
	v_add_f32_e32 v38, 1.0, v35
	v_dual_add_f32 v36, -1.0, v35 :: v_dual_add_f32 v37, -1.0, v38
	s_delay_alu instid0(VALU_DEP_1) | instskip(NEXT) | instid1(VALU_DEP_2)
	v_add_f32_e32 v39, 1.0, v36
	v_sub_f32_e32 v37, v35, v37
	s_delay_alu instid0(VALU_DEP_2) | instskip(NEXT) | instid1(VALU_DEP_2)
	v_sub_f32_e32 v35, v35, v39
	v_add_f32_e32 v37, v33, v37
	s_delay_alu instid0(VALU_DEP_2) | instskip(NEXT) | instid1(VALU_DEP_1)
	v_add_f32_e32 v33, v33, v35
	v_add_f32_e32 v40, v36, v33
	s_delay_alu instid0(VALU_DEP_1) | instskip(NEXT) | instid1(VALU_DEP_1)
	v_dual_add_f32 v39, v38, v37 :: v_dual_sub_f32 v36, v36, v40
	v_rcp_f32_e32 v35, v39
	v_sub_f32_e32 v38, v38, v39
	s_delay_alu instid0(VALU_DEP_1) | instskip(SKIP_2) | instid1(VALU_DEP_1)
	v_add_f32_e32 v37, v37, v38
	s_waitcnt_depctr 0xfff
	v_mul_f32_e32 v41, v40, v35
	v_mul_f32_e32 v42, v39, v41
	s_delay_alu instid0(VALU_DEP_1) | instskip(NEXT) | instid1(VALU_DEP_1)
	v_fma_f32 v38, v41, v39, -v42
	v_fmac_f32_e32 v38, v41, v37
	s_delay_alu instid0(VALU_DEP_1) | instskip(NEXT) | instid1(VALU_DEP_1)
	v_add_f32_e32 v43, v42, v38
	v_sub_f32_e32 v44, v40, v43
	s_delay_alu instid0(VALU_DEP_1) | instskip(SKIP_1) | instid1(VALU_DEP_2)
	v_sub_f32_e32 v40, v40, v44
	v_dual_add_f32 v33, v33, v36 :: v_dual_sub_f32 v36, v43, v42
	v_sub_f32_e32 v40, v40, v43
	s_delay_alu instid0(VALU_DEP_1) | instskip(NEXT) | instid1(VALU_DEP_1)
	v_dual_sub_f32 v36, v36, v38 :: v_dual_add_f32 v33, v33, v40
	v_add_f32_e32 v33, v36, v33
	s_delay_alu instid0(VALU_DEP_1) | instskip(NEXT) | instid1(VALU_DEP_1)
	v_add_f32_e32 v36, v44, v33
	v_mul_f32_e32 v38, v35, v36
	s_delay_alu instid0(VALU_DEP_1) | instskip(NEXT) | instid1(VALU_DEP_1)
	v_dual_sub_f32 v43, v44, v36 :: v_dual_mul_f32 v40, v39, v38
	v_add_f32_e32 v33, v33, v43
	s_delay_alu instid0(VALU_DEP_2) | instskip(NEXT) | instid1(VALU_DEP_1)
	v_fma_f32 v39, v38, v39, -v40
	v_fmac_f32_e32 v39, v38, v37
	s_delay_alu instid0(VALU_DEP_1) | instskip(NEXT) | instid1(VALU_DEP_1)
	v_add_f32_e32 v37, v40, v39
	v_sub_f32_e32 v42, v36, v37
	s_delay_alu instid0(VALU_DEP_1) | instskip(NEXT) | instid1(VALU_DEP_1)
	v_sub_f32_e32 v36, v36, v42
	v_sub_f32_e32 v36, v36, v37
	s_delay_alu instid0(VALU_DEP_1) | instskip(SKIP_2) | instid1(VALU_DEP_1)
	v_add_f32_e32 v33, v33, v36
	v_add_f32_e32 v36, v41, v38
	v_sub_f32_e32 v40, v37, v40
	v_sub_f32_e32 v37, v40, v39
	s_delay_alu instid0(VALU_DEP_1) | instskip(NEXT) | instid1(VALU_DEP_4)
	v_add_f32_e32 v33, v37, v33
	v_sub_f32_e32 v37, v36, v41
	s_delay_alu instid0(VALU_DEP_2) | instskip(NEXT) | instid1(VALU_DEP_2)
	v_add_f32_e32 v33, v42, v33
	v_sub_f32_e32 v37, v38, v37
	s_delay_alu instid0(VALU_DEP_2) | instskip(NEXT) | instid1(VALU_DEP_1)
	v_mul_f32_e32 v33, v35, v33
	v_add_f32_e32 v33, v37, v33
	s_delay_alu instid0(VALU_DEP_1) | instskip(NEXT) | instid1(VALU_DEP_1)
	v_add_f32_e32 v35, v36, v33
	v_mul_f32_e32 v37, v35, v35
	s_delay_alu instid0(VALU_DEP_1) | instskip(SKIP_1) | instid1(VALU_DEP_2)
	v_fmaak_f32 v38, s73, v37, 0x3ecc95a3
	v_mul_f32_e32 v39, v35, v37
	v_fmaak_f32 v37, v37, v38, 0x3f2aaada
	v_ldexp_f32 v38, v35, 1
	s_delay_alu instid0(VALU_DEP_2) | instskip(SKIP_1) | instid1(VALU_DEP_2)
	v_mul_f32_e32 v37, v39, v37
	v_sub_f32_e32 v35, v35, v36
	v_dual_mul_f32 v39, 0x3f317218, v32 :: v_dual_add_f32 v36, v38, v37
	s_delay_alu instid0(VALU_DEP_2) | instskip(NEXT) | instid1(VALU_DEP_2)
	v_sub_f32_e32 v33, v33, v35
	v_sub_f32_e32 v35, v36, v38
	s_delay_alu instid0(VALU_DEP_3) | instskip(NEXT) | instid1(VALU_DEP_3)
	v_fma_f32 v38, 0x3f317218, v32, -v39
	v_ldexp_f32 v33, v33, 1
	s_delay_alu instid0(VALU_DEP_2) | instskip(NEXT) | instid1(VALU_DEP_1)
	v_dual_sub_f32 v35, v37, v35 :: v_dual_fmac_f32 v38, 0xb102e308, v32
	v_dual_add_f32 v32, v33, v35 :: v_dual_add_f32 v33, v39, v38
	s_delay_alu instid0(VALU_DEP_1) | instskip(NEXT) | instid1(VALU_DEP_1)
	v_add_f32_e32 v35, v36, v32
	v_dual_add_f32 v37, v33, v35 :: v_dual_sub_f32 v36, v35, v36
	s_delay_alu instid0(VALU_DEP_1) | instskip(NEXT) | instid1(VALU_DEP_2)
	v_sub_f32_e32 v40, v37, v33
	v_dual_sub_f32 v39, v33, v39 :: v_dual_sub_f32 v32, v32, v36
	s_delay_alu instid0(VALU_DEP_1) | instskip(SKIP_1) | instid1(VALU_DEP_2)
	v_dual_sub_f32 v41, v37, v40 :: v_dual_sub_f32 v38, v38, v39
	v_sub_f32_e32 v35, v35, v40
	v_dual_sub_f32 v33, v33, v41 :: v_dual_add_f32 v36, v38, v32
	s_delay_alu instid0(VALU_DEP_1) | instskip(NEXT) | instid1(VALU_DEP_2)
	v_add_f32_e32 v33, v35, v33
	v_sub_f32_e32 v35, v36, v38
	s_delay_alu instid0(VALU_DEP_2) | instskip(NEXT) | instid1(VALU_DEP_2)
	v_add_f32_e32 v33, v36, v33
	v_sub_f32_e32 v36, v36, v35
	s_delay_alu instid0(VALU_DEP_2) | instskip(NEXT) | instid1(VALU_DEP_1)
	v_dual_sub_f32 v32, v32, v35 :: v_dual_add_f32 v39, v37, v33
	v_dual_sub_f32 v36, v38, v36 :: v_dual_sub_f32 v35, v39, v37
	s_delay_alu instid0(VALU_DEP_1) | instskip(NEXT) | instid1(VALU_DEP_1)
	v_dual_add_f32 v32, v32, v36 :: v_dual_sub_f32 v33, v33, v35
	v_add_f32_e32 v32, v32, v33
	s_delay_alu instid0(VALU_DEP_1) | instskip(NEXT) | instid1(VALU_DEP_1)
	v_add_f32_e32 v32, v39, v32
	v_cndmask_b32_e32 v124, v32, v34, vcc_lo
.LBB155_42:                             ;   in Loop: Header=BB155_12 Depth=1
	s_or_b32 exec_lo, exec_lo, s18
	v_add_f32_e32 v125, s57, v6
	s_delay_alu instid0(VALU_DEP_1) | instskip(SKIP_1) | instid1(SALU_CYCLE_1)
	v_cmp_ge_f32_e32 vcc_lo, 0x41a00000, v125
	s_and_b32 s17, s69, vcc_lo
	s_and_saveexec_b32 s18, s17
	s_cbranch_execz .LBB155_44
; %bb.43:                               ;   in Loop: Header=BB155_12 Depth=1
	v_mul_f32_e32 v32, 0x3fb8aa3b, v125
	v_cmp_ngt_f32_e32 vcc_lo, 0xc2ce8ed0, v125
	s_delay_alu instid0(VALU_DEP_2) | instskip(SKIP_1) | instid1(VALU_DEP_2)
	v_rndne_f32_e32 v33, v32
	v_fma_f32 v34, 0x3fb8aa3b, v125, -v32
	v_sub_f32_e32 v32, v32, v33
	s_delay_alu instid0(VALU_DEP_2) | instskip(SKIP_1) | instid1(VALU_DEP_2)
	v_fmac_f32_e32 v34, 0x32a5705f, v125
	v_cvt_i32_f32_e32 v33, v33
	v_add_f32_e32 v32, v32, v34
	s_delay_alu instid0(VALU_DEP_1) | instskip(SKIP_2) | instid1(VALU_DEP_1)
	v_exp_f32_e32 v32, v32
	s_waitcnt_depctr 0xfff
	v_ldexp_f32 v32, v32, v33
	v_cndmask_b32_e32 v32, 0, v32, vcc_lo
	v_cmp_nlt_f32_e32 vcc_lo, 0x42b17218, v125
	s_delay_alu instid0(VALU_DEP_2) | instskip(NEXT) | instid1(VALU_DEP_1)
	v_cndmask_b32_e32 v34, 0x7f800000, v32, vcc_lo
	v_add_f32_e32 v35, 1.0, v34
	s_delay_alu instid0(VALU_DEP_1) | instskip(NEXT) | instid1(VALU_DEP_1)
	v_cvt_f64_f32_e32 v[32:33], v35
	v_frexp_exp_i32_f64_e32 v32, v[32:33]
	v_frexp_mant_f32_e32 v33, v35
	s_delay_alu instid0(VALU_DEP_1) | instskip(SKIP_1) | instid1(VALU_DEP_1)
	v_cmp_gt_f32_e32 vcc_lo, 0x3f2aaaab, v33
	v_add_f32_e32 v33, -1.0, v35
	v_sub_f32_e32 v37, v33, v35
	v_sub_f32_e32 v33, v34, v33
	s_delay_alu instid0(VALU_DEP_2) | instskip(NEXT) | instid1(VALU_DEP_1)
	v_add_f32_e32 v37, 1.0, v37
	v_add_f32_e32 v33, v33, v37
	v_cmp_gt_f32_e64 s17, 0x33800000, v34
	v_subrev_co_ci_u32_e32 v32, vcc_lo, 0, v32, vcc_lo
	v_cmp_eq_f32_e32 vcc_lo, 0x7f800000, v34
	s_delay_alu instid0(VALU_DEP_2) | instskip(SKIP_2) | instid1(VALU_DEP_2)
	v_sub_nc_u32_e32 v36, 0, v32
	v_cvt_f32_i32_e32 v32, v32
	s_or_b32 vcc_lo, s17, vcc_lo
	v_ldexp_f32 v35, v35, v36
	v_ldexp_f32 v33, v33, v36
	s_delay_alu instid0(VALU_DEP_2) | instskip(NEXT) | instid1(VALU_DEP_1)
	v_add_f32_e32 v38, 1.0, v35
	v_dual_add_f32 v36, -1.0, v35 :: v_dual_add_f32 v37, -1.0, v38
	s_delay_alu instid0(VALU_DEP_1) | instskip(NEXT) | instid1(VALU_DEP_2)
	v_add_f32_e32 v39, 1.0, v36
	v_sub_f32_e32 v37, v35, v37
	s_delay_alu instid0(VALU_DEP_2) | instskip(NEXT) | instid1(VALU_DEP_2)
	v_sub_f32_e32 v35, v35, v39
	v_add_f32_e32 v37, v33, v37
	s_delay_alu instid0(VALU_DEP_2) | instskip(NEXT) | instid1(VALU_DEP_1)
	v_add_f32_e32 v33, v33, v35
	v_add_f32_e32 v40, v36, v33
	s_delay_alu instid0(VALU_DEP_1) | instskip(NEXT) | instid1(VALU_DEP_1)
	v_dual_add_f32 v39, v38, v37 :: v_dual_sub_f32 v36, v36, v40
	v_rcp_f32_e32 v35, v39
	v_sub_f32_e32 v38, v38, v39
	s_delay_alu instid0(VALU_DEP_1) | instskip(SKIP_2) | instid1(VALU_DEP_1)
	v_add_f32_e32 v37, v37, v38
	s_waitcnt_depctr 0xfff
	v_mul_f32_e32 v41, v40, v35
	v_mul_f32_e32 v42, v39, v41
	s_delay_alu instid0(VALU_DEP_1) | instskip(NEXT) | instid1(VALU_DEP_1)
	v_fma_f32 v38, v41, v39, -v42
	v_fmac_f32_e32 v38, v41, v37
	s_delay_alu instid0(VALU_DEP_1) | instskip(NEXT) | instid1(VALU_DEP_1)
	v_add_f32_e32 v43, v42, v38
	v_sub_f32_e32 v44, v40, v43
	s_delay_alu instid0(VALU_DEP_1) | instskip(SKIP_1) | instid1(VALU_DEP_2)
	v_sub_f32_e32 v40, v40, v44
	v_dual_add_f32 v33, v33, v36 :: v_dual_sub_f32 v36, v43, v42
	v_sub_f32_e32 v40, v40, v43
	s_delay_alu instid0(VALU_DEP_1) | instskip(NEXT) | instid1(VALU_DEP_1)
	v_dual_sub_f32 v36, v36, v38 :: v_dual_add_f32 v33, v33, v40
	v_add_f32_e32 v33, v36, v33
	s_delay_alu instid0(VALU_DEP_1) | instskip(NEXT) | instid1(VALU_DEP_1)
	v_add_f32_e32 v36, v44, v33
	v_mul_f32_e32 v38, v35, v36
	s_delay_alu instid0(VALU_DEP_1) | instskip(NEXT) | instid1(VALU_DEP_1)
	v_dual_sub_f32 v43, v44, v36 :: v_dual_mul_f32 v40, v39, v38
	v_add_f32_e32 v33, v33, v43
	s_delay_alu instid0(VALU_DEP_2) | instskip(NEXT) | instid1(VALU_DEP_1)
	v_fma_f32 v39, v38, v39, -v40
	v_fmac_f32_e32 v39, v38, v37
	s_delay_alu instid0(VALU_DEP_1) | instskip(NEXT) | instid1(VALU_DEP_1)
	v_add_f32_e32 v37, v40, v39
	v_sub_f32_e32 v42, v36, v37
	s_delay_alu instid0(VALU_DEP_1) | instskip(NEXT) | instid1(VALU_DEP_1)
	v_sub_f32_e32 v36, v36, v42
	v_sub_f32_e32 v36, v36, v37
	s_delay_alu instid0(VALU_DEP_1) | instskip(SKIP_2) | instid1(VALU_DEP_1)
	v_add_f32_e32 v33, v33, v36
	v_add_f32_e32 v36, v41, v38
	v_sub_f32_e32 v40, v37, v40
	v_sub_f32_e32 v37, v40, v39
	s_delay_alu instid0(VALU_DEP_1) | instskip(NEXT) | instid1(VALU_DEP_4)
	v_add_f32_e32 v33, v37, v33
	v_sub_f32_e32 v37, v36, v41
	s_delay_alu instid0(VALU_DEP_2) | instskip(NEXT) | instid1(VALU_DEP_2)
	v_add_f32_e32 v33, v42, v33
	v_sub_f32_e32 v37, v38, v37
	s_delay_alu instid0(VALU_DEP_2) | instskip(NEXT) | instid1(VALU_DEP_1)
	v_mul_f32_e32 v33, v35, v33
	v_add_f32_e32 v33, v37, v33
	s_delay_alu instid0(VALU_DEP_1) | instskip(NEXT) | instid1(VALU_DEP_1)
	v_add_f32_e32 v35, v36, v33
	v_mul_f32_e32 v37, v35, v35
	s_delay_alu instid0(VALU_DEP_1) | instskip(SKIP_1) | instid1(VALU_DEP_2)
	v_fmaak_f32 v38, s73, v37, 0x3ecc95a3
	v_mul_f32_e32 v39, v35, v37
	v_fmaak_f32 v37, v37, v38, 0x3f2aaada
	v_ldexp_f32 v38, v35, 1
	s_delay_alu instid0(VALU_DEP_2) | instskip(SKIP_1) | instid1(VALU_DEP_2)
	v_mul_f32_e32 v37, v39, v37
	v_sub_f32_e32 v35, v35, v36
	v_dual_mul_f32 v39, 0x3f317218, v32 :: v_dual_add_f32 v36, v38, v37
	s_delay_alu instid0(VALU_DEP_2) | instskip(NEXT) | instid1(VALU_DEP_2)
	v_sub_f32_e32 v33, v33, v35
	v_sub_f32_e32 v35, v36, v38
	s_delay_alu instid0(VALU_DEP_3) | instskip(NEXT) | instid1(VALU_DEP_3)
	v_fma_f32 v38, 0x3f317218, v32, -v39
	v_ldexp_f32 v33, v33, 1
	s_delay_alu instid0(VALU_DEP_2) | instskip(NEXT) | instid1(VALU_DEP_1)
	v_dual_sub_f32 v35, v37, v35 :: v_dual_fmac_f32 v38, 0xb102e308, v32
	v_dual_add_f32 v32, v33, v35 :: v_dual_add_f32 v33, v39, v38
	s_delay_alu instid0(VALU_DEP_1) | instskip(NEXT) | instid1(VALU_DEP_1)
	v_add_f32_e32 v35, v36, v32
	v_dual_add_f32 v37, v33, v35 :: v_dual_sub_f32 v36, v35, v36
	s_delay_alu instid0(VALU_DEP_1) | instskip(NEXT) | instid1(VALU_DEP_2)
	v_sub_f32_e32 v40, v37, v33
	v_dual_sub_f32 v39, v33, v39 :: v_dual_sub_f32 v32, v32, v36
	s_delay_alu instid0(VALU_DEP_1) | instskip(SKIP_1) | instid1(VALU_DEP_2)
	v_dual_sub_f32 v41, v37, v40 :: v_dual_sub_f32 v38, v38, v39
	v_sub_f32_e32 v35, v35, v40
	v_dual_sub_f32 v33, v33, v41 :: v_dual_add_f32 v36, v38, v32
	s_delay_alu instid0(VALU_DEP_1) | instskip(NEXT) | instid1(VALU_DEP_2)
	v_add_f32_e32 v33, v35, v33
	v_sub_f32_e32 v35, v36, v38
	s_delay_alu instid0(VALU_DEP_2) | instskip(NEXT) | instid1(VALU_DEP_2)
	v_add_f32_e32 v33, v36, v33
	v_sub_f32_e32 v36, v36, v35
	s_delay_alu instid0(VALU_DEP_2) | instskip(NEXT) | instid1(VALU_DEP_1)
	v_dual_sub_f32 v32, v32, v35 :: v_dual_add_f32 v39, v37, v33
	v_dual_sub_f32 v36, v38, v36 :: v_dual_sub_f32 v35, v39, v37
	s_delay_alu instid0(VALU_DEP_1) | instskip(NEXT) | instid1(VALU_DEP_1)
	v_dual_add_f32 v32, v32, v36 :: v_dual_sub_f32 v33, v33, v35
	v_add_f32_e32 v32, v32, v33
	s_delay_alu instid0(VALU_DEP_1) | instskip(NEXT) | instid1(VALU_DEP_1)
	v_add_f32_e32 v32, v39, v32
	v_cndmask_b32_e32 v125, v32, v34, vcc_lo
.LBB155_44:                             ;   in Loop: Header=BB155_12 Depth=1
	s_or_b32 exec_lo, exec_lo, s18
	v_add_f32_e32 v126, s57, v7
	s_delay_alu instid0(VALU_DEP_1) | instskip(SKIP_1) | instid1(SALU_CYCLE_1)
	v_cmp_ge_f32_e32 vcc_lo, 0x41a00000, v126
	s_and_b32 s17, s69, vcc_lo
	s_and_saveexec_b32 s18, s17
	s_cbranch_execz .LBB155_46
; %bb.45:                               ;   in Loop: Header=BB155_12 Depth=1
	v_mul_f32_e32 v32, 0x3fb8aa3b, v126
	v_cmp_ngt_f32_e32 vcc_lo, 0xc2ce8ed0, v126
	s_delay_alu instid0(VALU_DEP_2) | instskip(SKIP_1) | instid1(VALU_DEP_2)
	v_rndne_f32_e32 v33, v32
	v_fma_f32 v34, 0x3fb8aa3b, v126, -v32
	v_sub_f32_e32 v32, v32, v33
	s_delay_alu instid0(VALU_DEP_2) | instskip(SKIP_1) | instid1(VALU_DEP_2)
	v_fmac_f32_e32 v34, 0x32a5705f, v126
	v_cvt_i32_f32_e32 v33, v33
	v_add_f32_e32 v32, v32, v34
	s_delay_alu instid0(VALU_DEP_1) | instskip(SKIP_2) | instid1(VALU_DEP_1)
	v_exp_f32_e32 v32, v32
	s_waitcnt_depctr 0xfff
	v_ldexp_f32 v32, v32, v33
	v_cndmask_b32_e32 v32, 0, v32, vcc_lo
	v_cmp_nlt_f32_e32 vcc_lo, 0x42b17218, v126
	s_delay_alu instid0(VALU_DEP_2) | instskip(NEXT) | instid1(VALU_DEP_1)
	v_cndmask_b32_e32 v34, 0x7f800000, v32, vcc_lo
	v_add_f32_e32 v35, 1.0, v34
	s_delay_alu instid0(VALU_DEP_1) | instskip(NEXT) | instid1(VALU_DEP_1)
	v_cvt_f64_f32_e32 v[32:33], v35
	v_frexp_exp_i32_f64_e32 v32, v[32:33]
	v_frexp_mant_f32_e32 v33, v35
	s_delay_alu instid0(VALU_DEP_1) | instskip(SKIP_1) | instid1(VALU_DEP_1)
	v_cmp_gt_f32_e32 vcc_lo, 0x3f2aaaab, v33
	v_add_f32_e32 v33, -1.0, v35
	v_sub_f32_e32 v37, v33, v35
	v_sub_f32_e32 v33, v34, v33
	s_delay_alu instid0(VALU_DEP_2) | instskip(NEXT) | instid1(VALU_DEP_1)
	v_add_f32_e32 v37, 1.0, v37
	v_add_f32_e32 v33, v33, v37
	v_cmp_gt_f32_e64 s17, 0x33800000, v34
	v_subrev_co_ci_u32_e32 v32, vcc_lo, 0, v32, vcc_lo
	v_cmp_eq_f32_e32 vcc_lo, 0x7f800000, v34
	s_delay_alu instid0(VALU_DEP_2) | instskip(SKIP_2) | instid1(VALU_DEP_2)
	v_sub_nc_u32_e32 v36, 0, v32
	v_cvt_f32_i32_e32 v32, v32
	s_or_b32 vcc_lo, s17, vcc_lo
	v_ldexp_f32 v35, v35, v36
	v_ldexp_f32 v33, v33, v36
	s_delay_alu instid0(VALU_DEP_2) | instskip(NEXT) | instid1(VALU_DEP_1)
	v_add_f32_e32 v38, 1.0, v35
	v_dual_add_f32 v36, -1.0, v35 :: v_dual_add_f32 v37, -1.0, v38
	s_delay_alu instid0(VALU_DEP_1) | instskip(NEXT) | instid1(VALU_DEP_2)
	v_add_f32_e32 v39, 1.0, v36
	v_sub_f32_e32 v37, v35, v37
	s_delay_alu instid0(VALU_DEP_2) | instskip(NEXT) | instid1(VALU_DEP_2)
	v_sub_f32_e32 v35, v35, v39
	v_add_f32_e32 v37, v33, v37
	s_delay_alu instid0(VALU_DEP_2) | instskip(NEXT) | instid1(VALU_DEP_1)
	v_add_f32_e32 v33, v33, v35
	v_add_f32_e32 v40, v36, v33
	s_delay_alu instid0(VALU_DEP_1) | instskip(NEXT) | instid1(VALU_DEP_1)
	v_dual_add_f32 v39, v38, v37 :: v_dual_sub_f32 v36, v36, v40
	v_rcp_f32_e32 v35, v39
	v_sub_f32_e32 v38, v38, v39
	s_delay_alu instid0(VALU_DEP_1) | instskip(SKIP_2) | instid1(VALU_DEP_1)
	v_add_f32_e32 v37, v37, v38
	s_waitcnt_depctr 0xfff
	v_mul_f32_e32 v41, v40, v35
	v_mul_f32_e32 v42, v39, v41
	s_delay_alu instid0(VALU_DEP_1) | instskip(NEXT) | instid1(VALU_DEP_1)
	v_fma_f32 v38, v41, v39, -v42
	v_fmac_f32_e32 v38, v41, v37
	s_delay_alu instid0(VALU_DEP_1) | instskip(NEXT) | instid1(VALU_DEP_1)
	v_add_f32_e32 v43, v42, v38
	v_sub_f32_e32 v44, v40, v43
	s_delay_alu instid0(VALU_DEP_1) | instskip(SKIP_1) | instid1(VALU_DEP_2)
	v_sub_f32_e32 v40, v40, v44
	v_dual_add_f32 v33, v33, v36 :: v_dual_sub_f32 v36, v43, v42
	v_sub_f32_e32 v40, v40, v43
	s_delay_alu instid0(VALU_DEP_1) | instskip(NEXT) | instid1(VALU_DEP_1)
	v_dual_sub_f32 v36, v36, v38 :: v_dual_add_f32 v33, v33, v40
	v_add_f32_e32 v33, v36, v33
	s_delay_alu instid0(VALU_DEP_1) | instskip(NEXT) | instid1(VALU_DEP_1)
	v_add_f32_e32 v36, v44, v33
	v_mul_f32_e32 v38, v35, v36
	s_delay_alu instid0(VALU_DEP_1) | instskip(NEXT) | instid1(VALU_DEP_1)
	v_dual_sub_f32 v43, v44, v36 :: v_dual_mul_f32 v40, v39, v38
	v_add_f32_e32 v33, v33, v43
	s_delay_alu instid0(VALU_DEP_2) | instskip(NEXT) | instid1(VALU_DEP_1)
	v_fma_f32 v39, v38, v39, -v40
	v_fmac_f32_e32 v39, v38, v37
	s_delay_alu instid0(VALU_DEP_1) | instskip(NEXT) | instid1(VALU_DEP_1)
	v_add_f32_e32 v37, v40, v39
	v_sub_f32_e32 v42, v36, v37
	s_delay_alu instid0(VALU_DEP_1) | instskip(NEXT) | instid1(VALU_DEP_1)
	v_sub_f32_e32 v36, v36, v42
	v_sub_f32_e32 v36, v36, v37
	s_delay_alu instid0(VALU_DEP_1) | instskip(SKIP_2) | instid1(VALU_DEP_1)
	v_add_f32_e32 v33, v33, v36
	v_add_f32_e32 v36, v41, v38
	v_sub_f32_e32 v40, v37, v40
	v_sub_f32_e32 v37, v40, v39
	s_delay_alu instid0(VALU_DEP_1) | instskip(NEXT) | instid1(VALU_DEP_4)
	v_add_f32_e32 v33, v37, v33
	v_sub_f32_e32 v37, v36, v41
	s_delay_alu instid0(VALU_DEP_2) | instskip(NEXT) | instid1(VALU_DEP_2)
	v_add_f32_e32 v33, v42, v33
	v_sub_f32_e32 v37, v38, v37
	s_delay_alu instid0(VALU_DEP_2) | instskip(NEXT) | instid1(VALU_DEP_1)
	v_mul_f32_e32 v33, v35, v33
	v_add_f32_e32 v33, v37, v33
	s_delay_alu instid0(VALU_DEP_1) | instskip(NEXT) | instid1(VALU_DEP_1)
	v_add_f32_e32 v35, v36, v33
	v_mul_f32_e32 v37, v35, v35
	s_delay_alu instid0(VALU_DEP_1) | instskip(SKIP_1) | instid1(VALU_DEP_2)
	v_fmaak_f32 v38, s73, v37, 0x3ecc95a3
	v_mul_f32_e32 v39, v35, v37
	v_fmaak_f32 v37, v37, v38, 0x3f2aaada
	v_ldexp_f32 v38, v35, 1
	s_delay_alu instid0(VALU_DEP_2) | instskip(SKIP_1) | instid1(VALU_DEP_2)
	v_mul_f32_e32 v37, v39, v37
	v_sub_f32_e32 v35, v35, v36
	v_dual_mul_f32 v39, 0x3f317218, v32 :: v_dual_add_f32 v36, v38, v37
	s_delay_alu instid0(VALU_DEP_2) | instskip(NEXT) | instid1(VALU_DEP_2)
	v_sub_f32_e32 v33, v33, v35
	v_sub_f32_e32 v35, v36, v38
	s_delay_alu instid0(VALU_DEP_3) | instskip(NEXT) | instid1(VALU_DEP_3)
	v_fma_f32 v38, 0x3f317218, v32, -v39
	v_ldexp_f32 v33, v33, 1
	s_delay_alu instid0(VALU_DEP_2) | instskip(NEXT) | instid1(VALU_DEP_1)
	v_dual_sub_f32 v35, v37, v35 :: v_dual_fmac_f32 v38, 0xb102e308, v32
	v_dual_add_f32 v32, v33, v35 :: v_dual_add_f32 v33, v39, v38
	s_delay_alu instid0(VALU_DEP_1) | instskip(NEXT) | instid1(VALU_DEP_1)
	v_add_f32_e32 v35, v36, v32
	v_dual_add_f32 v37, v33, v35 :: v_dual_sub_f32 v36, v35, v36
	s_delay_alu instid0(VALU_DEP_1) | instskip(NEXT) | instid1(VALU_DEP_2)
	v_sub_f32_e32 v40, v37, v33
	v_dual_sub_f32 v39, v33, v39 :: v_dual_sub_f32 v32, v32, v36
	s_delay_alu instid0(VALU_DEP_1) | instskip(SKIP_1) | instid1(VALU_DEP_2)
	v_dual_sub_f32 v41, v37, v40 :: v_dual_sub_f32 v38, v38, v39
	v_sub_f32_e32 v35, v35, v40
	v_dual_sub_f32 v33, v33, v41 :: v_dual_add_f32 v36, v38, v32
	s_delay_alu instid0(VALU_DEP_1) | instskip(NEXT) | instid1(VALU_DEP_2)
	v_add_f32_e32 v33, v35, v33
	v_sub_f32_e32 v35, v36, v38
	s_delay_alu instid0(VALU_DEP_2) | instskip(NEXT) | instid1(VALU_DEP_2)
	v_add_f32_e32 v33, v36, v33
	v_sub_f32_e32 v36, v36, v35
	s_delay_alu instid0(VALU_DEP_2) | instskip(NEXT) | instid1(VALU_DEP_1)
	v_dual_sub_f32 v32, v32, v35 :: v_dual_add_f32 v39, v37, v33
	v_dual_sub_f32 v36, v38, v36 :: v_dual_sub_f32 v35, v39, v37
	s_delay_alu instid0(VALU_DEP_1) | instskip(NEXT) | instid1(VALU_DEP_1)
	v_dual_add_f32 v32, v32, v36 :: v_dual_sub_f32 v33, v33, v35
	v_add_f32_e32 v32, v32, v33
	s_delay_alu instid0(VALU_DEP_1) | instskip(NEXT) | instid1(VALU_DEP_1)
	v_add_f32_e32 v32, v39, v32
	v_cndmask_b32_e32 v126, v32, v34, vcc_lo
.LBB155_46:                             ;   in Loop: Header=BB155_12 Depth=1
	s_or_b32 exec_lo, exec_lo, s18
	s_waitcnt lgkmcnt(0)
	v_add_f32_e32 v127, s57, v0
	s_delay_alu instid0(VALU_DEP_1) | instskip(SKIP_1) | instid1(SALU_CYCLE_1)
	v_cmp_ge_f32_e32 vcc_lo, 0x41a00000, v127
	s_and_b32 s17, s69, vcc_lo
	s_and_saveexec_b32 s18, s17
	s_cbranch_execz .LBB155_48
; %bb.47:                               ;   in Loop: Header=BB155_12 Depth=1
	v_mul_f32_e32 v32, 0x3fb8aa3b, v127
	v_cmp_ngt_f32_e32 vcc_lo, 0xc2ce8ed0, v127
	s_delay_alu instid0(VALU_DEP_2) | instskip(SKIP_1) | instid1(VALU_DEP_2)
	v_rndne_f32_e32 v33, v32
	v_fma_f32 v34, 0x3fb8aa3b, v127, -v32
	v_sub_f32_e32 v32, v32, v33
	s_delay_alu instid0(VALU_DEP_2) | instskip(SKIP_1) | instid1(VALU_DEP_2)
	v_fmac_f32_e32 v34, 0x32a5705f, v127
	v_cvt_i32_f32_e32 v33, v33
	v_add_f32_e32 v32, v32, v34
	s_delay_alu instid0(VALU_DEP_1) | instskip(SKIP_2) | instid1(VALU_DEP_1)
	v_exp_f32_e32 v32, v32
	s_waitcnt_depctr 0xfff
	v_ldexp_f32 v32, v32, v33
	v_cndmask_b32_e32 v32, 0, v32, vcc_lo
	v_cmp_nlt_f32_e32 vcc_lo, 0x42b17218, v127
	s_delay_alu instid0(VALU_DEP_2) | instskip(NEXT) | instid1(VALU_DEP_1)
	v_cndmask_b32_e32 v34, 0x7f800000, v32, vcc_lo
	v_add_f32_e32 v35, 1.0, v34
	s_delay_alu instid0(VALU_DEP_1) | instskip(NEXT) | instid1(VALU_DEP_1)
	v_cvt_f64_f32_e32 v[32:33], v35
	v_frexp_exp_i32_f64_e32 v32, v[32:33]
	v_frexp_mant_f32_e32 v33, v35
	s_delay_alu instid0(VALU_DEP_1) | instskip(SKIP_1) | instid1(VALU_DEP_1)
	v_cmp_gt_f32_e32 vcc_lo, 0x3f2aaaab, v33
	v_add_f32_e32 v33, -1.0, v35
	v_sub_f32_e32 v37, v33, v35
	v_sub_f32_e32 v33, v34, v33
	s_delay_alu instid0(VALU_DEP_2) | instskip(NEXT) | instid1(VALU_DEP_1)
	v_add_f32_e32 v37, 1.0, v37
	v_add_f32_e32 v33, v33, v37
	v_cmp_gt_f32_e64 s17, 0x33800000, v34
	v_subrev_co_ci_u32_e32 v32, vcc_lo, 0, v32, vcc_lo
	v_cmp_eq_f32_e32 vcc_lo, 0x7f800000, v34
	s_delay_alu instid0(VALU_DEP_2) | instskip(SKIP_2) | instid1(VALU_DEP_2)
	v_sub_nc_u32_e32 v36, 0, v32
	v_cvt_f32_i32_e32 v32, v32
	s_or_b32 vcc_lo, s17, vcc_lo
	v_ldexp_f32 v35, v35, v36
	v_ldexp_f32 v33, v33, v36
	s_delay_alu instid0(VALU_DEP_2) | instskip(NEXT) | instid1(VALU_DEP_1)
	v_add_f32_e32 v38, 1.0, v35
	v_dual_add_f32 v36, -1.0, v35 :: v_dual_add_f32 v37, -1.0, v38
	s_delay_alu instid0(VALU_DEP_1) | instskip(NEXT) | instid1(VALU_DEP_2)
	v_add_f32_e32 v39, 1.0, v36
	v_sub_f32_e32 v37, v35, v37
	s_delay_alu instid0(VALU_DEP_2) | instskip(NEXT) | instid1(VALU_DEP_2)
	v_sub_f32_e32 v35, v35, v39
	v_add_f32_e32 v37, v33, v37
	s_delay_alu instid0(VALU_DEP_2) | instskip(NEXT) | instid1(VALU_DEP_1)
	v_add_f32_e32 v33, v33, v35
	v_add_f32_e32 v40, v36, v33
	s_delay_alu instid0(VALU_DEP_1) | instskip(NEXT) | instid1(VALU_DEP_1)
	v_dual_add_f32 v39, v38, v37 :: v_dual_sub_f32 v36, v36, v40
	v_rcp_f32_e32 v35, v39
	v_sub_f32_e32 v38, v38, v39
	s_delay_alu instid0(VALU_DEP_1) | instskip(SKIP_2) | instid1(VALU_DEP_1)
	v_add_f32_e32 v37, v37, v38
	s_waitcnt_depctr 0xfff
	v_mul_f32_e32 v41, v40, v35
	v_mul_f32_e32 v42, v39, v41
	s_delay_alu instid0(VALU_DEP_1) | instskip(NEXT) | instid1(VALU_DEP_1)
	v_fma_f32 v38, v41, v39, -v42
	v_fmac_f32_e32 v38, v41, v37
	s_delay_alu instid0(VALU_DEP_1) | instskip(NEXT) | instid1(VALU_DEP_1)
	v_add_f32_e32 v43, v42, v38
	v_sub_f32_e32 v44, v40, v43
	s_delay_alu instid0(VALU_DEP_1) | instskip(SKIP_1) | instid1(VALU_DEP_2)
	v_sub_f32_e32 v40, v40, v44
	v_dual_add_f32 v33, v33, v36 :: v_dual_sub_f32 v36, v43, v42
	v_sub_f32_e32 v40, v40, v43
	s_delay_alu instid0(VALU_DEP_1) | instskip(NEXT) | instid1(VALU_DEP_1)
	v_dual_sub_f32 v36, v36, v38 :: v_dual_add_f32 v33, v33, v40
	v_add_f32_e32 v33, v36, v33
	s_delay_alu instid0(VALU_DEP_1) | instskip(NEXT) | instid1(VALU_DEP_1)
	v_add_f32_e32 v36, v44, v33
	v_mul_f32_e32 v38, v35, v36
	s_delay_alu instid0(VALU_DEP_1) | instskip(NEXT) | instid1(VALU_DEP_1)
	v_dual_sub_f32 v43, v44, v36 :: v_dual_mul_f32 v40, v39, v38
	v_add_f32_e32 v33, v33, v43
	s_delay_alu instid0(VALU_DEP_2) | instskip(NEXT) | instid1(VALU_DEP_1)
	v_fma_f32 v39, v38, v39, -v40
	v_fmac_f32_e32 v39, v38, v37
	s_delay_alu instid0(VALU_DEP_1) | instskip(NEXT) | instid1(VALU_DEP_1)
	v_add_f32_e32 v37, v40, v39
	v_sub_f32_e32 v42, v36, v37
	s_delay_alu instid0(VALU_DEP_1) | instskip(NEXT) | instid1(VALU_DEP_1)
	v_sub_f32_e32 v36, v36, v42
	v_sub_f32_e32 v36, v36, v37
	s_delay_alu instid0(VALU_DEP_1) | instskip(SKIP_2) | instid1(VALU_DEP_1)
	v_add_f32_e32 v33, v33, v36
	v_add_f32_e32 v36, v41, v38
	v_sub_f32_e32 v40, v37, v40
	v_sub_f32_e32 v37, v40, v39
	s_delay_alu instid0(VALU_DEP_1) | instskip(NEXT) | instid1(VALU_DEP_4)
	v_add_f32_e32 v33, v37, v33
	v_sub_f32_e32 v37, v36, v41
	s_delay_alu instid0(VALU_DEP_2) | instskip(NEXT) | instid1(VALU_DEP_2)
	v_add_f32_e32 v33, v42, v33
	v_sub_f32_e32 v37, v38, v37
	s_delay_alu instid0(VALU_DEP_2) | instskip(NEXT) | instid1(VALU_DEP_1)
	v_mul_f32_e32 v33, v35, v33
	v_add_f32_e32 v33, v37, v33
	s_delay_alu instid0(VALU_DEP_1) | instskip(NEXT) | instid1(VALU_DEP_1)
	v_add_f32_e32 v35, v36, v33
	v_mul_f32_e32 v37, v35, v35
	s_delay_alu instid0(VALU_DEP_1) | instskip(SKIP_1) | instid1(VALU_DEP_2)
	v_fmaak_f32 v38, s73, v37, 0x3ecc95a3
	v_mul_f32_e32 v39, v35, v37
	v_fmaak_f32 v37, v37, v38, 0x3f2aaada
	v_ldexp_f32 v38, v35, 1
	s_delay_alu instid0(VALU_DEP_2) | instskip(SKIP_1) | instid1(VALU_DEP_2)
	v_mul_f32_e32 v37, v39, v37
	v_sub_f32_e32 v35, v35, v36
	v_dual_mul_f32 v39, 0x3f317218, v32 :: v_dual_add_f32 v36, v38, v37
	s_delay_alu instid0(VALU_DEP_2) | instskip(NEXT) | instid1(VALU_DEP_2)
	v_sub_f32_e32 v33, v33, v35
	v_sub_f32_e32 v35, v36, v38
	s_delay_alu instid0(VALU_DEP_3) | instskip(NEXT) | instid1(VALU_DEP_3)
	v_fma_f32 v38, 0x3f317218, v32, -v39
	v_ldexp_f32 v33, v33, 1
	s_delay_alu instid0(VALU_DEP_2) | instskip(NEXT) | instid1(VALU_DEP_1)
	v_dual_sub_f32 v35, v37, v35 :: v_dual_fmac_f32 v38, 0xb102e308, v32
	v_dual_add_f32 v32, v33, v35 :: v_dual_add_f32 v33, v39, v38
	s_delay_alu instid0(VALU_DEP_1) | instskip(NEXT) | instid1(VALU_DEP_1)
	v_add_f32_e32 v35, v36, v32
	v_dual_add_f32 v37, v33, v35 :: v_dual_sub_f32 v36, v35, v36
	s_delay_alu instid0(VALU_DEP_1) | instskip(NEXT) | instid1(VALU_DEP_2)
	v_sub_f32_e32 v40, v37, v33
	v_dual_sub_f32 v39, v33, v39 :: v_dual_sub_f32 v32, v32, v36
	s_delay_alu instid0(VALU_DEP_1) | instskip(SKIP_1) | instid1(VALU_DEP_2)
	v_dual_sub_f32 v41, v37, v40 :: v_dual_sub_f32 v38, v38, v39
	v_sub_f32_e32 v35, v35, v40
	v_dual_sub_f32 v33, v33, v41 :: v_dual_add_f32 v36, v38, v32
	s_delay_alu instid0(VALU_DEP_1) | instskip(NEXT) | instid1(VALU_DEP_2)
	v_add_f32_e32 v33, v35, v33
	v_sub_f32_e32 v35, v36, v38
	s_delay_alu instid0(VALU_DEP_2) | instskip(NEXT) | instid1(VALU_DEP_2)
	v_add_f32_e32 v33, v36, v33
	v_sub_f32_e32 v36, v36, v35
	s_delay_alu instid0(VALU_DEP_2) | instskip(NEXT) | instid1(VALU_DEP_1)
	v_dual_sub_f32 v32, v32, v35 :: v_dual_add_f32 v39, v37, v33
	v_dual_sub_f32 v36, v38, v36 :: v_dual_sub_f32 v35, v39, v37
	s_delay_alu instid0(VALU_DEP_1) | instskip(NEXT) | instid1(VALU_DEP_1)
	v_dual_add_f32 v32, v32, v36 :: v_dual_sub_f32 v33, v33, v35
	v_add_f32_e32 v32, v32, v33
	s_delay_alu instid0(VALU_DEP_1) | instskip(NEXT) | instid1(VALU_DEP_1)
	v_add_f32_e32 v32, v39, v32
	v_cndmask_b32_e32 v127, v32, v34, vcc_lo
.LBB155_48:                             ;   in Loop: Header=BB155_12 Depth=1
	s_or_b32 exec_lo, exec_lo, s18
	v_add_f32_e32 v128, s57, v1
	s_delay_alu instid0(VALU_DEP_1) | instskip(SKIP_1) | instid1(SALU_CYCLE_1)
	v_cmp_ge_f32_e32 vcc_lo, 0x41a00000, v128
	s_and_b32 s17, s69, vcc_lo
	s_and_saveexec_b32 s18, s17
	s_cbranch_execz .LBB155_50
; %bb.49:                               ;   in Loop: Header=BB155_12 Depth=1
	v_mul_f32_e32 v32, 0x3fb8aa3b, v128
	v_cmp_ngt_f32_e32 vcc_lo, 0xc2ce8ed0, v128
	s_delay_alu instid0(VALU_DEP_2) | instskip(SKIP_1) | instid1(VALU_DEP_2)
	v_rndne_f32_e32 v33, v32
	v_fma_f32 v34, 0x3fb8aa3b, v128, -v32
	v_sub_f32_e32 v32, v32, v33
	s_delay_alu instid0(VALU_DEP_2) | instskip(SKIP_1) | instid1(VALU_DEP_2)
	v_fmac_f32_e32 v34, 0x32a5705f, v128
	v_cvt_i32_f32_e32 v33, v33
	v_add_f32_e32 v32, v32, v34
	s_delay_alu instid0(VALU_DEP_1) | instskip(SKIP_2) | instid1(VALU_DEP_1)
	v_exp_f32_e32 v32, v32
	s_waitcnt_depctr 0xfff
	v_ldexp_f32 v32, v32, v33
	v_cndmask_b32_e32 v32, 0, v32, vcc_lo
	v_cmp_nlt_f32_e32 vcc_lo, 0x42b17218, v128
	s_delay_alu instid0(VALU_DEP_2) | instskip(NEXT) | instid1(VALU_DEP_1)
	v_cndmask_b32_e32 v34, 0x7f800000, v32, vcc_lo
	v_add_f32_e32 v35, 1.0, v34
	s_delay_alu instid0(VALU_DEP_1) | instskip(NEXT) | instid1(VALU_DEP_1)
	v_cvt_f64_f32_e32 v[32:33], v35
	v_frexp_exp_i32_f64_e32 v32, v[32:33]
	v_frexp_mant_f32_e32 v33, v35
	s_delay_alu instid0(VALU_DEP_1) | instskip(SKIP_1) | instid1(VALU_DEP_1)
	v_cmp_gt_f32_e32 vcc_lo, 0x3f2aaaab, v33
	v_add_f32_e32 v33, -1.0, v35
	v_sub_f32_e32 v37, v33, v35
	v_sub_f32_e32 v33, v34, v33
	s_delay_alu instid0(VALU_DEP_2) | instskip(NEXT) | instid1(VALU_DEP_1)
	v_add_f32_e32 v37, 1.0, v37
	v_add_f32_e32 v33, v33, v37
	v_cmp_gt_f32_e64 s17, 0x33800000, v34
	v_subrev_co_ci_u32_e32 v32, vcc_lo, 0, v32, vcc_lo
	v_cmp_eq_f32_e32 vcc_lo, 0x7f800000, v34
	s_delay_alu instid0(VALU_DEP_2) | instskip(SKIP_2) | instid1(VALU_DEP_2)
	v_sub_nc_u32_e32 v36, 0, v32
	v_cvt_f32_i32_e32 v32, v32
	s_or_b32 vcc_lo, s17, vcc_lo
	v_ldexp_f32 v35, v35, v36
	v_ldexp_f32 v33, v33, v36
	s_delay_alu instid0(VALU_DEP_2) | instskip(NEXT) | instid1(VALU_DEP_1)
	v_add_f32_e32 v38, 1.0, v35
	v_dual_add_f32 v36, -1.0, v35 :: v_dual_add_f32 v37, -1.0, v38
	s_delay_alu instid0(VALU_DEP_1) | instskip(NEXT) | instid1(VALU_DEP_2)
	v_add_f32_e32 v39, 1.0, v36
	v_sub_f32_e32 v37, v35, v37
	s_delay_alu instid0(VALU_DEP_2) | instskip(NEXT) | instid1(VALU_DEP_2)
	v_sub_f32_e32 v35, v35, v39
	v_add_f32_e32 v37, v33, v37
	s_delay_alu instid0(VALU_DEP_2) | instskip(NEXT) | instid1(VALU_DEP_1)
	v_add_f32_e32 v33, v33, v35
	v_add_f32_e32 v40, v36, v33
	s_delay_alu instid0(VALU_DEP_1) | instskip(NEXT) | instid1(VALU_DEP_1)
	v_dual_add_f32 v39, v38, v37 :: v_dual_sub_f32 v36, v36, v40
	v_rcp_f32_e32 v35, v39
	v_sub_f32_e32 v38, v38, v39
	s_delay_alu instid0(VALU_DEP_1) | instskip(SKIP_2) | instid1(VALU_DEP_1)
	v_add_f32_e32 v37, v37, v38
	s_waitcnt_depctr 0xfff
	v_mul_f32_e32 v41, v40, v35
	v_mul_f32_e32 v42, v39, v41
	s_delay_alu instid0(VALU_DEP_1) | instskip(NEXT) | instid1(VALU_DEP_1)
	v_fma_f32 v38, v41, v39, -v42
	v_fmac_f32_e32 v38, v41, v37
	s_delay_alu instid0(VALU_DEP_1) | instskip(NEXT) | instid1(VALU_DEP_1)
	v_add_f32_e32 v43, v42, v38
	v_sub_f32_e32 v44, v40, v43
	s_delay_alu instid0(VALU_DEP_1) | instskip(SKIP_1) | instid1(VALU_DEP_2)
	v_sub_f32_e32 v40, v40, v44
	v_dual_add_f32 v33, v33, v36 :: v_dual_sub_f32 v36, v43, v42
	v_sub_f32_e32 v40, v40, v43
	s_delay_alu instid0(VALU_DEP_1) | instskip(NEXT) | instid1(VALU_DEP_1)
	v_dual_sub_f32 v36, v36, v38 :: v_dual_add_f32 v33, v33, v40
	v_add_f32_e32 v33, v36, v33
	s_delay_alu instid0(VALU_DEP_1) | instskip(NEXT) | instid1(VALU_DEP_1)
	v_add_f32_e32 v36, v44, v33
	v_mul_f32_e32 v38, v35, v36
	s_delay_alu instid0(VALU_DEP_1) | instskip(NEXT) | instid1(VALU_DEP_1)
	v_dual_sub_f32 v43, v44, v36 :: v_dual_mul_f32 v40, v39, v38
	v_add_f32_e32 v33, v33, v43
	s_delay_alu instid0(VALU_DEP_2) | instskip(NEXT) | instid1(VALU_DEP_1)
	v_fma_f32 v39, v38, v39, -v40
	v_fmac_f32_e32 v39, v38, v37
	s_delay_alu instid0(VALU_DEP_1) | instskip(NEXT) | instid1(VALU_DEP_1)
	v_add_f32_e32 v37, v40, v39
	v_sub_f32_e32 v42, v36, v37
	s_delay_alu instid0(VALU_DEP_1) | instskip(NEXT) | instid1(VALU_DEP_1)
	v_sub_f32_e32 v36, v36, v42
	v_sub_f32_e32 v36, v36, v37
	s_delay_alu instid0(VALU_DEP_1) | instskip(SKIP_2) | instid1(VALU_DEP_1)
	v_add_f32_e32 v33, v33, v36
	v_add_f32_e32 v36, v41, v38
	v_sub_f32_e32 v40, v37, v40
	v_sub_f32_e32 v37, v40, v39
	s_delay_alu instid0(VALU_DEP_1) | instskip(NEXT) | instid1(VALU_DEP_4)
	v_add_f32_e32 v33, v37, v33
	v_sub_f32_e32 v37, v36, v41
	s_delay_alu instid0(VALU_DEP_2) | instskip(NEXT) | instid1(VALU_DEP_2)
	v_add_f32_e32 v33, v42, v33
	v_sub_f32_e32 v37, v38, v37
	s_delay_alu instid0(VALU_DEP_2) | instskip(NEXT) | instid1(VALU_DEP_1)
	v_mul_f32_e32 v33, v35, v33
	v_add_f32_e32 v33, v37, v33
	s_delay_alu instid0(VALU_DEP_1) | instskip(NEXT) | instid1(VALU_DEP_1)
	v_add_f32_e32 v35, v36, v33
	v_mul_f32_e32 v37, v35, v35
	s_delay_alu instid0(VALU_DEP_1) | instskip(SKIP_1) | instid1(VALU_DEP_2)
	v_fmaak_f32 v38, s73, v37, 0x3ecc95a3
	v_mul_f32_e32 v39, v35, v37
	v_fmaak_f32 v37, v37, v38, 0x3f2aaada
	v_ldexp_f32 v38, v35, 1
	s_delay_alu instid0(VALU_DEP_2) | instskip(SKIP_1) | instid1(VALU_DEP_2)
	v_mul_f32_e32 v37, v39, v37
	v_sub_f32_e32 v35, v35, v36
	v_dual_mul_f32 v39, 0x3f317218, v32 :: v_dual_add_f32 v36, v38, v37
	s_delay_alu instid0(VALU_DEP_2) | instskip(NEXT) | instid1(VALU_DEP_2)
	v_sub_f32_e32 v33, v33, v35
	v_sub_f32_e32 v35, v36, v38
	s_delay_alu instid0(VALU_DEP_3) | instskip(NEXT) | instid1(VALU_DEP_3)
	v_fma_f32 v38, 0x3f317218, v32, -v39
	v_ldexp_f32 v33, v33, 1
	s_delay_alu instid0(VALU_DEP_2) | instskip(NEXT) | instid1(VALU_DEP_1)
	v_dual_sub_f32 v35, v37, v35 :: v_dual_fmac_f32 v38, 0xb102e308, v32
	v_dual_add_f32 v32, v33, v35 :: v_dual_add_f32 v33, v39, v38
	s_delay_alu instid0(VALU_DEP_1) | instskip(NEXT) | instid1(VALU_DEP_1)
	v_add_f32_e32 v35, v36, v32
	v_dual_add_f32 v37, v33, v35 :: v_dual_sub_f32 v36, v35, v36
	s_delay_alu instid0(VALU_DEP_1) | instskip(NEXT) | instid1(VALU_DEP_2)
	v_sub_f32_e32 v40, v37, v33
	v_dual_sub_f32 v39, v33, v39 :: v_dual_sub_f32 v32, v32, v36
	s_delay_alu instid0(VALU_DEP_1) | instskip(SKIP_1) | instid1(VALU_DEP_2)
	v_dual_sub_f32 v41, v37, v40 :: v_dual_sub_f32 v38, v38, v39
	v_sub_f32_e32 v35, v35, v40
	v_dual_sub_f32 v33, v33, v41 :: v_dual_add_f32 v36, v38, v32
	s_delay_alu instid0(VALU_DEP_1) | instskip(NEXT) | instid1(VALU_DEP_2)
	v_add_f32_e32 v33, v35, v33
	v_sub_f32_e32 v35, v36, v38
	s_delay_alu instid0(VALU_DEP_2) | instskip(NEXT) | instid1(VALU_DEP_2)
	v_add_f32_e32 v33, v36, v33
	v_sub_f32_e32 v36, v36, v35
	s_delay_alu instid0(VALU_DEP_2) | instskip(NEXT) | instid1(VALU_DEP_1)
	v_dual_sub_f32 v32, v32, v35 :: v_dual_add_f32 v39, v37, v33
	v_dual_sub_f32 v36, v38, v36 :: v_dual_sub_f32 v35, v39, v37
	s_delay_alu instid0(VALU_DEP_1) | instskip(NEXT) | instid1(VALU_DEP_1)
	v_dual_add_f32 v32, v32, v36 :: v_dual_sub_f32 v33, v33, v35
	v_add_f32_e32 v32, v32, v33
	s_delay_alu instid0(VALU_DEP_1) | instskip(NEXT) | instid1(VALU_DEP_1)
	v_add_f32_e32 v32, v39, v32
	v_cndmask_b32_e32 v128, v32, v34, vcc_lo
.LBB155_50:                             ;   in Loop: Header=BB155_12 Depth=1
	s_or_b32 exec_lo, exec_lo, s18
	v_add_f32_e32 v129, s57, v2
	s_delay_alu instid0(VALU_DEP_1) | instskip(SKIP_1) | instid1(SALU_CYCLE_1)
	v_cmp_ge_f32_e32 vcc_lo, 0x41a00000, v129
	s_and_b32 s17, s69, vcc_lo
	s_and_saveexec_b32 s18, s17
	s_cbranch_execz .LBB155_52
; %bb.51:                               ;   in Loop: Header=BB155_12 Depth=1
	v_mul_f32_e32 v32, 0x3fb8aa3b, v129
	v_cmp_ngt_f32_e32 vcc_lo, 0xc2ce8ed0, v129
	s_delay_alu instid0(VALU_DEP_2) | instskip(SKIP_1) | instid1(VALU_DEP_2)
	v_rndne_f32_e32 v33, v32
	v_fma_f32 v34, 0x3fb8aa3b, v129, -v32
	v_sub_f32_e32 v32, v32, v33
	s_delay_alu instid0(VALU_DEP_2) | instskip(SKIP_1) | instid1(VALU_DEP_2)
	v_fmac_f32_e32 v34, 0x32a5705f, v129
	v_cvt_i32_f32_e32 v33, v33
	v_add_f32_e32 v32, v32, v34
	s_delay_alu instid0(VALU_DEP_1) | instskip(SKIP_2) | instid1(VALU_DEP_1)
	v_exp_f32_e32 v32, v32
	s_waitcnt_depctr 0xfff
	v_ldexp_f32 v32, v32, v33
	v_cndmask_b32_e32 v32, 0, v32, vcc_lo
	v_cmp_nlt_f32_e32 vcc_lo, 0x42b17218, v129
	s_delay_alu instid0(VALU_DEP_2) | instskip(NEXT) | instid1(VALU_DEP_1)
	v_cndmask_b32_e32 v34, 0x7f800000, v32, vcc_lo
	v_add_f32_e32 v35, 1.0, v34
	s_delay_alu instid0(VALU_DEP_1) | instskip(NEXT) | instid1(VALU_DEP_1)
	v_cvt_f64_f32_e32 v[32:33], v35
	v_frexp_exp_i32_f64_e32 v32, v[32:33]
	v_frexp_mant_f32_e32 v33, v35
	s_delay_alu instid0(VALU_DEP_1) | instskip(SKIP_1) | instid1(VALU_DEP_1)
	v_cmp_gt_f32_e32 vcc_lo, 0x3f2aaaab, v33
	v_add_f32_e32 v33, -1.0, v35
	v_sub_f32_e32 v37, v33, v35
	v_sub_f32_e32 v33, v34, v33
	s_delay_alu instid0(VALU_DEP_2) | instskip(NEXT) | instid1(VALU_DEP_1)
	v_add_f32_e32 v37, 1.0, v37
	v_add_f32_e32 v33, v33, v37
	v_cmp_gt_f32_e64 s17, 0x33800000, v34
	v_subrev_co_ci_u32_e32 v32, vcc_lo, 0, v32, vcc_lo
	v_cmp_eq_f32_e32 vcc_lo, 0x7f800000, v34
	s_delay_alu instid0(VALU_DEP_2) | instskip(SKIP_2) | instid1(VALU_DEP_2)
	v_sub_nc_u32_e32 v36, 0, v32
	v_cvt_f32_i32_e32 v32, v32
	s_or_b32 vcc_lo, s17, vcc_lo
	v_ldexp_f32 v35, v35, v36
	v_ldexp_f32 v33, v33, v36
	s_delay_alu instid0(VALU_DEP_2) | instskip(NEXT) | instid1(VALU_DEP_1)
	v_add_f32_e32 v38, 1.0, v35
	v_dual_add_f32 v36, -1.0, v35 :: v_dual_add_f32 v37, -1.0, v38
	s_delay_alu instid0(VALU_DEP_1) | instskip(NEXT) | instid1(VALU_DEP_2)
	v_add_f32_e32 v39, 1.0, v36
	v_sub_f32_e32 v37, v35, v37
	s_delay_alu instid0(VALU_DEP_2) | instskip(NEXT) | instid1(VALU_DEP_2)
	v_sub_f32_e32 v35, v35, v39
	v_add_f32_e32 v37, v33, v37
	s_delay_alu instid0(VALU_DEP_2) | instskip(NEXT) | instid1(VALU_DEP_1)
	v_add_f32_e32 v33, v33, v35
	v_add_f32_e32 v40, v36, v33
	s_delay_alu instid0(VALU_DEP_1) | instskip(NEXT) | instid1(VALU_DEP_1)
	v_dual_add_f32 v39, v38, v37 :: v_dual_sub_f32 v36, v36, v40
	v_rcp_f32_e32 v35, v39
	v_sub_f32_e32 v38, v38, v39
	s_delay_alu instid0(VALU_DEP_1) | instskip(SKIP_2) | instid1(VALU_DEP_1)
	v_add_f32_e32 v37, v37, v38
	s_waitcnt_depctr 0xfff
	v_mul_f32_e32 v41, v40, v35
	v_mul_f32_e32 v42, v39, v41
	s_delay_alu instid0(VALU_DEP_1) | instskip(NEXT) | instid1(VALU_DEP_1)
	v_fma_f32 v38, v41, v39, -v42
	v_fmac_f32_e32 v38, v41, v37
	s_delay_alu instid0(VALU_DEP_1) | instskip(NEXT) | instid1(VALU_DEP_1)
	v_add_f32_e32 v43, v42, v38
	v_sub_f32_e32 v44, v40, v43
	s_delay_alu instid0(VALU_DEP_1) | instskip(SKIP_1) | instid1(VALU_DEP_2)
	v_sub_f32_e32 v40, v40, v44
	v_dual_add_f32 v33, v33, v36 :: v_dual_sub_f32 v36, v43, v42
	v_sub_f32_e32 v40, v40, v43
	s_delay_alu instid0(VALU_DEP_1) | instskip(NEXT) | instid1(VALU_DEP_1)
	v_dual_sub_f32 v36, v36, v38 :: v_dual_add_f32 v33, v33, v40
	v_add_f32_e32 v33, v36, v33
	s_delay_alu instid0(VALU_DEP_1) | instskip(NEXT) | instid1(VALU_DEP_1)
	v_add_f32_e32 v36, v44, v33
	v_mul_f32_e32 v38, v35, v36
	s_delay_alu instid0(VALU_DEP_1) | instskip(NEXT) | instid1(VALU_DEP_1)
	v_dual_sub_f32 v43, v44, v36 :: v_dual_mul_f32 v40, v39, v38
	v_add_f32_e32 v33, v33, v43
	s_delay_alu instid0(VALU_DEP_2) | instskip(NEXT) | instid1(VALU_DEP_1)
	v_fma_f32 v39, v38, v39, -v40
	v_fmac_f32_e32 v39, v38, v37
	s_delay_alu instid0(VALU_DEP_1) | instskip(NEXT) | instid1(VALU_DEP_1)
	v_add_f32_e32 v37, v40, v39
	v_sub_f32_e32 v42, v36, v37
	s_delay_alu instid0(VALU_DEP_1) | instskip(NEXT) | instid1(VALU_DEP_1)
	v_sub_f32_e32 v36, v36, v42
	v_sub_f32_e32 v36, v36, v37
	s_delay_alu instid0(VALU_DEP_1) | instskip(SKIP_2) | instid1(VALU_DEP_1)
	v_add_f32_e32 v33, v33, v36
	v_add_f32_e32 v36, v41, v38
	v_sub_f32_e32 v40, v37, v40
	v_sub_f32_e32 v37, v40, v39
	s_delay_alu instid0(VALU_DEP_1) | instskip(NEXT) | instid1(VALU_DEP_4)
	v_add_f32_e32 v33, v37, v33
	v_sub_f32_e32 v37, v36, v41
	s_delay_alu instid0(VALU_DEP_2) | instskip(NEXT) | instid1(VALU_DEP_2)
	v_add_f32_e32 v33, v42, v33
	v_sub_f32_e32 v37, v38, v37
	s_delay_alu instid0(VALU_DEP_2) | instskip(NEXT) | instid1(VALU_DEP_1)
	v_mul_f32_e32 v33, v35, v33
	v_add_f32_e32 v33, v37, v33
	s_delay_alu instid0(VALU_DEP_1) | instskip(NEXT) | instid1(VALU_DEP_1)
	v_add_f32_e32 v35, v36, v33
	v_mul_f32_e32 v37, v35, v35
	s_delay_alu instid0(VALU_DEP_1) | instskip(SKIP_1) | instid1(VALU_DEP_2)
	v_fmaak_f32 v38, s73, v37, 0x3ecc95a3
	v_mul_f32_e32 v39, v35, v37
	v_fmaak_f32 v37, v37, v38, 0x3f2aaada
	v_ldexp_f32 v38, v35, 1
	s_delay_alu instid0(VALU_DEP_2) | instskip(SKIP_1) | instid1(VALU_DEP_2)
	v_mul_f32_e32 v37, v39, v37
	v_sub_f32_e32 v35, v35, v36
	v_dual_mul_f32 v39, 0x3f317218, v32 :: v_dual_add_f32 v36, v38, v37
	s_delay_alu instid0(VALU_DEP_2) | instskip(NEXT) | instid1(VALU_DEP_2)
	v_sub_f32_e32 v33, v33, v35
	v_sub_f32_e32 v35, v36, v38
	s_delay_alu instid0(VALU_DEP_3) | instskip(NEXT) | instid1(VALU_DEP_3)
	v_fma_f32 v38, 0x3f317218, v32, -v39
	v_ldexp_f32 v33, v33, 1
	s_delay_alu instid0(VALU_DEP_2) | instskip(NEXT) | instid1(VALU_DEP_1)
	v_dual_sub_f32 v35, v37, v35 :: v_dual_fmac_f32 v38, 0xb102e308, v32
	v_dual_add_f32 v32, v33, v35 :: v_dual_add_f32 v33, v39, v38
	s_delay_alu instid0(VALU_DEP_1) | instskip(NEXT) | instid1(VALU_DEP_1)
	v_add_f32_e32 v35, v36, v32
	v_dual_add_f32 v37, v33, v35 :: v_dual_sub_f32 v36, v35, v36
	s_delay_alu instid0(VALU_DEP_1) | instskip(NEXT) | instid1(VALU_DEP_2)
	v_sub_f32_e32 v40, v37, v33
	v_dual_sub_f32 v39, v33, v39 :: v_dual_sub_f32 v32, v32, v36
	s_delay_alu instid0(VALU_DEP_1) | instskip(SKIP_1) | instid1(VALU_DEP_2)
	v_dual_sub_f32 v41, v37, v40 :: v_dual_sub_f32 v38, v38, v39
	v_sub_f32_e32 v35, v35, v40
	v_dual_sub_f32 v33, v33, v41 :: v_dual_add_f32 v36, v38, v32
	s_delay_alu instid0(VALU_DEP_1) | instskip(NEXT) | instid1(VALU_DEP_2)
	v_add_f32_e32 v33, v35, v33
	v_sub_f32_e32 v35, v36, v38
	s_delay_alu instid0(VALU_DEP_2) | instskip(NEXT) | instid1(VALU_DEP_2)
	v_add_f32_e32 v33, v36, v33
	v_sub_f32_e32 v36, v36, v35
	s_delay_alu instid0(VALU_DEP_2) | instskip(NEXT) | instid1(VALU_DEP_1)
	v_dual_sub_f32 v32, v32, v35 :: v_dual_add_f32 v39, v37, v33
	v_dual_sub_f32 v36, v38, v36 :: v_dual_sub_f32 v35, v39, v37
	s_delay_alu instid0(VALU_DEP_1) | instskip(NEXT) | instid1(VALU_DEP_1)
	v_dual_add_f32 v32, v32, v36 :: v_dual_sub_f32 v33, v33, v35
	v_add_f32_e32 v32, v32, v33
	s_delay_alu instid0(VALU_DEP_1) | instskip(NEXT) | instid1(VALU_DEP_1)
	v_add_f32_e32 v32, v39, v32
	v_cndmask_b32_e32 v129, v32, v34, vcc_lo
.LBB155_52:                             ;   in Loop: Header=BB155_12 Depth=1
	s_or_b32 exec_lo, exec_lo, s18
	v_add_f32_e32 v130, s57, v3
	s_delay_alu instid0(VALU_DEP_1) | instskip(SKIP_1) | instid1(SALU_CYCLE_1)
	v_cmp_ge_f32_e32 vcc_lo, 0x41a00000, v130
	s_and_b32 s17, s69, vcc_lo
	s_and_saveexec_b32 s18, s17
	s_cbranch_execz .LBB155_54
; %bb.53:                               ;   in Loop: Header=BB155_12 Depth=1
	v_mul_f32_e32 v32, 0x3fb8aa3b, v130
	v_cmp_ngt_f32_e32 vcc_lo, 0xc2ce8ed0, v130
	s_delay_alu instid0(VALU_DEP_2) | instskip(SKIP_1) | instid1(VALU_DEP_2)
	v_rndne_f32_e32 v33, v32
	v_fma_f32 v34, 0x3fb8aa3b, v130, -v32
	v_sub_f32_e32 v32, v32, v33
	s_delay_alu instid0(VALU_DEP_2) | instskip(SKIP_1) | instid1(VALU_DEP_2)
	v_fmac_f32_e32 v34, 0x32a5705f, v130
	v_cvt_i32_f32_e32 v33, v33
	v_add_f32_e32 v32, v32, v34
	s_delay_alu instid0(VALU_DEP_1) | instskip(SKIP_2) | instid1(VALU_DEP_1)
	v_exp_f32_e32 v32, v32
	s_waitcnt_depctr 0xfff
	v_ldexp_f32 v32, v32, v33
	v_cndmask_b32_e32 v32, 0, v32, vcc_lo
	v_cmp_nlt_f32_e32 vcc_lo, 0x42b17218, v130
	s_delay_alu instid0(VALU_DEP_2) | instskip(NEXT) | instid1(VALU_DEP_1)
	v_cndmask_b32_e32 v34, 0x7f800000, v32, vcc_lo
	v_add_f32_e32 v35, 1.0, v34
	s_delay_alu instid0(VALU_DEP_1) | instskip(NEXT) | instid1(VALU_DEP_1)
	v_cvt_f64_f32_e32 v[32:33], v35
	v_frexp_exp_i32_f64_e32 v32, v[32:33]
	v_frexp_mant_f32_e32 v33, v35
	s_delay_alu instid0(VALU_DEP_1) | instskip(SKIP_1) | instid1(VALU_DEP_1)
	v_cmp_gt_f32_e32 vcc_lo, 0x3f2aaaab, v33
	v_add_f32_e32 v33, -1.0, v35
	v_sub_f32_e32 v37, v33, v35
	v_sub_f32_e32 v33, v34, v33
	s_delay_alu instid0(VALU_DEP_2) | instskip(NEXT) | instid1(VALU_DEP_1)
	v_add_f32_e32 v37, 1.0, v37
	v_add_f32_e32 v33, v33, v37
	v_cmp_gt_f32_e64 s17, 0x33800000, v34
	v_subrev_co_ci_u32_e32 v32, vcc_lo, 0, v32, vcc_lo
	v_cmp_eq_f32_e32 vcc_lo, 0x7f800000, v34
	s_delay_alu instid0(VALU_DEP_2) | instskip(SKIP_2) | instid1(VALU_DEP_2)
	v_sub_nc_u32_e32 v36, 0, v32
	v_cvt_f32_i32_e32 v32, v32
	s_or_b32 vcc_lo, s17, vcc_lo
	v_ldexp_f32 v35, v35, v36
	v_ldexp_f32 v33, v33, v36
	s_delay_alu instid0(VALU_DEP_2) | instskip(NEXT) | instid1(VALU_DEP_1)
	v_add_f32_e32 v38, 1.0, v35
	v_dual_add_f32 v36, -1.0, v35 :: v_dual_add_f32 v37, -1.0, v38
	s_delay_alu instid0(VALU_DEP_1) | instskip(NEXT) | instid1(VALU_DEP_2)
	v_add_f32_e32 v39, 1.0, v36
	v_sub_f32_e32 v37, v35, v37
	s_delay_alu instid0(VALU_DEP_2) | instskip(NEXT) | instid1(VALU_DEP_2)
	v_sub_f32_e32 v35, v35, v39
	v_add_f32_e32 v37, v33, v37
	s_delay_alu instid0(VALU_DEP_2) | instskip(NEXT) | instid1(VALU_DEP_1)
	v_add_f32_e32 v33, v33, v35
	v_add_f32_e32 v40, v36, v33
	s_delay_alu instid0(VALU_DEP_1) | instskip(NEXT) | instid1(VALU_DEP_1)
	v_dual_add_f32 v39, v38, v37 :: v_dual_sub_f32 v36, v36, v40
	v_rcp_f32_e32 v35, v39
	v_sub_f32_e32 v38, v38, v39
	s_delay_alu instid0(VALU_DEP_1) | instskip(SKIP_2) | instid1(VALU_DEP_1)
	v_add_f32_e32 v37, v37, v38
	s_waitcnt_depctr 0xfff
	v_mul_f32_e32 v41, v40, v35
	v_mul_f32_e32 v42, v39, v41
	s_delay_alu instid0(VALU_DEP_1) | instskip(NEXT) | instid1(VALU_DEP_1)
	v_fma_f32 v38, v41, v39, -v42
	v_fmac_f32_e32 v38, v41, v37
	s_delay_alu instid0(VALU_DEP_1) | instskip(NEXT) | instid1(VALU_DEP_1)
	v_add_f32_e32 v43, v42, v38
	v_sub_f32_e32 v44, v40, v43
	s_delay_alu instid0(VALU_DEP_1) | instskip(SKIP_1) | instid1(VALU_DEP_2)
	v_sub_f32_e32 v40, v40, v44
	v_dual_add_f32 v33, v33, v36 :: v_dual_sub_f32 v36, v43, v42
	v_sub_f32_e32 v40, v40, v43
	s_delay_alu instid0(VALU_DEP_1) | instskip(NEXT) | instid1(VALU_DEP_1)
	v_dual_sub_f32 v36, v36, v38 :: v_dual_add_f32 v33, v33, v40
	v_add_f32_e32 v33, v36, v33
	s_delay_alu instid0(VALU_DEP_1) | instskip(NEXT) | instid1(VALU_DEP_1)
	v_add_f32_e32 v36, v44, v33
	v_mul_f32_e32 v38, v35, v36
	s_delay_alu instid0(VALU_DEP_1) | instskip(NEXT) | instid1(VALU_DEP_1)
	v_dual_sub_f32 v43, v44, v36 :: v_dual_mul_f32 v40, v39, v38
	v_add_f32_e32 v33, v33, v43
	s_delay_alu instid0(VALU_DEP_2) | instskip(NEXT) | instid1(VALU_DEP_1)
	v_fma_f32 v39, v38, v39, -v40
	v_fmac_f32_e32 v39, v38, v37
	s_delay_alu instid0(VALU_DEP_1) | instskip(NEXT) | instid1(VALU_DEP_1)
	v_add_f32_e32 v37, v40, v39
	v_sub_f32_e32 v42, v36, v37
	s_delay_alu instid0(VALU_DEP_1) | instskip(NEXT) | instid1(VALU_DEP_1)
	v_sub_f32_e32 v36, v36, v42
	v_sub_f32_e32 v36, v36, v37
	s_delay_alu instid0(VALU_DEP_1) | instskip(SKIP_2) | instid1(VALU_DEP_1)
	v_add_f32_e32 v33, v33, v36
	v_add_f32_e32 v36, v41, v38
	v_sub_f32_e32 v40, v37, v40
	v_sub_f32_e32 v37, v40, v39
	s_delay_alu instid0(VALU_DEP_1) | instskip(NEXT) | instid1(VALU_DEP_4)
	v_add_f32_e32 v33, v37, v33
	v_sub_f32_e32 v37, v36, v41
	s_delay_alu instid0(VALU_DEP_2) | instskip(NEXT) | instid1(VALU_DEP_2)
	v_add_f32_e32 v33, v42, v33
	v_sub_f32_e32 v37, v38, v37
	s_delay_alu instid0(VALU_DEP_2) | instskip(NEXT) | instid1(VALU_DEP_1)
	v_mul_f32_e32 v33, v35, v33
	v_add_f32_e32 v33, v37, v33
	s_delay_alu instid0(VALU_DEP_1) | instskip(NEXT) | instid1(VALU_DEP_1)
	v_add_f32_e32 v35, v36, v33
	v_mul_f32_e32 v37, v35, v35
	s_delay_alu instid0(VALU_DEP_1) | instskip(SKIP_1) | instid1(VALU_DEP_2)
	v_fmaak_f32 v38, s73, v37, 0x3ecc95a3
	v_mul_f32_e32 v39, v35, v37
	v_fmaak_f32 v37, v37, v38, 0x3f2aaada
	v_ldexp_f32 v38, v35, 1
	s_delay_alu instid0(VALU_DEP_2) | instskip(SKIP_1) | instid1(VALU_DEP_2)
	v_mul_f32_e32 v37, v39, v37
	v_sub_f32_e32 v35, v35, v36
	v_dual_mul_f32 v39, 0x3f317218, v32 :: v_dual_add_f32 v36, v38, v37
	s_delay_alu instid0(VALU_DEP_2) | instskip(NEXT) | instid1(VALU_DEP_2)
	v_sub_f32_e32 v33, v33, v35
	v_sub_f32_e32 v35, v36, v38
	s_delay_alu instid0(VALU_DEP_3) | instskip(NEXT) | instid1(VALU_DEP_3)
	v_fma_f32 v38, 0x3f317218, v32, -v39
	v_ldexp_f32 v33, v33, 1
	s_delay_alu instid0(VALU_DEP_2) | instskip(NEXT) | instid1(VALU_DEP_1)
	v_dual_sub_f32 v35, v37, v35 :: v_dual_fmac_f32 v38, 0xb102e308, v32
	v_dual_add_f32 v32, v33, v35 :: v_dual_add_f32 v33, v39, v38
	s_delay_alu instid0(VALU_DEP_1) | instskip(NEXT) | instid1(VALU_DEP_1)
	v_add_f32_e32 v35, v36, v32
	v_dual_add_f32 v37, v33, v35 :: v_dual_sub_f32 v36, v35, v36
	s_delay_alu instid0(VALU_DEP_1) | instskip(NEXT) | instid1(VALU_DEP_2)
	v_sub_f32_e32 v40, v37, v33
	v_dual_sub_f32 v39, v33, v39 :: v_dual_sub_f32 v32, v32, v36
	s_delay_alu instid0(VALU_DEP_1) | instskip(SKIP_1) | instid1(VALU_DEP_2)
	v_dual_sub_f32 v41, v37, v40 :: v_dual_sub_f32 v38, v38, v39
	v_sub_f32_e32 v35, v35, v40
	v_dual_sub_f32 v33, v33, v41 :: v_dual_add_f32 v36, v38, v32
	s_delay_alu instid0(VALU_DEP_1) | instskip(NEXT) | instid1(VALU_DEP_2)
	v_add_f32_e32 v33, v35, v33
	v_sub_f32_e32 v35, v36, v38
	s_delay_alu instid0(VALU_DEP_2) | instskip(NEXT) | instid1(VALU_DEP_2)
	v_add_f32_e32 v33, v36, v33
	v_sub_f32_e32 v36, v36, v35
	s_delay_alu instid0(VALU_DEP_2) | instskip(NEXT) | instid1(VALU_DEP_1)
	v_dual_sub_f32 v32, v32, v35 :: v_dual_add_f32 v39, v37, v33
	v_dual_sub_f32 v36, v38, v36 :: v_dual_sub_f32 v35, v39, v37
	s_delay_alu instid0(VALU_DEP_1) | instskip(NEXT) | instid1(VALU_DEP_1)
	v_dual_add_f32 v32, v32, v36 :: v_dual_sub_f32 v33, v33, v35
	v_add_f32_e32 v32, v32, v33
	s_delay_alu instid0(VALU_DEP_1) | instskip(NEXT) | instid1(VALU_DEP_1)
	v_add_f32_e32 v32, v39, v32
	v_cndmask_b32_e32 v130, v32, v34, vcc_lo
.LBB155_54:                             ;   in Loop: Header=BB155_12 Depth=1
	s_or_b32 exec_lo, exec_lo, s18
	v_dual_mul_f32 v34, s58, v10 :: v_dual_mul_f32 v33, s58, v9
	v_dual_mul_f32 v32, s58, v8 :: v_dual_mul_f32 v39, s58, v19
	;; [unrolled: 1-line block ×8, first 2 shown]
	s_lshl_b32 s38, s75, 11
	s_and_b32 vcc_lo, exec_lo, s70
	s_barrier
	buffer_gl0_inv
	s_cbranch_vccz .LBB155_11
; %bb.55:                               ;   in Loop: Header=BB155_12 Depth=1
	v_add_co_u32 v48, s17, s41, v113
	s_delay_alu instid0(VALU_DEP_1) | instskip(SKIP_1) | instid1(VALU_DEP_1)
	v_add_co_ci_u32_e64 v49, null, s64, 0, s17
	v_add_co_u32 v50, s17, s45, v113
	v_add_co_ci_u32_e64 v51, null, s65, 0, s17
	s_delay_alu instid0(VALU_DEP_4) | instskip(NEXT) | instid1(VALU_DEP_4)
	v_add_co_u32 v132, vcc_lo, v48, v114
	v_add_co_ci_u32_e32 v133, vcc_lo, 0, v49, vcc_lo
	s_delay_alu instid0(VALU_DEP_4)
	v_add_co_u32 v134, vcc_lo, v50, v114
	s_sub_i32 s28, s52, s38
	v_add_co_ci_u32_e32 v135, vcc_lo, 0, v51, vcc_lo
	v_cmp_gt_u32_e32 vcc_lo, s28, v92
	s_cmp_lg_u32 s75, 0
	v_cmp_gt_u32_e64 s19, s28, v99
	s_cselect_b32 s39, -1, 0
	s_cmp_eq_u32 s75, s72
	v_cmp_gt_u32_e64 s20, s28, v100
	s_cselect_b32 s76, -1, 0
	s_or_b32 s17, s71, vcc_lo
	v_cmp_gt_u32_e32 vcc_lo, s28, v98
	v_cmp_gt_u32_e64 s21, s28, v101
	v_cmp_gt_u32_e64 s22, s28, v102
	;; [unrolled: 1-line block ×4, first 2 shown]
	s_or_b32 s18, s71, vcc_lo
	v_cmp_gt_u32_e32 vcc_lo, s28, v103
	v_cmp_gt_u32_e64 s26, s28, v106
	v_cmp_gt_u32_e64 s27, s28, v107
	;; [unrolled: 1-line block ×4, first 2 shown]
	s_or_b32 s23, s71, vcc_lo
	v_cmp_gt_u32_e32 vcc_lo, s28, v108
	v_cmp_gt_u32_e64 s31, s28, v111
	v_cmp_gt_u32_e64 s33, s28, v112
	v_dual_mul_f32 v131, v11, v130 :: v_dual_mul_f32 v136, v10, v129
	v_dual_mul_f32 v137, v9, v128 :: v_dual_mul_f32 v138, v8, v127
	;; [unrolled: 1-line block ×8, first 2 shown]
	s_mov_b32 s54, 0
	s_or_b32 s19, s71, s19
	s_or_b32 s20, s71, s20
	;; [unrolled: 1-line block ×8, first 2 shown]
	s_or_b32 s28, s71, vcc_lo
	s_or_b32 s29, s71, s29
	s_or_b32 s30, s71, s30
	;; [unrolled: 1-line block ×4, first 2 shown]
	s_mov_b32 s42, s54
	s_mov_b32 s46, s54
	;; [unrolled: 1-line block ×5, first 2 shown]
	s_branch .LBB155_57
.LBB155_56:                             ;   in Loop: Header=BB155_57 Depth=2
	s_or_b32 exec_lo, exec_lo, s34
	v_cndmask_b32_e64 v65, v172, v67, s16
	v_cndmask_b32_e64 v66, v171, v66, s16
	s_add_i32 s77, s77, -1
	s_add_i32 s78, s78, 8
	s_add_i32 s48, s48, s50
	v_fma_f32 v65, v65, v153, v151
	v_mul_f32_e32 v66, v66, v153
	s_add_i32 s46, s46, s44
	s_add_i32 s42, s42, s40
	;; [unrolled: 1-line block ×3, first 2 shown]
	v_cndmask_b32_e64 v65, v65, v151, s14
	v_cndmask_b32_e64 v66, v66, v153, s14
	s_cmp_eq_u32 s77, 0
	s_waitcnt lgkmcnt(0)
	s_delay_alu instid0(VALU_DEP_1) | instskip(NEXT) | instid1(VALU_DEP_1)
	v_fmac_f32_e32 v65, v64, v66
	v_fmac_f32_e32 v76, v65, v152
	s_delay_alu instid0(VALU_DEP_1) | instskip(NEXT) | instid1(VALU_DEP_1)
	v_fmac_f32_e32 v77, v76, v154
	v_fmac_f32_e32 v78, v77, v79
	s_delay_alu instid0(VALU_DEP_1) | instskip(SKIP_1) | instid1(VALU_DEP_1)
	v_dual_fmac_f32 v46, v62, v77 :: v_dual_fmac_f32 v47, v63, v78
	v_fmac_f32_e32 v72, v78, v155
	v_fmac_f32_e32 v73, v72, v156
	s_delay_alu instid0(VALU_DEP_1) | instskip(NEXT) | instid1(VALU_DEP_1)
	v_fmac_f32_e32 v74, v73, v157
	v_dual_fmac_f32 v75, v74, v158 :: v_dual_fmac_f32 v44, v60, v65
	s_delay_alu instid0(VALU_DEP_1) | instskip(SKIP_2) | instid1(VALU_DEP_3)
	v_dual_fmac_f32 v45, v61, v76 :: v_dual_fmac_f32 v68, v75, v159
	v_fmac_f32_e32 v43, v59, v75
	v_fmac_f32_e32 v41, v57, v73
	;; [unrolled: 1-line block ×4, first 2 shown]
	s_delay_alu instid0(VALU_DEP_2) | instskip(SKIP_1) | instid1(VALU_DEP_1)
	v_dual_fmac_f32 v36, v52, v68 :: v_dual_fmac_f32 v37, v53, v69
	v_fmac_f32_e32 v70, v69, v161
	v_fmac_f32_e32 v71, v70, v170
	s_delay_alu instid0(VALU_DEP_1) | instskip(NEXT) | instid1(VALU_DEP_1)
	v_fmac_f32_e32 v162, v71, v164
	v_dual_fmac_f32 v39, v55, v71 :: v_dual_fmac_f32 v32, v48, v162
	v_fmac_f32_e32 v163, v162, v166
	s_delay_alu instid0(VALU_DEP_1) | instskip(SKIP_1) | instid1(VALU_DEP_2)
	v_dual_fmac_f32 v42, v58, v74 :: v_dual_fmac_f32 v165, v163, v168
	v_dual_fmac_f32 v38, v54, v70 :: v_dual_fmac_f32 v33, v49, v163
	v_fmac_f32_e32 v34, v50, v165
	v_fmac_f32_e32 v167, v165, v169
	s_delay_alu instid0(VALU_DEP_1)
	v_fmac_f32_e32 v35, v51, v167
	s_cbranch_scc1 .LBB155_11
.LBB155_57:                             ;   Parent Loop BB155_12 Depth=1
                                        ; =>  This Inner Loop Header: Depth=2
	s_lshl_b64 s[34:35], s[54:55], 2
	s_mov_b32 s43, s55
	s_add_u32 s34, s63, s34
	s_addc_u32 s35, s51, s35
	s_lshl_b64 s[80:81], s[42:43], 2
	s_mov_b32 s47, s55
	v_add_co_u32 v60, vcc_lo, v132, s80
	v_add_co_ci_u32_e32 v61, vcc_lo, s81, v133, vcc_lo
	s_lshl_b64 s[80:81], s[46:47], 2
	s_clause 0x3
	global_load_b128 v[48:51], v[60:61], off
	global_load_b128 v[52:55], v[60:61], off offset:512
	global_load_b128 v[56:59], v[60:61], off offset:1024
	;; [unrolled: 1-line block ×3, first 2 shown]
	v_add_co_u32 v64, vcc_lo, v134, s80
	v_add_co_ci_u32_e32 v65, vcc_lo, s81, v135, vcc_lo
	global_load_b32 v151, v82, s[34:35]
	s_and_not1_b32 vcc_lo, exec_lo, s39
	s_waitcnt vmcnt(4)
	ds_store_b128 v83, v[48:51]
	s_waitcnt vmcnt(3)
	ds_store_b128 v84, v[52:55] offset:512
	s_waitcnt vmcnt(2)
	ds_store_b128 v85, v[56:59] offset:1024
	;; [unrolled: 2-line block ×3, first 2 shown]
	; wave barrier
	s_clause 0x3
	global_load_b128 v[48:51], v[64:65], off
	global_load_b128 v[52:55], v[64:65], off offset:512
	global_load_b128 v[56:59], v[64:65], off offset:1024
	;; [unrolled: 1-line block ×3, first 2 shown]
	ds_load_b128 v[76:79], v87
	ds_load_b128 v[72:75], v87 offset:16
	ds_load_b128 v[68:71], v87 offset:32
	;; [unrolled: 1-line block ×3, first 2 shown]
	s_waitcnt vmcnt(3)
	ds_store_b128 v83, v[48:51] offset:8448
	s_waitcnt vmcnt(2)
	ds_store_b128 v88, v[52:55] offset:512
	;; [unrolled: 2-line block ×4, first 2 shown]
	; wave barrier
	ds_load_b128 v[60:63], v87 offset:8448
	ds_load_b128 v[56:59], v91 offset:16
	;; [unrolled: 1-line block ×4, first 2 shown]
	s_cbranch_vccnz .LBB155_59
; %bb.58:                               ;   in Loop: Header=BB155_57 Depth=2
	v_mov_b32_e32 v80, s78
	ds_load_b64 v[80:81], v80
	s_cbranch_execz .LBB155_60
	s_branch .LBB155_63
.LBB155_59:                             ;   in Loop: Header=BB155_57 Depth=2
                                        ; implicit-def: $vgpr80
.LBB155_60:                             ;   in Loop: Header=BB155_57 Depth=2
	s_waitcnt lgkmcnt(0)
	v_mov_b32_e32 v81, 0
	s_and_not1_b32 vcc_lo, exec_lo, s56
	s_cbranch_vccnz .LBB155_62
; %bb.61:                               ;   in Loop: Header=BB155_57 Depth=2
	s_mov_b32 s49, s55
	s_delay_alu instid0(SALU_CYCLE_1) | instskip(NEXT) | instid1(SALU_CYCLE_1)
	s_lshl_b64 s[34:35], s[48:49], 2
	s_add_u32 s34, s66, s34
	s_addc_u32 s35, s67, s35
	global_load_b32 v81, v82, s[34:35]
.LBB155_62:                             ;   in Loop: Header=BB155_57 Depth=2
	v_mov_b32_e32 v80, 1.0
.LBB155_63:                             ;   in Loop: Header=BB155_57 Depth=2
	s_waitcnt lgkmcnt(11)
	v_dual_mul_f32 v165, 0x3fb8aa3b, v151 :: v_dual_mul_f32 v76, v76, v150
	v_dual_mul_f32 v77, v77, v149 :: v_dual_mul_f32 v78, v78, v148
	v_mul_f32_e32 v79, v79, v147
	s_delay_alu instid0(VALU_DEP_3)
	v_mul_f32_e32 v151, v165, v115
	v_mul_f32_e32 v154, v165, v117
	s_waitcnt lgkmcnt(10)
	v_dual_mul_f32 v157, v165, v119 :: v_dual_mul_f32 v72, v72, v146
	s_waitcnt lgkmcnt(9)
	v_dual_mul_f32 v159, v165, v122 :: v_dual_mul_f32 v70, v70, v140
	v_cmp_gt_f32_e32 vcc_lo, 0xc2fc0000, v151
	v_cndmask_b32_e64 v151, 0, v76, s17
	v_mul_f32_e32 v76, v165, v118
	v_cmp_gt_f32_e64 s35, 0xc2fc0000, v154
	v_mul_f32_e32 v166, v165, v127
	v_cndmask_b32_e64 v153, 0, 0x42800000, vcc_lo
	v_cndmask_b32_e64 v72, 0, v72, s21
	v_cmp_gt_f32_e64 s36, 0xc2fc0000, v76
	v_cndmask_b32_e64 v154, 0, 0x42800000, s35
	v_cndmask_b32_e64 v76, 0, v77, s18
	v_cndmask_b32_e64 v77, 1.0, 0x1f800000, vcc_lo
	v_cmp_gt_f32_e32 vcc_lo, 0xc2fc0000, v157
	v_cndmask_b32_e64 v155, 0, 0x42800000, s36
	v_fmac_f32_e32 v154, v165, v117
	v_cndmask_b32_e64 v157, 1.0, 0x1f800000, s36
	v_cndmask_b32_e64 v158, 1.0, 0x1f800000, s35
	v_cmp_gt_f32_e64 s35, 0xc2fc0000, v159
	v_fmac_f32_e32 v155, v165, v118
	v_exp_f32_e32 v154, v154
	v_fmac_f32_e32 v153, v165, v115
	s_waitcnt lgkmcnt(8)
	v_dual_mul_f32 v169, v165, v130 :: v_dual_mul_f32 v66, v66, v136
	v_exp_f32_e32 v155, v155
	v_mul_f32_e32 v152, v165, v116
	v_cndmask_b32_e64 v70, 0, v70, s27
	v_dual_mul_f32 v74, v74, v144 :: v_dual_mul_f32 v75, v75, v143
	s_delay_alu instid0(TRANS32_DEP_2) | instskip(SKIP_2) | instid1(VALU_DEP_3)
	v_dual_mul_f32 v71, v71, v139 :: v_dual_mul_f32 v154, v154, v158
	v_exp_f32_e32 v153, v153
	v_mul_f32_e32 v158, v165, v121
	v_cndmask_b32_e64 v74, 0, v74, s23
	s_delay_alu instid0(TRANS32_DEP_2)
	v_mul_f32_e32 v155, v155, v157
	v_cmp_gt_f32_e64 s34, 0xc2fc0000, v152
	v_cndmask_b32_e64 v154, 1.0, v154, s19
	v_cndmask_b32_e64 v75, 0, v75, s24
	v_cndmask_b32_e64 v71, 0, v71, s28
	v_mul_f32_e32 v68, v68, v142
	v_cndmask_b32_e64 v152, 0, 0x42800000, s34
	v_mul_f32_e32 v77, v153, v77
	v_cndmask_b32_e64 v156, 1.0, 0x1f800000, s34
	v_dual_mul_f32 v67, v67, v131 :: v_dual_mul_f32 v64, v64, v138
	s_delay_alu instid0(VALU_DEP_4) | instskip(NEXT) | instid1(VALU_DEP_4)
	v_fmac_f32_e32 v152, v165, v116
	v_cndmask_b32_e64 v153, 1.0, v77, s17
	v_cndmask_b32_e64 v77, 0, v78, s19
	v_mul_f32_e32 v78, v165, v120
	v_cndmask_b32_e64 v68, 0, v68, s25
	v_exp_f32_e32 v152, v152
	v_mul_f32_e32 v65, v65, v137
	s_delay_alu instid0(VALU_DEP_3) | instskip(SKIP_3) | instid1(VALU_DEP_4)
	v_cmp_gt_f32_e64 s34, 0xc2fc0000, v78
	v_cndmask_b32_e64 v78, 0, v79, s20
	v_cndmask_b32_e64 v79, 1.0, v155, s20
	v_cndmask_b32_e64 v155, 1.0, 0x1f800000, vcc_lo
	v_cndmask_b32_e64 v157, 0, 0x42800000, s34
	v_cndmask_b32_e64 v159, 1.0, 0x1f800000, s34
	s_delay_alu instid0(TRANS32_DEP_1) | instskip(SKIP_2) | instid1(VALU_DEP_3)
	v_mul_f32_e32 v152, v152, v156
	v_cndmask_b32_e64 v156, 0, 0x42800000, vcc_lo
	v_cmp_gt_f32_e32 vcc_lo, 0xc2fc0000, v158
	v_cndmask_b32_e64 v152, 1.0, v152, s18
	s_delay_alu instid0(VALU_DEP_3) | instskip(SKIP_1) | instid1(VALU_DEP_2)
	v_fmac_f32_e32 v156, v165, v119
	v_cndmask_b32_e64 v158, 0, 0x42800000, vcc_lo
	v_exp_f32_e32 v156, v156
	s_delay_alu instid0(VALU_DEP_1) | instskip(NEXT) | instid1(VALU_DEP_1)
	v_fmac_f32_e32 v158, v165, v121
	v_exp_f32_e32 v158, v158
	v_fmac_f32_e32 v157, v165, v120
	s_waitcnt_depctr 0xfff
	v_mul_f32_e32 v155, v156, v155
	v_exp_f32_e32 v156, v157
	v_cndmask_b32_e64 v157, 0, 0x42800000, s35
	s_delay_alu instid0(VALU_DEP_2) | instskip(SKIP_3) | instid1(VALU_DEP_2)
	v_cndmask_b32_e64 v155, 1.0, v155, s21
	s_waitcnt_depctr 0xfff
	v_dual_fmac_f32 v157, v165, v122 :: v_dual_mul_f32 v156, v156, v159
	v_cndmask_b32_e64 v159, 1.0, 0x1f800000, vcc_lo
	v_exp_f32_e32 v160, v157
	v_mul_f32_e32 v157, v165, v123
	s_delay_alu instid0(VALU_DEP_3) | instskip(NEXT) | instid1(VALU_DEP_3)
	v_cndmask_b32_e64 v156, 1.0, v156, s22
	v_mul_f32_e32 v158, v158, v159
	v_cndmask_b32_e64 v159, 1.0, 0x1f800000, s35
	v_mul_f32_e32 v73, v73, v145
	v_cmp_gt_f32_e32 vcc_lo, 0xc2fc0000, v157
	s_delay_alu instid0(VALU_DEP_4)
	v_cndmask_b32_e64 v157, 1.0, v158, s23
	s_delay_alu instid0(TRANS32_DEP_1) | instid1(VALU_DEP_4)
	v_dual_mul_f32 v158, v160, v159 :: v_dual_mul_f32 v159, v165, v124
	v_cndmask_b32_e64 v161, 0, 0x42800000, vcc_lo
	v_mul_f32_e32 v162, v165, v126
	v_cndmask_b32_e64 v163, 1.0, 0x1f800000, vcc_lo
	s_delay_alu instid0(VALU_DEP_4)
	v_cndmask_b32_e64 v158, 1.0, v158, s24
	v_cmp_gt_f32_e64 s34, 0xc2fc0000, v159
	v_fmac_f32_e32 v161, v165, v123
	v_mul_f32_e32 v160, v165, v125
	v_cmp_gt_f32_e32 vcc_lo, 0xc2fc0000, v162
	v_cndmask_b32_e64 v73, 0, v73, s22
	v_cndmask_b32_e64 v159, 0, 0x42800000, s34
	v_exp_f32_e32 v161, v161
	v_cmp_gt_f32_e64 s35, 0xc2fc0000, v160
	v_cndmask_b32_e64 v162, 0, 0x42800000, vcc_lo
	s_delay_alu instid0(VALU_DEP_3) | instskip(NEXT) | instid1(VALU_DEP_3)
	v_fmac_f32_e32 v159, v165, v124
	v_cndmask_b32_e64 v160, 0, 0x42800000, s35
	s_delay_alu instid0(VALU_DEP_3) | instskip(NEXT) | instid1(VALU_DEP_3)
	v_fmac_f32_e32 v162, v165, v126
	v_exp_f32_e32 v164, v159
	s_delay_alu instid0(TRANS32_DEP_2) | instskip(NEXT) | instid1(VALU_DEP_3)
	v_mul_f32_e32 v159, v161, v163
	v_fmac_f32_e32 v160, v165, v125
	v_cndmask_b32_e64 v161, 1.0, 0x1f800000, s34
	v_exp_f32_e32 v162, v162
	v_cndmask_b32_e64 v163, 1.0, 0x1f800000, s35
	v_cndmask_b32_e64 v159, 1.0, v159, s25
	v_exp_f32_e32 v160, v160
	s_delay_alu instid0(TRANS32_DEP_3)
	v_mul_f32_e32 v161, v164, v161
	v_cndmask_b32_e64 v164, 1.0, 0x1f800000, vcc_lo
	v_cmp_gt_f32_e32 vcc_lo, 0xc2fc0000, v166
	v_fma_f32 v166, v152, v151, v76
	s_delay_alu instid0(TRANS32_DEP_2) | instid1(VALU_DEP_3)
	v_mul_f32_e32 v162, v162, v164
	v_mul_f32_e32 v164, v152, v153
	s_delay_alu instid0(TRANS32_DEP_1)
	v_mul_f32_e32 v163, v160, v163
	v_cndmask_b32_e64 v160, 1.0, v161, s26
	v_fma_f32 v166, v166, v154, v77
	v_cndmask_b32_e64 v170, 1.0, v162, s28
	v_mul_f32_e32 v164, v164, v154
	v_cndmask_b32_e64 v161, 1.0, v163, s27
	v_cndmask_b32_e64 v163, 0, 0x42800000, vcc_lo
	v_cndmask_b32_e64 v162, 1.0, 0x1f800000, vcc_lo
	s_delay_alu instid0(VALU_DEP_4) | instskip(SKIP_2) | instid1(VALU_DEP_3)
	v_dual_mul_f32 v167, v165, v128 :: v_dual_mul_f32 v164, v164, v79
	v_mul_f32_e32 v69, v69, v141
	v_fma_f32 v166, v166, v79, v78
	v_cmp_gt_f32_e64 s34, 0xc2fc0000, v167
	s_delay_alu instid0(VALU_DEP_4) | instskip(SKIP_1) | instid1(VALU_DEP_4)
	v_mul_f32_e32 v164, v164, v155
	v_fmac_f32_e32 v163, v165, v127
	v_fma_f32 v166, v166, v155, v72
	v_cndmask_b32_e64 v69, 0, v69, s26
	v_cndmask_b32_e64 v167, 0, 0x42800000, s34
	v_mul_f32_e32 v168, v164, v156
	v_exp_f32_e32 v163, v163
	v_fma_f32 v166, v166, v156, v73
	s_delay_alu instid0(VALU_DEP_1)
	v_fma_f32 v166, v166, v157, v74
	s_waitcnt_depctr 0xfff
	v_mul_f32_e32 v163, v163, v162
	v_cndmask_b32_e64 v162, 0, v64, s29
	v_cndmask_b32_e64 v64, 1.0, 0x1f800000, s34
	v_cmp_gt_f32_e64 s34, 0xc2fc0000, v169
	v_fma_f32 v166, v166, v158, v75
	v_cndmask_b32_e64 v164, 1.0, v163, s29
	v_mul_f32_e32 v163, v168, v157
	v_mul_f32_e32 v168, v165, v129
	s_delay_alu instid0(VALU_DEP_4) | instskip(NEXT) | instid1(VALU_DEP_2)
	v_fma_f32 v166, v166, v159, v68
	v_cmp_gt_f32_e32 vcc_lo, 0xc2fc0000, v168
	s_delay_alu instid0(VALU_DEP_2) | instskip(SKIP_1) | instid1(VALU_DEP_1)
	v_fma_f32 v169, v166, v160, v69
	v_cndmask_b32_e64 v168, 0, 0x42800000, vcc_lo
	v_fmac_f32_e32 v168, v165, v129
	s_delay_alu instid0(VALU_DEP_1) | instskip(SKIP_1) | instid1(VALU_DEP_1)
	v_exp_f32_e32 v168, v168
	v_fmac_f32_e32 v167, v165, v128
	v_exp_f32_e32 v167, v167
	s_waitcnt_depctr 0xfff
	v_mul_f32_e32 v64, v167, v64
	v_mul_f32_e32 v167, v163, v158
	v_cndmask_b32_e64 v163, 0, v65, s30
	s_delay_alu instid0(VALU_DEP_3) | instskip(NEXT) | instid1(VALU_DEP_3)
	v_cndmask_b32_e64 v166, 1.0, v64, s30
	v_mul_f32_e32 v65, v167, v159
	v_cndmask_b32_e64 v167, 0, 0x42800000, s34
	s_delay_alu instid0(VALU_DEP_1) | instskip(SKIP_1) | instid1(VALU_DEP_2)
	v_fmac_f32_e32 v167, v165, v130
	v_cndmask_b32_e64 v165, 1.0, 0x1f800000, vcc_lo
	v_exp_f32_e32 v167, v167
	s_delay_alu instid0(VALU_DEP_1) | instskip(SKIP_3) | instid1(VALU_DEP_4)
	v_mul_f32_e32 v168, v168, v165
	v_cndmask_b32_e64 v165, 0, v66, s31
	v_cndmask_b32_e64 v66, 1.0, 0x1f800000, s34
	v_mul_f32_e32 v65, v65, v160
	v_cndmask_b32_e64 v168, 1.0, v168, s31
	s_waitcnt_depctr 0xfff
	v_mul_f32_e32 v66, v167, v66
	v_mul_f32_e32 v64, v65, v161
	v_fma_f32 v65, v169, v161, v70
	v_cndmask_b32_e64 v167, 0, v67, s33
	s_delay_alu instid0(VALU_DEP_4) | instskip(NEXT) | instid1(VALU_DEP_4)
	v_cndmask_b32_e64 v169, 1.0, v66, s33
	v_mul_f32_e32 v64, v64, v170
	s_delay_alu instid0(VALU_DEP_4) | instskip(NEXT) | instid1(VALU_DEP_2)
	v_fma_f32 v65, v65, v170, v71
	v_mul_f32_e32 v64, v64, v164
	s_delay_alu instid0(VALU_DEP_2) | instskip(NEXT) | instid1(VALU_DEP_2)
	v_fma_f32 v65, v65, v164, v162
	v_mul_f32_e32 v64, v64, v166
	s_delay_alu instid0(VALU_DEP_2) | instskip(NEXT) | instid1(VALU_DEP_2)
	;; [unrolled: 3-line block ×4, first 2 shown]
	v_fma_f32 v65, v65, v169, v167
	v_mov_b32_dpp v67, v64 row_shr:1 row_mask:0xf bank_mask:0xf
	s_delay_alu instid0(VALU_DEP_2)
	v_mov_b32_dpp v66, v65 row_shr:1 row_mask:0xf bank_mask:0xf
	s_and_saveexec_b32 s34, s4
; %bb.64:                               ;   in Loop: Header=BB155_57 Depth=2
	s_delay_alu instid0(VALU_DEP_2) | instskip(NEXT) | instid1(VALU_DEP_1)
	v_mul_f32_e32 v67, v64, v67
	v_dual_fmac_f32 v65, v64, v66 :: v_dual_mov_b32 v64, v67
; %bb.65:                               ;   in Loop: Header=BB155_57 Depth=2
	s_or_b32 exec_lo, exec_lo, s34
	s_delay_alu instid0(VALU_DEP_1) | instskip(NEXT) | instid1(VALU_DEP_2)
	v_mov_b32_dpp v66, v64 row_shr:2 row_mask:0xf bank_mask:0xf
	v_mov_b32_dpp v67, v65 row_shr:2 row_mask:0xf bank_mask:0xf
	s_and_saveexec_b32 s34, s5
; %bb.66:                               ;   in Loop: Header=BB155_57 Depth=2
	s_delay_alu instid0(VALU_DEP_1) | instskip(NEXT) | instid1(VALU_DEP_3)
	v_fmac_f32_e32 v65, v64, v67
	v_mul_f32_e32 v64, v64, v66
; %bb.67:                               ;   in Loop: Header=BB155_57 Depth=2
	s_or_b32 exec_lo, exec_lo, s34
	s_delay_alu instid0(VALU_DEP_1) | instskip(NEXT) | instid1(VALU_DEP_3)
	v_mov_b32_dpp v66, v64 row_shr:4 row_mask:0xf bank_mask:0xf
	v_mov_b32_dpp v67, v65 row_shr:4 row_mask:0xf bank_mask:0xf
	s_and_saveexec_b32 s34, s6
; %bb.68:                               ;   in Loop: Header=BB155_57 Depth=2
	s_delay_alu instid0(VALU_DEP_1) | instskip(NEXT) | instid1(VALU_DEP_3)
	v_fmac_f32_e32 v65, v64, v67
	v_mul_f32_e32 v64, v64, v66
; %bb.69:                               ;   in Loop: Header=BB155_57 Depth=2
	s_or_b32 exec_lo, exec_lo, s34
	s_delay_alu instid0(VALU_DEP_1) | instskip(NEXT) | instid1(VALU_DEP_3)
	v_mov_b32_dpp v66, v64 row_shr:8 row_mask:0xf bank_mask:0xf
	v_mov_b32_dpp v67, v65 row_shr:8 row_mask:0xf bank_mask:0xf
	s_and_saveexec_b32 s34, s7
; %bb.70:                               ;   in Loop: Header=BB155_57 Depth=2
	s_delay_alu instid0(VALU_DEP_1) | instskip(NEXT) | instid1(VALU_DEP_3)
	v_fmac_f32_e32 v65, v64, v67
	v_mul_f32_e32 v64, v64, v66
; %bb.71:                               ;   in Loop: Header=BB155_57 Depth=2
	s_or_b32 exec_lo, exec_lo, s34
	ds_swizzle_b32 v67, v64 offset:swizzle(BROADCAST,32,15)
	ds_swizzle_b32 v66, v65 offset:swizzle(BROADCAST,32,15)
	s_and_saveexec_b32 s34, s8
	s_cbranch_execz .LBB155_73
; %bb.72:                               ;   in Loop: Header=BB155_57 Depth=2
	s_waitcnt lgkmcnt(1)
	v_mul_f32_e32 v67, v64, v67
	s_waitcnt lgkmcnt(0)
	s_delay_alu instid0(VALU_DEP_1)
	v_dual_fmac_f32 v65, v64, v66 :: v_dual_mov_b32 v64, v67
.LBB155_73:                             ;   in Loop: Header=BB155_57 Depth=2
	s_or_b32 exec_lo, exec_lo, s34
	s_and_saveexec_b32 s34, s9
	s_cbranch_execz .LBB155_75
; %bb.74:                               ;   in Loop: Header=BB155_57 Depth=2
	ds_store_b64 v93, v[64:65] offset:16896
.LBB155_75:                             ;   in Loop: Header=BB155_57 Depth=2
	s_or_b32 exec_lo, exec_lo, s34
	s_waitcnt vmcnt(0) lgkmcnt(0)
	s_waitcnt_vscnt null, 0x0
	s_barrier
	buffer_gl0_inv
	s_and_saveexec_b32 s34, s10
	s_cbranch_execz .LBB155_79
; %bb.76:                               ;   in Loop: Header=BB155_57 Depth=2
	ds_load_b64 v[66:67], v94 offset:16896
	s_waitcnt lgkmcnt(0)
	v_mov_b32_dpp v173, v66 row_shr:1 row_mask:0xf bank_mask:0xf
	v_mov_b32_dpp v172, v67 row_shr:1 row_mask:0xf bank_mask:0xf
	v_mov_b32_e32 v171, v66
	s_and_saveexec_b32 s35, s11
; %bb.77:                               ;   in Loop: Header=BB155_57 Depth=2
	s_delay_alu instid0(VALU_DEP_3) | instskip(NEXT) | instid1(VALU_DEP_1)
	v_mul_f32_e32 v171, v66, v173
	v_dual_fmac_f32 v67, v66, v172 :: v_dual_mov_b32 v66, v171
; %bb.78:                               ;   in Loop: Header=BB155_57 Depth=2
	s_or_b32 exec_lo, exec_lo, s35
	v_mov_b32_dpp v171, v171 row_shr:2 row_mask:0xf bank_mask:0xf
	s_delay_alu instid0(VALU_DEP_2) | instskip(NEXT) | instid1(VALU_DEP_2)
	v_mov_b32_dpp v172, v67 row_shr:2 row_mask:0xf bank_mask:0xf
	v_mul_f32_e32 v171, v66, v171
	s_delay_alu instid0(VALU_DEP_2) | instskip(NEXT) | instid1(VALU_DEP_2)
	v_fma_f32 v172, v66, v172, v67
	v_cndmask_b32_e64 v66, v66, v171, s12
	s_delay_alu instid0(VALU_DEP_2)
	v_cndmask_b32_e64 v67, v67, v172, s12
	ds_store_b64 v94, v[66:67] offset:16896
.LBB155_79:                             ;   in Loop: Header=BB155_57 Depth=2
	s_or_b32 exec_lo, exec_lo, s34
	s_waitcnt lgkmcnt(0)
	s_barrier
	buffer_gl0_inv
                                        ; implicit-def: $vgpr67
	s_and_saveexec_b32 s34, s15
	s_cbranch_execz .LBB155_81
; %bb.80:                               ;   in Loop: Header=BB155_57 Depth=2
	ds_load_b64 v[66:67], v93 offset:16888
	s_waitcnt lgkmcnt(0)
	v_mul_f32_e32 v171, v64, v66
	s_delay_alu instid0(VALU_DEP_1)
	v_dual_fmac_f32 v65, v64, v67 :: v_dual_mov_b32 v64, v171
.LBB155_81:                             ;   in Loop: Header=BB155_57 Depth=2
	s_or_b32 exec_lo, exec_lo, s34
	ds_bpermute_b32 v171, v95, v64
	ds_bpermute_b32 v172, v95, v65
	s_and_saveexec_b32 s34, s13
	s_cbranch_execz .LBB155_85
; %bb.82:                               ;   in Loop: Header=BB155_57 Depth=2
	ds_load_b64 v[64:65], v82 offset:16920
	s_and_saveexec_b32 s35, s14
	s_cbranch_execz .LBB155_84
; %bb.83:                               ;   in Loop: Header=BB155_57 Depth=2
	ds_store_b64 v82, v[80:81] offset:16920
.LBB155_84:                             ;   in Loop: Header=BB155_57 Depth=2
	s_or_b32 exec_lo, exec_lo, s35
	s_waitcnt lgkmcnt(0)
	v_fmac_f32_e32 v65, v81, v64
	s_delay_alu instid0(VALU_DEP_1)
	v_dual_mul_f32 v80, v80, v64 :: v_dual_mov_b32 v81, v65
.LBB155_85:                             ;   in Loop: Header=BB155_57 Depth=2
	s_or_b32 exec_lo, exec_lo, s34
	s_waitcnt lgkmcnt(0)
	s_barrier
	buffer_gl0_inv
	ds_load_b32 v64, v82 offset:16924
	s_and_saveexec_b32 s34, s14
	s_cbranch_execz .LBB155_56
; %bb.86:                               ;   in Loop: Header=BB155_57 Depth=2
	v_mov_b32_e32 v65, s78
	s_and_not1_b32 vcc_lo, exec_lo, s76
	ds_store_b64 v65, v[80:81]
	s_cbranch_vccnz .LBB155_56
; %bb.87:                               ;   in Loop: Header=BB155_57 Depth=2
	s_mov_b32 s49, s55
	s_delay_alu instid0(SALU_CYCLE_1) | instskip(NEXT) | instid1(SALU_CYCLE_1)
	s_lshl_b64 s[80:81], s[48:49], 2
	s_add_u32 s80, s66, s80
	s_addc_u32 s81, s67, s81
	global_store_b32 v82, v81, s[80:81]
	s_branch .LBB155_56
.LBB155_88:                             ;   in Loop: Header=BB155_12 Depth=1
	global_load_b128 v[28:31], v[32:33], off
	s_or_b32 exec_lo, exec_lo, s17
	s_and_saveexec_b32 s17, s1
	s_cbranch_execz .LBB155_14
.LBB155_89:                             ;   in Loop: Header=BB155_12 Depth=1
	global_load_b128 v[20:23], v[32:33], off offset:512
	s_or_b32 exec_lo, exec_lo, s17
	s_and_saveexec_b32 s17, s2
	s_cbranch_execz .LBB155_15
.LBB155_90:                             ;   in Loop: Header=BB155_12 Depth=1
	global_load_b128 v[16:19], v[32:33], off offset:1024
	s_or_b32 exec_lo, exec_lo, s17
	s_and_saveexec_b32 s17, s3
	s_cbranch_execnz .LBB155_16
	s_branch .LBB155_17
.LBB155_91:                             ;   in Loop: Header=BB155_12 Depth=1
	global_load_b128 v[24:27], v[32:33], off
	s_or_b32 exec_lo, exec_lo, s17
	s_and_saveexec_b32 s17, s1
	s_cbranch_execz .LBB155_19
.LBB155_92:                             ;   in Loop: Header=BB155_12 Depth=1
	global_load_b128 v[12:15], v[32:33], off offset:512
	s_or_b32 exec_lo, exec_lo, s17
	s_and_saveexec_b32 s17, s2
	s_cbranch_execz .LBB155_20
.LBB155_93:                             ;   in Loop: Header=BB155_12 Depth=1
	global_load_b128 v[4:7], v[32:33], off offset:1024
	s_or_b32 exec_lo, exec_lo, s17
	s_and_saveexec_b32 s17, s3
	s_cbranch_execnz .LBB155_21
	s_branch .LBB155_22
.LBB155_94:
	s_nop 0
	s_sendmsg sendmsg(MSG_DEALLOC_VGPRS)
	s_endpgm
	.section	.rodata,"a",@progbits
	.p2align	6, 0x0
	.amdhsa_kernel _Z25selective_scan_fwd_kernelI32Selective_Scan_fwd_kernel_traitsILi128ELi16ELi1ELb1ELb1ELb1ELb0ELb0EfffEEv13SSMParamsBase
		.amdhsa_group_segment_fixed_size 0
		.amdhsa_private_segment_fixed_size 0
		.amdhsa_kernarg_size 248
		.amdhsa_user_sgpr_count 14
		.amdhsa_user_sgpr_dispatch_ptr 0
		.amdhsa_user_sgpr_queue_ptr 0
		.amdhsa_user_sgpr_kernarg_segment_ptr 1
		.amdhsa_user_sgpr_dispatch_id 0
		.amdhsa_user_sgpr_private_segment_size 0
		.amdhsa_wavefront_size32 1
		.amdhsa_uses_dynamic_stack 0
		.amdhsa_enable_private_segment 0
		.amdhsa_system_sgpr_workgroup_id_x 1
		.amdhsa_system_sgpr_workgroup_id_y 1
		.amdhsa_system_sgpr_workgroup_id_z 0
		.amdhsa_system_sgpr_workgroup_info 0
		.amdhsa_system_vgpr_workitem_id 0
		.amdhsa_next_free_vgpr 174
		.amdhsa_next_free_sgpr 82
		.amdhsa_reserve_vcc 1
		.amdhsa_float_round_mode_32 0
		.amdhsa_float_round_mode_16_64 0
		.amdhsa_float_denorm_mode_32 3
		.amdhsa_float_denorm_mode_16_64 3
		.amdhsa_dx10_clamp 1
		.amdhsa_ieee_mode 1
		.amdhsa_fp16_overflow 0
		.amdhsa_workgroup_processor_mode 1
		.amdhsa_memory_ordered 1
		.amdhsa_forward_progress 0
		.amdhsa_shared_vgpr_count 0
		.amdhsa_exception_fp_ieee_invalid_op 0
		.amdhsa_exception_fp_denorm_src 0
		.amdhsa_exception_fp_ieee_div_zero 0
		.amdhsa_exception_fp_ieee_overflow 0
		.amdhsa_exception_fp_ieee_underflow 0
		.amdhsa_exception_fp_ieee_inexact 0
		.amdhsa_exception_int_div_zero 0
	.end_amdhsa_kernel
	.section	.text._Z25selective_scan_fwd_kernelI32Selective_Scan_fwd_kernel_traitsILi128ELi16ELi1ELb1ELb1ELb1ELb0ELb0EfffEEv13SSMParamsBase,"axG",@progbits,_Z25selective_scan_fwd_kernelI32Selective_Scan_fwd_kernel_traitsILi128ELi16ELi1ELb1ELb1ELb1ELb0ELb0EfffEEv13SSMParamsBase,comdat
.Lfunc_end155:
	.size	_Z25selective_scan_fwd_kernelI32Selective_Scan_fwd_kernel_traitsILi128ELi16ELi1ELb1ELb1ELb1ELb0ELb0EfffEEv13SSMParamsBase, .Lfunc_end155-_Z25selective_scan_fwd_kernelI32Selective_Scan_fwd_kernel_traitsILi128ELi16ELi1ELb1ELb1ELb1ELb0ELb0EfffEEv13SSMParamsBase
                                        ; -- End function
	.section	.AMDGPU.csdata,"",@progbits
; Kernel info:
; codeLenInByte = 17660
; NumSgprs: 84
; NumVgprs: 174
; ScratchSize: 0
; MemoryBound: 1
; FloatMode: 240
; IeeeMode: 1
; LDSByteSize: 0 bytes/workgroup (compile time only)
; SGPRBlocks: 10
; VGPRBlocks: 21
; NumSGPRsForWavesPerEU: 84
; NumVGPRsForWavesPerEU: 174
; Occupancy: 8
; WaveLimiterHint : 1
; COMPUTE_PGM_RSRC2:SCRATCH_EN: 0
; COMPUTE_PGM_RSRC2:USER_SGPR: 14
; COMPUTE_PGM_RSRC2:TRAP_HANDLER: 0
; COMPUTE_PGM_RSRC2:TGID_X_EN: 1
; COMPUTE_PGM_RSRC2:TGID_Y_EN: 1
; COMPUTE_PGM_RSRC2:TGID_Z_EN: 0
; COMPUTE_PGM_RSRC2:TIDIG_COMP_CNT: 0
	.section	.text._Z25selective_scan_fwd_kernelI32Selective_Scan_fwd_kernel_traitsILi128ELi16ELi1ELb0ELb1ELb1ELb1ELb1EfffEEv13SSMParamsBase,"axG",@progbits,_Z25selective_scan_fwd_kernelI32Selective_Scan_fwd_kernel_traitsILi128ELi16ELi1ELb0ELb1ELb1ELb1ELb1EfffEEv13SSMParamsBase,comdat
	.protected	_Z25selective_scan_fwd_kernelI32Selective_Scan_fwd_kernel_traitsILi128ELi16ELi1ELb0ELb1ELb1ELb1ELb1EfffEEv13SSMParamsBase ; -- Begin function _Z25selective_scan_fwd_kernelI32Selective_Scan_fwd_kernel_traitsILi128ELi16ELi1ELb0ELb1ELb1ELb1ELb1EfffEEv13SSMParamsBase
	.globl	_Z25selective_scan_fwd_kernelI32Selective_Scan_fwd_kernel_traitsILi128ELi16ELi1ELb0ELb1ELb1ELb1ELb1EfffEEv13SSMParamsBase
	.p2align	8
	.type	_Z25selective_scan_fwd_kernelI32Selective_Scan_fwd_kernel_traitsILi128ELi16ELi1ELb0ELb1ELb1ELb1ELb1EfffEEv13SSMParamsBase,@function
_Z25selective_scan_fwd_kernelI32Selective_Scan_fwd_kernel_traitsILi128ELi16ELi1ELb0ELb1ELb1ELb1ELb1EfffEEv13SSMParamsBase: ; @_Z25selective_scan_fwd_kernelI32Selective_Scan_fwd_kernel_traitsILi128ELi16ELi1ELb0ELb1ELb1ELb1ELb1EfffEEv13SSMParamsBase
; %bb.0:
	s_clause 0x2
	s_load_b32 s11, s[0:1], 0x18
	s_load_b256 s[36:43], s[0:1], 0xc8
	s_load_b128 s[4:7], s[0:1], 0xe8
	s_mov_b32 s34, s15
	s_ashr_i32 s15, s14, 31
	s_mov_b32 s84, 0
	s_lshl_b64 s[8:9], s[14:15], 2
	s_waitcnt lgkmcnt(0)
	s_abs_i32 s10, s11
	s_add_u32 s2, s42, s8
	v_cvt_f32_u32_e32 v1, s10
	s_addc_u32 s3, s43, s9
	s_cmp_eq_u64 s[6:7], 0
	s_delay_alu instid0(VALU_DEP_1) | instskip(SKIP_2) | instid1(VALU_DEP_1)
	v_rcp_iflag_f32_e32 v1, v1
	s_waitcnt_depctr 0xfff
	v_mul_f32_e32 v1, 0x4f7ffffe, v1
	v_cvt_u32_f32_e32 v1, v1
	s_delay_alu instid0(VALU_DEP_1)
	v_readfirstlane_b32 s12, v1
	s_cbranch_scc1 .LBB156_2
; %bb.1:
	v_mov_b32_e32 v1, 0
	s_add_u32 s6, s6, s14
	s_addc_u32 s7, s7, s15
	global_load_u8 v1, v1, s[6:7]
	s_waitcnt vmcnt(0)
	v_and_b32_e32 v1, 1, v1
	s_delay_alu instid0(VALU_DEP_1)
	v_cmp_eq_u32_e64 s84, 1, v1
.LBB156_2:
	s_load_b64 s[6:7], s[0:1], 0x20
	s_cmp_eq_u64 s[4:5], 0
	s_cbranch_scc1 .LBB156_4
; %bb.3:
	s_add_u32 s4, s4, s8
	s_addc_u32 s5, s5, s9
	s_load_b32 s14, s[4:5], 0x0
	s_waitcnt lgkmcnt(0)
	s_ashr_i32 s15, s14, 31
.LBB156_4:
	s_waitcnt lgkmcnt(0)
	s_cmp_eq_u64 s[6:7], s[14:15]
	s_cbranch_scc1 .LBB156_302
; %bb.5:
	s_load_b512 s[16:31], s[0:1], 0x88
	s_load_b64 s[42:43], s[2:3], 0x0
	s_mov_b32 s85, 0
	s_mov_b32 s86, 0
	s_waitcnt lgkmcnt(0)
	s_cmp_eq_u64 s[22:23], 0
	s_cbranch_scc1 .LBB156_7
; %bb.6:
	s_ashr_i32 s35, s34, 31
	s_delay_alu instid0(SALU_CYCLE_1) | instskip(NEXT) | instid1(SALU_CYCLE_1)
	s_lshl_b64 s[2:3], s[34:35], 2
	s_add_u32 s2, s22, s2
	s_addc_u32 s3, s23, s3
	s_load_b32 s86, s[2:3], 0x0
.LBB156_7:
	s_cmp_eq_u64 s[28:29], 0
	s_cbranch_scc1 .LBB156_9
; %bb.8:
	s_ashr_i32 s35, s34, 31
	s_delay_alu instid0(SALU_CYCLE_1) | instskip(NEXT) | instid1(SALU_CYCLE_1)
	s_lshl_b64 s[2:3], s[34:35], 2
	s_add_u32 s2, s28, s2
	s_addc_u32 s3, s29, s3
	s_load_b32 s85, s[2:3], 0x0
.LBB156_9:
	s_sub_i32 s87, s43, s42
	s_delay_alu instid0(SALU_CYCLE_1)
	s_cmp_lt_i32 s87, 1
	s_cbranch_scc1 .LBB156_302
; %bb.10:
	s_sub_i32 s2, 0, s10
	s_load_b256 s[68:75], s[0:1], 0x4c
	s_mul_i32 s2, s2, s12
	s_abs_i32 s3, s34
	s_mul_hi_u32 s2, s12, s2
	s_ashr_i32 s5, s11, 31
	s_add_i32 s12, s12, s2
	s_ashr_i32 s2, s34, 31
	s_mul_hi_u32 s4, s3, s12
	s_xor_b32 s5, s2, s5
	s_mul_i32 s6, s4, s10
	s_load_b256 s[76:83], s[0:1], 0x2c
	s_sub_i32 s2, s3, s6
	s_add_i32 s3, s4, 1
	s_sub_i32 s6, s2, s10
	s_cmp_ge_u32 s2, s10
	s_mov_b32 s53, 0
	s_cselect_b32 s3, s3, s4
	s_cselect_b32 s2, s6, s2
	s_add_i32 s4, s3, 1
	s_cmp_ge_u32 s2, s10
	s_waitcnt lgkmcnt(0)
	s_mul_i32 s52, s42, s70
	s_cselect_b32 s4, s4, s3
	s_lshl_b64 s[2:3], s[52:53], 2
	s_xor_b32 s4, s4, s5
	s_mul_i32 s52, s71, s34
	s_sub_i32 s6, s4, s5
	s_add_u32 s4, s24, s2
	s_addc_u32 s5, s25, s3
	s_lshl_b64 s[2:3], s[52:53], 2
	s_mul_i32 s52, s42, s72
	s_add_u32 s70, s4, s2
	s_addc_u32 s71, s5, s3
	s_lshl_b64 s[2:3], s[52:53], 2
	s_mul_i32 s52, s73, s34
	;; [unrolled: 4-line block ×3, first 2 shown]
	s_add_u32 s72, s4, s2
	s_addc_u32 s73, s5, s3
	s_load_b64 s[4:5], s[0:1], 0x7c
	s_lshl_b64 s[2:3], s[52:53], 2
	s_mul_i32 s52, s42, s78
	s_add_u32 s76, s16, s2
	v_dual_mov_b32 v1, 0 :: v_dual_lshlrev_b32 v36, 4, v0
	s_addc_u32 s78, s17, s3
	s_lshl_b64 s[2:3], s[52:53], 2
	s_mul_i32 s52, s6, s81
	s_add_u32 s7, s18, s2
	s_addc_u32 s8, s19, s3
	s_clause 0x3
	s_load_b128 s[16:19], s[0:1], 0x6c
	s_load_b32 s83, s[0:1], 0x84
	s_load_b32 s90, s[0:1], 0xc
	;; [unrolled: 1-line block ×3, first 2 shown]
	v_mbcnt_lo_u32_b32 v37, -1, 0
	v_and_b32_e32 v2, 0x600, v36
	s_lshl_b64 s[2:3], s[52:53], 2
	s_mul_i32 s52, s42, s82
	s_add_u32 s79, s7, s2
	s_addc_u32 s81, s8, s3
	s_lshl_b64 s[2:3], s[52:53], 2
	s_mul_i32 s52, s6, s69
	v_or_b32_e32 v38, v37, v2
	s_add_u32 s7, s20, s2
	s_addc_u32 s6, s21, s3
	s_lshl_b64 s[2:3], s[52:53], 2
	s_waitcnt lgkmcnt(0)
	s_mul_i32 s52, s14, s4
	s_add_u32 s69, s7, s2
	s_addc_u32 s82, s6, s3
	s_lshl_b64 s[2:3], s[52:53], 2
	v_or_b32_e32 v39, 32, v38
	v_lshrrev_b32_e32 v3, 5, v2
	v_and_b32_e32 v15, 0x60, v0
	s_mul_i32 s52, s5, s34
	s_add_u32 s4, s36, s2
	s_addc_u32 s5, s37, s3
	s_lshl_b64 s[2:3], s[52:53], 2
	v_or_b32_e32 v40, 64, v38
	s_add_u32 s88, s4, s2
	v_or_b32_e32 v41, 0x60, v38
	v_or_b32_e32 v42, 0x80, v38
	;; [unrolled: 1-line block ×11, first 2 shown]
	v_add_nc_u32_e32 v3, v3, v38
	v_lshrrev_b32_e32 v4, 5, v39
	v_or_b32_e32 v52, 0x1c0, v38
	v_or_b32_e32 v53, 0x1e0, v38
	;; [unrolled: 1-line block ×3, first 2 shown]
	s_addc_u32 s89, s5, s3
	s_add_i32 s2, s87, 0x7ff
	v_lshrrev_b32_e32 v5, 5, v40
	s_lshr_b32 s91, s2, 11
	s_bitcmp1_b32 s0, 0
	v_lshl_add_u32 v54, v3, 2, 0
	v_add_lshl_u32 v3, v4, v38, 2
	v_lshrrev_b32_e32 v4, 5, v41
	v_lshrrev_b32_e32 v6, 5, v42
	;; [unrolled: 1-line block ×13, first 2 shown]
	v_lshlrev_b32_e32 v20, 4, v18
	v_bfe_u32 v18, v18, 1, 27
	s_cselect_b32 s92, -1, 0
	s_cmp_gt_i32 s90, 0
	v_add_lshl_u32 v5, v5, v38, 2
	s_cselect_b32 s93, -1, 0
	s_add_i32 s0, 0, 0x2100
	v_add_nc_u32_e32 v55, 0, v3
	v_add_lshl_u32 v4, v4, v38, 2
	v_add_lshl_u32 v6, v6, v38, 2
	;; [unrolled: 1-line block ×14, first 2 shown]
	v_add_nc_u32_e32 v71, s0, v3
	v_and_b32_e32 v3, 15, v37
	s_and_b32 s1, s87, 0x7ff
	v_add_nc_u32_e32 v72, s0, v5
	v_add_nc_u32_e32 v73, s0, v4
	;; [unrolled: 1-line block ×14, first 2 shown]
	s_cmp_eq_u32 s1, 0
	v_add_nc_u32_e32 v86, s0, v18
	v_cmp_ne_u32_e64 s0, 0, v3
	v_cmp_lt_u32_e64 s1, 1, v3
	v_cmp_lt_u32_e64 s2, 3, v3
	v_cmp_lt_u32_e64 s3, 7, v3
	v_add_nc_u32_e32 v3, -1, v37
	v_add_nc_u32_e32 v57, 0, v4
	v_lshrrev_b32_e32 v4, 2, v0
	s_mul_i32 s52, s42, s16
	s_cselect_b32 s94, -1, 0
	v_cmp_gt_i32_e32 vcc_lo, 0, v3
	s_lshl_b64 s[12:13], s[52:53], 2
	v_and_b32_e32 v4, 24, v4
	s_add_i32 s95, s91, -1
	s_mul_i32 s52, s17, s34
	v_cndmask_b32_e32 v3, v3, v37, vcc_lo
	s_add_u32 s16, s30, s12
	s_addc_u32 s13, s31, s13
	s_lshl_b64 s[14:15], s[52:53], 2
	v_add_nc_u32_e32 v56, 0, v5
	v_add_nc_u32_e32 v58, 0, v6
	v_and_b32_e32 v5, 16, v37
	v_or_b32_e32 v6, 31, v15
	v_lshlrev_b32_e32 v89, 2, v3
	s_mul_i32 s52, s42, s74
	v_lshlrev_b32_e32 v3, 2, v37
	s_add_u32 s16, s16, s14
	v_add_nc_u32_e32 v87, 0, v4
	v_and_b32_e32 v4, 3, v37
	s_addc_u32 s13, s13, s15
	s_lshl_b64 s[14:15], s[52:53], 2
	s_mul_i32 s52, s75, s34
	s_add_u32 s17, s38, s14
	v_cmp_ne_u32_e64 s4, 0, v5
	v_cmp_eq_u32_e64 s5, v6, v0
	v_cmp_gt_u32_e64 s6, 4, v0
	v_lshl_add_u32 v88, v0, 3, 0
	v_cmp_gt_u32_e64 s9, 32, v0
	v_cmp_lt_u32_e64 s10, 31, v0
	v_cmp_eq_u32_e64 s11, 0, v0
	s_addc_u32 s20, s39, s15
	s_lshl_b64 s[14:15], s[52:53], 2
	v_add_co_u32 v0, s16, s16, v3
	v_lshlrev_b32_e32 v5, 2, v2
	s_mul_i32 s52, s42, s18
	v_cmp_ne_u32_e64 s7, 0, v4
	v_cmp_lt_u32_e64 s8, 1, v4
	v_add_co_ci_u32_e64 v4, null, s13, 0, s16
	s_add_u32 s13, s17, s14
	s_addc_u32 s16, s20, s15
	s_lshl_b64 s[14:15], s[52:53], 2
	s_mul_i32 s52, s19, s34
	s_add_u32 s17, s40, s14
	v_add_co_u32 v0, vcc_lo, v0, v5
	s_addc_u32 s18, s41, s15
	s_lshl_b64 s[14:15], s[52:53], 2
	v_add_co_ci_u32_e32 v90, vcc_lo, 0, v4, vcc_lo
	v_add_co_u32 v4, s13, s13, v3
	s_add_u32 s14, s17, s14
	v_add_co_ci_u32_e64 v6, null, s16, 0, s13
	s_addc_u32 s15, s18, s15
	v_add_co_u32 v3, s13, s14, v3
	v_add_nc_u32_e32 v59, 0, v7
	v_add_co_ci_u32_e64 v7, null, s15, 0, s13
	v_add_co_u32 v91, vcc_lo, v4, v5
	v_add_co_ci_u32_e32 v92, vcc_lo, 0, v6, vcc_lo
	v_add_co_u32 v93, vcc_lo, v3, v5
	v_add_nc_u32_e32 v60, 0, v8
	v_add_nc_u32_e32 v61, 0, v9
	;; [unrolled: 1-line block ×11, first 2 shown]
	v_cmp_eq_u32_e64 s12, 0, v37
	v_add_co_ci_u32_e32 v94, vcc_lo, 0, v7, vcc_lo
	v_or_b32_e32 v95, 1, v36
	v_or_b32_e32 v96, 2, v36
	;; [unrolled: 1-line block ×15, first 2 shown]
	v_lshlrev_b32_e32 v110, 2, v2
	s_mov_b32 s74, 0x3e9b6dac
	s_add_i32 s75, 0, 0x4220
	s_mov_b32 s96, 0
	s_branch .LBB156_12
.LBB156_11:                             ;   in Loop: Header=BB156_12 Depth=1
	s_or_b32 exec_lo, exec_lo, s13
	s_add_u32 s72, s72, 0x2000
	s_addc_u32 s73, s73, 0
	s_add_u32 s70, s70, 0x2000
	s_addc_u32 s71, s71, 0
	;; [unrolled: 2-line block ×4, first 2 shown]
	s_add_i32 s96, s96, 1
	s_delay_alu instid0(SALU_CYCLE_1)
	s_cmp_lg_u32 s96, s91
	s_cbranch_scc0 .LBB156_302
.LBB156_12:                             ; =>This Loop Header: Depth=1
                                        ;     Child Loop BB156_109 Depth 2
	v_lshlrev_b32_e32 v34, 2, v37
	s_lshl_b32 s50, s96, 11
	s_waitcnt lgkmcnt(0)
	v_mov_b32_e32 v4, 0
	s_sub_i32 s41, s87, s50
	v_add_co_u32 v2, s13, s70, v34
	s_delay_alu instid0(VALU_DEP_1) | instskip(SKIP_1) | instid1(VALU_DEP_3)
	v_add_co_ci_u32_e64 v3, null, s71, 0, s13
	v_cmp_gt_u32_e64 s13, s41, v38
	v_add_co_u32 v2, vcc_lo, v2, v110
	s_delay_alu instid0(VALU_DEP_3)
	v_add_co_ci_u32_e32 v3, vcc_lo, 0, v3, vcc_lo
	s_waitcnt_vscnt null, 0x0
	s_barrier
	buffer_gl0_inv
	s_and_saveexec_b32 s14, s13
	s_cbranch_execz .LBB156_14
; %bb.13:                               ;   in Loop: Header=BB156_12 Depth=1
	global_load_b32 v4, v[2:3], off
.LBB156_14:                             ;   in Loop: Header=BB156_12 Depth=1
	s_or_b32 exec_lo, exec_lo, s14
	v_cmp_gt_u32_e64 s14, s41, v39
	v_dual_mov_b32 v5, 0 :: v_dual_mov_b32 v6, 0
	s_delay_alu instid0(VALU_DEP_2)
	s_and_saveexec_b32 s15, s14
	s_cbranch_execz .LBB156_16
; %bb.15:                               ;   in Loop: Header=BB156_12 Depth=1
	global_load_b32 v6, v[2:3], off offset:128
.LBB156_16:                             ;   in Loop: Header=BB156_12 Depth=1
	s_or_b32 exec_lo, exec_lo, s15
	v_cmp_gt_u32_e64 s15, s41, v40
	s_delay_alu instid0(VALU_DEP_1)
	s_and_saveexec_b32 s16, s15
	s_cbranch_execz .LBB156_18
; %bb.17:                               ;   in Loop: Header=BB156_12 Depth=1
	global_load_b32 v5, v[2:3], off offset:256
.LBB156_18:                             ;   in Loop: Header=BB156_12 Depth=1
	s_or_b32 exec_lo, exec_lo, s16
	v_cmp_gt_u32_e64 s16, s41, v41
	v_dual_mov_b32 v7, 0 :: v_dual_mov_b32 v8, 0
	s_delay_alu instid0(VALU_DEP_2)
	s_and_saveexec_b32 s17, s16
	s_cbranch_execz .LBB156_20
; %bb.19:                               ;   in Loop: Header=BB156_12 Depth=1
	global_load_b32 v8, v[2:3], off offset:384
.LBB156_20:                             ;   in Loop: Header=BB156_12 Depth=1
	s_or_b32 exec_lo, exec_lo, s17
	v_cmp_gt_u32_e64 s17, s41, v42
	s_delay_alu instid0(VALU_DEP_1)
	s_and_saveexec_b32 s18, s17
	s_cbranch_execz .LBB156_22
; %bb.21:                               ;   in Loop: Header=BB156_12 Depth=1
	global_load_b32 v7, v[2:3], off offset:512
.LBB156_22:                             ;   in Loop: Header=BB156_12 Depth=1
	;; [unrolled: 17-line block ×7, first 2 shown]
	s_or_b32 exec_lo, exec_lo, s28
	v_cmp_gt_u32_e64 s28, s41, v53
	v_dual_mov_b32 v20, 0 :: v_dual_mov_b32 v19, 0
	s_delay_alu instid0(VALU_DEP_2)
	s_and_saveexec_b32 s29, s28
	s_cbranch_execz .LBB156_44
; %bb.43:                               ;   in Loop: Header=BB156_12 Depth=1
	global_load_b32 v19, v[2:3], off offset:1920
.LBB156_44:                             ;   in Loop: Header=BB156_12 Depth=1
	s_or_b32 exec_lo, exec_lo, s29
	s_waitcnt vmcnt(0)
	ds_store_b32 v54, v4
	ds_store_b32 v55, v6 offset:128
	ds_store_b32 v56, v5 offset:256
	;; [unrolled: 1-line block ×15, first 2 shown]
	; wave barrier
	ds_load_2addr_b32 v[2:3], v70 offset1:1
	ds_load_2addr_b32 v[4:5], v70 offset0:2 offset1:3
	ds_load_2addr_b32 v[6:7], v70 offset0:4 offset1:5
	;; [unrolled: 1-line block ×7, first 2 shown]
	v_add_co_u32 v18, s29, s72, v34
	s_delay_alu instid0(VALU_DEP_1) | instskip(SKIP_1) | instid1(VALU_DEP_2)
	v_add_co_ci_u32_e64 v19, null, s73, 0, s29
	s_waitcnt lgkmcnt(0)
	v_add_co_u32 v18, vcc_lo, v18, v110
	s_delay_alu instid0(VALU_DEP_2)
	v_add_co_ci_u32_e32 v19, vcc_lo, 0, v19, vcc_lo
	s_barrier
	buffer_gl0_inv
	s_and_saveexec_b32 s29, s13
	s_cbranch_execz .LBB156_46
; %bb.45:                               ;   in Loop: Header=BB156_12 Depth=1
	global_load_b32 v20, v[18:19], off
.LBB156_46:                             ;   in Loop: Header=BB156_12 Depth=1
	s_or_b32 exec_lo, exec_lo, s29
	v_dual_mov_b32 v21, 0 :: v_dual_mov_b32 v22, 0
	s_and_saveexec_b32 s29, s14
	s_cbranch_execz .LBB156_48
; %bb.47:                               ;   in Loop: Header=BB156_12 Depth=1
	global_load_b32 v22, v[18:19], off offset:128
.LBB156_48:                             ;   in Loop: Header=BB156_12 Depth=1
	s_or_b32 exec_lo, exec_lo, s29
	s_and_saveexec_b32 s29, s15
	s_cbranch_execz .LBB156_50
; %bb.49:                               ;   in Loop: Header=BB156_12 Depth=1
	global_load_b32 v21, v[18:19], off offset:256
.LBB156_50:                             ;   in Loop: Header=BB156_12 Depth=1
	s_or_b32 exec_lo, exec_lo, s29
	v_dual_mov_b32 v23, 0 :: v_dual_mov_b32 v24, 0
	s_and_saveexec_b32 s29, s16
	s_cbranch_execz .LBB156_52
; %bb.51:                               ;   in Loop: Header=BB156_12 Depth=1
	global_load_b32 v24, v[18:19], off offset:384
.LBB156_52:                             ;   in Loop: Header=BB156_12 Depth=1
	s_or_b32 exec_lo, exec_lo, s29
	s_and_saveexec_b32 s29, s17
	s_cbranch_execz .LBB156_54
; %bb.53:                               ;   in Loop: Header=BB156_12 Depth=1
	global_load_b32 v23, v[18:19], off offset:512
.LBB156_54:                             ;   in Loop: Header=BB156_12 Depth=1
	;; [unrolled: 13-line block ×6, first 2 shown]
	s_or_b32 exec_lo, exec_lo, s29
	v_mov_b32_e32 v33, 0
	v_mov_b32_e32 v35, 0
	s_and_saveexec_b32 s29, s26
	s_cbranch_execnz .LBB156_254
; %bb.71:                               ;   in Loop: Header=BB156_12 Depth=1
	s_or_b32 exec_lo, exec_lo, s29
	s_and_saveexec_b32 s29, s27
	s_cbranch_execnz .LBB156_255
.LBB156_72:                             ;   in Loop: Header=BB156_12 Depth=1
	s_or_b32 exec_lo, exec_lo, s29
	v_mov_b32_e32 v111, 0
	s_and_saveexec_b32 s29, s28
	s_cbranch_execz .LBB156_74
.LBB156_73:                             ;   in Loop: Header=BB156_12 Depth=1
	global_load_b32 v111, v[18:19], off offset:1920
.LBB156_74:                             ;   in Loop: Header=BB156_12 Depth=1
	s_or_b32 exec_lo, exec_lo, s29
	s_waitcnt vmcnt(0)
	ds_store_b32 v54, v20
	ds_store_b32 v55, v22 offset:128
	ds_store_b32 v56, v21 offset:256
	;; [unrolled: 1-line block ×15, first 2 shown]
	; wave barrier
	ds_load_2addr_b32 v[32:33], v70 offset1:1
	ds_load_2addr_b32 v[30:31], v70 offset0:2 offset1:3
	ds_load_2addr_b32 v[28:29], v70 offset0:4 offset1:5
	;; [unrolled: 1-line block ×7, first 2 shown]
	s_waitcnt lgkmcnt(7)
	v_add_f32_e32 v111, s85, v32
	s_delay_alu instid0(VALU_DEP_1) | instskip(SKIP_1) | instid1(SALU_CYCLE_1)
	v_cmp_ge_f32_e32 vcc_lo, 0x41a00000, v111
	s_and_b32 s29, s92, vcc_lo
	s_and_saveexec_b32 s30, s29
	s_cbranch_execz .LBB156_76
; %bb.75:                               ;   in Loop: Header=BB156_12 Depth=1
	v_mul_f32_e32 v32, 0x3fb8aa3b, v111
	v_cmp_ngt_f32_e32 vcc_lo, 0xc2ce8ed0, v111
	s_delay_alu instid0(VALU_DEP_2) | instskip(SKIP_1) | instid1(VALU_DEP_2)
	v_rndne_f32_e32 v35, v32
	v_fma_f32 v112, 0x3fb8aa3b, v111, -v32
	v_sub_f32_e32 v32, v32, v35
	s_delay_alu instid0(VALU_DEP_2) | instskip(SKIP_1) | instid1(VALU_DEP_2)
	v_fmac_f32_e32 v112, 0x32a5705f, v111
	v_cvt_i32_f32_e32 v35, v35
	v_add_f32_e32 v32, v32, v112
	s_delay_alu instid0(VALU_DEP_1) | instskip(SKIP_2) | instid1(VALU_DEP_1)
	v_exp_f32_e32 v32, v32
	s_waitcnt_depctr 0xfff
	v_ldexp_f32 v32, v32, v35
	v_cndmask_b32_e32 v32, 0, v32, vcc_lo
	v_cmp_nlt_f32_e32 vcc_lo, 0x42b17218, v111
	s_delay_alu instid0(VALU_DEP_2) | instskip(NEXT) | instid1(VALU_DEP_1)
	v_cndmask_b32_e32 v32, 0x7f800000, v32, vcc_lo
	v_add_f32_e32 v35, 1.0, v32
	s_delay_alu instid0(VALU_DEP_1) | instskip(NEXT) | instid1(VALU_DEP_1)
	v_cvt_f64_f32_e32 v[111:112], v35
	v_frexp_exp_i32_f64_e32 v111, v[111:112]
	v_frexp_mant_f32_e32 v112, v35
	s_delay_alu instid0(VALU_DEP_1) | instskip(SKIP_1) | instid1(VALU_DEP_1)
	v_cmp_gt_f32_e32 vcc_lo, 0x3f2aaaab, v112
	v_add_f32_e32 v112, -1.0, v35
	v_sub_f32_e32 v114, v112, v35
	v_sub_f32_e32 v112, v32, v112
	s_delay_alu instid0(VALU_DEP_2) | instskip(NEXT) | instid1(VALU_DEP_1)
	v_add_f32_e32 v114, 1.0, v114
	v_add_f32_e32 v112, v112, v114
	v_subrev_co_ci_u32_e32 v111, vcc_lo, 0, v111, vcc_lo
	s_delay_alu instid0(VALU_DEP_1) | instskip(SKIP_1) | instid1(VALU_DEP_2)
	v_sub_nc_u32_e32 v113, 0, v111
	v_cvt_f32_i32_e32 v111, v111
	v_ldexp_f32 v35, v35, v113
	v_ldexp_f32 v112, v112, v113
	s_delay_alu instid0(VALU_DEP_2) | instskip(SKIP_1) | instid1(VALU_DEP_2)
	v_add_f32_e32 v115, 1.0, v35
	v_add_f32_e32 v113, -1.0, v35
	v_add_f32_e32 v114, -1.0, v115
	s_delay_alu instid0(VALU_DEP_2) | instskip(NEXT) | instid1(VALU_DEP_2)
	v_add_f32_e32 v116, 1.0, v113
	v_sub_f32_e32 v114, v35, v114
	s_delay_alu instid0(VALU_DEP_1) | instskip(NEXT) | instid1(VALU_DEP_1)
	v_dual_sub_f32 v35, v35, v116 :: v_dual_add_f32 v114, v112, v114
	v_add_f32_e32 v35, v112, v35
	v_cmp_eq_f32_e32 vcc_lo, 0x7f800000, v32
	v_cmp_gt_f32_e64 s29, 0x33800000, v32
	s_delay_alu instid0(VALU_DEP_3) | instskip(NEXT) | instid1(VALU_DEP_2)
	v_dual_add_f32 v116, v115, v114 :: v_dual_add_f32 v117, v113, v35
	s_or_b32 vcc_lo, s29, vcc_lo
	s_delay_alu instid0(VALU_DEP_1) | instskip(NEXT) | instid1(VALU_DEP_1)
	v_rcp_f32_e32 v112, v116
	v_sub_f32_e32 v113, v113, v117
	v_sub_f32_e32 v115, v115, v116
	s_delay_alu instid0(VALU_DEP_1) | instskip(SKIP_2) | instid1(VALU_DEP_1)
	v_dual_add_f32 v35, v35, v113 :: v_dual_add_f32 v114, v114, v115
	s_waitcnt_depctr 0xfff
	v_mul_f32_e32 v118, v117, v112
	v_mul_f32_e32 v119, v116, v118
	s_delay_alu instid0(VALU_DEP_1) | instskip(NEXT) | instid1(VALU_DEP_1)
	v_fma_f32 v115, v118, v116, -v119
	v_fmac_f32_e32 v115, v118, v114
	s_delay_alu instid0(VALU_DEP_1) | instskip(NEXT) | instid1(VALU_DEP_1)
	v_add_f32_e32 v120, v119, v115
	v_sub_f32_e32 v121, v117, v120
	v_sub_f32_e32 v113, v120, v119
	s_delay_alu instid0(VALU_DEP_2) | instskip(NEXT) | instid1(VALU_DEP_2)
	v_sub_f32_e32 v117, v117, v121
	v_sub_f32_e32 v113, v113, v115
	s_delay_alu instid0(VALU_DEP_2) | instskip(NEXT) | instid1(VALU_DEP_1)
	v_sub_f32_e32 v117, v117, v120
	v_add_f32_e32 v35, v35, v117
	s_delay_alu instid0(VALU_DEP_1) | instskip(NEXT) | instid1(VALU_DEP_1)
	v_add_f32_e32 v35, v113, v35
	v_add_f32_e32 v113, v121, v35
	s_delay_alu instid0(VALU_DEP_1) | instskip(NEXT) | instid1(VALU_DEP_1)
	v_mul_f32_e32 v115, v112, v113
	v_dual_sub_f32 v120, v121, v113 :: v_dual_mul_f32 v117, v116, v115
	s_delay_alu instid0(VALU_DEP_1) | instskip(NEXT) | instid1(VALU_DEP_1)
	v_fma_f32 v116, v115, v116, -v117
	v_fmac_f32_e32 v116, v115, v114
	s_delay_alu instid0(VALU_DEP_3) | instskip(NEXT) | instid1(VALU_DEP_2)
	v_add_f32_e32 v35, v35, v120
	v_add_f32_e32 v114, v117, v116
	s_delay_alu instid0(VALU_DEP_1) | instskip(NEXT) | instid1(VALU_DEP_1)
	v_sub_f32_e32 v119, v113, v114
	v_sub_f32_e32 v113, v113, v119
	s_delay_alu instid0(VALU_DEP_1) | instskip(NEXT) | instid1(VALU_DEP_1)
	v_sub_f32_e32 v113, v113, v114
	v_add_f32_e32 v35, v35, v113
	v_add_f32_e32 v113, v118, v115
	v_sub_f32_e32 v117, v114, v117
	s_delay_alu instid0(VALU_DEP_1) | instskip(NEXT) | instid1(VALU_DEP_1)
	v_sub_f32_e32 v114, v117, v116
	v_dual_add_f32 v35, v114, v35 :: v_dual_sub_f32 v114, v113, v118
	s_delay_alu instid0(VALU_DEP_1) | instskip(NEXT) | instid1(VALU_DEP_1)
	v_add_f32_e32 v35, v119, v35
	v_dual_sub_f32 v114, v115, v114 :: v_dual_mul_f32 v35, v112, v35
	s_delay_alu instid0(VALU_DEP_1) | instskip(NEXT) | instid1(VALU_DEP_1)
	v_add_f32_e32 v35, v114, v35
	v_add_f32_e32 v112, v113, v35
	s_delay_alu instid0(VALU_DEP_1) | instskip(NEXT) | instid1(VALU_DEP_1)
	v_mul_f32_e32 v114, v112, v112
	v_fmaak_f32 v115, s74, v114, 0x3ecc95a3
	v_mul_f32_e32 v116, v112, v114
	s_delay_alu instid0(VALU_DEP_2) | instskip(SKIP_2) | instid1(VALU_DEP_3)
	v_fmaak_f32 v114, v114, v115, 0x3f2aaada
	v_ldexp_f32 v115, v112, 1
	v_sub_f32_e32 v112, v112, v113
	v_mul_f32_e32 v114, v116, v114
	s_delay_alu instid0(VALU_DEP_1) | instskip(NEXT) | instid1(VALU_DEP_1)
	v_dual_mul_f32 v116, 0x3f317218, v111 :: v_dual_add_f32 v113, v115, v114
	v_dual_sub_f32 v35, v35, v112 :: v_dual_sub_f32 v112, v113, v115
	s_delay_alu instid0(VALU_DEP_1) | instskip(NEXT) | instid1(VALU_DEP_3)
	v_ldexp_f32 v35, v35, 1
	v_fma_f32 v115, 0x3f317218, v111, -v116
	s_delay_alu instid0(VALU_DEP_3) | instskip(NEXT) | instid1(VALU_DEP_1)
	v_sub_f32_e32 v112, v114, v112
	v_add_f32_e32 v35, v35, v112
	s_delay_alu instid0(VALU_DEP_1) | instskip(NEXT) | instid1(VALU_DEP_4)
	v_add_f32_e32 v112, v113, v35
	v_fmac_f32_e32 v115, 0xb102e308, v111
	s_delay_alu instid0(VALU_DEP_1) | instskip(NEXT) | instid1(VALU_DEP_1)
	v_add_f32_e32 v111, v116, v115
	v_add_f32_e32 v114, v111, v112
	v_dual_sub_f32 v116, v111, v116 :: v_dual_sub_f32 v113, v112, v113
	s_delay_alu instid0(VALU_DEP_2) | instskip(NEXT) | instid1(VALU_DEP_1)
	v_sub_f32_e32 v117, v114, v111
	v_dual_sub_f32 v115, v115, v116 :: v_dual_sub_f32 v112, v112, v117
	v_sub_f32_e32 v118, v114, v117
	s_delay_alu instid0(VALU_DEP_4) | instskip(NEXT) | instid1(VALU_DEP_2)
	v_sub_f32_e32 v35, v35, v113
	v_sub_f32_e32 v111, v111, v118
	s_delay_alu instid0(VALU_DEP_2) | instskip(NEXT) | instid1(VALU_DEP_2)
	v_add_f32_e32 v113, v115, v35
	v_add_f32_e32 v111, v112, v111
	s_delay_alu instid0(VALU_DEP_2) | instskip(NEXT) | instid1(VALU_DEP_2)
	v_sub_f32_e32 v112, v113, v115
	v_add_f32_e32 v111, v113, v111
	s_delay_alu instid0(VALU_DEP_2) | instskip(NEXT) | instid1(VALU_DEP_2)
	v_sub_f32_e32 v113, v113, v112
	v_dual_sub_f32 v35, v35, v112 :: v_dual_add_f32 v116, v114, v111
	s_delay_alu instid0(VALU_DEP_1) | instskip(NEXT) | instid1(VALU_DEP_1)
	v_dual_sub_f32 v113, v115, v113 :: v_dual_sub_f32 v112, v116, v114
	v_add_f32_e32 v35, v35, v113
	s_delay_alu instid0(VALU_DEP_2) | instskip(NEXT) | instid1(VALU_DEP_1)
	v_sub_f32_e32 v111, v111, v112
	v_add_f32_e32 v35, v35, v111
	s_delay_alu instid0(VALU_DEP_1) | instskip(NEXT) | instid1(VALU_DEP_1)
	v_add_f32_e32 v35, v116, v35
	v_cndmask_b32_e32 v111, v35, v32, vcc_lo
.LBB156_76:                             ;   in Loop: Header=BB156_12 Depth=1
	s_or_b32 exec_lo, exec_lo, s30
	v_add_f32_e32 v112, s85, v33
	s_delay_alu instid0(VALU_DEP_1) | instskip(SKIP_1) | instid1(SALU_CYCLE_1)
	v_cmp_ge_f32_e32 vcc_lo, 0x41a00000, v112
	s_and_b32 s29, s92, vcc_lo
	s_and_saveexec_b32 s30, s29
	s_cbranch_execz .LBB156_78
; %bb.77:                               ;   in Loop: Header=BB156_12 Depth=1
	v_mul_f32_e32 v32, 0x3fb8aa3b, v112
	v_cmp_ngt_f32_e32 vcc_lo, 0xc2ce8ed0, v112
	s_delay_alu instid0(VALU_DEP_2) | instskip(SKIP_1) | instid1(VALU_DEP_1)
	v_rndne_f32_e32 v33, v32
	v_fma_f32 v35, 0x3fb8aa3b, v112, -v32
	v_dual_sub_f32 v32, v32, v33 :: v_dual_fmac_f32 v35, 0x32a5705f, v112
	v_cvt_i32_f32_e32 v33, v33
	s_delay_alu instid0(VALU_DEP_2) | instskip(NEXT) | instid1(VALU_DEP_1)
	v_add_f32_e32 v32, v32, v35
	v_exp_f32_e32 v32, v32
	s_waitcnt_depctr 0xfff
	v_ldexp_f32 v32, v32, v33
	s_delay_alu instid0(VALU_DEP_1) | instskip(SKIP_1) | instid1(VALU_DEP_2)
	v_cndmask_b32_e32 v32, 0, v32, vcc_lo
	v_cmp_nlt_f32_e32 vcc_lo, 0x42b17218, v112
	v_cndmask_b32_e32 v35, 0x7f800000, v32, vcc_lo
	s_delay_alu instid0(VALU_DEP_1) | instskip(NEXT) | instid1(VALU_DEP_1)
	v_add_f32_e32 v112, 1.0, v35
	v_cvt_f64_f32_e32 v[32:33], v112
	s_delay_alu instid0(VALU_DEP_1) | instskip(SKIP_1) | instid1(VALU_DEP_1)
	v_frexp_exp_i32_f64_e32 v32, v[32:33]
	v_frexp_mant_f32_e32 v33, v112
	v_cmp_gt_f32_e32 vcc_lo, 0x3f2aaaab, v33
	v_add_f32_e32 v33, -1.0, v112
	s_delay_alu instid0(VALU_DEP_1) | instskip(NEXT) | instid1(VALU_DEP_1)
	v_sub_f32_e32 v114, v33, v112
	v_dual_add_f32 v114, 1.0, v114 :: v_dual_sub_f32 v33, v35, v33
	v_cmp_gt_f32_e64 s29, 0x33800000, v35
	s_delay_alu instid0(VALU_DEP_2) | instskip(SKIP_2) | instid1(VALU_DEP_2)
	v_add_f32_e32 v33, v33, v114
	v_subrev_co_ci_u32_e32 v32, vcc_lo, 0, v32, vcc_lo
	v_cmp_eq_f32_e32 vcc_lo, 0x7f800000, v35
	v_sub_nc_u32_e32 v113, 0, v32
	v_cvt_f32_i32_e32 v32, v32
	s_or_b32 vcc_lo, s29, vcc_lo
	s_delay_alu instid0(VALU_DEP_2) | instskip(SKIP_1) | instid1(VALU_DEP_2)
	v_ldexp_f32 v112, v112, v113
	v_ldexp_f32 v33, v33, v113
	v_add_f32_e32 v115, 1.0, v112
	s_delay_alu instid0(VALU_DEP_1) | instskip(NEXT) | instid1(VALU_DEP_1)
	v_dual_add_f32 v113, -1.0, v112 :: v_dual_add_f32 v114, -1.0, v115
	v_add_f32_e32 v116, 1.0, v113
	s_delay_alu instid0(VALU_DEP_2) | instskip(NEXT) | instid1(VALU_DEP_2)
	v_sub_f32_e32 v114, v112, v114
	v_sub_f32_e32 v112, v112, v116
	s_delay_alu instid0(VALU_DEP_2) | instskip(NEXT) | instid1(VALU_DEP_2)
	v_add_f32_e32 v114, v33, v114
	v_add_f32_e32 v33, v33, v112
	s_delay_alu instid0(VALU_DEP_1) | instskip(NEXT) | instid1(VALU_DEP_1)
	v_dual_add_f32 v117, v113, v33 :: v_dual_add_f32 v116, v115, v114
	v_sub_f32_e32 v113, v113, v117
	s_delay_alu instid0(VALU_DEP_2) | instskip(SKIP_1) | instid1(VALU_DEP_1)
	v_rcp_f32_e32 v112, v116
	v_sub_f32_e32 v115, v115, v116
	v_dual_add_f32 v114, v114, v115 :: v_dual_add_f32 v33, v33, v113
	s_waitcnt_depctr 0xfff
	v_mul_f32_e32 v118, v117, v112
	s_delay_alu instid0(VALU_DEP_1) | instskip(NEXT) | instid1(VALU_DEP_1)
	v_mul_f32_e32 v119, v116, v118
	v_fma_f32 v115, v118, v116, -v119
	s_delay_alu instid0(VALU_DEP_1) | instskip(NEXT) | instid1(VALU_DEP_1)
	v_fmac_f32_e32 v115, v118, v114
	v_add_f32_e32 v120, v119, v115
	s_delay_alu instid0(VALU_DEP_1) | instskip(NEXT) | instid1(VALU_DEP_1)
	v_sub_f32_e32 v121, v117, v120
	v_sub_f32_e32 v117, v117, v121
	;; [unrolled: 1-line block ×3, first 2 shown]
	s_delay_alu instid0(VALU_DEP_2) | instskip(NEXT) | instid1(VALU_DEP_2)
	v_sub_f32_e32 v117, v117, v120
	v_sub_f32_e32 v113, v113, v115
	s_delay_alu instid0(VALU_DEP_2) | instskip(NEXT) | instid1(VALU_DEP_1)
	v_add_f32_e32 v33, v33, v117
	v_add_f32_e32 v33, v113, v33
	s_delay_alu instid0(VALU_DEP_1) | instskip(NEXT) | instid1(VALU_DEP_1)
	v_add_f32_e32 v113, v121, v33
	v_mul_f32_e32 v115, v112, v113
	s_delay_alu instid0(VALU_DEP_1) | instskip(NEXT) | instid1(VALU_DEP_1)
	v_dual_sub_f32 v120, v121, v113 :: v_dual_mul_f32 v117, v116, v115
	v_add_f32_e32 v33, v33, v120
	s_delay_alu instid0(VALU_DEP_2) | instskip(NEXT) | instid1(VALU_DEP_1)
	v_fma_f32 v116, v115, v116, -v117
	v_fmac_f32_e32 v116, v115, v114
	s_delay_alu instid0(VALU_DEP_1) | instskip(NEXT) | instid1(VALU_DEP_1)
	v_add_f32_e32 v114, v117, v116
	v_sub_f32_e32 v119, v113, v114
	s_delay_alu instid0(VALU_DEP_1) | instskip(NEXT) | instid1(VALU_DEP_1)
	v_sub_f32_e32 v113, v113, v119
	v_sub_f32_e32 v113, v113, v114
	s_delay_alu instid0(VALU_DEP_1) | instskip(SKIP_2) | instid1(VALU_DEP_1)
	v_add_f32_e32 v33, v33, v113
	v_add_f32_e32 v113, v118, v115
	v_sub_f32_e32 v117, v114, v117
	v_sub_f32_e32 v114, v117, v116
	s_delay_alu instid0(VALU_DEP_1) | instskip(NEXT) | instid1(VALU_DEP_1)
	v_dual_add_f32 v33, v114, v33 :: v_dual_sub_f32 v114, v113, v118
	v_add_f32_e32 v33, v119, v33
	s_delay_alu instid0(VALU_DEP_1) | instskip(NEXT) | instid1(VALU_DEP_1)
	v_dual_sub_f32 v114, v115, v114 :: v_dual_mul_f32 v33, v112, v33
	v_add_f32_e32 v33, v114, v33
	s_delay_alu instid0(VALU_DEP_1) | instskip(NEXT) | instid1(VALU_DEP_1)
	v_add_f32_e32 v112, v113, v33
	v_mul_f32_e32 v114, v112, v112
	s_delay_alu instid0(VALU_DEP_1) | instskip(SKIP_1) | instid1(VALU_DEP_2)
	v_fmaak_f32 v115, s74, v114, 0x3ecc95a3
	v_mul_f32_e32 v116, v112, v114
	v_fmaak_f32 v114, v114, v115, 0x3f2aaada
	v_ldexp_f32 v115, v112, 1
	v_sub_f32_e32 v112, v112, v113
	s_delay_alu instid0(VALU_DEP_3) | instskip(SKIP_1) | instid1(VALU_DEP_3)
	v_mul_f32_e32 v114, v116, v114
	v_mul_f32_e32 v116, 0x3f317218, v32
	v_sub_f32_e32 v33, v33, v112
	s_delay_alu instid0(VALU_DEP_3) | instskip(NEXT) | instid1(VALU_DEP_2)
	v_add_f32_e32 v113, v115, v114
	v_ldexp_f32 v33, v33, 1
	s_delay_alu instid0(VALU_DEP_2) | instskip(SKIP_1) | instid1(VALU_DEP_2)
	v_sub_f32_e32 v112, v113, v115
	v_fma_f32 v115, 0x3f317218, v32, -v116
	v_sub_f32_e32 v112, v114, v112
	s_delay_alu instid0(VALU_DEP_2) | instskip(NEXT) | instid1(VALU_DEP_1)
	v_fmac_f32_e32 v115, 0xb102e308, v32
	v_dual_add_f32 v32, v33, v112 :: v_dual_add_f32 v33, v116, v115
	s_delay_alu instid0(VALU_DEP_1) | instskip(NEXT) | instid1(VALU_DEP_2)
	v_add_f32_e32 v112, v113, v32
	v_sub_f32_e32 v116, v33, v116
	s_delay_alu instid0(VALU_DEP_2) | instskip(NEXT) | instid1(VALU_DEP_1)
	v_dual_add_f32 v114, v33, v112 :: v_dual_sub_f32 v113, v112, v113
	v_sub_f32_e32 v117, v114, v33
	s_delay_alu instid0(VALU_DEP_2) | instskip(NEXT) | instid1(VALU_DEP_2)
	v_sub_f32_e32 v32, v32, v113
	v_sub_f32_e32 v118, v114, v117
	v_dual_sub_f32 v112, v112, v117 :: v_dual_sub_f32 v115, v115, v116
	s_delay_alu instid0(VALU_DEP_2) | instskip(NEXT) | instid1(VALU_DEP_2)
	v_sub_f32_e32 v33, v33, v118
	v_add_f32_e32 v113, v115, v32
	s_delay_alu instid0(VALU_DEP_2) | instskip(NEXT) | instid1(VALU_DEP_1)
	v_add_f32_e32 v33, v112, v33
	v_add_f32_e32 v33, v113, v33
	s_delay_alu instid0(VALU_DEP_1) | instskip(SKIP_1) | instid1(VALU_DEP_1)
	v_add_f32_e32 v116, v114, v33
	v_sub_f32_e32 v112, v113, v115
	v_sub_f32_e32 v113, v113, v112
	;; [unrolled: 1-line block ×3, first 2 shown]
	s_delay_alu instid0(VALU_DEP_2) | instskip(NEXT) | instid1(VALU_DEP_1)
	v_dual_sub_f32 v112, v116, v114 :: v_dual_sub_f32 v113, v115, v113
	v_dual_sub_f32 v33, v33, v112 :: v_dual_add_f32 v32, v32, v113
	s_delay_alu instid0(VALU_DEP_1) | instskip(NEXT) | instid1(VALU_DEP_1)
	v_add_f32_e32 v32, v32, v33
	v_add_f32_e32 v32, v116, v32
	s_delay_alu instid0(VALU_DEP_1)
	v_cndmask_b32_e32 v112, v32, v35, vcc_lo
.LBB156_78:                             ;   in Loop: Header=BB156_12 Depth=1
	s_or_b32 exec_lo, exec_lo, s30
	s_waitcnt lgkmcnt(6)
	v_add_f32_e32 v113, s85, v30
	s_delay_alu instid0(VALU_DEP_1) | instskip(SKIP_1) | instid1(SALU_CYCLE_1)
	v_cmp_ge_f32_e32 vcc_lo, 0x41a00000, v113
	s_and_b32 s29, s92, vcc_lo
	s_and_saveexec_b32 s30, s29
	s_cbranch_execz .LBB156_80
; %bb.79:                               ;   in Loop: Header=BB156_12 Depth=1
	v_mul_f32_e32 v30, 0x3fb8aa3b, v113
	v_cmp_ngt_f32_e32 vcc_lo, 0xc2ce8ed0, v113
	s_delay_alu instid0(VALU_DEP_2) | instskip(SKIP_1) | instid1(VALU_DEP_1)
	v_rndne_f32_e32 v32, v30
	v_fma_f32 v33, 0x3fb8aa3b, v113, -v30
	v_dual_sub_f32 v30, v30, v32 :: v_dual_fmac_f32 v33, 0x32a5705f, v113
	v_cvt_i32_f32_e32 v32, v32
	s_delay_alu instid0(VALU_DEP_2) | instskip(NEXT) | instid1(VALU_DEP_1)
	v_add_f32_e32 v30, v30, v33
	v_exp_f32_e32 v30, v30
	s_waitcnt_depctr 0xfff
	v_ldexp_f32 v30, v30, v32
	s_delay_alu instid0(VALU_DEP_1) | instskip(SKIP_1) | instid1(VALU_DEP_2)
	v_cndmask_b32_e32 v30, 0, v30, vcc_lo
	v_cmp_nlt_f32_e32 vcc_lo, 0x42b17218, v113
	v_cndmask_b32_e32 v30, 0x7f800000, v30, vcc_lo
	s_delay_alu instid0(VALU_DEP_1) | instskip(NEXT) | instid1(VALU_DEP_1)
	v_add_f32_e32 v35, 1.0, v30
	v_cvt_f64_f32_e32 v[32:33], v35
	s_delay_alu instid0(VALU_DEP_1) | instskip(SKIP_1) | instid1(VALU_DEP_1)
	v_frexp_exp_i32_f64_e32 v32, v[32:33]
	v_frexp_mant_f32_e32 v33, v35
	v_cmp_gt_f32_e32 vcc_lo, 0x3f2aaaab, v33
	v_add_f32_e32 v33, -1.0, v35
	s_delay_alu instid0(VALU_DEP_1) | instskip(NEXT) | instid1(VALU_DEP_1)
	v_dual_sub_f32 v114, v33, v35 :: v_dual_sub_f32 v33, v30, v33
	v_add_f32_e32 v114, 1.0, v114
	s_delay_alu instid0(VALU_DEP_1) | instskip(SKIP_1) | instid1(VALU_DEP_1)
	v_add_f32_e32 v33, v33, v114
	v_subrev_co_ci_u32_e32 v32, vcc_lo, 0, v32, vcc_lo
	v_sub_nc_u32_e32 v113, 0, v32
	v_cvt_f32_i32_e32 v32, v32
	s_delay_alu instid0(VALU_DEP_2) | instskip(SKIP_1) | instid1(VALU_DEP_2)
	v_ldexp_f32 v35, v35, v113
	v_ldexp_f32 v33, v33, v113
	v_add_f32_e32 v115, 1.0, v35
	v_add_f32_e32 v113, -1.0, v35
	s_delay_alu instid0(VALU_DEP_2) | instskip(NEXT) | instid1(VALU_DEP_2)
	v_add_f32_e32 v114, -1.0, v115
	v_add_f32_e32 v116, 1.0, v113
	s_delay_alu instid0(VALU_DEP_2) | instskip(NEXT) | instid1(VALU_DEP_2)
	v_sub_f32_e32 v114, v35, v114
	v_sub_f32_e32 v35, v35, v116
	v_cmp_eq_f32_e32 vcc_lo, 0x7f800000, v30
	v_cmp_gt_f32_e64 s29, 0x33800000, v30
	s_delay_alu instid0(VALU_DEP_4) | instskip(NEXT) | instid1(VALU_DEP_4)
	v_add_f32_e32 v114, v33, v114
	v_add_f32_e32 v33, v33, v35
	s_delay_alu instid0(VALU_DEP_3) | instskip(NEXT) | instid1(VALU_DEP_1)
	s_or_b32 vcc_lo, s29, vcc_lo
	v_dual_add_f32 v117, v113, v33 :: v_dual_add_f32 v116, v115, v114
	s_delay_alu instid0(VALU_DEP_1) | instskip(NEXT) | instid1(VALU_DEP_2)
	v_sub_f32_e32 v113, v113, v117
	v_rcp_f32_e32 v35, v116
	v_sub_f32_e32 v115, v115, v116
	s_delay_alu instid0(VALU_DEP_1) | instskip(SKIP_2) | instid1(VALU_DEP_1)
	v_dual_add_f32 v33, v33, v113 :: v_dual_add_f32 v114, v114, v115
	s_waitcnt_depctr 0xfff
	v_mul_f32_e32 v118, v117, v35
	v_mul_f32_e32 v119, v116, v118
	s_delay_alu instid0(VALU_DEP_1) | instskip(NEXT) | instid1(VALU_DEP_1)
	v_fma_f32 v115, v118, v116, -v119
	v_fmac_f32_e32 v115, v118, v114
	s_delay_alu instid0(VALU_DEP_1) | instskip(NEXT) | instid1(VALU_DEP_1)
	v_add_f32_e32 v120, v119, v115
	v_sub_f32_e32 v121, v117, v120
	v_sub_f32_e32 v113, v120, v119
	s_delay_alu instid0(VALU_DEP_2) | instskip(NEXT) | instid1(VALU_DEP_2)
	v_sub_f32_e32 v117, v117, v121
	v_sub_f32_e32 v113, v113, v115
	s_delay_alu instid0(VALU_DEP_2) | instskip(NEXT) | instid1(VALU_DEP_1)
	v_sub_f32_e32 v117, v117, v120
	v_add_f32_e32 v33, v33, v117
	s_delay_alu instid0(VALU_DEP_1) | instskip(NEXT) | instid1(VALU_DEP_1)
	v_add_f32_e32 v33, v113, v33
	v_add_f32_e32 v113, v121, v33
	s_delay_alu instid0(VALU_DEP_1) | instskip(NEXT) | instid1(VALU_DEP_1)
	v_mul_f32_e32 v115, v35, v113
	v_dual_sub_f32 v120, v121, v113 :: v_dual_mul_f32 v117, v116, v115
	s_delay_alu instid0(VALU_DEP_1) | instskip(NEXT) | instid1(VALU_DEP_2)
	v_add_f32_e32 v33, v33, v120
	v_fma_f32 v116, v115, v116, -v117
	s_delay_alu instid0(VALU_DEP_1) | instskip(NEXT) | instid1(VALU_DEP_1)
	v_fmac_f32_e32 v116, v115, v114
	v_add_f32_e32 v114, v117, v116
	s_delay_alu instid0(VALU_DEP_1) | instskip(NEXT) | instid1(VALU_DEP_1)
	v_sub_f32_e32 v119, v113, v114
	v_sub_f32_e32 v113, v113, v119
	s_delay_alu instid0(VALU_DEP_1) | instskip(NEXT) | instid1(VALU_DEP_1)
	v_sub_f32_e32 v113, v113, v114
	v_add_f32_e32 v33, v33, v113
	v_add_f32_e32 v113, v118, v115
	v_sub_f32_e32 v117, v114, v117
	s_delay_alu instid0(VALU_DEP_1) | instskip(NEXT) | instid1(VALU_DEP_1)
	v_sub_f32_e32 v114, v117, v116
	v_dual_add_f32 v33, v114, v33 :: v_dual_sub_f32 v114, v113, v118
	s_delay_alu instid0(VALU_DEP_1) | instskip(NEXT) | instid1(VALU_DEP_2)
	v_add_f32_e32 v33, v119, v33
	v_sub_f32_e32 v114, v115, v114
	s_delay_alu instid0(VALU_DEP_2) | instskip(NEXT) | instid1(VALU_DEP_1)
	v_mul_f32_e32 v33, v35, v33
	v_add_f32_e32 v33, v114, v33
	s_delay_alu instid0(VALU_DEP_1) | instskip(NEXT) | instid1(VALU_DEP_1)
	v_add_f32_e32 v35, v113, v33
	v_mul_f32_e32 v114, v35, v35
	s_delay_alu instid0(VALU_DEP_1) | instskip(SKIP_1) | instid1(VALU_DEP_2)
	v_fmaak_f32 v115, s74, v114, 0x3ecc95a3
	v_mul_f32_e32 v116, v35, v114
	v_fmaak_f32 v114, v114, v115, 0x3f2aaada
	v_ldexp_f32 v115, v35, 1
	s_delay_alu instid0(VALU_DEP_2) | instskip(NEXT) | instid1(VALU_DEP_1)
	v_dual_sub_f32 v35, v35, v113 :: v_dual_mul_f32 v114, v116, v114
	v_dual_mul_f32 v116, 0x3f317218, v32 :: v_dual_sub_f32 v33, v33, v35
	s_delay_alu instid0(VALU_DEP_2) | instskip(NEXT) | instid1(VALU_DEP_2)
	v_add_f32_e32 v113, v115, v114
	v_ldexp_f32 v33, v33, 1
	s_delay_alu instid0(VALU_DEP_2) | instskip(NEXT) | instid1(VALU_DEP_4)
	v_sub_f32_e32 v35, v113, v115
	v_fma_f32 v115, 0x3f317218, v32, -v116
	s_delay_alu instid0(VALU_DEP_2) | instskip(NEXT) | instid1(VALU_DEP_1)
	v_sub_f32_e32 v35, v114, v35
	v_dual_fmac_f32 v115, 0xb102e308, v32 :: v_dual_add_f32 v32, v33, v35
	s_delay_alu instid0(VALU_DEP_1) | instskip(NEXT) | instid1(VALU_DEP_2)
	v_add_f32_e32 v33, v116, v115
	v_add_f32_e32 v35, v113, v32
	s_delay_alu instid0(VALU_DEP_2) | instskip(NEXT) | instid1(VALU_DEP_2)
	v_sub_f32_e32 v116, v33, v116
	v_dual_add_f32 v114, v33, v35 :: v_dual_sub_f32 v113, v35, v113
	s_delay_alu instid0(VALU_DEP_2) | instskip(NEXT) | instid1(VALU_DEP_2)
	v_sub_f32_e32 v115, v115, v116
	v_sub_f32_e32 v117, v114, v33
	s_delay_alu instid0(VALU_DEP_3) | instskip(NEXT) | instid1(VALU_DEP_2)
	v_sub_f32_e32 v32, v32, v113
	v_sub_f32_e32 v118, v114, v117
	;; [unrolled: 1-line block ×3, first 2 shown]
	s_delay_alu instid0(VALU_DEP_3) | instskip(NEXT) | instid1(VALU_DEP_3)
	v_add_f32_e32 v113, v115, v32
	v_sub_f32_e32 v33, v33, v118
	s_delay_alu instid0(VALU_DEP_1) | instskip(NEXT) | instid1(VALU_DEP_3)
	v_add_f32_e32 v33, v35, v33
	v_sub_f32_e32 v35, v113, v115
	s_delay_alu instid0(VALU_DEP_2) | instskip(NEXT) | instid1(VALU_DEP_2)
	v_add_f32_e32 v33, v113, v33
	v_sub_f32_e32 v113, v113, v35
	v_sub_f32_e32 v32, v32, v35
	s_delay_alu instid0(VALU_DEP_3) | instskip(NEXT) | instid1(VALU_DEP_3)
	v_add_f32_e32 v116, v114, v33
	v_sub_f32_e32 v113, v115, v113
	s_delay_alu instid0(VALU_DEP_2) | instskip(NEXT) | instid1(VALU_DEP_1)
	v_sub_f32_e32 v35, v116, v114
	v_dual_add_f32 v32, v32, v113 :: v_dual_sub_f32 v33, v33, v35
	s_delay_alu instid0(VALU_DEP_1) | instskip(NEXT) | instid1(VALU_DEP_1)
	v_add_f32_e32 v32, v32, v33
	v_add_f32_e32 v32, v116, v32
	s_delay_alu instid0(VALU_DEP_1)
	v_cndmask_b32_e32 v113, v32, v30, vcc_lo
.LBB156_80:                             ;   in Loop: Header=BB156_12 Depth=1
	s_or_b32 exec_lo, exec_lo, s30
	v_add_f32_e32 v114, s85, v31
	s_delay_alu instid0(VALU_DEP_1) | instskip(SKIP_1) | instid1(SALU_CYCLE_1)
	v_cmp_ge_f32_e32 vcc_lo, 0x41a00000, v114
	s_and_b32 s29, s92, vcc_lo
	s_and_saveexec_b32 s30, s29
	s_cbranch_execz .LBB156_82
; %bb.81:                               ;   in Loop: Header=BB156_12 Depth=1
	v_mul_f32_e32 v30, 0x3fb8aa3b, v114
	v_cmp_ngt_f32_e32 vcc_lo, 0xc2ce8ed0, v114
	s_delay_alu instid0(VALU_DEP_2) | instskip(SKIP_1) | instid1(VALU_DEP_2)
	v_rndne_f32_e32 v31, v30
	v_fma_f32 v32, 0x3fb8aa3b, v114, -v30
	v_sub_f32_e32 v30, v30, v31
	s_delay_alu instid0(VALU_DEP_2) | instskip(SKIP_1) | instid1(VALU_DEP_2)
	v_fmac_f32_e32 v32, 0x32a5705f, v114
	v_cvt_i32_f32_e32 v31, v31
	v_add_f32_e32 v30, v30, v32
	s_delay_alu instid0(VALU_DEP_1) | instskip(SKIP_2) | instid1(VALU_DEP_1)
	v_exp_f32_e32 v30, v30
	s_waitcnt_depctr 0xfff
	v_ldexp_f32 v30, v30, v31
	v_cndmask_b32_e32 v30, 0, v30, vcc_lo
	v_cmp_nlt_f32_e32 vcc_lo, 0x42b17218, v114
	s_delay_alu instid0(VALU_DEP_2) | instskip(NEXT) | instid1(VALU_DEP_1)
	v_cndmask_b32_e32 v32, 0x7f800000, v30, vcc_lo
	v_add_f32_e32 v33, 1.0, v32
	s_delay_alu instid0(VALU_DEP_1) | instskip(NEXT) | instid1(VALU_DEP_1)
	v_cvt_f64_f32_e32 v[30:31], v33
	v_frexp_exp_i32_f64_e32 v30, v[30:31]
	v_frexp_mant_f32_e32 v31, v33
	s_delay_alu instid0(VALU_DEP_1) | instskip(SKIP_1) | instid1(VALU_DEP_1)
	v_cmp_gt_f32_e32 vcc_lo, 0x3f2aaaab, v31
	v_add_f32_e32 v31, -1.0, v33
	v_dual_sub_f32 v114, v31, v33 :: v_dual_sub_f32 v31, v32, v31
	s_delay_alu instid0(VALU_DEP_1) | instskip(SKIP_1) | instid1(VALU_DEP_1)
	v_add_f32_e32 v114, 1.0, v114
	v_subrev_co_ci_u32_e32 v30, vcc_lo, 0, v30, vcc_lo
	v_sub_nc_u32_e32 v35, 0, v30
	v_cvt_f32_i32_e32 v30, v30
	s_delay_alu instid0(VALU_DEP_2) | instskip(NEXT) | instid1(VALU_DEP_1)
	v_ldexp_f32 v33, v33, v35
	v_add_f32_e32 v115, 1.0, v33
	s_delay_alu instid0(VALU_DEP_1) | instskip(NEXT) | instid1(VALU_DEP_1)
	v_dual_add_f32 v31, v31, v114 :: v_dual_add_f32 v114, -1.0, v115
	v_ldexp_f32 v31, v31, v35
	s_delay_alu instid0(VALU_DEP_2) | instskip(NEXT) | instid1(VALU_DEP_1)
	v_dual_add_f32 v35, -1.0, v33 :: v_dual_sub_f32 v114, v33, v114
	v_add_f32_e32 v116, 1.0, v35
	s_delay_alu instid0(VALU_DEP_1) | instskip(SKIP_2) | instid1(VALU_DEP_3)
	v_dual_add_f32 v114, v31, v114 :: v_dual_sub_f32 v33, v33, v116
	v_cmp_eq_f32_e32 vcc_lo, 0x7f800000, v32
	v_cmp_gt_f32_e64 s29, 0x33800000, v32
	v_add_f32_e32 v31, v31, v33
	s_delay_alu instid0(VALU_DEP_2) | instskip(NEXT) | instid1(VALU_DEP_1)
	s_or_b32 vcc_lo, s29, vcc_lo
	v_add_f32_e32 v117, v35, v31
	v_add_f32_e32 v116, v115, v114
	s_delay_alu instid0(VALU_DEP_2) | instskip(NEXT) | instid1(VALU_DEP_2)
	v_sub_f32_e32 v35, v35, v117
	v_rcp_f32_e32 v33, v116
	v_sub_f32_e32 v115, v115, v116
	s_delay_alu instid0(VALU_DEP_2) | instskip(NEXT) | instid1(VALU_DEP_2)
	v_add_f32_e32 v31, v31, v35
	v_add_f32_e32 v114, v114, v115
	s_waitcnt_depctr 0xfff
	v_mul_f32_e32 v118, v117, v33
	s_delay_alu instid0(VALU_DEP_1) | instskip(NEXT) | instid1(VALU_DEP_1)
	v_mul_f32_e32 v119, v116, v118
	v_fma_f32 v115, v118, v116, -v119
	s_delay_alu instid0(VALU_DEP_1) | instskip(NEXT) | instid1(VALU_DEP_1)
	v_fmac_f32_e32 v115, v118, v114
	v_add_f32_e32 v120, v119, v115
	s_delay_alu instid0(VALU_DEP_1) | instskip(SKIP_1) | instid1(VALU_DEP_2)
	v_sub_f32_e32 v121, v117, v120
	v_sub_f32_e32 v35, v120, v119
	;; [unrolled: 1-line block ×3, first 2 shown]
	s_delay_alu instid0(VALU_DEP_2) | instskip(NEXT) | instid1(VALU_DEP_2)
	v_sub_f32_e32 v35, v35, v115
	v_sub_f32_e32 v117, v117, v120
	s_delay_alu instid0(VALU_DEP_1) | instskip(NEXT) | instid1(VALU_DEP_1)
	v_add_f32_e32 v31, v31, v117
	v_add_f32_e32 v31, v35, v31
	s_delay_alu instid0(VALU_DEP_1) | instskip(NEXT) | instid1(VALU_DEP_1)
	v_add_f32_e32 v35, v121, v31
	v_mul_f32_e32 v115, v33, v35
	v_sub_f32_e32 v120, v121, v35
	s_delay_alu instid0(VALU_DEP_2) | instskip(NEXT) | instid1(VALU_DEP_2)
	v_mul_f32_e32 v117, v116, v115
	v_add_f32_e32 v31, v31, v120
	s_delay_alu instid0(VALU_DEP_2) | instskip(NEXT) | instid1(VALU_DEP_1)
	v_fma_f32 v116, v115, v116, -v117
	v_fmac_f32_e32 v116, v115, v114
	s_delay_alu instid0(VALU_DEP_1) | instskip(NEXT) | instid1(VALU_DEP_1)
	v_add_f32_e32 v114, v117, v116
	v_sub_f32_e32 v119, v35, v114
	v_sub_f32_e32 v117, v114, v117
	s_delay_alu instid0(VALU_DEP_2) | instskip(NEXT) | instid1(VALU_DEP_1)
	v_sub_f32_e32 v35, v35, v119
	v_dual_sub_f32 v35, v35, v114 :: v_dual_sub_f32 v114, v117, v116
	s_delay_alu instid0(VALU_DEP_1) | instskip(SKIP_1) | instid1(VALU_DEP_1)
	v_add_f32_e32 v31, v31, v35
	v_add_f32_e32 v35, v118, v115
	v_dual_add_f32 v31, v114, v31 :: v_dual_sub_f32 v114, v35, v118
	s_delay_alu instid0(VALU_DEP_1) | instskip(NEXT) | instid1(VALU_DEP_1)
	v_add_f32_e32 v31, v119, v31
	v_dual_sub_f32 v114, v115, v114 :: v_dual_mul_f32 v31, v33, v31
	s_delay_alu instid0(VALU_DEP_1) | instskip(NEXT) | instid1(VALU_DEP_1)
	v_add_f32_e32 v31, v114, v31
	v_add_f32_e32 v33, v35, v31
	s_delay_alu instid0(VALU_DEP_1) | instskip(NEXT) | instid1(VALU_DEP_1)
	v_mul_f32_e32 v114, v33, v33
	v_fmaak_f32 v115, s74, v114, 0x3ecc95a3
	v_mul_f32_e32 v116, v33, v114
	s_delay_alu instid0(VALU_DEP_2) | instskip(SKIP_1) | instid1(VALU_DEP_2)
	v_fmaak_f32 v114, v114, v115, 0x3f2aaada
	v_ldexp_f32 v115, v33, 1
	v_mul_f32_e32 v114, v116, v114
	v_dual_mul_f32 v116, 0x3f317218, v30 :: v_dual_sub_f32 v33, v33, v35
	s_delay_alu instid0(VALU_DEP_2) | instskip(NEXT) | instid1(VALU_DEP_2)
	v_add_f32_e32 v35, v115, v114
	v_sub_f32_e32 v31, v31, v33
	s_delay_alu instid0(VALU_DEP_2) | instskip(NEXT) | instid1(VALU_DEP_4)
	v_sub_f32_e32 v33, v35, v115
	v_fma_f32 v115, 0x3f317218, v30, -v116
	s_delay_alu instid0(VALU_DEP_3) | instskip(NEXT) | instid1(VALU_DEP_3)
	v_ldexp_f32 v31, v31, 1
	v_sub_f32_e32 v33, v114, v33
	s_delay_alu instid0(VALU_DEP_1) | instskip(NEXT) | instid1(VALU_DEP_1)
	v_dual_fmac_f32 v115, 0xb102e308, v30 :: v_dual_add_f32 v30, v31, v33
	v_add_f32_e32 v31, v116, v115
	s_delay_alu instid0(VALU_DEP_2) | instskip(NEXT) | instid1(VALU_DEP_2)
	v_add_f32_e32 v33, v35, v30
	v_sub_f32_e32 v116, v31, v116
	s_delay_alu instid0(VALU_DEP_2) | instskip(NEXT) | instid1(VALU_DEP_2)
	v_dual_add_f32 v114, v31, v33 :: v_dual_sub_f32 v35, v33, v35
	v_sub_f32_e32 v115, v115, v116
	s_delay_alu instid0(VALU_DEP_2) | instskip(NEXT) | instid1(VALU_DEP_3)
	v_sub_f32_e32 v117, v114, v31
	v_sub_f32_e32 v30, v30, v35
	s_delay_alu instid0(VALU_DEP_2) | instskip(SKIP_1) | instid1(VALU_DEP_3)
	v_sub_f32_e32 v118, v114, v117
	v_sub_f32_e32 v33, v33, v117
	v_add_f32_e32 v35, v115, v30
	s_delay_alu instid0(VALU_DEP_3) | instskip(NEXT) | instid1(VALU_DEP_1)
	v_sub_f32_e32 v31, v31, v118
	v_add_f32_e32 v31, v33, v31
	s_delay_alu instid0(VALU_DEP_3) | instskip(NEXT) | instid1(VALU_DEP_2)
	v_sub_f32_e32 v33, v35, v115
	v_add_f32_e32 v31, v35, v31
	s_delay_alu instid0(VALU_DEP_2) | instskip(SKIP_1) | instid1(VALU_DEP_3)
	v_sub_f32_e32 v35, v35, v33
	v_sub_f32_e32 v30, v30, v33
	v_add_f32_e32 v116, v114, v31
	s_delay_alu instid0(VALU_DEP_3) | instskip(NEXT) | instid1(VALU_DEP_1)
	v_sub_f32_e32 v35, v115, v35
	v_dual_sub_f32 v33, v116, v114 :: v_dual_add_f32 v30, v30, v35
	s_delay_alu instid0(VALU_DEP_1) | instskip(NEXT) | instid1(VALU_DEP_1)
	v_sub_f32_e32 v31, v31, v33
	v_add_f32_e32 v30, v30, v31
	s_delay_alu instid0(VALU_DEP_1) | instskip(NEXT) | instid1(VALU_DEP_1)
	v_add_f32_e32 v30, v116, v30
	v_cndmask_b32_e32 v114, v30, v32, vcc_lo
.LBB156_82:                             ;   in Loop: Header=BB156_12 Depth=1
	s_or_b32 exec_lo, exec_lo, s30
	s_waitcnt lgkmcnt(5)
	v_add_f32_e32 v115, s85, v28
	s_delay_alu instid0(VALU_DEP_1) | instskip(SKIP_1) | instid1(SALU_CYCLE_1)
	v_cmp_ge_f32_e32 vcc_lo, 0x41a00000, v115
	s_and_b32 s29, s92, vcc_lo
	s_and_saveexec_b32 s30, s29
	s_cbranch_execz .LBB156_84
; %bb.83:                               ;   in Loop: Header=BB156_12 Depth=1
	v_mul_f32_e32 v28, 0x3fb8aa3b, v115
	v_cmp_ngt_f32_e32 vcc_lo, 0xc2ce8ed0, v115
	s_delay_alu instid0(VALU_DEP_2) | instskip(SKIP_1) | instid1(VALU_DEP_1)
	v_rndne_f32_e32 v30, v28
	v_fma_f32 v31, 0x3fb8aa3b, v115, -v28
	v_dual_sub_f32 v28, v28, v30 :: v_dual_fmac_f32 v31, 0x32a5705f, v115
	v_cvt_i32_f32_e32 v30, v30
	s_delay_alu instid0(VALU_DEP_2) | instskip(NEXT) | instid1(VALU_DEP_1)
	v_add_f32_e32 v28, v28, v31
	v_exp_f32_e32 v28, v28
	s_waitcnt_depctr 0xfff
	v_ldexp_f32 v28, v28, v30
	s_delay_alu instid0(VALU_DEP_1) | instskip(SKIP_1) | instid1(VALU_DEP_2)
	v_cndmask_b32_e32 v28, 0, v28, vcc_lo
	v_cmp_nlt_f32_e32 vcc_lo, 0x42b17218, v115
	v_cndmask_b32_e32 v28, 0x7f800000, v28, vcc_lo
	s_delay_alu instid0(VALU_DEP_1) | instskip(NEXT) | instid1(VALU_DEP_1)
	v_add_f32_e32 v32, 1.0, v28
	v_cvt_f64_f32_e32 v[30:31], v32
	s_delay_alu instid0(VALU_DEP_1) | instskip(SKIP_1) | instid1(VALU_DEP_1)
	v_frexp_exp_i32_f64_e32 v30, v[30:31]
	v_frexp_mant_f32_e32 v31, v32
	v_cmp_gt_f32_e32 vcc_lo, 0x3f2aaaab, v31
	v_add_f32_e32 v31, -1.0, v32
	s_delay_alu instid0(VALU_DEP_1) | instskip(SKIP_1) | instid1(VALU_DEP_2)
	v_sub_f32_e32 v35, v31, v32
	v_sub_f32_e32 v31, v28, v31
	v_add_f32_e32 v35, 1.0, v35
	s_delay_alu instid0(VALU_DEP_1) | instskip(SKIP_3) | instid1(VALU_DEP_2)
	v_add_f32_e32 v31, v31, v35
	v_cmp_gt_f32_e64 s29, 0x33800000, v28
	v_subrev_co_ci_u32_e32 v30, vcc_lo, 0, v30, vcc_lo
	v_cmp_eq_f32_e32 vcc_lo, 0x7f800000, v28
	v_sub_nc_u32_e32 v33, 0, v30
	v_cvt_f32_i32_e32 v30, v30
	s_or_b32 vcc_lo, s29, vcc_lo
	s_delay_alu instid0(VALU_DEP_2) | instskip(SKIP_1) | instid1(VALU_DEP_2)
	v_ldexp_f32 v32, v32, v33
	v_ldexp_f32 v31, v31, v33
	v_add_f32_e32 v33, -1.0, v32
	s_delay_alu instid0(VALU_DEP_1) | instskip(NEXT) | instid1(VALU_DEP_1)
	v_dual_add_f32 v115, 1.0, v32 :: v_dual_add_f32 v116, 1.0, v33
	v_add_f32_e32 v35, -1.0, v115
	s_delay_alu instid0(VALU_DEP_1) | instskip(NEXT) | instid1(VALU_DEP_1)
	v_sub_f32_e32 v35, v32, v35
	v_dual_sub_f32 v32, v32, v116 :: v_dual_add_f32 v35, v31, v35
	s_delay_alu instid0(VALU_DEP_1) | instskip(NEXT) | instid1(VALU_DEP_2)
	v_add_f32_e32 v31, v31, v32
	v_add_f32_e32 v116, v115, v35
	s_delay_alu instid0(VALU_DEP_2) | instskip(NEXT) | instid1(VALU_DEP_2)
	v_add_f32_e32 v117, v33, v31
	v_rcp_f32_e32 v32, v116
	v_sub_f32_e32 v115, v115, v116
	s_delay_alu instid0(VALU_DEP_2) | instskip(NEXT) | instid1(VALU_DEP_2)
	v_sub_f32_e32 v33, v33, v117
	v_add_f32_e32 v35, v35, v115
	s_waitcnt_depctr 0xfff
	v_dual_add_f32 v31, v31, v33 :: v_dual_mul_f32 v118, v117, v32
	s_delay_alu instid0(VALU_DEP_1) | instskip(NEXT) | instid1(VALU_DEP_1)
	v_mul_f32_e32 v119, v116, v118
	v_fma_f32 v115, v118, v116, -v119
	s_delay_alu instid0(VALU_DEP_1) | instskip(NEXT) | instid1(VALU_DEP_1)
	v_fmac_f32_e32 v115, v118, v35
	v_add_f32_e32 v120, v119, v115
	s_delay_alu instid0(VALU_DEP_1) | instskip(SKIP_1) | instid1(VALU_DEP_2)
	v_sub_f32_e32 v121, v117, v120
	v_sub_f32_e32 v33, v120, v119
	;; [unrolled: 1-line block ×3, first 2 shown]
	s_delay_alu instid0(VALU_DEP_2) | instskip(NEXT) | instid1(VALU_DEP_2)
	v_sub_f32_e32 v33, v33, v115
	v_sub_f32_e32 v117, v117, v120
	s_delay_alu instid0(VALU_DEP_1) | instskip(NEXT) | instid1(VALU_DEP_1)
	v_add_f32_e32 v31, v31, v117
	v_add_f32_e32 v31, v33, v31
	s_delay_alu instid0(VALU_DEP_1) | instskip(NEXT) | instid1(VALU_DEP_1)
	v_add_f32_e32 v33, v121, v31
	v_mul_f32_e32 v115, v32, v33
	s_delay_alu instid0(VALU_DEP_1) | instskip(NEXT) | instid1(VALU_DEP_1)
	v_dual_sub_f32 v120, v121, v33 :: v_dual_mul_f32 v117, v116, v115
	v_add_f32_e32 v31, v31, v120
	s_delay_alu instid0(VALU_DEP_2) | instskip(NEXT) | instid1(VALU_DEP_1)
	v_fma_f32 v116, v115, v116, -v117
	v_fmac_f32_e32 v116, v115, v35
	s_delay_alu instid0(VALU_DEP_1) | instskip(NEXT) | instid1(VALU_DEP_1)
	v_add_f32_e32 v35, v117, v116
	v_sub_f32_e32 v119, v33, v35
	v_sub_f32_e32 v117, v35, v117
	s_delay_alu instid0(VALU_DEP_2) | instskip(NEXT) | instid1(VALU_DEP_1)
	v_sub_f32_e32 v33, v33, v119
	v_sub_f32_e32 v33, v33, v35
	s_delay_alu instid0(VALU_DEP_3) | instskip(NEXT) | instid1(VALU_DEP_2)
	v_sub_f32_e32 v35, v117, v116
	v_add_f32_e32 v31, v31, v33
	v_add_f32_e32 v33, v118, v115
	s_delay_alu instid0(VALU_DEP_2) | instskip(NEXT) | instid1(VALU_DEP_2)
	v_add_f32_e32 v31, v35, v31
	v_sub_f32_e32 v35, v33, v118
	s_delay_alu instid0(VALU_DEP_2) | instskip(NEXT) | instid1(VALU_DEP_2)
	v_add_f32_e32 v31, v119, v31
	v_sub_f32_e32 v35, v115, v35
	s_delay_alu instid0(VALU_DEP_2) | instskip(NEXT) | instid1(VALU_DEP_1)
	v_mul_f32_e32 v31, v32, v31
	v_add_f32_e32 v31, v35, v31
	s_delay_alu instid0(VALU_DEP_1) | instskip(NEXT) | instid1(VALU_DEP_1)
	v_add_f32_e32 v32, v33, v31
	v_mul_f32_e32 v35, v32, v32
	s_delay_alu instid0(VALU_DEP_1) | instskip(SKIP_1) | instid1(VALU_DEP_2)
	v_fmaak_f32 v115, s74, v35, 0x3ecc95a3
	v_mul_f32_e32 v116, v32, v35
	v_fmaak_f32 v35, v35, v115, 0x3f2aaada
	v_ldexp_f32 v115, v32, 1
	v_sub_f32_e32 v32, v32, v33
	s_delay_alu instid0(VALU_DEP_3) | instskip(NEXT) | instid1(VALU_DEP_2)
	v_dual_mul_f32 v35, v116, v35 :: v_dual_mul_f32 v116, 0x3f317218, v30
	v_sub_f32_e32 v31, v31, v32
	s_delay_alu instid0(VALU_DEP_2) | instskip(NEXT) | instid1(VALU_DEP_2)
	v_add_f32_e32 v33, v115, v35
	v_ldexp_f32 v31, v31, 1
	s_delay_alu instid0(VALU_DEP_2) | instskip(SKIP_1) | instid1(VALU_DEP_1)
	v_sub_f32_e32 v32, v33, v115
	v_fma_f32 v115, 0x3f317218, v30, -v116
	v_dual_sub_f32 v32, v35, v32 :: v_dual_fmac_f32 v115, 0xb102e308, v30
	s_delay_alu instid0(VALU_DEP_1) | instskip(NEXT) | instid1(VALU_DEP_1)
	v_dual_add_f32 v30, v31, v32 :: v_dual_add_f32 v31, v116, v115
	v_add_f32_e32 v32, v33, v30
	s_delay_alu instid0(VALU_DEP_2) | instskip(NEXT) | instid1(VALU_DEP_2)
	v_sub_f32_e32 v116, v31, v116
	v_add_f32_e32 v35, v31, v32
	v_sub_f32_e32 v33, v32, v33
	s_delay_alu instid0(VALU_DEP_3) | instskip(NEXT) | instid1(VALU_DEP_2)
	v_sub_f32_e32 v115, v115, v116
	v_dual_sub_f32 v117, v35, v31 :: v_dual_sub_f32 v30, v30, v33
	s_delay_alu instid0(VALU_DEP_1) | instskip(NEXT) | instid1(VALU_DEP_2)
	v_sub_f32_e32 v118, v35, v117
	v_dual_sub_f32 v32, v32, v117 :: v_dual_add_f32 v33, v115, v30
	s_delay_alu instid0(VALU_DEP_2) | instskip(NEXT) | instid1(VALU_DEP_1)
	v_sub_f32_e32 v31, v31, v118
	v_add_f32_e32 v31, v32, v31
	s_delay_alu instid0(VALU_DEP_3) | instskip(NEXT) | instid1(VALU_DEP_2)
	v_sub_f32_e32 v32, v33, v115
	v_add_f32_e32 v31, v33, v31
	s_delay_alu instid0(VALU_DEP_2) | instskip(SKIP_1) | instid1(VALU_DEP_3)
	v_sub_f32_e32 v33, v33, v32
	v_sub_f32_e32 v30, v30, v32
	v_add_f32_e32 v116, v35, v31
	s_delay_alu instid0(VALU_DEP_1) | instskip(NEXT) | instid1(VALU_DEP_1)
	v_dual_sub_f32 v33, v115, v33 :: v_dual_sub_f32 v32, v116, v35
	v_dual_add_f32 v30, v30, v33 :: v_dual_sub_f32 v31, v31, v32
	s_delay_alu instid0(VALU_DEP_1) | instskip(NEXT) | instid1(VALU_DEP_1)
	v_add_f32_e32 v30, v30, v31
	v_add_f32_e32 v30, v116, v30
	s_delay_alu instid0(VALU_DEP_1)
	v_cndmask_b32_e32 v115, v30, v28, vcc_lo
.LBB156_84:                             ;   in Loop: Header=BB156_12 Depth=1
	s_or_b32 exec_lo, exec_lo, s30
	v_add_f32_e32 v116, s85, v29
	s_delay_alu instid0(VALU_DEP_1) | instskip(SKIP_1) | instid1(SALU_CYCLE_1)
	v_cmp_ge_f32_e32 vcc_lo, 0x41a00000, v116
	s_and_b32 s29, s92, vcc_lo
	s_and_saveexec_b32 s30, s29
	s_cbranch_execz .LBB156_86
; %bb.85:                               ;   in Loop: Header=BB156_12 Depth=1
	v_mul_f32_e32 v28, 0x3fb8aa3b, v116
	v_cmp_ngt_f32_e32 vcc_lo, 0xc2ce8ed0, v116
	s_delay_alu instid0(VALU_DEP_2) | instskip(SKIP_1) | instid1(VALU_DEP_2)
	v_rndne_f32_e32 v29, v28
	v_fma_f32 v30, 0x3fb8aa3b, v116, -v28
	v_sub_f32_e32 v28, v28, v29
	s_delay_alu instid0(VALU_DEP_2) | instskip(SKIP_1) | instid1(VALU_DEP_2)
	v_fmac_f32_e32 v30, 0x32a5705f, v116
	v_cvt_i32_f32_e32 v29, v29
	v_add_f32_e32 v28, v28, v30
	s_delay_alu instid0(VALU_DEP_1) | instskip(SKIP_2) | instid1(VALU_DEP_1)
	v_exp_f32_e32 v28, v28
	s_waitcnt_depctr 0xfff
	v_ldexp_f32 v28, v28, v29
	v_cndmask_b32_e32 v28, 0, v28, vcc_lo
	v_cmp_nlt_f32_e32 vcc_lo, 0x42b17218, v116
	s_delay_alu instid0(VALU_DEP_2) | instskip(NEXT) | instid1(VALU_DEP_1)
	v_cndmask_b32_e32 v30, 0x7f800000, v28, vcc_lo
	v_add_f32_e32 v31, 1.0, v30
	s_delay_alu instid0(VALU_DEP_1) | instskip(NEXT) | instid1(VALU_DEP_1)
	v_cvt_f64_f32_e32 v[28:29], v31
	v_frexp_exp_i32_f64_e32 v28, v[28:29]
	v_frexp_mant_f32_e32 v29, v31
	s_delay_alu instid0(VALU_DEP_1) | instskip(SKIP_1) | instid1(VALU_DEP_1)
	v_cmp_gt_f32_e32 vcc_lo, 0x3f2aaaab, v29
	v_add_f32_e32 v29, -1.0, v31
	v_sub_f32_e32 v33, v29, v31
	s_delay_alu instid0(VALU_DEP_1) | instskip(SKIP_1) | instid1(VALU_DEP_1)
	v_add_f32_e32 v33, 1.0, v33
	v_subrev_co_ci_u32_e32 v28, vcc_lo, 0, v28, vcc_lo
	v_sub_nc_u32_e32 v32, 0, v28
	v_cvt_f32_i32_e32 v28, v28
	s_delay_alu instid0(VALU_DEP_2) | instskip(NEXT) | instid1(VALU_DEP_1)
	v_ldexp_f32 v31, v31, v32
	v_add_f32_e32 v35, 1.0, v31
	v_sub_f32_e32 v29, v30, v29
	v_cmp_eq_f32_e32 vcc_lo, 0x7f800000, v30
	v_cmp_gt_f32_e64 s29, 0x33800000, v30
	s_delay_alu instid0(VALU_DEP_3) | instskip(NEXT) | instid1(VALU_DEP_2)
	v_add_f32_e32 v29, v29, v33
	s_or_b32 vcc_lo, s29, vcc_lo
	s_delay_alu instid0(VALU_DEP_1) | instskip(SKIP_1) | instid1(VALU_DEP_1)
	v_ldexp_f32 v29, v29, v32
	v_add_f32_e32 v32, -1.0, v31
	v_dual_add_f32 v33, -1.0, v35 :: v_dual_add_f32 v116, 1.0, v32
	s_delay_alu instid0(VALU_DEP_1) | instskip(NEXT) | instid1(VALU_DEP_2)
	v_sub_f32_e32 v33, v31, v33
	v_sub_f32_e32 v31, v31, v116
	s_delay_alu instid0(VALU_DEP_2) | instskip(NEXT) | instid1(VALU_DEP_1)
	v_add_f32_e32 v33, v29, v33
	v_dual_add_f32 v29, v29, v31 :: v_dual_add_f32 v116, v35, v33
	s_delay_alu instid0(VALU_DEP_1) | instskip(NEXT) | instid1(VALU_DEP_2)
	v_add_f32_e32 v117, v32, v29
	v_rcp_f32_e32 v31, v116
	s_delay_alu instid0(VALU_DEP_1) | instskip(SKIP_2) | instid1(VALU_DEP_1)
	v_sub_f32_e32 v32, v32, v117
	s_waitcnt_depctr 0xfff
	v_mul_f32_e32 v118, v117, v31
	v_mul_f32_e32 v119, v116, v118
	v_sub_f32_e32 v35, v35, v116
	s_delay_alu instid0(VALU_DEP_1) | instskip(NEXT) | instid1(VALU_DEP_3)
	v_add_f32_e32 v33, v33, v35
	v_fma_f32 v35, v118, v116, -v119
	v_add_f32_e32 v29, v29, v32
	s_delay_alu instid0(VALU_DEP_2) | instskip(NEXT) | instid1(VALU_DEP_1)
	v_fmac_f32_e32 v35, v118, v33
	v_add_f32_e32 v120, v119, v35
	s_delay_alu instid0(VALU_DEP_1) | instskip(NEXT) | instid1(VALU_DEP_1)
	v_dual_sub_f32 v32, v120, v119 :: v_dual_sub_f32 v121, v117, v120
	v_dual_sub_f32 v32, v32, v35 :: v_dual_sub_f32 v117, v117, v121
	s_delay_alu instid0(VALU_DEP_1) | instskip(NEXT) | instid1(VALU_DEP_1)
	v_sub_f32_e32 v117, v117, v120
	v_add_f32_e32 v29, v29, v117
	s_delay_alu instid0(VALU_DEP_1) | instskip(NEXT) | instid1(VALU_DEP_1)
	v_add_f32_e32 v29, v32, v29
	v_add_f32_e32 v32, v121, v29
	s_delay_alu instid0(VALU_DEP_1) | instskip(NEXT) | instid1(VALU_DEP_1)
	v_mul_f32_e32 v35, v31, v32
	v_dual_sub_f32 v120, v121, v32 :: v_dual_mul_f32 v117, v116, v35
	s_delay_alu instid0(VALU_DEP_1) | instskip(NEXT) | instid1(VALU_DEP_2)
	v_add_f32_e32 v29, v29, v120
	v_fma_f32 v116, v35, v116, -v117
	s_delay_alu instid0(VALU_DEP_1) | instskip(NEXT) | instid1(VALU_DEP_1)
	v_fmac_f32_e32 v116, v35, v33
	v_add_f32_e32 v33, v117, v116
	s_delay_alu instid0(VALU_DEP_1) | instskip(NEXT) | instid1(VALU_DEP_1)
	v_sub_f32_e32 v119, v32, v33
	v_dual_sub_f32 v117, v33, v117 :: v_dual_sub_f32 v32, v32, v119
	s_delay_alu instid0(VALU_DEP_1) | instskip(NEXT) | instid1(VALU_DEP_1)
	v_dual_sub_f32 v32, v32, v33 :: v_dual_sub_f32 v33, v117, v116
	v_dual_add_f32 v29, v29, v32 :: v_dual_add_f32 v32, v118, v35
	s_delay_alu instid0(VALU_DEP_1) | instskip(NEXT) | instid1(VALU_DEP_2)
	v_add_f32_e32 v29, v33, v29
	v_sub_f32_e32 v33, v32, v118
	s_delay_alu instid0(VALU_DEP_2) | instskip(NEXT) | instid1(VALU_DEP_2)
	v_add_f32_e32 v29, v119, v29
	v_sub_f32_e32 v33, v35, v33
	s_delay_alu instid0(VALU_DEP_2) | instskip(NEXT) | instid1(VALU_DEP_1)
	v_mul_f32_e32 v29, v31, v29
	v_add_f32_e32 v29, v33, v29
	s_delay_alu instid0(VALU_DEP_1) | instskip(NEXT) | instid1(VALU_DEP_1)
	v_add_f32_e32 v31, v32, v29
	v_mul_f32_e32 v33, v31, v31
	s_delay_alu instid0(VALU_DEP_1) | instskip(NEXT) | instid1(VALU_DEP_1)
	v_fmaak_f32 v35, s74, v33, 0x3ecc95a3
	v_dual_mul_f32 v116, v31, v33 :: v_dual_fmaak_f32 v33, v33, v35, 0x3f2aaada
	v_ldexp_f32 v35, v31, 1
	v_sub_f32_e32 v31, v31, v32
	s_delay_alu instid0(VALU_DEP_3) | instskip(NEXT) | instid1(VALU_DEP_1)
	v_dual_mul_f32 v33, v116, v33 :: v_dual_mul_f32 v116, 0x3f317218, v28
	v_dual_sub_f32 v29, v29, v31 :: v_dual_add_f32 v32, v35, v33
	s_delay_alu instid0(VALU_DEP_1) | instskip(NEXT) | instid1(VALU_DEP_2)
	v_ldexp_f32 v29, v29, 1
	v_sub_f32_e32 v31, v32, v35
	s_delay_alu instid0(VALU_DEP_4) | instskip(NEXT) | instid1(VALU_DEP_2)
	v_fma_f32 v35, 0x3f317218, v28, -v116
	v_sub_f32_e32 v31, v33, v31
	s_delay_alu instid0(VALU_DEP_1) | instskip(NEXT) | instid1(VALU_DEP_1)
	v_dual_fmac_f32 v35, 0xb102e308, v28 :: v_dual_add_f32 v28, v29, v31
	v_add_f32_e32 v29, v116, v35
	s_delay_alu instid0(VALU_DEP_2) | instskip(NEXT) | instid1(VALU_DEP_2)
	v_add_f32_e32 v31, v32, v28
	v_sub_f32_e32 v116, v29, v116
	s_delay_alu instid0(VALU_DEP_2) | instskip(NEXT) | instid1(VALU_DEP_2)
	v_dual_add_f32 v33, v29, v31 :: v_dual_sub_f32 v32, v31, v32
	v_sub_f32_e32 v35, v35, v116
	s_delay_alu instid0(VALU_DEP_2) | instskip(NEXT) | instid1(VALU_DEP_1)
	v_dual_sub_f32 v117, v33, v29 :: v_dual_sub_f32 v28, v28, v32
	v_sub_f32_e32 v118, v33, v117
	v_sub_f32_e32 v31, v31, v117
	s_delay_alu instid0(VALU_DEP_2) | instskip(NEXT) | instid1(VALU_DEP_1)
	v_dual_add_f32 v32, v35, v28 :: v_dual_sub_f32 v29, v29, v118
	v_add_f32_e32 v29, v31, v29
	s_delay_alu instid0(VALU_DEP_2) | instskip(NEXT) | instid1(VALU_DEP_2)
	v_sub_f32_e32 v31, v32, v35
	v_add_f32_e32 v29, v32, v29
	s_delay_alu instid0(VALU_DEP_2) | instskip(SKIP_1) | instid1(VALU_DEP_3)
	v_sub_f32_e32 v32, v32, v31
	v_sub_f32_e32 v28, v28, v31
	v_add_f32_e32 v116, v33, v29
	s_delay_alu instid0(VALU_DEP_1) | instskip(NEXT) | instid1(VALU_DEP_1)
	v_dual_sub_f32 v32, v35, v32 :: v_dual_sub_f32 v31, v116, v33
	v_dual_add_f32 v28, v28, v32 :: v_dual_sub_f32 v29, v29, v31
	s_delay_alu instid0(VALU_DEP_1) | instskip(NEXT) | instid1(VALU_DEP_1)
	v_add_f32_e32 v28, v28, v29
	v_add_f32_e32 v28, v116, v28
	s_delay_alu instid0(VALU_DEP_1)
	v_cndmask_b32_e32 v116, v28, v30, vcc_lo
.LBB156_86:                             ;   in Loop: Header=BB156_12 Depth=1
	s_or_b32 exec_lo, exec_lo, s30
	s_waitcnt lgkmcnt(4)
	v_add_f32_e32 v117, s85, v26
	s_delay_alu instid0(VALU_DEP_1) | instskip(SKIP_1) | instid1(SALU_CYCLE_1)
	v_cmp_ge_f32_e32 vcc_lo, 0x41a00000, v117
	s_and_b32 s29, s92, vcc_lo
	s_and_saveexec_b32 s30, s29
	s_cbranch_execz .LBB156_88
; %bb.87:                               ;   in Loop: Header=BB156_12 Depth=1
	v_mul_f32_e32 v26, 0x3fb8aa3b, v117
	v_cmp_ngt_f32_e32 vcc_lo, 0xc2ce8ed0, v117
	s_delay_alu instid0(VALU_DEP_2) | instskip(SKIP_1) | instid1(VALU_DEP_1)
	v_rndne_f32_e32 v28, v26
	v_fma_f32 v29, 0x3fb8aa3b, v117, -v26
	v_dual_sub_f32 v26, v26, v28 :: v_dual_fmac_f32 v29, 0x32a5705f, v117
	v_cvt_i32_f32_e32 v28, v28
	s_delay_alu instid0(VALU_DEP_2) | instskip(NEXT) | instid1(VALU_DEP_1)
	v_add_f32_e32 v26, v26, v29
	v_exp_f32_e32 v26, v26
	s_waitcnt_depctr 0xfff
	v_ldexp_f32 v26, v26, v28
	s_delay_alu instid0(VALU_DEP_1) | instskip(SKIP_1) | instid1(VALU_DEP_2)
	v_cndmask_b32_e32 v26, 0, v26, vcc_lo
	v_cmp_nlt_f32_e32 vcc_lo, 0x42b17218, v117
	v_cndmask_b32_e32 v26, 0x7f800000, v26, vcc_lo
	s_delay_alu instid0(VALU_DEP_1) | instskip(NEXT) | instid1(VALU_DEP_1)
	v_add_f32_e32 v30, 1.0, v26
	v_cvt_f64_f32_e32 v[28:29], v30
	s_delay_alu instid0(VALU_DEP_1) | instskip(SKIP_1) | instid1(VALU_DEP_1)
	v_frexp_exp_i32_f64_e32 v28, v[28:29]
	v_frexp_mant_f32_e32 v29, v30
	v_cmp_gt_f32_e32 vcc_lo, 0x3f2aaaab, v29
	v_add_f32_e32 v29, -1.0, v30
	s_delay_alu instid0(VALU_DEP_1) | instskip(SKIP_1) | instid1(VALU_DEP_1)
	v_dual_sub_f32 v32, v29, v30 :: v_dual_sub_f32 v29, v26, v29
	v_subrev_co_ci_u32_e32 v28, vcc_lo, 0, v28, vcc_lo
	v_sub_nc_u32_e32 v31, 0, v28
	v_cvt_f32_i32_e32 v28, v28
	s_delay_alu instid0(VALU_DEP_2) | instskip(NEXT) | instid1(VALU_DEP_1)
	v_ldexp_f32 v30, v30, v31
	v_dual_add_f32 v32, 1.0, v32 :: v_dual_add_f32 v33, 1.0, v30
	s_delay_alu instid0(VALU_DEP_1) | instskip(NEXT) | instid1(VALU_DEP_1)
	v_add_f32_e32 v29, v29, v32
	v_ldexp_f32 v29, v29, v31
	s_delay_alu instid0(VALU_DEP_3) | instskip(NEXT) | instid1(VALU_DEP_1)
	v_dual_add_f32 v31, -1.0, v30 :: v_dual_add_f32 v32, -1.0, v33
	v_dual_add_f32 v35, 1.0, v31 :: v_dual_sub_f32 v32, v30, v32
	v_cmp_eq_f32_e32 vcc_lo, 0x7f800000, v26
	v_cmp_gt_f32_e64 s29, 0x33800000, v26
	s_delay_alu instid0(VALU_DEP_3) | instskip(NEXT) | instid1(VALU_DEP_4)
	v_add_f32_e32 v32, v29, v32
	v_sub_f32_e32 v30, v30, v35
	s_delay_alu instid0(VALU_DEP_3) | instskip(NEXT) | instid1(VALU_DEP_2)
	s_or_b32 vcc_lo, s29, vcc_lo
	v_add_f32_e32 v35, v33, v32
	s_delay_alu instid0(VALU_DEP_2) | instskip(NEXT) | instid1(VALU_DEP_2)
	v_add_f32_e32 v29, v29, v30
	v_rcp_f32_e32 v30, v35
	s_delay_alu instid0(VALU_DEP_1) | instskip(SKIP_3) | instid1(VALU_DEP_1)
	v_add_f32_e32 v117, v31, v29
	v_sub_f32_e32 v33, v33, v35
	s_waitcnt_depctr 0xfff
	v_dual_sub_f32 v31, v31, v117 :: v_dual_mul_f32 v118, v117, v30
	v_add_f32_e32 v29, v29, v31
	s_delay_alu instid0(VALU_DEP_2) | instskip(NEXT) | instid1(VALU_DEP_1)
	v_dual_mul_f32 v119, v35, v118 :: v_dual_add_f32 v32, v32, v33
	v_fma_f32 v33, v118, v35, -v119
	s_delay_alu instid0(VALU_DEP_1) | instskip(NEXT) | instid1(VALU_DEP_1)
	v_fmac_f32_e32 v33, v118, v32
	v_add_f32_e32 v120, v119, v33
	s_delay_alu instid0(VALU_DEP_1) | instskip(SKIP_1) | instid1(VALU_DEP_2)
	v_sub_f32_e32 v121, v117, v120
	v_sub_f32_e32 v31, v120, v119
	v_sub_f32_e32 v117, v117, v121
	s_delay_alu instid0(VALU_DEP_2) | instskip(NEXT) | instid1(VALU_DEP_2)
	v_sub_f32_e32 v31, v31, v33
	v_sub_f32_e32 v117, v117, v120
	s_delay_alu instid0(VALU_DEP_1) | instskip(NEXT) | instid1(VALU_DEP_1)
	v_add_f32_e32 v29, v29, v117
	v_add_f32_e32 v29, v31, v29
	s_delay_alu instid0(VALU_DEP_1) | instskip(NEXT) | instid1(VALU_DEP_1)
	v_add_f32_e32 v31, v121, v29
	v_mul_f32_e32 v33, v30, v31
	s_delay_alu instid0(VALU_DEP_1) | instskip(NEXT) | instid1(VALU_DEP_1)
	v_dual_sub_f32 v120, v121, v31 :: v_dual_mul_f32 v117, v35, v33
	v_add_f32_e32 v29, v29, v120
	s_delay_alu instid0(VALU_DEP_2) | instskip(NEXT) | instid1(VALU_DEP_1)
	v_fma_f32 v35, v33, v35, -v117
	v_fmac_f32_e32 v35, v33, v32
	s_delay_alu instid0(VALU_DEP_1) | instskip(NEXT) | instid1(VALU_DEP_1)
	v_add_f32_e32 v32, v117, v35
	v_sub_f32_e32 v119, v31, v32
	v_sub_f32_e32 v117, v32, v117
	s_delay_alu instid0(VALU_DEP_2) | instskip(NEXT) | instid1(VALU_DEP_1)
	v_sub_f32_e32 v31, v31, v119
	v_dual_sub_f32 v31, v31, v32 :: v_dual_sub_f32 v32, v117, v35
	s_delay_alu instid0(VALU_DEP_1) | instskip(SKIP_1) | instid1(VALU_DEP_1)
	v_add_f32_e32 v29, v29, v31
	v_add_f32_e32 v31, v118, v33
	v_dual_add_f32 v29, v32, v29 :: v_dual_sub_f32 v32, v31, v118
	s_delay_alu instid0(VALU_DEP_1) | instskip(NEXT) | instid1(VALU_DEP_1)
	v_dual_add_f32 v29, v119, v29 :: v_dual_sub_f32 v32, v33, v32
	v_mul_f32_e32 v29, v30, v29
	s_delay_alu instid0(VALU_DEP_1) | instskip(NEXT) | instid1(VALU_DEP_1)
	v_add_f32_e32 v29, v32, v29
	v_add_f32_e32 v30, v31, v29
	s_delay_alu instid0(VALU_DEP_1) | instskip(NEXT) | instid1(VALU_DEP_1)
	v_mul_f32_e32 v32, v30, v30
	v_fmaak_f32 v33, s74, v32, 0x3ecc95a3
	s_delay_alu instid0(VALU_DEP_1) | instskip(SKIP_2) | instid1(VALU_DEP_3)
	v_dual_mul_f32 v35, v30, v32 :: v_dual_fmaak_f32 v32, v32, v33, 0x3f2aaada
	v_ldexp_f32 v33, v30, 1
	v_sub_f32_e32 v30, v30, v31
	v_mul_f32_e32 v32, v35, v32
	v_mul_f32_e32 v35, 0x3f317218, v28
	s_delay_alu instid0(VALU_DEP_3) | instskip(NEXT) | instid1(VALU_DEP_3)
	v_sub_f32_e32 v29, v29, v30
	v_add_f32_e32 v31, v33, v32
	s_delay_alu instid0(VALU_DEP_2) | instskip(NEXT) | instid1(VALU_DEP_2)
	v_ldexp_f32 v29, v29, 1
	v_sub_f32_e32 v30, v31, v33
	v_fma_f32 v33, 0x3f317218, v28, -v35
	s_delay_alu instid0(VALU_DEP_1) | instskip(NEXT) | instid1(VALU_DEP_1)
	v_dual_sub_f32 v30, v32, v30 :: v_dual_fmac_f32 v33, 0xb102e308, v28
	v_dual_add_f32 v28, v29, v30 :: v_dual_add_f32 v29, v35, v33
	s_delay_alu instid0(VALU_DEP_1) | instskip(NEXT) | instid1(VALU_DEP_1)
	v_dual_add_f32 v30, v31, v28 :: v_dual_sub_f32 v35, v29, v35
	v_dual_add_f32 v32, v29, v30 :: v_dual_sub_f32 v31, v30, v31
	s_delay_alu instid0(VALU_DEP_2) | instskip(NEXT) | instid1(VALU_DEP_2)
	v_sub_f32_e32 v33, v33, v35
	v_sub_f32_e32 v117, v32, v29
	s_delay_alu instid0(VALU_DEP_3) | instskip(NEXT) | instid1(VALU_DEP_2)
	v_sub_f32_e32 v28, v28, v31
	v_sub_f32_e32 v118, v32, v117
	s_delay_alu instid0(VALU_DEP_2) | instskip(NEXT) | instid1(VALU_DEP_2)
	v_dual_sub_f32 v30, v30, v117 :: v_dual_add_f32 v31, v33, v28
	v_sub_f32_e32 v29, v29, v118
	s_delay_alu instid0(VALU_DEP_1) | instskip(NEXT) | instid1(VALU_DEP_3)
	v_add_f32_e32 v29, v30, v29
	v_sub_f32_e32 v30, v31, v33
	s_delay_alu instid0(VALU_DEP_2) | instskip(NEXT) | instid1(VALU_DEP_2)
	v_add_f32_e32 v29, v31, v29
	v_sub_f32_e32 v31, v31, v30
	v_sub_f32_e32 v28, v28, v30
	s_delay_alu instid0(VALU_DEP_3) | instskip(NEXT) | instid1(VALU_DEP_1)
	v_add_f32_e32 v35, v32, v29
	v_dual_sub_f32 v31, v33, v31 :: v_dual_sub_f32 v30, v35, v32
	s_delay_alu instid0(VALU_DEP_1) | instskip(NEXT) | instid1(VALU_DEP_1)
	v_dual_add_f32 v28, v28, v31 :: v_dual_sub_f32 v29, v29, v30
	v_add_f32_e32 v28, v28, v29
	s_delay_alu instid0(VALU_DEP_1) | instskip(NEXT) | instid1(VALU_DEP_1)
	v_add_f32_e32 v28, v35, v28
	v_cndmask_b32_e32 v117, v28, v26, vcc_lo
.LBB156_88:                             ;   in Loop: Header=BB156_12 Depth=1
	s_or_b32 exec_lo, exec_lo, s30
	v_add_f32_e32 v118, s85, v27
	s_delay_alu instid0(VALU_DEP_1) | instskip(SKIP_1) | instid1(SALU_CYCLE_1)
	v_cmp_ge_f32_e32 vcc_lo, 0x41a00000, v118
	s_and_b32 s29, s92, vcc_lo
	s_and_saveexec_b32 s30, s29
	s_cbranch_execz .LBB156_90
; %bb.89:                               ;   in Loop: Header=BB156_12 Depth=1
	v_mul_f32_e32 v26, 0x3fb8aa3b, v118
	v_cmp_ngt_f32_e32 vcc_lo, 0xc2ce8ed0, v118
	s_delay_alu instid0(VALU_DEP_2) | instskip(SKIP_1) | instid1(VALU_DEP_2)
	v_rndne_f32_e32 v27, v26
	v_fma_f32 v28, 0x3fb8aa3b, v118, -v26
	v_sub_f32_e32 v26, v26, v27
	s_delay_alu instid0(VALU_DEP_2) | instskip(SKIP_1) | instid1(VALU_DEP_2)
	v_fmac_f32_e32 v28, 0x32a5705f, v118
	v_cvt_i32_f32_e32 v27, v27
	v_add_f32_e32 v26, v26, v28
	s_delay_alu instid0(VALU_DEP_1) | instskip(SKIP_2) | instid1(VALU_DEP_1)
	v_exp_f32_e32 v26, v26
	s_waitcnt_depctr 0xfff
	v_ldexp_f32 v26, v26, v27
	v_cndmask_b32_e32 v26, 0, v26, vcc_lo
	v_cmp_nlt_f32_e32 vcc_lo, 0x42b17218, v118
	s_delay_alu instid0(VALU_DEP_2) | instskip(NEXT) | instid1(VALU_DEP_1)
	v_cndmask_b32_e32 v28, 0x7f800000, v26, vcc_lo
	v_add_f32_e32 v29, 1.0, v28
	s_delay_alu instid0(VALU_DEP_1) | instskip(NEXT) | instid1(VALU_DEP_1)
	v_cvt_f64_f32_e32 v[26:27], v29
	v_frexp_exp_i32_f64_e32 v26, v[26:27]
	v_frexp_mant_f32_e32 v27, v29
	s_delay_alu instid0(VALU_DEP_1) | instskip(SKIP_1) | instid1(VALU_DEP_1)
	v_cmp_gt_f32_e32 vcc_lo, 0x3f2aaaab, v27
	v_add_f32_e32 v27, -1.0, v29
	v_sub_f32_e32 v31, v27, v29
	v_sub_f32_e32 v27, v28, v27
	s_delay_alu instid0(VALU_DEP_2) | instskip(NEXT) | instid1(VALU_DEP_1)
	v_add_f32_e32 v31, 1.0, v31
	v_add_f32_e32 v27, v27, v31
	v_cmp_gt_f32_e64 s29, 0x33800000, v28
	v_subrev_co_ci_u32_e32 v26, vcc_lo, 0, v26, vcc_lo
	v_cmp_eq_f32_e32 vcc_lo, 0x7f800000, v28
	s_delay_alu instid0(VALU_DEP_2) | instskip(SKIP_2) | instid1(VALU_DEP_2)
	v_sub_nc_u32_e32 v30, 0, v26
	v_cvt_f32_i32_e32 v26, v26
	s_or_b32 vcc_lo, s29, vcc_lo
	v_ldexp_f32 v29, v29, v30
	v_ldexp_f32 v27, v27, v30
	s_delay_alu instid0(VALU_DEP_2) | instskip(NEXT) | instid1(VALU_DEP_1)
	v_add_f32_e32 v32, 1.0, v29
	v_dual_add_f32 v30, -1.0, v29 :: v_dual_add_f32 v31, -1.0, v32
	s_delay_alu instid0(VALU_DEP_1) | instskip(NEXT) | instid1(VALU_DEP_2)
	v_add_f32_e32 v33, 1.0, v30
	v_sub_f32_e32 v31, v29, v31
	s_delay_alu instid0(VALU_DEP_2) | instskip(NEXT) | instid1(VALU_DEP_2)
	v_sub_f32_e32 v29, v29, v33
	v_add_f32_e32 v31, v27, v31
	s_delay_alu instid0(VALU_DEP_2) | instskip(NEXT) | instid1(VALU_DEP_2)
	v_add_f32_e32 v27, v27, v29
	v_add_f32_e32 v33, v32, v31
	s_delay_alu instid0(VALU_DEP_1) | instskip(NEXT) | instid1(VALU_DEP_2)
	v_rcp_f32_e32 v29, v33
	v_dual_add_f32 v35, v30, v27 :: v_dual_sub_f32 v32, v32, v33
	s_delay_alu instid0(VALU_DEP_1) | instskip(SKIP_3) | instid1(VALU_DEP_2)
	v_sub_f32_e32 v30, v30, v35
	s_waitcnt_depctr 0xfff
	v_mul_f32_e32 v118, v35, v29
	v_add_f32_e32 v27, v27, v30
	v_mul_f32_e32 v119, v33, v118
	v_add_f32_e32 v31, v31, v32
	s_delay_alu instid0(VALU_DEP_2) | instskip(NEXT) | instid1(VALU_DEP_1)
	v_fma_f32 v32, v118, v33, -v119
	v_fmac_f32_e32 v32, v118, v31
	s_delay_alu instid0(VALU_DEP_1) | instskip(NEXT) | instid1(VALU_DEP_1)
	v_add_f32_e32 v120, v119, v32
	v_dual_sub_f32 v30, v120, v119 :: v_dual_sub_f32 v121, v35, v120
	s_delay_alu instid0(VALU_DEP_1) | instskip(NEXT) | instid1(VALU_DEP_1)
	v_dual_sub_f32 v30, v30, v32 :: v_dual_sub_f32 v35, v35, v121
	v_sub_f32_e32 v35, v35, v120
	s_delay_alu instid0(VALU_DEP_1) | instskip(NEXT) | instid1(VALU_DEP_1)
	v_add_f32_e32 v27, v27, v35
	v_add_f32_e32 v27, v30, v27
	s_delay_alu instid0(VALU_DEP_1) | instskip(NEXT) | instid1(VALU_DEP_1)
	v_add_f32_e32 v30, v121, v27
	v_mul_f32_e32 v32, v29, v30
	v_sub_f32_e32 v120, v121, v30
	s_delay_alu instid0(VALU_DEP_2) | instskip(NEXT) | instid1(VALU_DEP_2)
	v_mul_f32_e32 v35, v33, v32
	v_add_f32_e32 v27, v27, v120
	s_delay_alu instid0(VALU_DEP_2) | instskip(NEXT) | instid1(VALU_DEP_1)
	v_fma_f32 v33, v32, v33, -v35
	v_fmac_f32_e32 v33, v32, v31
	s_delay_alu instid0(VALU_DEP_1) | instskip(NEXT) | instid1(VALU_DEP_1)
	v_add_f32_e32 v31, v35, v33
	v_sub_f32_e32 v119, v30, v31
	v_sub_f32_e32 v35, v31, v35
	s_delay_alu instid0(VALU_DEP_2) | instskip(NEXT) | instid1(VALU_DEP_1)
	v_sub_f32_e32 v30, v30, v119
	v_dual_sub_f32 v30, v30, v31 :: v_dual_sub_f32 v31, v35, v33
	s_delay_alu instid0(VALU_DEP_1) | instskip(NEXT) | instid1(VALU_DEP_1)
	v_dual_add_f32 v27, v27, v30 :: v_dual_add_f32 v30, v118, v32
	v_add_f32_e32 v27, v31, v27
	s_delay_alu instid0(VALU_DEP_2) | instskip(NEXT) | instid1(VALU_DEP_2)
	v_sub_f32_e32 v31, v30, v118
	v_add_f32_e32 v27, v119, v27
	s_delay_alu instid0(VALU_DEP_2) | instskip(NEXT) | instid1(VALU_DEP_2)
	v_sub_f32_e32 v31, v32, v31
	v_mul_f32_e32 v27, v29, v27
	s_delay_alu instid0(VALU_DEP_1) | instskip(NEXT) | instid1(VALU_DEP_1)
	v_add_f32_e32 v27, v31, v27
	v_add_f32_e32 v29, v30, v27
	s_delay_alu instid0(VALU_DEP_1) | instskip(NEXT) | instid1(VALU_DEP_1)
	v_mul_f32_e32 v31, v29, v29
	v_fmaak_f32 v32, s74, v31, 0x3ecc95a3
	v_mul_f32_e32 v33, v29, v31
	s_delay_alu instid0(VALU_DEP_2) | instskip(SKIP_2) | instid1(VALU_DEP_3)
	v_fmaak_f32 v31, v31, v32, 0x3f2aaada
	v_ldexp_f32 v32, v29, 1
	v_sub_f32_e32 v29, v29, v30
	v_mul_f32_e32 v31, v33, v31
	v_mul_f32_e32 v33, 0x3f317218, v26
	s_delay_alu instid0(VALU_DEP_2) | instskip(NEXT) | instid1(VALU_DEP_1)
	v_dual_sub_f32 v27, v27, v29 :: v_dual_add_f32 v30, v32, v31
	v_ldexp_f32 v27, v27, 1
	s_delay_alu instid0(VALU_DEP_2) | instskip(NEXT) | instid1(VALU_DEP_4)
	v_sub_f32_e32 v29, v30, v32
	v_fma_f32 v32, 0x3f317218, v26, -v33
	s_delay_alu instid0(VALU_DEP_1) | instskip(NEXT) | instid1(VALU_DEP_1)
	v_dual_sub_f32 v29, v31, v29 :: v_dual_fmac_f32 v32, 0xb102e308, v26
	v_dual_add_f32 v26, v27, v29 :: v_dual_add_f32 v27, v33, v32
	s_delay_alu instid0(VALU_DEP_1) | instskip(NEXT) | instid1(VALU_DEP_2)
	v_add_f32_e32 v29, v30, v26
	v_sub_f32_e32 v33, v27, v33
	s_delay_alu instid0(VALU_DEP_2) | instskip(NEXT) | instid1(VALU_DEP_1)
	v_dual_add_f32 v31, v27, v29 :: v_dual_sub_f32 v30, v29, v30
	v_dual_sub_f32 v32, v32, v33 :: v_dual_sub_f32 v35, v31, v27
	s_delay_alu instid0(VALU_DEP_2) | instskip(NEXT) | instid1(VALU_DEP_2)
	v_sub_f32_e32 v26, v26, v30
	v_sub_f32_e32 v118, v31, v35
	s_delay_alu instid0(VALU_DEP_2) | instskip(NEXT) | instid1(VALU_DEP_2)
	v_dual_sub_f32 v29, v29, v35 :: v_dual_add_f32 v30, v32, v26
	v_sub_f32_e32 v27, v27, v118
	s_delay_alu instid0(VALU_DEP_1) | instskip(NEXT) | instid1(VALU_DEP_3)
	v_add_f32_e32 v27, v29, v27
	v_sub_f32_e32 v29, v30, v32
	s_delay_alu instid0(VALU_DEP_2) | instskip(NEXT) | instid1(VALU_DEP_2)
	v_add_f32_e32 v27, v30, v27
	v_sub_f32_e32 v30, v30, v29
	s_delay_alu instid0(VALU_DEP_2) | instskip(NEXT) | instid1(VALU_DEP_1)
	v_dual_sub_f32 v26, v26, v29 :: v_dual_add_f32 v33, v31, v27
	v_dual_sub_f32 v30, v32, v30 :: v_dual_sub_f32 v29, v33, v31
	s_delay_alu instid0(VALU_DEP_1) | instskip(NEXT) | instid1(VALU_DEP_1)
	v_dual_add_f32 v26, v26, v30 :: v_dual_sub_f32 v27, v27, v29
	v_add_f32_e32 v26, v26, v27
	s_delay_alu instid0(VALU_DEP_1) | instskip(NEXT) | instid1(VALU_DEP_1)
	v_add_f32_e32 v26, v33, v26
	v_cndmask_b32_e32 v118, v26, v28, vcc_lo
.LBB156_90:                             ;   in Loop: Header=BB156_12 Depth=1
	s_or_b32 exec_lo, exec_lo, s30
	s_waitcnt lgkmcnt(3)
	v_add_f32_e32 v119, s85, v24
	s_delay_alu instid0(VALU_DEP_1) | instskip(SKIP_1) | instid1(SALU_CYCLE_1)
	v_cmp_ge_f32_e32 vcc_lo, 0x41a00000, v119
	s_and_b32 s29, s92, vcc_lo
	s_and_saveexec_b32 s30, s29
	s_cbranch_execz .LBB156_92
; %bb.91:                               ;   in Loop: Header=BB156_12 Depth=1
	v_mul_f32_e32 v24, 0x3fb8aa3b, v119
	v_cmp_ngt_f32_e32 vcc_lo, 0xc2ce8ed0, v119
	s_delay_alu instid0(VALU_DEP_2) | instskip(SKIP_1) | instid1(VALU_DEP_1)
	v_rndne_f32_e32 v26, v24
	v_fma_f32 v27, 0x3fb8aa3b, v119, -v24
	v_dual_sub_f32 v24, v24, v26 :: v_dual_fmac_f32 v27, 0x32a5705f, v119
	v_cvt_i32_f32_e32 v26, v26
	s_delay_alu instid0(VALU_DEP_2) | instskip(NEXT) | instid1(VALU_DEP_1)
	v_add_f32_e32 v24, v24, v27
	v_exp_f32_e32 v24, v24
	s_waitcnt_depctr 0xfff
	v_ldexp_f32 v24, v24, v26
	s_delay_alu instid0(VALU_DEP_1) | instskip(SKIP_1) | instid1(VALU_DEP_2)
	v_cndmask_b32_e32 v24, 0, v24, vcc_lo
	v_cmp_nlt_f32_e32 vcc_lo, 0x42b17218, v119
	v_cndmask_b32_e32 v24, 0x7f800000, v24, vcc_lo
	s_delay_alu instid0(VALU_DEP_1) | instskip(NEXT) | instid1(VALU_DEP_1)
	v_add_f32_e32 v28, 1.0, v24
	v_cvt_f64_f32_e32 v[26:27], v28
	s_delay_alu instid0(VALU_DEP_1) | instskip(SKIP_1) | instid1(VALU_DEP_1)
	v_frexp_exp_i32_f64_e32 v26, v[26:27]
	v_frexp_mant_f32_e32 v27, v28
	v_cmp_gt_f32_e32 vcc_lo, 0x3f2aaaab, v27
	v_add_f32_e32 v27, -1.0, v28
	s_delay_alu instid0(VALU_DEP_1) | instskip(SKIP_1) | instid1(VALU_DEP_1)
	v_dual_sub_f32 v30, v27, v28 :: v_dual_sub_f32 v27, v24, v27
	v_subrev_co_ci_u32_e32 v26, vcc_lo, 0, v26, vcc_lo
	v_sub_nc_u32_e32 v29, 0, v26
	v_cvt_f32_i32_e32 v26, v26
	s_delay_alu instid0(VALU_DEP_2) | instskip(NEXT) | instid1(VALU_DEP_1)
	v_ldexp_f32 v28, v28, v29
	v_dual_add_f32 v30, 1.0, v30 :: v_dual_add_f32 v31, 1.0, v28
	s_delay_alu instid0(VALU_DEP_1) | instskip(NEXT) | instid1(VALU_DEP_1)
	v_add_f32_e32 v27, v27, v30
	v_ldexp_f32 v27, v27, v29
	s_delay_alu instid0(VALU_DEP_3) | instskip(NEXT) | instid1(VALU_DEP_1)
	v_dual_add_f32 v29, -1.0, v28 :: v_dual_add_f32 v30, -1.0, v31
	v_add_f32_e32 v32, 1.0, v29
	s_delay_alu instid0(VALU_DEP_2) | instskip(NEXT) | instid1(VALU_DEP_2)
	v_sub_f32_e32 v30, v28, v30
	v_sub_f32_e32 v28, v28, v32
	s_delay_alu instid0(VALU_DEP_2) | instskip(NEXT) | instid1(VALU_DEP_2)
	v_add_f32_e32 v30, v27, v30
	v_add_f32_e32 v27, v27, v28
	s_delay_alu instid0(VALU_DEP_1) | instskip(SKIP_2) | instid1(VALU_DEP_3)
	v_dual_add_f32 v33, v29, v27 :: v_dual_add_f32 v32, v31, v30
	v_cmp_eq_f32_e32 vcc_lo, 0x7f800000, v24
	v_cmp_gt_f32_e64 s29, 0x33800000, v24
	v_sub_f32_e32 v29, v29, v33
	s_delay_alu instid0(VALU_DEP_4) | instskip(SKIP_1) | instid1(VALU_DEP_3)
	v_rcp_f32_e32 v28, v32
	v_sub_f32_e32 v31, v31, v32
	s_or_b32 vcc_lo, s29, vcc_lo
	s_delay_alu instid0(VALU_DEP_1) | instskip(SKIP_2) | instid1(VALU_DEP_1)
	v_dual_add_f32 v27, v27, v29 :: v_dual_add_f32 v30, v30, v31
	s_waitcnt_depctr 0xfff
	v_mul_f32_e32 v35, v33, v28
	v_mul_f32_e32 v119, v32, v35
	s_delay_alu instid0(VALU_DEP_1) | instskip(NEXT) | instid1(VALU_DEP_1)
	v_fma_f32 v31, v35, v32, -v119
	v_fmac_f32_e32 v31, v35, v30
	s_delay_alu instid0(VALU_DEP_1) | instskip(NEXT) | instid1(VALU_DEP_1)
	v_add_f32_e32 v120, v119, v31
	v_sub_f32_e32 v121, v33, v120
	v_sub_f32_e32 v29, v120, v119
	s_delay_alu instid0(VALU_DEP_2) | instskip(NEXT) | instid1(VALU_DEP_2)
	v_sub_f32_e32 v33, v33, v121
	v_sub_f32_e32 v29, v29, v31
	s_delay_alu instid0(VALU_DEP_2) | instskip(NEXT) | instid1(VALU_DEP_1)
	v_sub_f32_e32 v33, v33, v120
	v_add_f32_e32 v27, v27, v33
	s_delay_alu instid0(VALU_DEP_1) | instskip(NEXT) | instid1(VALU_DEP_1)
	v_add_f32_e32 v27, v29, v27
	v_add_f32_e32 v29, v121, v27
	s_delay_alu instid0(VALU_DEP_1) | instskip(NEXT) | instid1(VALU_DEP_1)
	v_mul_f32_e32 v31, v28, v29
	v_dual_sub_f32 v120, v121, v29 :: v_dual_mul_f32 v33, v32, v31
	s_delay_alu instid0(VALU_DEP_1) | instskip(NEXT) | instid1(VALU_DEP_2)
	v_add_f32_e32 v27, v27, v120
	v_fma_f32 v32, v31, v32, -v33
	s_delay_alu instid0(VALU_DEP_1) | instskip(NEXT) | instid1(VALU_DEP_1)
	v_fmac_f32_e32 v32, v31, v30
	v_add_f32_e32 v30, v33, v32
	s_delay_alu instid0(VALU_DEP_1) | instskip(NEXT) | instid1(VALU_DEP_1)
	v_sub_f32_e32 v119, v29, v30
	v_sub_f32_e32 v29, v29, v119
	s_delay_alu instid0(VALU_DEP_1) | instskip(NEXT) | instid1(VALU_DEP_1)
	v_sub_f32_e32 v29, v29, v30
	v_add_f32_e32 v27, v27, v29
	v_add_f32_e32 v29, v35, v31
	v_sub_f32_e32 v33, v30, v33
	s_delay_alu instid0(VALU_DEP_1) | instskip(NEXT) | instid1(VALU_DEP_1)
	v_sub_f32_e32 v30, v33, v32
	v_add_f32_e32 v27, v30, v27
	s_delay_alu instid0(VALU_DEP_4) | instskip(NEXT) | instid1(VALU_DEP_2)
	v_sub_f32_e32 v30, v29, v35
	v_add_f32_e32 v27, v119, v27
	s_delay_alu instid0(VALU_DEP_1) | instskip(NEXT) | instid1(VALU_DEP_1)
	v_dual_sub_f32 v30, v31, v30 :: v_dual_mul_f32 v27, v28, v27
	v_add_f32_e32 v27, v30, v27
	s_delay_alu instid0(VALU_DEP_1) | instskip(NEXT) | instid1(VALU_DEP_1)
	v_add_f32_e32 v28, v29, v27
	v_mul_f32_e32 v30, v28, v28
	s_delay_alu instid0(VALU_DEP_1) | instskip(SKIP_1) | instid1(VALU_DEP_2)
	v_fmaak_f32 v31, s74, v30, 0x3ecc95a3
	v_mul_f32_e32 v32, v28, v30
	v_fmaak_f32 v30, v30, v31, 0x3f2aaada
	v_ldexp_f32 v31, v28, 1
	v_sub_f32_e32 v28, v28, v29
	s_delay_alu instid0(VALU_DEP_3) | instskip(NEXT) | instid1(VALU_DEP_2)
	v_mul_f32_e32 v30, v32, v30
	v_dual_mul_f32 v32, 0x3f317218, v26 :: v_dual_sub_f32 v27, v27, v28
	s_delay_alu instid0(VALU_DEP_2) | instskip(NEXT) | instid1(VALU_DEP_2)
	v_add_f32_e32 v29, v31, v30
	v_ldexp_f32 v27, v27, 1
	s_delay_alu instid0(VALU_DEP_2) | instskip(NEXT) | instid1(VALU_DEP_4)
	v_sub_f32_e32 v28, v29, v31
	v_fma_f32 v31, 0x3f317218, v26, -v32
	s_delay_alu instid0(VALU_DEP_1) | instskip(NEXT) | instid1(VALU_DEP_1)
	v_dual_sub_f32 v28, v30, v28 :: v_dual_fmac_f32 v31, 0xb102e308, v26
	v_add_f32_e32 v26, v27, v28
	s_delay_alu instid0(VALU_DEP_1) | instskip(NEXT) | instid1(VALU_DEP_1)
	v_add_f32_e32 v28, v29, v26
	v_sub_f32_e32 v29, v28, v29
	s_delay_alu instid0(VALU_DEP_1) | instskip(NEXT) | instid1(VALU_DEP_1)
	v_dual_sub_f32 v26, v26, v29 :: v_dual_add_f32 v27, v32, v31
	v_add_f32_e32 v30, v27, v28
	s_delay_alu instid0(VALU_DEP_1) | instskip(NEXT) | instid1(VALU_DEP_1)
	v_dual_sub_f32 v32, v27, v32 :: v_dual_sub_f32 v33, v30, v27
	v_dual_sub_f32 v31, v31, v32 :: v_dual_sub_f32 v28, v28, v33
	s_delay_alu instid0(VALU_DEP_1) | instskip(SKIP_1) | instid1(VALU_DEP_1)
	v_add_f32_e32 v29, v31, v26
	v_sub_f32_e32 v35, v30, v33
	v_sub_f32_e32 v27, v27, v35
	s_delay_alu instid0(VALU_DEP_1) | instskip(NEXT) | instid1(VALU_DEP_4)
	v_add_f32_e32 v27, v28, v27
	v_sub_f32_e32 v28, v29, v31
	s_delay_alu instid0(VALU_DEP_2) | instskip(NEXT) | instid1(VALU_DEP_2)
	v_add_f32_e32 v27, v29, v27
	v_sub_f32_e32 v29, v29, v28
	v_sub_f32_e32 v26, v26, v28
	s_delay_alu instid0(VALU_DEP_2) | instskip(NEXT) | instid1(VALU_DEP_1)
	v_dual_add_f32 v32, v30, v27 :: v_dual_sub_f32 v29, v31, v29
	v_sub_f32_e32 v28, v32, v30
	s_delay_alu instid0(VALU_DEP_1) | instskip(NEXT) | instid1(VALU_DEP_1)
	v_dual_add_f32 v26, v26, v29 :: v_dual_sub_f32 v27, v27, v28
	v_add_f32_e32 v26, v26, v27
	s_delay_alu instid0(VALU_DEP_1) | instskip(NEXT) | instid1(VALU_DEP_1)
	v_add_f32_e32 v26, v32, v26
	v_cndmask_b32_e32 v119, v26, v24, vcc_lo
.LBB156_92:                             ;   in Loop: Header=BB156_12 Depth=1
	s_or_b32 exec_lo, exec_lo, s30
	v_add_f32_e32 v128, s85, v25
	s_delay_alu instid0(VALU_DEP_1) | instskip(SKIP_1) | instid1(SALU_CYCLE_1)
	v_cmp_ge_f32_e32 vcc_lo, 0x41a00000, v128
	s_and_b32 s29, s92, vcc_lo
	s_and_saveexec_b32 s30, s29
	s_cbranch_execz .LBB156_94
; %bb.93:                               ;   in Loop: Header=BB156_12 Depth=1
	v_mul_f32_e32 v24, 0x3fb8aa3b, v128
	v_cmp_ngt_f32_e32 vcc_lo, 0xc2ce8ed0, v128
	s_delay_alu instid0(VALU_DEP_2) | instskip(SKIP_1) | instid1(VALU_DEP_2)
	v_rndne_f32_e32 v25, v24
	v_fma_f32 v26, 0x3fb8aa3b, v128, -v24
	v_sub_f32_e32 v24, v24, v25
	s_delay_alu instid0(VALU_DEP_2) | instskip(SKIP_1) | instid1(VALU_DEP_2)
	v_fmac_f32_e32 v26, 0x32a5705f, v128
	v_cvt_i32_f32_e32 v25, v25
	v_add_f32_e32 v24, v24, v26
	s_delay_alu instid0(VALU_DEP_1) | instskip(SKIP_2) | instid1(VALU_DEP_1)
	v_exp_f32_e32 v24, v24
	s_waitcnt_depctr 0xfff
	v_ldexp_f32 v24, v24, v25
	v_cndmask_b32_e32 v24, 0, v24, vcc_lo
	v_cmp_nlt_f32_e32 vcc_lo, 0x42b17218, v128
	s_delay_alu instid0(VALU_DEP_2) | instskip(NEXT) | instid1(VALU_DEP_1)
	v_cndmask_b32_e32 v26, 0x7f800000, v24, vcc_lo
	v_add_f32_e32 v27, 1.0, v26
	s_delay_alu instid0(VALU_DEP_1) | instskip(NEXT) | instid1(VALU_DEP_1)
	v_cvt_f64_f32_e32 v[24:25], v27
	v_frexp_exp_i32_f64_e32 v24, v[24:25]
	v_frexp_mant_f32_e32 v25, v27
	s_delay_alu instid0(VALU_DEP_1) | instskip(SKIP_1) | instid1(VALU_DEP_1)
	v_cmp_gt_f32_e32 vcc_lo, 0x3f2aaaab, v25
	v_add_f32_e32 v25, -1.0, v27
	v_sub_f32_e32 v29, v25, v27
	v_sub_f32_e32 v25, v26, v25
	s_delay_alu instid0(VALU_DEP_2) | instskip(NEXT) | instid1(VALU_DEP_1)
	v_add_f32_e32 v29, 1.0, v29
	v_add_f32_e32 v25, v25, v29
	v_cmp_gt_f32_e64 s29, 0x33800000, v26
	v_subrev_co_ci_u32_e32 v24, vcc_lo, 0, v24, vcc_lo
	v_cmp_eq_f32_e32 vcc_lo, 0x7f800000, v26
	s_delay_alu instid0(VALU_DEP_2) | instskip(SKIP_2) | instid1(VALU_DEP_2)
	v_sub_nc_u32_e32 v28, 0, v24
	v_cvt_f32_i32_e32 v24, v24
	s_or_b32 vcc_lo, s29, vcc_lo
	v_ldexp_f32 v27, v27, v28
	v_ldexp_f32 v25, v25, v28
	s_delay_alu instid0(VALU_DEP_2) | instskip(NEXT) | instid1(VALU_DEP_1)
	v_add_f32_e32 v30, 1.0, v27
	v_dual_add_f32 v28, -1.0, v27 :: v_dual_add_f32 v29, -1.0, v30
	s_delay_alu instid0(VALU_DEP_1) | instskip(NEXT) | instid1(VALU_DEP_2)
	v_add_f32_e32 v31, 1.0, v28
	v_sub_f32_e32 v29, v27, v29
	s_delay_alu instid0(VALU_DEP_2) | instskip(NEXT) | instid1(VALU_DEP_2)
	v_sub_f32_e32 v27, v27, v31
	v_add_f32_e32 v29, v25, v29
	s_delay_alu instid0(VALU_DEP_2) | instskip(NEXT) | instid1(VALU_DEP_2)
	v_add_f32_e32 v25, v25, v27
	v_add_f32_e32 v31, v30, v29
	s_delay_alu instid0(VALU_DEP_2) | instskip(NEXT) | instid1(VALU_DEP_2)
	v_add_f32_e32 v32, v28, v25
	v_rcp_f32_e32 v27, v31
	v_sub_f32_e32 v30, v30, v31
	s_delay_alu instid0(VALU_DEP_1) | instskip(SKIP_2) | instid1(VALU_DEP_1)
	v_dual_sub_f32 v28, v28, v32 :: v_dual_add_f32 v29, v29, v30
	s_waitcnt_depctr 0xfff
	v_mul_f32_e32 v33, v32, v27
	v_mul_f32_e32 v35, v31, v33
	s_delay_alu instid0(VALU_DEP_1) | instskip(NEXT) | instid1(VALU_DEP_1)
	v_fma_f32 v30, v33, v31, -v35
	v_fmac_f32_e32 v30, v33, v29
	s_delay_alu instid0(VALU_DEP_1) | instskip(NEXT) | instid1(VALU_DEP_1)
	v_add_f32_e32 v120, v35, v30
	v_sub_f32_e32 v121, v32, v120
	s_delay_alu instid0(VALU_DEP_1) | instskip(NEXT) | instid1(VALU_DEP_1)
	v_sub_f32_e32 v32, v32, v121
	v_sub_f32_e32 v32, v32, v120
	v_dual_add_f32 v25, v25, v28 :: v_dual_sub_f32 v28, v120, v35
	s_delay_alu instid0(VALU_DEP_1) | instskip(NEXT) | instid1(VALU_DEP_1)
	v_dual_add_f32 v25, v25, v32 :: v_dual_sub_f32 v28, v28, v30
	v_add_f32_e32 v25, v28, v25
	s_delay_alu instid0(VALU_DEP_1) | instskip(NEXT) | instid1(VALU_DEP_1)
	v_add_f32_e32 v28, v121, v25
	v_mul_f32_e32 v30, v27, v28
	s_delay_alu instid0(VALU_DEP_1) | instskip(SKIP_1) | instid1(VALU_DEP_2)
	v_mul_f32_e32 v32, v31, v30
	v_sub_f32_e32 v120, v121, v28
	v_fma_f32 v31, v30, v31, -v32
	s_delay_alu instid0(VALU_DEP_2) | instskip(NEXT) | instid1(VALU_DEP_2)
	v_add_f32_e32 v25, v25, v120
	v_fmac_f32_e32 v31, v30, v29
	s_delay_alu instid0(VALU_DEP_1) | instskip(NEXT) | instid1(VALU_DEP_1)
	v_add_f32_e32 v29, v32, v31
	v_sub_f32_e32 v35, v28, v29
	s_delay_alu instid0(VALU_DEP_1) | instskip(NEXT) | instid1(VALU_DEP_1)
	v_sub_f32_e32 v28, v28, v35
	v_sub_f32_e32 v28, v28, v29
	s_delay_alu instid0(VALU_DEP_1) | instskip(SKIP_2) | instid1(VALU_DEP_1)
	v_add_f32_e32 v25, v25, v28
	v_add_f32_e32 v28, v33, v30
	v_sub_f32_e32 v32, v29, v32
	v_sub_f32_e32 v29, v32, v31
	s_delay_alu instid0(VALU_DEP_1) | instskip(NEXT) | instid1(VALU_DEP_4)
	v_add_f32_e32 v25, v29, v25
	v_sub_f32_e32 v29, v28, v33
	s_delay_alu instid0(VALU_DEP_2) | instskip(NEXT) | instid1(VALU_DEP_2)
	v_add_f32_e32 v25, v35, v25
	v_sub_f32_e32 v29, v30, v29
	s_delay_alu instid0(VALU_DEP_2) | instskip(NEXT) | instid1(VALU_DEP_1)
	v_mul_f32_e32 v25, v27, v25
	v_add_f32_e32 v25, v29, v25
	s_delay_alu instid0(VALU_DEP_1) | instskip(NEXT) | instid1(VALU_DEP_1)
	v_add_f32_e32 v27, v28, v25
	v_mul_f32_e32 v29, v27, v27
	s_delay_alu instid0(VALU_DEP_1) | instskip(SKIP_1) | instid1(VALU_DEP_2)
	v_fmaak_f32 v30, s74, v29, 0x3ecc95a3
	v_mul_f32_e32 v31, v27, v29
	v_fmaak_f32 v29, v29, v30, 0x3f2aaada
	v_ldexp_f32 v30, v27, 1
	s_delay_alu instid0(VALU_DEP_2) | instskip(SKIP_1) | instid1(VALU_DEP_2)
	v_mul_f32_e32 v29, v31, v29
	v_sub_f32_e32 v27, v27, v28
	v_dual_mul_f32 v31, 0x3f317218, v24 :: v_dual_add_f32 v28, v30, v29
	s_delay_alu instid0(VALU_DEP_2) | instskip(NEXT) | instid1(VALU_DEP_2)
	v_sub_f32_e32 v25, v25, v27
	v_sub_f32_e32 v27, v28, v30
	s_delay_alu instid0(VALU_DEP_3) | instskip(NEXT) | instid1(VALU_DEP_3)
	v_fma_f32 v30, 0x3f317218, v24, -v31
	v_ldexp_f32 v25, v25, 1
	s_delay_alu instid0(VALU_DEP_2) | instskip(NEXT) | instid1(VALU_DEP_1)
	v_dual_sub_f32 v27, v29, v27 :: v_dual_fmac_f32 v30, 0xb102e308, v24
	v_dual_add_f32 v24, v25, v27 :: v_dual_add_f32 v25, v31, v30
	s_delay_alu instid0(VALU_DEP_1) | instskip(NEXT) | instid1(VALU_DEP_1)
	v_add_f32_e32 v27, v28, v24
	v_dual_add_f32 v29, v25, v27 :: v_dual_sub_f32 v28, v27, v28
	s_delay_alu instid0(VALU_DEP_1) | instskip(NEXT) | instid1(VALU_DEP_2)
	v_sub_f32_e32 v32, v29, v25
	v_dual_sub_f32 v31, v25, v31 :: v_dual_sub_f32 v24, v24, v28
	s_delay_alu instid0(VALU_DEP_1) | instskip(SKIP_1) | instid1(VALU_DEP_2)
	v_dual_sub_f32 v33, v29, v32 :: v_dual_sub_f32 v30, v30, v31
	v_sub_f32_e32 v27, v27, v32
	v_dual_sub_f32 v25, v25, v33 :: v_dual_add_f32 v28, v30, v24
	s_delay_alu instid0(VALU_DEP_1) | instskip(NEXT) | instid1(VALU_DEP_2)
	v_add_f32_e32 v25, v27, v25
	v_sub_f32_e32 v27, v28, v30
	s_delay_alu instid0(VALU_DEP_2) | instskip(NEXT) | instid1(VALU_DEP_2)
	v_add_f32_e32 v25, v28, v25
	v_sub_f32_e32 v28, v28, v27
	s_delay_alu instid0(VALU_DEP_2) | instskip(NEXT) | instid1(VALU_DEP_1)
	v_dual_sub_f32 v24, v24, v27 :: v_dual_add_f32 v31, v29, v25
	v_dual_sub_f32 v28, v30, v28 :: v_dual_sub_f32 v27, v31, v29
	s_delay_alu instid0(VALU_DEP_1) | instskip(NEXT) | instid1(VALU_DEP_1)
	v_dual_add_f32 v24, v24, v28 :: v_dual_sub_f32 v25, v25, v27
	v_add_f32_e32 v24, v24, v25
	s_delay_alu instid0(VALU_DEP_1) | instskip(NEXT) | instid1(VALU_DEP_1)
	v_add_f32_e32 v24, v31, v24
	v_cndmask_b32_e32 v128, v24, v26, vcc_lo
.LBB156_94:                             ;   in Loop: Header=BB156_12 Depth=1
	s_or_b32 exec_lo, exec_lo, s30
	s_waitcnt lgkmcnt(2)
	v_add_f32_e32 v131, s85, v22
	s_delay_alu instid0(VALU_DEP_1) | instskip(SKIP_1) | instid1(SALU_CYCLE_1)
	v_cmp_ge_f32_e32 vcc_lo, 0x41a00000, v131
	s_and_b32 s29, s92, vcc_lo
	s_and_saveexec_b32 s30, s29
	s_cbranch_execz .LBB156_96
; %bb.95:                               ;   in Loop: Header=BB156_12 Depth=1
	v_mul_f32_e32 v22, 0x3fb8aa3b, v131
	v_cmp_ngt_f32_e32 vcc_lo, 0xc2ce8ed0, v131
	s_delay_alu instid0(VALU_DEP_2) | instskip(SKIP_1) | instid1(VALU_DEP_1)
	v_rndne_f32_e32 v24, v22
	v_fma_f32 v25, 0x3fb8aa3b, v131, -v22
	v_dual_sub_f32 v22, v22, v24 :: v_dual_fmac_f32 v25, 0x32a5705f, v131
	v_cvt_i32_f32_e32 v24, v24
	s_delay_alu instid0(VALU_DEP_2) | instskip(NEXT) | instid1(VALU_DEP_1)
	v_add_f32_e32 v22, v22, v25
	v_exp_f32_e32 v22, v22
	s_waitcnt_depctr 0xfff
	v_ldexp_f32 v22, v22, v24
	s_delay_alu instid0(VALU_DEP_1) | instskip(SKIP_1) | instid1(VALU_DEP_2)
	v_cndmask_b32_e32 v22, 0, v22, vcc_lo
	v_cmp_nlt_f32_e32 vcc_lo, 0x42b17218, v131
	v_cndmask_b32_e32 v22, 0x7f800000, v22, vcc_lo
	s_delay_alu instid0(VALU_DEP_1) | instskip(NEXT) | instid1(VALU_DEP_1)
	v_add_f32_e32 v26, 1.0, v22
	v_cvt_f64_f32_e32 v[24:25], v26
	s_delay_alu instid0(VALU_DEP_1) | instskip(SKIP_1) | instid1(VALU_DEP_1)
	v_frexp_exp_i32_f64_e32 v24, v[24:25]
	v_frexp_mant_f32_e32 v25, v26
	v_cmp_gt_f32_e32 vcc_lo, 0x3f2aaaab, v25
	v_add_f32_e32 v25, -1.0, v26
	s_delay_alu instid0(VALU_DEP_1) | instskip(SKIP_1) | instid1(VALU_DEP_1)
	v_dual_sub_f32 v28, v25, v26 :: v_dual_sub_f32 v25, v22, v25
	v_subrev_co_ci_u32_e32 v24, vcc_lo, 0, v24, vcc_lo
	v_sub_nc_u32_e32 v27, 0, v24
	v_cvt_f32_i32_e32 v24, v24
	s_delay_alu instid0(VALU_DEP_2) | instskip(NEXT) | instid1(VALU_DEP_1)
	v_ldexp_f32 v26, v26, v27
	v_dual_add_f32 v28, 1.0, v28 :: v_dual_add_f32 v29, 1.0, v26
	s_delay_alu instid0(VALU_DEP_1) | instskip(NEXT) | instid1(VALU_DEP_1)
	v_add_f32_e32 v25, v25, v28
	v_ldexp_f32 v25, v25, v27
	s_delay_alu instid0(VALU_DEP_3) | instskip(NEXT) | instid1(VALU_DEP_1)
	v_dual_add_f32 v27, -1.0, v26 :: v_dual_add_f32 v28, -1.0, v29
	v_add_f32_e32 v30, 1.0, v27
	s_delay_alu instid0(VALU_DEP_2) | instskip(NEXT) | instid1(VALU_DEP_2)
	v_sub_f32_e32 v28, v26, v28
	v_sub_f32_e32 v26, v26, v30
	s_delay_alu instid0(VALU_DEP_2) | instskip(NEXT) | instid1(VALU_DEP_2)
	v_add_f32_e32 v28, v25, v28
	v_add_f32_e32 v25, v25, v26
	s_delay_alu instid0(VALU_DEP_1) | instskip(SKIP_2) | instid1(VALU_DEP_3)
	v_add_f32_e32 v31, v27, v25
	v_cmp_eq_f32_e32 vcc_lo, 0x7f800000, v22
	v_cmp_gt_f32_e64 s29, 0x33800000, v22
	v_dual_sub_f32 v27, v27, v31 :: v_dual_add_f32 v30, v29, v28
	s_delay_alu instid0(VALU_DEP_2) | instskip(NEXT) | instid1(VALU_DEP_1)
	s_or_b32 vcc_lo, s29, vcc_lo
	v_add_f32_e32 v25, v25, v27
	s_delay_alu instid0(VALU_DEP_2) | instskip(SKIP_1) | instid1(VALU_DEP_1)
	v_rcp_f32_e32 v26, v30
	v_sub_f32_e32 v29, v29, v30
	v_add_f32_e32 v28, v28, v29
	s_waitcnt_depctr 0xfff
	v_mul_f32_e32 v32, v31, v26
	s_delay_alu instid0(VALU_DEP_1) | instskip(NEXT) | instid1(VALU_DEP_1)
	v_mul_f32_e32 v33, v30, v32
	v_fma_f32 v29, v32, v30, -v33
	s_delay_alu instid0(VALU_DEP_1) | instskip(NEXT) | instid1(VALU_DEP_1)
	v_fmac_f32_e32 v29, v32, v28
	v_add_f32_e32 v35, v33, v29
	s_delay_alu instid0(VALU_DEP_1) | instskip(SKIP_1) | instid1(VALU_DEP_2)
	v_sub_f32_e32 v27, v35, v33
	v_sub_f32_e32 v120, v31, v35
	;; [unrolled: 1-line block ×3, first 2 shown]
	s_delay_alu instid0(VALU_DEP_2) | instskip(NEXT) | instid1(VALU_DEP_1)
	v_sub_f32_e32 v31, v31, v120
	v_sub_f32_e32 v31, v31, v35
	s_delay_alu instid0(VALU_DEP_1) | instskip(NEXT) | instid1(VALU_DEP_1)
	v_add_f32_e32 v25, v25, v31
	v_add_f32_e32 v25, v27, v25
	s_delay_alu instid0(VALU_DEP_1) | instskip(NEXT) | instid1(VALU_DEP_1)
	v_add_f32_e32 v27, v120, v25
	v_mul_f32_e32 v29, v26, v27
	s_delay_alu instid0(VALU_DEP_1) | instskip(SKIP_1) | instid1(VALU_DEP_2)
	v_mul_f32_e32 v31, v30, v29
	v_sub_f32_e32 v35, v120, v27
	v_fma_f32 v30, v29, v30, -v31
	s_delay_alu instid0(VALU_DEP_2) | instskip(NEXT) | instid1(VALU_DEP_2)
	v_add_f32_e32 v25, v25, v35
	v_fmac_f32_e32 v30, v29, v28
	s_delay_alu instid0(VALU_DEP_1) | instskip(NEXT) | instid1(VALU_DEP_1)
	v_add_f32_e32 v28, v31, v30
	v_sub_f32_e32 v33, v27, v28
	v_sub_f32_e32 v31, v28, v31
	s_delay_alu instid0(VALU_DEP_2) | instskip(NEXT) | instid1(VALU_DEP_1)
	v_sub_f32_e32 v27, v27, v33
	v_sub_f32_e32 v27, v27, v28
	s_delay_alu instid0(VALU_DEP_1) | instskip(SKIP_1) | instid1(VALU_DEP_1)
	v_dual_sub_f32 v28, v31, v30 :: v_dual_add_f32 v25, v25, v27
	v_add_f32_e32 v27, v32, v29
	v_dual_add_f32 v25, v28, v25 :: v_dual_sub_f32 v28, v27, v32
	s_delay_alu instid0(VALU_DEP_1) | instskip(NEXT) | instid1(VALU_DEP_1)
	v_add_f32_e32 v25, v33, v25
	v_dual_sub_f32 v28, v29, v28 :: v_dual_mul_f32 v25, v26, v25
	s_delay_alu instid0(VALU_DEP_1) | instskip(NEXT) | instid1(VALU_DEP_1)
	v_add_f32_e32 v25, v28, v25
	v_add_f32_e32 v26, v27, v25
	s_delay_alu instid0(VALU_DEP_1) | instskip(NEXT) | instid1(VALU_DEP_1)
	v_mul_f32_e32 v28, v26, v26
	v_fmaak_f32 v29, s74, v28, 0x3ecc95a3
	v_mul_f32_e32 v30, v26, v28
	s_delay_alu instid0(VALU_DEP_2) | instskip(SKIP_2) | instid1(VALU_DEP_3)
	v_fmaak_f32 v28, v28, v29, 0x3f2aaada
	v_ldexp_f32 v29, v26, 1
	v_sub_f32_e32 v26, v26, v27
	v_mul_f32_e32 v28, v30, v28
	s_delay_alu instid0(VALU_DEP_2) | instskip(NEXT) | instid1(VALU_DEP_2)
	v_dual_mul_f32 v30, 0x3f317218, v24 :: v_dual_sub_f32 v25, v25, v26
	v_add_f32_e32 v27, v29, v28
	s_delay_alu instid0(VALU_DEP_2) | instskip(NEXT) | instid1(VALU_DEP_2)
	v_ldexp_f32 v25, v25, 1
	v_sub_f32_e32 v26, v27, v29
	s_delay_alu instid0(VALU_DEP_4) | instskip(NEXT) | instid1(VALU_DEP_1)
	v_fma_f32 v29, 0x3f317218, v24, -v30
	v_dual_sub_f32 v26, v28, v26 :: v_dual_fmac_f32 v29, 0xb102e308, v24
	s_delay_alu instid0(VALU_DEP_1) | instskip(NEXT) | instid1(VALU_DEP_1)
	v_add_f32_e32 v24, v25, v26
	v_add_f32_e32 v26, v27, v24
	s_delay_alu instid0(VALU_DEP_1) | instskip(NEXT) | instid1(VALU_DEP_1)
	v_sub_f32_e32 v27, v26, v27
	v_dual_sub_f32 v24, v24, v27 :: v_dual_add_f32 v25, v30, v29
	s_delay_alu instid0(VALU_DEP_1) | instskip(NEXT) | instid1(VALU_DEP_1)
	v_add_f32_e32 v28, v25, v26
	v_dual_sub_f32 v30, v25, v30 :: v_dual_sub_f32 v31, v28, v25
	s_delay_alu instid0(VALU_DEP_1) | instskip(NEXT) | instid1(VALU_DEP_1)
	v_dual_sub_f32 v29, v29, v30 :: v_dual_sub_f32 v32, v28, v31
	v_dual_sub_f32 v26, v26, v31 :: v_dual_add_f32 v27, v29, v24
	s_delay_alu instid0(VALU_DEP_2) | instskip(NEXT) | instid1(VALU_DEP_1)
	v_sub_f32_e32 v25, v25, v32
	v_add_f32_e32 v25, v26, v25
	s_delay_alu instid0(VALU_DEP_3) | instskip(NEXT) | instid1(VALU_DEP_2)
	v_sub_f32_e32 v26, v27, v29
	v_add_f32_e32 v25, v27, v25
	s_delay_alu instid0(VALU_DEP_2) | instskip(SKIP_1) | instid1(VALU_DEP_2)
	v_sub_f32_e32 v27, v27, v26
	v_sub_f32_e32 v24, v24, v26
	v_dual_add_f32 v30, v28, v25 :: v_dual_sub_f32 v27, v29, v27
	s_delay_alu instid0(VALU_DEP_1) | instskip(NEXT) | instid1(VALU_DEP_1)
	v_sub_f32_e32 v26, v30, v28
	v_dual_add_f32 v24, v24, v27 :: v_dual_sub_f32 v25, v25, v26
	s_delay_alu instid0(VALU_DEP_1) | instskip(NEXT) | instid1(VALU_DEP_1)
	v_add_f32_e32 v24, v24, v25
	v_add_f32_e32 v24, v30, v24
	s_delay_alu instid0(VALU_DEP_1)
	v_cndmask_b32_e32 v131, v24, v22, vcc_lo
.LBB156_96:                             ;   in Loop: Header=BB156_12 Depth=1
	s_or_b32 exec_lo, exec_lo, s30
	v_add_f32_e32 v137, s85, v23
	s_delay_alu instid0(VALU_DEP_1) | instskip(SKIP_1) | instid1(SALU_CYCLE_1)
	v_cmp_ge_f32_e32 vcc_lo, 0x41a00000, v137
	s_and_b32 s29, s92, vcc_lo
	s_and_saveexec_b32 s30, s29
	s_cbranch_execz .LBB156_98
; %bb.97:                               ;   in Loop: Header=BB156_12 Depth=1
	v_mul_f32_e32 v22, 0x3fb8aa3b, v137
	v_cmp_ngt_f32_e32 vcc_lo, 0xc2ce8ed0, v137
	s_delay_alu instid0(VALU_DEP_2) | instskip(SKIP_1) | instid1(VALU_DEP_2)
	v_rndne_f32_e32 v23, v22
	v_fma_f32 v24, 0x3fb8aa3b, v137, -v22
	v_sub_f32_e32 v22, v22, v23
	s_delay_alu instid0(VALU_DEP_2) | instskip(SKIP_1) | instid1(VALU_DEP_2)
	v_fmac_f32_e32 v24, 0x32a5705f, v137
	v_cvt_i32_f32_e32 v23, v23
	v_add_f32_e32 v22, v22, v24
	s_delay_alu instid0(VALU_DEP_1) | instskip(SKIP_2) | instid1(VALU_DEP_1)
	v_exp_f32_e32 v22, v22
	s_waitcnt_depctr 0xfff
	v_ldexp_f32 v22, v22, v23
	v_cndmask_b32_e32 v22, 0, v22, vcc_lo
	v_cmp_nlt_f32_e32 vcc_lo, 0x42b17218, v137
	s_delay_alu instid0(VALU_DEP_2) | instskip(NEXT) | instid1(VALU_DEP_1)
	v_cndmask_b32_e32 v24, 0x7f800000, v22, vcc_lo
	v_add_f32_e32 v25, 1.0, v24
	s_delay_alu instid0(VALU_DEP_1) | instskip(NEXT) | instid1(VALU_DEP_1)
	v_cvt_f64_f32_e32 v[22:23], v25
	v_frexp_exp_i32_f64_e32 v22, v[22:23]
	v_frexp_mant_f32_e32 v23, v25
	s_delay_alu instid0(VALU_DEP_1) | instskip(SKIP_1) | instid1(VALU_DEP_1)
	v_cmp_gt_f32_e32 vcc_lo, 0x3f2aaaab, v23
	v_add_f32_e32 v23, -1.0, v25
	v_sub_f32_e32 v27, v23, v25
	v_sub_f32_e32 v23, v24, v23
	s_delay_alu instid0(VALU_DEP_2) | instskip(NEXT) | instid1(VALU_DEP_1)
	v_add_f32_e32 v27, 1.0, v27
	v_add_f32_e32 v23, v23, v27
	v_cmp_gt_f32_e64 s29, 0x33800000, v24
	v_subrev_co_ci_u32_e32 v22, vcc_lo, 0, v22, vcc_lo
	v_cmp_eq_f32_e32 vcc_lo, 0x7f800000, v24
	s_delay_alu instid0(VALU_DEP_2) | instskip(SKIP_2) | instid1(VALU_DEP_2)
	v_sub_nc_u32_e32 v26, 0, v22
	v_cvt_f32_i32_e32 v22, v22
	s_or_b32 vcc_lo, s29, vcc_lo
	v_ldexp_f32 v25, v25, v26
	v_ldexp_f32 v23, v23, v26
	s_delay_alu instid0(VALU_DEP_2) | instskip(NEXT) | instid1(VALU_DEP_1)
	v_add_f32_e32 v28, 1.0, v25
	v_dual_add_f32 v26, -1.0, v25 :: v_dual_add_f32 v27, -1.0, v28
	s_delay_alu instid0(VALU_DEP_1) | instskip(NEXT) | instid1(VALU_DEP_2)
	v_add_f32_e32 v29, 1.0, v26
	v_sub_f32_e32 v27, v25, v27
	s_delay_alu instid0(VALU_DEP_2) | instskip(NEXT) | instid1(VALU_DEP_2)
	v_sub_f32_e32 v25, v25, v29
	v_add_f32_e32 v27, v23, v27
	s_delay_alu instid0(VALU_DEP_2) | instskip(NEXT) | instid1(VALU_DEP_1)
	v_add_f32_e32 v23, v23, v25
	v_add_f32_e32 v30, v26, v23
	s_delay_alu instid0(VALU_DEP_1) | instskip(NEXT) | instid1(VALU_DEP_1)
	v_dual_add_f32 v29, v28, v27 :: v_dual_sub_f32 v26, v26, v30
	v_rcp_f32_e32 v25, v29
	v_sub_f32_e32 v28, v28, v29
	s_delay_alu instid0(VALU_DEP_1) | instskip(SKIP_2) | instid1(VALU_DEP_1)
	v_add_f32_e32 v27, v27, v28
	s_waitcnt_depctr 0xfff
	v_mul_f32_e32 v31, v30, v25
	v_mul_f32_e32 v32, v29, v31
	s_delay_alu instid0(VALU_DEP_1) | instskip(NEXT) | instid1(VALU_DEP_1)
	v_fma_f32 v28, v31, v29, -v32
	v_fmac_f32_e32 v28, v31, v27
	s_delay_alu instid0(VALU_DEP_1) | instskip(NEXT) | instid1(VALU_DEP_1)
	v_add_f32_e32 v33, v32, v28
	v_sub_f32_e32 v35, v30, v33
	s_delay_alu instid0(VALU_DEP_1) | instskip(SKIP_1) | instid1(VALU_DEP_2)
	v_dual_sub_f32 v30, v30, v35 :: v_dual_add_f32 v23, v23, v26
	v_sub_f32_e32 v26, v33, v32
	v_sub_f32_e32 v30, v30, v33
	s_delay_alu instid0(VALU_DEP_1) | instskip(NEXT) | instid1(VALU_DEP_1)
	v_dual_sub_f32 v26, v26, v28 :: v_dual_add_f32 v23, v23, v30
	v_add_f32_e32 v23, v26, v23
	s_delay_alu instid0(VALU_DEP_1) | instskip(NEXT) | instid1(VALU_DEP_1)
	v_add_f32_e32 v26, v35, v23
	v_mul_f32_e32 v28, v25, v26
	s_delay_alu instid0(VALU_DEP_1) | instskip(NEXT) | instid1(VALU_DEP_1)
	v_dual_sub_f32 v33, v35, v26 :: v_dual_mul_f32 v30, v29, v28
	v_fma_f32 v29, v28, v29, -v30
	s_delay_alu instid0(VALU_DEP_1) | instskip(NEXT) | instid1(VALU_DEP_1)
	v_fmac_f32_e32 v29, v28, v27
	v_add_f32_e32 v27, v30, v29
	s_delay_alu instid0(VALU_DEP_1) | instskip(NEXT) | instid1(VALU_DEP_1)
	v_sub_f32_e32 v32, v26, v27
	v_dual_sub_f32 v26, v26, v32 :: v_dual_add_f32 v23, v23, v33
	s_delay_alu instid0(VALU_DEP_1) | instskip(NEXT) | instid1(VALU_DEP_1)
	v_sub_f32_e32 v26, v26, v27
	v_add_f32_e32 v23, v23, v26
	v_add_f32_e32 v26, v31, v28
	v_sub_f32_e32 v30, v27, v30
	s_delay_alu instid0(VALU_DEP_1) | instskip(NEXT) | instid1(VALU_DEP_1)
	v_sub_f32_e32 v27, v30, v29
	v_add_f32_e32 v23, v27, v23
	s_delay_alu instid0(VALU_DEP_4) | instskip(NEXT) | instid1(VALU_DEP_2)
	v_sub_f32_e32 v27, v26, v31
	v_add_f32_e32 v23, v32, v23
	s_delay_alu instid0(VALU_DEP_2) | instskip(NEXT) | instid1(VALU_DEP_2)
	v_sub_f32_e32 v27, v28, v27
	v_mul_f32_e32 v23, v25, v23
	s_delay_alu instid0(VALU_DEP_1) | instskip(NEXT) | instid1(VALU_DEP_1)
	v_add_f32_e32 v23, v27, v23
	v_add_f32_e32 v25, v26, v23
	s_delay_alu instid0(VALU_DEP_1) | instskip(NEXT) | instid1(VALU_DEP_1)
	v_mul_f32_e32 v27, v25, v25
	v_fmaak_f32 v28, s74, v27, 0x3ecc95a3
	v_mul_f32_e32 v29, v25, v27
	s_delay_alu instid0(VALU_DEP_2) | instskip(SKIP_1) | instid1(VALU_DEP_2)
	v_fmaak_f32 v27, v27, v28, 0x3f2aaada
	v_ldexp_f32 v28, v25, 1
	v_mul_f32_e32 v27, v29, v27
	v_sub_f32_e32 v25, v25, v26
	s_delay_alu instid0(VALU_DEP_2) | instskip(NEXT) | instid1(VALU_DEP_2)
	v_dual_mul_f32 v29, 0x3f317218, v22 :: v_dual_add_f32 v26, v28, v27
	v_sub_f32_e32 v23, v23, v25
	s_delay_alu instid0(VALU_DEP_2) | instskip(NEXT) | instid1(VALU_DEP_3)
	v_sub_f32_e32 v25, v26, v28
	v_fma_f32 v28, 0x3f317218, v22, -v29
	s_delay_alu instid0(VALU_DEP_3) | instskip(NEXT) | instid1(VALU_DEP_2)
	v_ldexp_f32 v23, v23, 1
	v_dual_sub_f32 v25, v27, v25 :: v_dual_fmac_f32 v28, 0xb102e308, v22
	s_delay_alu instid0(VALU_DEP_1) | instskip(NEXT) | instid1(VALU_DEP_1)
	v_dual_add_f32 v22, v23, v25 :: v_dual_add_f32 v23, v29, v28
	v_add_f32_e32 v25, v26, v22
	s_delay_alu instid0(VALU_DEP_1) | instskip(NEXT) | instid1(VALU_DEP_1)
	v_dual_add_f32 v27, v23, v25 :: v_dual_sub_f32 v26, v25, v26
	v_sub_f32_e32 v30, v27, v23
	s_delay_alu instid0(VALU_DEP_2) | instskip(NEXT) | instid1(VALU_DEP_1)
	v_dual_sub_f32 v29, v23, v29 :: v_dual_sub_f32 v22, v22, v26
	v_dual_sub_f32 v31, v27, v30 :: v_dual_sub_f32 v28, v28, v29
	v_sub_f32_e32 v25, v25, v30
	s_delay_alu instid0(VALU_DEP_2) | instskip(NEXT) | instid1(VALU_DEP_1)
	v_dual_sub_f32 v23, v23, v31 :: v_dual_add_f32 v26, v28, v22
	v_add_f32_e32 v23, v25, v23
	s_delay_alu instid0(VALU_DEP_2) | instskip(NEXT) | instid1(VALU_DEP_2)
	v_sub_f32_e32 v25, v26, v28
	v_add_f32_e32 v23, v26, v23
	s_delay_alu instid0(VALU_DEP_2) | instskip(NEXT) | instid1(VALU_DEP_2)
	v_sub_f32_e32 v26, v26, v25
	v_dual_sub_f32 v22, v22, v25 :: v_dual_add_f32 v29, v27, v23
	s_delay_alu instid0(VALU_DEP_1) | instskip(NEXT) | instid1(VALU_DEP_1)
	v_dual_sub_f32 v26, v28, v26 :: v_dual_sub_f32 v25, v29, v27
	v_dual_add_f32 v22, v22, v26 :: v_dual_sub_f32 v23, v23, v25
	s_delay_alu instid0(VALU_DEP_1) | instskip(NEXT) | instid1(VALU_DEP_1)
	v_add_f32_e32 v22, v22, v23
	v_add_f32_e32 v22, v29, v22
	s_delay_alu instid0(VALU_DEP_1)
	v_cndmask_b32_e32 v137, v22, v24, vcc_lo
.LBB156_98:                             ;   in Loop: Header=BB156_12 Depth=1
	s_or_b32 exec_lo, exec_lo, s30
	s_waitcnt lgkmcnt(1)
	v_add_f32_e32 v139, s85, v20
	s_delay_alu instid0(VALU_DEP_1) | instskip(SKIP_1) | instid1(SALU_CYCLE_1)
	v_cmp_ge_f32_e32 vcc_lo, 0x41a00000, v139
	s_and_b32 s29, s92, vcc_lo
	s_and_saveexec_b32 s30, s29
	s_cbranch_execz .LBB156_100
; %bb.99:                               ;   in Loop: Header=BB156_12 Depth=1
	v_mul_f32_e32 v20, 0x3fb8aa3b, v139
	v_cmp_ngt_f32_e32 vcc_lo, 0xc2ce8ed0, v139
	s_delay_alu instid0(VALU_DEP_2) | instskip(SKIP_1) | instid1(VALU_DEP_1)
	v_rndne_f32_e32 v22, v20
	v_fma_f32 v23, 0x3fb8aa3b, v139, -v20
	v_dual_sub_f32 v20, v20, v22 :: v_dual_fmac_f32 v23, 0x32a5705f, v139
	v_cvt_i32_f32_e32 v22, v22
	s_delay_alu instid0(VALU_DEP_2) | instskip(NEXT) | instid1(VALU_DEP_1)
	v_add_f32_e32 v20, v20, v23
	v_exp_f32_e32 v20, v20
	s_waitcnt_depctr 0xfff
	v_ldexp_f32 v20, v20, v22
	s_delay_alu instid0(VALU_DEP_1) | instskip(SKIP_1) | instid1(VALU_DEP_2)
	v_cndmask_b32_e32 v20, 0, v20, vcc_lo
	v_cmp_nlt_f32_e32 vcc_lo, 0x42b17218, v139
	v_cndmask_b32_e32 v20, 0x7f800000, v20, vcc_lo
	s_delay_alu instid0(VALU_DEP_1) | instskip(NEXT) | instid1(VALU_DEP_1)
	v_add_f32_e32 v24, 1.0, v20
	v_cvt_f64_f32_e32 v[22:23], v24
	s_delay_alu instid0(VALU_DEP_1) | instskip(SKIP_1) | instid1(VALU_DEP_1)
	v_frexp_exp_i32_f64_e32 v22, v[22:23]
	v_frexp_mant_f32_e32 v23, v24
	v_cmp_gt_f32_e32 vcc_lo, 0x3f2aaaab, v23
	v_add_f32_e32 v23, -1.0, v24
	s_delay_alu instid0(VALU_DEP_1) | instskip(SKIP_1) | instid1(VALU_DEP_1)
	v_dual_sub_f32 v26, v23, v24 :: v_dual_sub_f32 v23, v20, v23
	v_subrev_co_ci_u32_e32 v22, vcc_lo, 0, v22, vcc_lo
	v_sub_nc_u32_e32 v25, 0, v22
	v_cvt_f32_i32_e32 v22, v22
	s_delay_alu instid0(VALU_DEP_2) | instskip(NEXT) | instid1(VALU_DEP_1)
	v_ldexp_f32 v24, v24, v25
	v_dual_add_f32 v26, 1.0, v26 :: v_dual_add_f32 v27, 1.0, v24
	s_delay_alu instid0(VALU_DEP_1) | instskip(NEXT) | instid1(VALU_DEP_1)
	v_add_f32_e32 v23, v23, v26
	v_ldexp_f32 v23, v23, v25
	s_delay_alu instid0(VALU_DEP_3) | instskip(NEXT) | instid1(VALU_DEP_1)
	v_dual_add_f32 v25, -1.0, v24 :: v_dual_add_f32 v26, -1.0, v27
	v_add_f32_e32 v28, 1.0, v25
	s_delay_alu instid0(VALU_DEP_2) | instskip(NEXT) | instid1(VALU_DEP_2)
	v_sub_f32_e32 v26, v24, v26
	v_sub_f32_e32 v24, v24, v28
	s_delay_alu instid0(VALU_DEP_2) | instskip(NEXT) | instid1(VALU_DEP_2)
	v_add_f32_e32 v26, v23, v26
	v_add_f32_e32 v23, v23, v24
	s_delay_alu instid0(VALU_DEP_1) | instskip(SKIP_2) | instid1(VALU_DEP_3)
	v_dual_add_f32 v29, v25, v23 :: v_dual_add_f32 v28, v27, v26
	v_cmp_eq_f32_e32 vcc_lo, 0x7f800000, v20
	v_cmp_gt_f32_e64 s29, 0x33800000, v20
	v_sub_f32_e32 v25, v25, v29
	s_delay_alu instid0(VALU_DEP_4) | instskip(SKIP_1) | instid1(VALU_DEP_3)
	v_rcp_f32_e32 v24, v28
	v_sub_f32_e32 v27, v27, v28
	s_or_b32 vcc_lo, s29, vcc_lo
	s_delay_alu instid0(VALU_DEP_1) | instskip(SKIP_2) | instid1(VALU_DEP_1)
	v_dual_add_f32 v23, v23, v25 :: v_dual_add_f32 v26, v26, v27
	s_waitcnt_depctr 0xfff
	v_mul_f32_e32 v30, v29, v24
	v_mul_f32_e32 v31, v28, v30
	s_delay_alu instid0(VALU_DEP_1) | instskip(NEXT) | instid1(VALU_DEP_1)
	v_fma_f32 v27, v30, v28, -v31
	v_fmac_f32_e32 v27, v30, v26
	s_delay_alu instid0(VALU_DEP_1) | instskip(NEXT) | instid1(VALU_DEP_1)
	v_add_f32_e32 v32, v31, v27
	v_sub_f32_e32 v33, v29, v32
	s_delay_alu instid0(VALU_DEP_1) | instskip(NEXT) | instid1(VALU_DEP_1)
	v_sub_f32_e32 v29, v29, v33
	v_sub_f32_e32 v29, v29, v32
	;; [unrolled: 1-line block ×3, first 2 shown]
	s_delay_alu instid0(VALU_DEP_2) | instskip(NEXT) | instid1(VALU_DEP_2)
	v_add_f32_e32 v23, v23, v29
	v_sub_f32_e32 v25, v25, v27
	s_delay_alu instid0(VALU_DEP_1) | instskip(NEXT) | instid1(VALU_DEP_1)
	v_add_f32_e32 v23, v25, v23
	v_add_f32_e32 v25, v33, v23
	s_delay_alu instid0(VALU_DEP_1) | instskip(NEXT) | instid1(VALU_DEP_1)
	v_mul_f32_e32 v27, v24, v25
	v_dual_sub_f32 v32, v33, v25 :: v_dual_mul_f32 v29, v28, v27
	s_delay_alu instid0(VALU_DEP_1) | instskip(NEXT) | instid1(VALU_DEP_2)
	v_add_f32_e32 v23, v23, v32
	v_fma_f32 v28, v27, v28, -v29
	s_delay_alu instid0(VALU_DEP_1) | instskip(NEXT) | instid1(VALU_DEP_1)
	v_fmac_f32_e32 v28, v27, v26
	v_add_f32_e32 v26, v29, v28
	s_delay_alu instid0(VALU_DEP_1) | instskip(NEXT) | instid1(VALU_DEP_1)
	v_sub_f32_e32 v31, v25, v26
	v_sub_f32_e32 v25, v25, v31
	s_delay_alu instid0(VALU_DEP_1) | instskip(NEXT) | instid1(VALU_DEP_1)
	v_sub_f32_e32 v25, v25, v26
	v_add_f32_e32 v23, v23, v25
	v_add_f32_e32 v25, v30, v27
	v_sub_f32_e32 v29, v26, v29
	s_delay_alu instid0(VALU_DEP_1) | instskip(NEXT) | instid1(VALU_DEP_1)
	v_sub_f32_e32 v26, v29, v28
	v_dual_add_f32 v23, v26, v23 :: v_dual_sub_f32 v26, v25, v30
	s_delay_alu instid0(VALU_DEP_1) | instskip(NEXT) | instid1(VALU_DEP_1)
	v_add_f32_e32 v23, v31, v23
	v_dual_sub_f32 v26, v27, v26 :: v_dual_mul_f32 v23, v24, v23
	s_delay_alu instid0(VALU_DEP_1) | instskip(NEXT) | instid1(VALU_DEP_1)
	v_add_f32_e32 v23, v26, v23
	v_add_f32_e32 v24, v25, v23
	s_delay_alu instid0(VALU_DEP_1) | instskip(NEXT) | instid1(VALU_DEP_1)
	v_mul_f32_e32 v26, v24, v24
	v_fmaak_f32 v27, s74, v26, 0x3ecc95a3
	v_mul_f32_e32 v28, v24, v26
	s_delay_alu instid0(VALU_DEP_2) | instskip(SKIP_2) | instid1(VALU_DEP_3)
	v_fmaak_f32 v26, v26, v27, 0x3f2aaada
	v_ldexp_f32 v27, v24, 1
	v_sub_f32_e32 v24, v24, v25
	v_mul_f32_e32 v26, v28, v26
	v_mul_f32_e32 v28, 0x3f317218, v22
	s_delay_alu instid0(VALU_DEP_2) | instskip(NEXT) | instid1(VALU_DEP_1)
	v_add_f32_e32 v25, v27, v26
	v_dual_sub_f32 v23, v23, v24 :: v_dual_sub_f32 v24, v25, v27
	s_delay_alu instid0(VALU_DEP_3) | instskip(NEXT) | instid1(VALU_DEP_2)
	v_fma_f32 v27, 0x3f317218, v22, -v28
	v_ldexp_f32 v23, v23, 1
	s_delay_alu instid0(VALU_DEP_2) | instskip(NEXT) | instid1(VALU_DEP_1)
	v_dual_sub_f32 v24, v26, v24 :: v_dual_fmac_f32 v27, 0xb102e308, v22
	v_dual_add_f32 v22, v23, v24 :: v_dual_add_f32 v23, v28, v27
	s_delay_alu instid0(VALU_DEP_1) | instskip(NEXT) | instid1(VALU_DEP_1)
	v_add_f32_e32 v24, v25, v22
	v_add_f32_e32 v26, v23, v24
	s_delay_alu instid0(VALU_DEP_1) | instskip(NEXT) | instid1(VALU_DEP_1)
	v_sub_f32_e32 v29, v26, v23
	v_sub_f32_e32 v30, v26, v29
	;; [unrolled: 1-line block ×4, first 2 shown]
	s_delay_alu instid0(VALU_DEP_2) | instskip(SKIP_1) | instid1(VALU_DEP_1)
	v_sub_f32_e32 v22, v22, v25
	v_sub_f32_e32 v28, v23, v28
	;; [unrolled: 1-line block ×3, first 2 shown]
	s_delay_alu instid0(VALU_DEP_1) | instskip(SKIP_1) | instid1(VALU_DEP_1)
	v_add_f32_e32 v25, v27, v22
	v_sub_f32_e32 v23, v23, v30
	v_add_f32_e32 v23, v24, v23
	s_delay_alu instid0(VALU_DEP_3) | instskip(NEXT) | instid1(VALU_DEP_1)
	v_sub_f32_e32 v24, v25, v27
	v_dual_sub_f32 v22, v22, v24 :: v_dual_add_f32 v23, v25, v23
	s_delay_alu instid0(VALU_DEP_1) | instskip(NEXT) | instid1(VALU_DEP_1)
	v_dual_sub_f32 v25, v25, v24 :: v_dual_add_f32 v28, v26, v23
	v_dual_sub_f32 v25, v27, v25 :: v_dual_sub_f32 v24, v28, v26
	s_delay_alu instid0(VALU_DEP_1) | instskip(NEXT) | instid1(VALU_DEP_1)
	v_dual_add_f32 v22, v22, v25 :: v_dual_sub_f32 v23, v23, v24
	v_add_f32_e32 v22, v22, v23
	s_delay_alu instid0(VALU_DEP_1) | instskip(NEXT) | instid1(VALU_DEP_1)
	v_add_f32_e32 v22, v28, v22
	v_cndmask_b32_e32 v139, v22, v20, vcc_lo
.LBB156_100:                            ;   in Loop: Header=BB156_12 Depth=1
	s_or_b32 exec_lo, exec_lo, s30
	v_add_f32_e32 v140, s85, v21
	s_delay_alu instid0(VALU_DEP_1) | instskip(SKIP_1) | instid1(SALU_CYCLE_1)
	v_cmp_ge_f32_e32 vcc_lo, 0x41a00000, v140
	s_and_b32 s29, s92, vcc_lo
	s_and_saveexec_b32 s30, s29
	s_cbranch_execz .LBB156_102
; %bb.101:                              ;   in Loop: Header=BB156_12 Depth=1
	v_mul_f32_e32 v20, 0x3fb8aa3b, v140
	v_cmp_ngt_f32_e32 vcc_lo, 0xc2ce8ed0, v140
	s_delay_alu instid0(VALU_DEP_2) | instskip(SKIP_1) | instid1(VALU_DEP_2)
	v_rndne_f32_e32 v21, v20
	v_fma_f32 v22, 0x3fb8aa3b, v140, -v20
	v_sub_f32_e32 v20, v20, v21
	s_delay_alu instid0(VALU_DEP_2) | instskip(SKIP_1) | instid1(VALU_DEP_2)
	v_fmac_f32_e32 v22, 0x32a5705f, v140
	v_cvt_i32_f32_e32 v21, v21
	v_add_f32_e32 v20, v20, v22
	s_delay_alu instid0(VALU_DEP_1) | instskip(SKIP_2) | instid1(VALU_DEP_1)
	v_exp_f32_e32 v20, v20
	s_waitcnt_depctr 0xfff
	v_ldexp_f32 v20, v20, v21
	v_cndmask_b32_e32 v20, 0, v20, vcc_lo
	v_cmp_nlt_f32_e32 vcc_lo, 0x42b17218, v140
	s_delay_alu instid0(VALU_DEP_2) | instskip(NEXT) | instid1(VALU_DEP_1)
	v_cndmask_b32_e32 v22, 0x7f800000, v20, vcc_lo
	v_add_f32_e32 v23, 1.0, v22
	s_delay_alu instid0(VALU_DEP_1) | instskip(NEXT) | instid1(VALU_DEP_1)
	v_cvt_f64_f32_e32 v[20:21], v23
	v_frexp_exp_i32_f64_e32 v20, v[20:21]
	v_frexp_mant_f32_e32 v21, v23
	s_delay_alu instid0(VALU_DEP_1) | instskip(SKIP_1) | instid1(VALU_DEP_1)
	v_cmp_gt_f32_e32 vcc_lo, 0x3f2aaaab, v21
	v_add_f32_e32 v21, -1.0, v23
	v_sub_f32_e32 v25, v21, v23
	v_sub_f32_e32 v21, v22, v21
	s_delay_alu instid0(VALU_DEP_2) | instskip(NEXT) | instid1(VALU_DEP_1)
	v_add_f32_e32 v25, 1.0, v25
	v_add_f32_e32 v21, v21, v25
	v_cmp_gt_f32_e64 s29, 0x33800000, v22
	v_subrev_co_ci_u32_e32 v20, vcc_lo, 0, v20, vcc_lo
	v_cmp_eq_f32_e32 vcc_lo, 0x7f800000, v22
	s_delay_alu instid0(VALU_DEP_2) | instskip(SKIP_2) | instid1(VALU_DEP_2)
	v_sub_nc_u32_e32 v24, 0, v20
	v_cvt_f32_i32_e32 v20, v20
	s_or_b32 vcc_lo, s29, vcc_lo
	v_ldexp_f32 v23, v23, v24
	v_ldexp_f32 v21, v21, v24
	s_delay_alu instid0(VALU_DEP_2) | instskip(NEXT) | instid1(VALU_DEP_1)
	v_add_f32_e32 v26, 1.0, v23
	v_dual_add_f32 v24, -1.0, v23 :: v_dual_add_f32 v25, -1.0, v26
	s_delay_alu instid0(VALU_DEP_1) | instskip(NEXT) | instid1(VALU_DEP_2)
	v_add_f32_e32 v27, 1.0, v24
	v_sub_f32_e32 v25, v23, v25
	s_delay_alu instid0(VALU_DEP_2) | instskip(NEXT) | instid1(VALU_DEP_2)
	v_sub_f32_e32 v23, v23, v27
	v_add_f32_e32 v25, v21, v25
	s_delay_alu instid0(VALU_DEP_2) | instskip(NEXT) | instid1(VALU_DEP_1)
	v_add_f32_e32 v21, v21, v23
	v_add_f32_e32 v28, v24, v21
	s_delay_alu instid0(VALU_DEP_1) | instskip(NEXT) | instid1(VALU_DEP_1)
	v_dual_add_f32 v27, v26, v25 :: v_dual_sub_f32 v24, v24, v28
	v_rcp_f32_e32 v23, v27
	v_sub_f32_e32 v26, v26, v27
	s_delay_alu instid0(VALU_DEP_1) | instskip(SKIP_2) | instid1(VALU_DEP_1)
	v_add_f32_e32 v25, v25, v26
	s_waitcnt_depctr 0xfff
	v_mul_f32_e32 v29, v28, v23
	v_mul_f32_e32 v30, v27, v29
	s_delay_alu instid0(VALU_DEP_1) | instskip(NEXT) | instid1(VALU_DEP_1)
	v_fma_f32 v26, v29, v27, -v30
	v_fmac_f32_e32 v26, v29, v25
	s_delay_alu instid0(VALU_DEP_1) | instskip(NEXT) | instid1(VALU_DEP_1)
	v_add_f32_e32 v31, v30, v26
	v_sub_f32_e32 v32, v28, v31
	s_delay_alu instid0(VALU_DEP_1) | instskip(SKIP_1) | instid1(VALU_DEP_2)
	v_sub_f32_e32 v28, v28, v32
	v_dual_add_f32 v21, v21, v24 :: v_dual_sub_f32 v24, v31, v30
	v_sub_f32_e32 v28, v28, v31
	s_delay_alu instid0(VALU_DEP_1) | instskip(NEXT) | instid1(VALU_DEP_1)
	v_dual_sub_f32 v24, v24, v26 :: v_dual_add_f32 v21, v21, v28
	v_add_f32_e32 v21, v24, v21
	s_delay_alu instid0(VALU_DEP_1) | instskip(NEXT) | instid1(VALU_DEP_1)
	v_add_f32_e32 v24, v32, v21
	v_mul_f32_e32 v26, v23, v24
	s_delay_alu instid0(VALU_DEP_1) | instskip(NEXT) | instid1(VALU_DEP_1)
	v_dual_sub_f32 v31, v32, v24 :: v_dual_mul_f32 v28, v27, v26
	v_add_f32_e32 v21, v21, v31
	s_delay_alu instid0(VALU_DEP_2) | instskip(NEXT) | instid1(VALU_DEP_1)
	v_fma_f32 v27, v26, v27, -v28
	v_fmac_f32_e32 v27, v26, v25
	s_delay_alu instid0(VALU_DEP_1) | instskip(NEXT) | instid1(VALU_DEP_1)
	v_add_f32_e32 v25, v28, v27
	v_sub_f32_e32 v30, v24, v25
	s_delay_alu instid0(VALU_DEP_1) | instskip(NEXT) | instid1(VALU_DEP_1)
	v_sub_f32_e32 v24, v24, v30
	v_sub_f32_e32 v24, v24, v25
	s_delay_alu instid0(VALU_DEP_1) | instskip(SKIP_2) | instid1(VALU_DEP_1)
	v_add_f32_e32 v21, v21, v24
	v_add_f32_e32 v24, v29, v26
	v_sub_f32_e32 v28, v25, v28
	v_sub_f32_e32 v25, v28, v27
	s_delay_alu instid0(VALU_DEP_1) | instskip(NEXT) | instid1(VALU_DEP_4)
	v_add_f32_e32 v21, v25, v21
	v_sub_f32_e32 v25, v24, v29
	s_delay_alu instid0(VALU_DEP_2) | instskip(NEXT) | instid1(VALU_DEP_2)
	v_add_f32_e32 v21, v30, v21
	v_sub_f32_e32 v25, v26, v25
	s_delay_alu instid0(VALU_DEP_2) | instskip(NEXT) | instid1(VALU_DEP_1)
	v_mul_f32_e32 v21, v23, v21
	v_add_f32_e32 v21, v25, v21
	s_delay_alu instid0(VALU_DEP_1) | instskip(NEXT) | instid1(VALU_DEP_1)
	v_add_f32_e32 v23, v24, v21
	v_mul_f32_e32 v25, v23, v23
	s_delay_alu instid0(VALU_DEP_1) | instskip(SKIP_1) | instid1(VALU_DEP_2)
	v_fmaak_f32 v26, s74, v25, 0x3ecc95a3
	v_mul_f32_e32 v27, v23, v25
	v_fmaak_f32 v25, v25, v26, 0x3f2aaada
	v_ldexp_f32 v26, v23, 1
	s_delay_alu instid0(VALU_DEP_2) | instskip(SKIP_1) | instid1(VALU_DEP_2)
	v_mul_f32_e32 v25, v27, v25
	v_sub_f32_e32 v23, v23, v24
	v_dual_mul_f32 v27, 0x3f317218, v20 :: v_dual_add_f32 v24, v26, v25
	s_delay_alu instid0(VALU_DEP_2) | instskip(NEXT) | instid1(VALU_DEP_2)
	v_sub_f32_e32 v21, v21, v23
	v_sub_f32_e32 v23, v24, v26
	s_delay_alu instid0(VALU_DEP_3) | instskip(NEXT) | instid1(VALU_DEP_3)
	v_fma_f32 v26, 0x3f317218, v20, -v27
	v_ldexp_f32 v21, v21, 1
	s_delay_alu instid0(VALU_DEP_2) | instskip(NEXT) | instid1(VALU_DEP_1)
	v_dual_sub_f32 v23, v25, v23 :: v_dual_fmac_f32 v26, 0xb102e308, v20
	v_dual_add_f32 v20, v21, v23 :: v_dual_add_f32 v21, v27, v26
	s_delay_alu instid0(VALU_DEP_1) | instskip(NEXT) | instid1(VALU_DEP_1)
	v_add_f32_e32 v23, v24, v20
	v_dual_add_f32 v25, v21, v23 :: v_dual_sub_f32 v24, v23, v24
	s_delay_alu instid0(VALU_DEP_1) | instskip(NEXT) | instid1(VALU_DEP_2)
	v_sub_f32_e32 v28, v25, v21
	v_dual_sub_f32 v27, v21, v27 :: v_dual_sub_f32 v20, v20, v24
	s_delay_alu instid0(VALU_DEP_1) | instskip(SKIP_1) | instid1(VALU_DEP_2)
	v_dual_sub_f32 v29, v25, v28 :: v_dual_sub_f32 v26, v26, v27
	v_sub_f32_e32 v23, v23, v28
	v_dual_sub_f32 v21, v21, v29 :: v_dual_add_f32 v24, v26, v20
	s_delay_alu instid0(VALU_DEP_1) | instskip(NEXT) | instid1(VALU_DEP_2)
	v_add_f32_e32 v21, v23, v21
	v_sub_f32_e32 v23, v24, v26
	s_delay_alu instid0(VALU_DEP_2) | instskip(NEXT) | instid1(VALU_DEP_2)
	v_add_f32_e32 v21, v24, v21
	v_sub_f32_e32 v24, v24, v23
	s_delay_alu instid0(VALU_DEP_2) | instskip(NEXT) | instid1(VALU_DEP_1)
	v_dual_sub_f32 v20, v20, v23 :: v_dual_add_f32 v27, v25, v21
	v_dual_sub_f32 v24, v26, v24 :: v_dual_sub_f32 v23, v27, v25
	s_delay_alu instid0(VALU_DEP_1) | instskip(NEXT) | instid1(VALU_DEP_1)
	v_dual_add_f32 v20, v20, v24 :: v_dual_sub_f32 v21, v21, v23
	v_add_f32_e32 v20, v20, v21
	s_delay_alu instid0(VALU_DEP_1) | instskip(NEXT) | instid1(VALU_DEP_1)
	v_add_f32_e32 v20, v27, v20
	v_cndmask_b32_e32 v140, v20, v22, vcc_lo
.LBB156_102:                            ;   in Loop: Header=BB156_12 Depth=1
	s_or_b32 exec_lo, exec_lo, s30
	s_waitcnt lgkmcnt(0)
	v_add_f32_e32 v141, s85, v18
	s_delay_alu instid0(VALU_DEP_1) | instskip(SKIP_1) | instid1(SALU_CYCLE_1)
	v_cmp_ge_f32_e32 vcc_lo, 0x41a00000, v141
	s_and_b32 s29, s92, vcc_lo
	s_and_saveexec_b32 s30, s29
	s_cbranch_execz .LBB156_104
; %bb.103:                              ;   in Loop: Header=BB156_12 Depth=1
	v_mul_f32_e32 v18, 0x3fb8aa3b, v141
	v_cmp_ngt_f32_e32 vcc_lo, 0xc2ce8ed0, v141
	s_delay_alu instid0(VALU_DEP_2) | instskip(SKIP_1) | instid1(VALU_DEP_1)
	v_rndne_f32_e32 v20, v18
	v_fma_f32 v21, 0x3fb8aa3b, v141, -v18
	v_dual_sub_f32 v18, v18, v20 :: v_dual_fmac_f32 v21, 0x32a5705f, v141
	v_cvt_i32_f32_e32 v20, v20
	s_delay_alu instid0(VALU_DEP_2) | instskip(NEXT) | instid1(VALU_DEP_1)
	v_add_f32_e32 v18, v18, v21
	v_exp_f32_e32 v18, v18
	s_waitcnt_depctr 0xfff
	v_ldexp_f32 v18, v18, v20
	s_delay_alu instid0(VALU_DEP_1) | instskip(SKIP_1) | instid1(VALU_DEP_2)
	v_cndmask_b32_e32 v18, 0, v18, vcc_lo
	v_cmp_nlt_f32_e32 vcc_lo, 0x42b17218, v141
	v_cndmask_b32_e32 v18, 0x7f800000, v18, vcc_lo
	s_delay_alu instid0(VALU_DEP_1) | instskip(NEXT) | instid1(VALU_DEP_1)
	v_add_f32_e32 v22, 1.0, v18
	v_cvt_f64_f32_e32 v[20:21], v22
	s_delay_alu instid0(VALU_DEP_1) | instskip(SKIP_1) | instid1(VALU_DEP_1)
	v_frexp_exp_i32_f64_e32 v20, v[20:21]
	v_frexp_mant_f32_e32 v21, v22
	v_cmp_gt_f32_e32 vcc_lo, 0x3f2aaaab, v21
	v_add_f32_e32 v21, -1.0, v22
	s_delay_alu instid0(VALU_DEP_1) | instskip(SKIP_1) | instid1(VALU_DEP_1)
	v_dual_sub_f32 v24, v21, v22 :: v_dual_sub_f32 v21, v18, v21
	v_subrev_co_ci_u32_e32 v20, vcc_lo, 0, v20, vcc_lo
	v_sub_nc_u32_e32 v23, 0, v20
	v_cvt_f32_i32_e32 v20, v20
	s_delay_alu instid0(VALU_DEP_2) | instskip(NEXT) | instid1(VALU_DEP_1)
	v_ldexp_f32 v22, v22, v23
	v_dual_add_f32 v24, 1.0, v24 :: v_dual_add_f32 v25, 1.0, v22
	s_delay_alu instid0(VALU_DEP_1) | instskip(NEXT) | instid1(VALU_DEP_1)
	v_add_f32_e32 v21, v21, v24
	v_ldexp_f32 v21, v21, v23
	s_delay_alu instid0(VALU_DEP_3) | instskip(NEXT) | instid1(VALU_DEP_1)
	v_dual_add_f32 v23, -1.0, v22 :: v_dual_add_f32 v24, -1.0, v25
	v_add_f32_e32 v26, 1.0, v23
	s_delay_alu instid0(VALU_DEP_2) | instskip(NEXT) | instid1(VALU_DEP_2)
	v_sub_f32_e32 v24, v22, v24
	v_sub_f32_e32 v22, v22, v26
	s_delay_alu instid0(VALU_DEP_2) | instskip(NEXT) | instid1(VALU_DEP_2)
	v_add_f32_e32 v24, v21, v24
	v_add_f32_e32 v21, v21, v22
	s_delay_alu instid0(VALU_DEP_1) | instskip(SKIP_2) | instid1(VALU_DEP_3)
	v_dual_add_f32 v27, v23, v21 :: v_dual_add_f32 v26, v25, v24
	v_cmp_eq_f32_e32 vcc_lo, 0x7f800000, v18
	v_cmp_gt_f32_e64 s29, 0x33800000, v18
	v_sub_f32_e32 v23, v23, v27
	s_delay_alu instid0(VALU_DEP_4) | instskip(SKIP_1) | instid1(VALU_DEP_3)
	v_rcp_f32_e32 v22, v26
	v_sub_f32_e32 v25, v25, v26
	s_or_b32 vcc_lo, s29, vcc_lo
	s_delay_alu instid0(VALU_DEP_1) | instskip(SKIP_2) | instid1(VALU_DEP_1)
	v_dual_add_f32 v21, v21, v23 :: v_dual_add_f32 v24, v24, v25
	s_waitcnt_depctr 0xfff
	v_mul_f32_e32 v28, v27, v22
	v_mul_f32_e32 v29, v26, v28
	s_delay_alu instid0(VALU_DEP_1) | instskip(NEXT) | instid1(VALU_DEP_1)
	v_fma_f32 v25, v28, v26, -v29
	v_fmac_f32_e32 v25, v28, v24
	s_delay_alu instid0(VALU_DEP_1) | instskip(NEXT) | instid1(VALU_DEP_1)
	v_add_f32_e32 v30, v29, v25
	v_sub_f32_e32 v31, v27, v30
	s_delay_alu instid0(VALU_DEP_1) | instskip(NEXT) | instid1(VALU_DEP_1)
	v_sub_f32_e32 v27, v27, v31
	v_sub_f32_e32 v27, v27, v30
	;; [unrolled: 1-line block ×3, first 2 shown]
	s_delay_alu instid0(VALU_DEP_2) | instskip(NEXT) | instid1(VALU_DEP_2)
	v_add_f32_e32 v21, v21, v27
	v_sub_f32_e32 v23, v23, v25
	s_delay_alu instid0(VALU_DEP_1) | instskip(NEXT) | instid1(VALU_DEP_1)
	v_add_f32_e32 v21, v23, v21
	v_add_f32_e32 v23, v31, v21
	s_delay_alu instid0(VALU_DEP_1) | instskip(NEXT) | instid1(VALU_DEP_1)
	v_mul_f32_e32 v25, v22, v23
	v_dual_sub_f32 v30, v31, v23 :: v_dual_mul_f32 v27, v26, v25
	s_delay_alu instid0(VALU_DEP_1) | instskip(NEXT) | instid1(VALU_DEP_2)
	v_add_f32_e32 v21, v21, v30
	v_fma_f32 v26, v25, v26, -v27
	s_delay_alu instid0(VALU_DEP_1) | instskip(NEXT) | instid1(VALU_DEP_1)
	v_fmac_f32_e32 v26, v25, v24
	v_add_f32_e32 v24, v27, v26
	s_delay_alu instid0(VALU_DEP_1) | instskip(NEXT) | instid1(VALU_DEP_1)
	v_sub_f32_e32 v29, v23, v24
	v_sub_f32_e32 v23, v23, v29
	s_delay_alu instid0(VALU_DEP_1) | instskip(NEXT) | instid1(VALU_DEP_1)
	v_sub_f32_e32 v23, v23, v24
	v_add_f32_e32 v21, v21, v23
	v_add_f32_e32 v23, v28, v25
	v_sub_f32_e32 v27, v24, v27
	s_delay_alu instid0(VALU_DEP_1) | instskip(NEXT) | instid1(VALU_DEP_1)
	v_sub_f32_e32 v24, v27, v26
	v_dual_add_f32 v21, v24, v21 :: v_dual_sub_f32 v24, v23, v28
	s_delay_alu instid0(VALU_DEP_1) | instskip(NEXT) | instid1(VALU_DEP_1)
	v_add_f32_e32 v21, v29, v21
	v_dual_sub_f32 v24, v25, v24 :: v_dual_mul_f32 v21, v22, v21
	s_delay_alu instid0(VALU_DEP_1) | instskip(NEXT) | instid1(VALU_DEP_1)
	v_add_f32_e32 v21, v24, v21
	v_add_f32_e32 v22, v23, v21
	s_delay_alu instid0(VALU_DEP_1) | instskip(NEXT) | instid1(VALU_DEP_1)
	v_mul_f32_e32 v24, v22, v22
	v_fmaak_f32 v25, s74, v24, 0x3ecc95a3
	v_mul_f32_e32 v26, v22, v24
	s_delay_alu instid0(VALU_DEP_2) | instskip(SKIP_2) | instid1(VALU_DEP_3)
	v_fmaak_f32 v24, v24, v25, 0x3f2aaada
	v_ldexp_f32 v25, v22, 1
	v_sub_f32_e32 v22, v22, v23
	v_mul_f32_e32 v24, v26, v24
	v_mul_f32_e32 v26, 0x3f317218, v20
	s_delay_alu instid0(VALU_DEP_2) | instskip(NEXT) | instid1(VALU_DEP_1)
	v_add_f32_e32 v23, v25, v24
	v_dual_sub_f32 v21, v21, v22 :: v_dual_sub_f32 v22, v23, v25
	s_delay_alu instid0(VALU_DEP_3) | instskip(NEXT) | instid1(VALU_DEP_2)
	v_fma_f32 v25, 0x3f317218, v20, -v26
	v_ldexp_f32 v21, v21, 1
	s_delay_alu instid0(VALU_DEP_2) | instskip(NEXT) | instid1(VALU_DEP_1)
	v_dual_sub_f32 v22, v24, v22 :: v_dual_fmac_f32 v25, 0xb102e308, v20
	v_dual_add_f32 v20, v21, v22 :: v_dual_add_f32 v21, v26, v25
	s_delay_alu instid0(VALU_DEP_1) | instskip(NEXT) | instid1(VALU_DEP_1)
	v_add_f32_e32 v22, v23, v20
	v_add_f32_e32 v24, v21, v22
	s_delay_alu instid0(VALU_DEP_1) | instskip(NEXT) | instid1(VALU_DEP_1)
	v_sub_f32_e32 v27, v24, v21
	v_sub_f32_e32 v28, v24, v27
	;; [unrolled: 1-line block ×4, first 2 shown]
	s_delay_alu instid0(VALU_DEP_2) | instskip(SKIP_1) | instid1(VALU_DEP_1)
	v_sub_f32_e32 v20, v20, v23
	v_sub_f32_e32 v26, v21, v26
	;; [unrolled: 1-line block ×3, first 2 shown]
	s_delay_alu instid0(VALU_DEP_1) | instskip(SKIP_1) | instid1(VALU_DEP_1)
	v_add_f32_e32 v23, v25, v20
	v_sub_f32_e32 v21, v21, v28
	v_add_f32_e32 v21, v22, v21
	s_delay_alu instid0(VALU_DEP_3) | instskip(NEXT) | instid1(VALU_DEP_1)
	v_sub_f32_e32 v22, v23, v25
	v_dual_sub_f32 v20, v20, v22 :: v_dual_add_f32 v21, v23, v21
	s_delay_alu instid0(VALU_DEP_1) | instskip(NEXT) | instid1(VALU_DEP_1)
	v_dual_sub_f32 v23, v23, v22 :: v_dual_add_f32 v26, v24, v21
	v_dual_sub_f32 v23, v25, v23 :: v_dual_sub_f32 v22, v26, v24
	s_delay_alu instid0(VALU_DEP_1) | instskip(NEXT) | instid1(VALU_DEP_1)
	v_dual_add_f32 v20, v20, v23 :: v_dual_sub_f32 v21, v21, v22
	v_add_f32_e32 v20, v20, v21
	s_delay_alu instid0(VALU_DEP_1) | instskip(NEXT) | instid1(VALU_DEP_1)
	v_add_f32_e32 v20, v26, v20
	v_cndmask_b32_e32 v141, v20, v18, vcc_lo
.LBB156_104:                            ;   in Loop: Header=BB156_12 Depth=1
	s_or_b32 exec_lo, exec_lo, s30
	v_add_f32_e32 v142, s85, v19
	s_delay_alu instid0(VALU_DEP_1) | instskip(SKIP_1) | instid1(SALU_CYCLE_1)
	v_cmp_ge_f32_e32 vcc_lo, 0x41a00000, v142
	s_and_b32 s29, s92, vcc_lo
	s_and_saveexec_b32 s30, s29
	s_cbranch_execz .LBB156_106
; %bb.105:                              ;   in Loop: Header=BB156_12 Depth=1
	v_mul_f32_e32 v18, 0x3fb8aa3b, v142
	v_cmp_ngt_f32_e32 vcc_lo, 0xc2ce8ed0, v142
	s_delay_alu instid0(VALU_DEP_2) | instskip(SKIP_1) | instid1(VALU_DEP_2)
	v_rndne_f32_e32 v19, v18
	v_fma_f32 v20, 0x3fb8aa3b, v142, -v18
	v_sub_f32_e32 v18, v18, v19
	s_delay_alu instid0(VALU_DEP_2) | instskip(SKIP_1) | instid1(VALU_DEP_2)
	v_fmac_f32_e32 v20, 0x32a5705f, v142
	v_cvt_i32_f32_e32 v19, v19
	v_add_f32_e32 v18, v18, v20
	s_delay_alu instid0(VALU_DEP_1) | instskip(SKIP_2) | instid1(VALU_DEP_1)
	v_exp_f32_e32 v18, v18
	s_waitcnt_depctr 0xfff
	v_ldexp_f32 v18, v18, v19
	v_cndmask_b32_e32 v18, 0, v18, vcc_lo
	v_cmp_nlt_f32_e32 vcc_lo, 0x42b17218, v142
	s_delay_alu instid0(VALU_DEP_2) | instskip(NEXT) | instid1(VALU_DEP_1)
	v_cndmask_b32_e32 v20, 0x7f800000, v18, vcc_lo
	v_add_f32_e32 v21, 1.0, v20
	s_delay_alu instid0(VALU_DEP_1) | instskip(NEXT) | instid1(VALU_DEP_1)
	v_cvt_f64_f32_e32 v[18:19], v21
	v_frexp_exp_i32_f64_e32 v18, v[18:19]
	v_frexp_mant_f32_e32 v19, v21
	s_delay_alu instid0(VALU_DEP_1) | instskip(SKIP_1) | instid1(VALU_DEP_1)
	v_cmp_gt_f32_e32 vcc_lo, 0x3f2aaaab, v19
	v_add_f32_e32 v19, -1.0, v21
	v_sub_f32_e32 v23, v19, v21
	v_sub_f32_e32 v19, v20, v19
	s_delay_alu instid0(VALU_DEP_2) | instskip(NEXT) | instid1(VALU_DEP_1)
	v_add_f32_e32 v23, 1.0, v23
	v_add_f32_e32 v19, v19, v23
	v_cmp_gt_f32_e64 s29, 0x33800000, v20
	v_subrev_co_ci_u32_e32 v18, vcc_lo, 0, v18, vcc_lo
	v_cmp_eq_f32_e32 vcc_lo, 0x7f800000, v20
	s_delay_alu instid0(VALU_DEP_2) | instskip(SKIP_2) | instid1(VALU_DEP_2)
	v_sub_nc_u32_e32 v22, 0, v18
	v_cvt_f32_i32_e32 v18, v18
	s_or_b32 vcc_lo, s29, vcc_lo
	v_ldexp_f32 v21, v21, v22
	v_ldexp_f32 v19, v19, v22
	s_delay_alu instid0(VALU_DEP_2) | instskip(NEXT) | instid1(VALU_DEP_1)
	v_add_f32_e32 v24, 1.0, v21
	v_dual_add_f32 v22, -1.0, v21 :: v_dual_add_f32 v23, -1.0, v24
	s_delay_alu instid0(VALU_DEP_1) | instskip(NEXT) | instid1(VALU_DEP_2)
	v_add_f32_e32 v25, 1.0, v22
	v_sub_f32_e32 v23, v21, v23
	s_delay_alu instid0(VALU_DEP_2) | instskip(NEXT) | instid1(VALU_DEP_2)
	v_sub_f32_e32 v21, v21, v25
	v_add_f32_e32 v23, v19, v23
	s_delay_alu instid0(VALU_DEP_2) | instskip(NEXT) | instid1(VALU_DEP_1)
	v_add_f32_e32 v19, v19, v21
	v_add_f32_e32 v26, v22, v19
	s_delay_alu instid0(VALU_DEP_1) | instskip(NEXT) | instid1(VALU_DEP_1)
	v_dual_add_f32 v25, v24, v23 :: v_dual_sub_f32 v22, v22, v26
	v_rcp_f32_e32 v21, v25
	v_sub_f32_e32 v24, v24, v25
	s_delay_alu instid0(VALU_DEP_1) | instskip(SKIP_2) | instid1(VALU_DEP_1)
	v_add_f32_e32 v23, v23, v24
	s_waitcnt_depctr 0xfff
	v_mul_f32_e32 v27, v26, v21
	v_mul_f32_e32 v28, v25, v27
	s_delay_alu instid0(VALU_DEP_1) | instskip(NEXT) | instid1(VALU_DEP_1)
	v_fma_f32 v24, v27, v25, -v28
	v_fmac_f32_e32 v24, v27, v23
	s_delay_alu instid0(VALU_DEP_1) | instskip(NEXT) | instid1(VALU_DEP_1)
	v_add_f32_e32 v29, v28, v24
	v_sub_f32_e32 v30, v26, v29
	s_delay_alu instid0(VALU_DEP_1) | instskip(SKIP_1) | instid1(VALU_DEP_2)
	v_sub_f32_e32 v26, v26, v30
	v_dual_add_f32 v19, v19, v22 :: v_dual_sub_f32 v22, v29, v28
	v_sub_f32_e32 v26, v26, v29
	s_delay_alu instid0(VALU_DEP_1) | instskip(NEXT) | instid1(VALU_DEP_1)
	v_dual_sub_f32 v22, v22, v24 :: v_dual_add_f32 v19, v19, v26
	v_add_f32_e32 v19, v22, v19
	s_delay_alu instid0(VALU_DEP_1) | instskip(NEXT) | instid1(VALU_DEP_1)
	v_add_f32_e32 v22, v30, v19
	v_mul_f32_e32 v24, v21, v22
	s_delay_alu instid0(VALU_DEP_1) | instskip(NEXT) | instid1(VALU_DEP_1)
	v_dual_sub_f32 v29, v30, v22 :: v_dual_mul_f32 v26, v25, v24
	v_add_f32_e32 v19, v19, v29
	s_delay_alu instid0(VALU_DEP_2) | instskip(NEXT) | instid1(VALU_DEP_1)
	v_fma_f32 v25, v24, v25, -v26
	v_fmac_f32_e32 v25, v24, v23
	s_delay_alu instid0(VALU_DEP_1) | instskip(NEXT) | instid1(VALU_DEP_1)
	v_add_f32_e32 v23, v26, v25
	v_sub_f32_e32 v28, v22, v23
	s_delay_alu instid0(VALU_DEP_1) | instskip(NEXT) | instid1(VALU_DEP_1)
	v_sub_f32_e32 v22, v22, v28
	v_sub_f32_e32 v22, v22, v23
	s_delay_alu instid0(VALU_DEP_1) | instskip(SKIP_2) | instid1(VALU_DEP_1)
	v_add_f32_e32 v19, v19, v22
	v_add_f32_e32 v22, v27, v24
	v_sub_f32_e32 v26, v23, v26
	v_sub_f32_e32 v23, v26, v25
	s_delay_alu instid0(VALU_DEP_1) | instskip(NEXT) | instid1(VALU_DEP_4)
	v_add_f32_e32 v19, v23, v19
	v_sub_f32_e32 v23, v22, v27
	s_delay_alu instid0(VALU_DEP_2) | instskip(NEXT) | instid1(VALU_DEP_2)
	v_add_f32_e32 v19, v28, v19
	v_sub_f32_e32 v23, v24, v23
	s_delay_alu instid0(VALU_DEP_2) | instskip(NEXT) | instid1(VALU_DEP_1)
	v_mul_f32_e32 v19, v21, v19
	v_add_f32_e32 v19, v23, v19
	s_delay_alu instid0(VALU_DEP_1) | instskip(NEXT) | instid1(VALU_DEP_1)
	v_add_f32_e32 v21, v22, v19
	v_mul_f32_e32 v23, v21, v21
	s_delay_alu instid0(VALU_DEP_1) | instskip(SKIP_1) | instid1(VALU_DEP_2)
	v_fmaak_f32 v24, s74, v23, 0x3ecc95a3
	v_mul_f32_e32 v25, v21, v23
	v_fmaak_f32 v23, v23, v24, 0x3f2aaada
	v_ldexp_f32 v24, v21, 1
	s_delay_alu instid0(VALU_DEP_2) | instskip(SKIP_1) | instid1(VALU_DEP_2)
	v_mul_f32_e32 v23, v25, v23
	v_sub_f32_e32 v21, v21, v22
	v_dual_mul_f32 v25, 0x3f317218, v18 :: v_dual_add_f32 v22, v24, v23
	s_delay_alu instid0(VALU_DEP_2) | instskip(NEXT) | instid1(VALU_DEP_2)
	v_sub_f32_e32 v19, v19, v21
	v_sub_f32_e32 v21, v22, v24
	s_delay_alu instid0(VALU_DEP_3) | instskip(NEXT) | instid1(VALU_DEP_3)
	v_fma_f32 v24, 0x3f317218, v18, -v25
	v_ldexp_f32 v19, v19, 1
	s_delay_alu instid0(VALU_DEP_2) | instskip(NEXT) | instid1(VALU_DEP_1)
	v_dual_sub_f32 v21, v23, v21 :: v_dual_fmac_f32 v24, 0xb102e308, v18
	v_dual_add_f32 v18, v19, v21 :: v_dual_add_f32 v19, v25, v24
	s_delay_alu instid0(VALU_DEP_1) | instskip(NEXT) | instid1(VALU_DEP_1)
	v_add_f32_e32 v21, v22, v18
	v_dual_add_f32 v23, v19, v21 :: v_dual_sub_f32 v22, v21, v22
	s_delay_alu instid0(VALU_DEP_1) | instskip(NEXT) | instid1(VALU_DEP_2)
	v_sub_f32_e32 v26, v23, v19
	v_dual_sub_f32 v25, v19, v25 :: v_dual_sub_f32 v18, v18, v22
	s_delay_alu instid0(VALU_DEP_1) | instskip(SKIP_1) | instid1(VALU_DEP_2)
	v_dual_sub_f32 v27, v23, v26 :: v_dual_sub_f32 v24, v24, v25
	v_sub_f32_e32 v21, v21, v26
	v_dual_sub_f32 v19, v19, v27 :: v_dual_add_f32 v22, v24, v18
	s_delay_alu instid0(VALU_DEP_1) | instskip(NEXT) | instid1(VALU_DEP_2)
	v_add_f32_e32 v19, v21, v19
	v_sub_f32_e32 v21, v22, v24
	s_delay_alu instid0(VALU_DEP_2) | instskip(NEXT) | instid1(VALU_DEP_2)
	v_add_f32_e32 v19, v22, v19
	v_sub_f32_e32 v22, v22, v21
	s_delay_alu instid0(VALU_DEP_2) | instskip(NEXT) | instid1(VALU_DEP_1)
	v_dual_sub_f32 v18, v18, v21 :: v_dual_add_f32 v25, v23, v19
	v_dual_sub_f32 v22, v24, v22 :: v_dual_sub_f32 v21, v25, v23
	s_delay_alu instid0(VALU_DEP_1) | instskip(NEXT) | instid1(VALU_DEP_1)
	v_dual_add_f32 v18, v18, v22 :: v_dual_sub_f32 v19, v19, v21
	v_add_f32_e32 v18, v18, v19
	s_delay_alu instid0(VALU_DEP_1) | instskip(NEXT) | instid1(VALU_DEP_1)
	v_add_f32_e32 v18, v25, v18
	v_cndmask_b32_e32 v142, v18, v20, vcc_lo
.LBB156_106:                            ;   in Loop: Header=BB156_12 Depth=1
	s_or_b32 exec_lo, exec_lo, s30
	v_dual_mul_f32 v120, s86, v16 :: v_dual_mul_f32 v121, s86, v15
	v_dual_mul_f32 v122, s86, v14 :: v_dual_mul_f32 v123, s86, v13
	;; [unrolled: 1-line block ×7, first 2 shown]
	v_mul_f32_e32 v138, s86, v2
	v_mul_f32_e32 v124, s86, v17
	s_and_b32 vcc_lo, exec_lo, s93
	s_barrier
	buffer_gl0_inv
	s_cbranch_vccz .LBB156_204
; %bb.107:                              ;   in Loop: Header=BB156_12 Depth=1
	v_dual_mul_f32 v143, v17, v142 :: v_dual_mul_f32 v148, v16, v141
	v_add_co_u32 v17, s29, s79, v34
	s_delay_alu instid0(VALU_DEP_1) | instskip(SKIP_1) | instid1(VALU_DEP_1)
	v_add_co_ci_u32_e64 v18, null, s81, 0, s29
	v_add_co_u32 v19, s29, s69, v34
	v_add_co_ci_u32_e64 v20, null, s82, 0, s29
	s_delay_alu instid0(VALU_DEP_4) | instskip(NEXT) | instid1(VALU_DEP_4)
	v_add_co_u32 v144, vcc_lo, v17, v110
	v_add_co_ci_u32_e32 v145, vcc_lo, 0, v18, vcc_lo
	s_delay_alu instid0(VALU_DEP_4) | instskip(NEXT) | instid1(VALU_DEP_4)
	v_add_co_u32 v146, vcc_lo, v19, v110
	v_add_co_ci_u32_e32 v147, vcc_lo, 0, v20, vcc_lo
	v_cmp_gt_u32_e32 vcc_lo, s41, v36
	s_cmp_lg_u32 s96, 0
	v_cmp_gt_u32_e64 s31, s41, v96
	s_cselect_b32 s51, -1, 0
	s_cmp_eq_u32 s96, s95
	v_cmp_gt_u32_e64 s33, s41, v97
	s_cselect_b32 s60, -1, 0
	s_or_b32 s29, s94, vcc_lo
	v_cmp_gt_u32_e32 vcc_lo, s41, v95
	v_cmp_gt_u32_e64 s34, s41, v98
	v_cmp_gt_u32_e64 s35, s41, v99
	;; [unrolled: 1-line block ×4, first 2 shown]
	s_or_b32 s30, s94, vcc_lo
	v_cmp_gt_u32_e32 vcc_lo, s41, v100
	v_cmp_gt_u32_e64 s39, s41, v103
	v_cmp_gt_u32_e64 s40, s41, v104
	;; [unrolled: 1-line block ×4, first 2 shown]
	s_or_b32 s36, s94, vcc_lo
	v_cmp_gt_u32_e32 vcc_lo, s41, v105
	v_cmp_gt_u32_e64 s44, s41, v108
	v_cmp_gt_u32_e64 s45, s41, v109
	v_dual_mul_f32 v149, v15, v140 :: v_dual_mul_f32 v150, v14, v139
	v_dual_mul_f32 v151, v13, v137 :: v_dual_mul_f32 v152, v12, v131
	;; [unrolled: 1-line block ×7, first 2 shown]
	s_mov_b32 s52, 0
	s_or_b32 s31, s94, s31
	s_or_b32 s33, s94, s33
	;; [unrolled: 1-line block ×8, first 2 shown]
	s_or_b32 s41, s94, vcc_lo
	s_or_b32 s42, s94, s42
	s_or_b32 s43, s94, s43
	;; [unrolled: 1-line block ×4, first 2 shown]
	s_mov_b32 s54, s52
	s_mov_b32 s56, s52
	;; [unrolled: 1-line block ×5, first 2 shown]
	s_branch .LBB156_109
.LBB156_108:                            ;   in Loop: Header=BB156_109 Depth=2
	s_or_b32 exec_lo, exec_lo, s46
	v_cndmask_b32_e64 v18, v184, v23, s12
	v_cndmask_b32_e64 v19, v183, v22, s12
	s_add_i32 s61, s61, -1
	s_add_i32 s62, s62, 8
	s_add_i32 s58, s58, s83
	v_fma_f32 v18, v18, v165, v35
	v_mul_f32_e32 v19, v19, v165
	s_add_i32 s56, s56, s68
	s_add_i32 s54, s54, s80
	s_add_i32 s52, s52, s77
	v_cndmask_b32_e64 v18, v18, v35, s11
	v_cndmask_b32_e64 v19, v19, v165, s11
	s_cmp_eq_u32 s61, 0
	s_waitcnt lgkmcnt(0)
	s_delay_alu instid0(VALU_DEP_1) | instskip(NEXT) | instid1(VALU_DEP_1)
	v_fmac_f32_e32 v18, v20, v19
	v_fmac_f32_e32 v32, v18, v164
	s_delay_alu instid0(VALU_DEP_1) | instskip(NEXT) | instid1(VALU_DEP_1)
	v_fmac_f32_e32 v34, v32, v163
	v_dual_fmac_f32 v136, v17, v32 :: v_dual_fmac_f32 v33, v34, v166
	s_delay_alu instid0(VALU_DEP_1) | instskip(NEXT) | instid1(VALU_DEP_1)
	v_fmac_f32_e32 v30, v33, v167
	v_fmac_f32_e32 v31, v30, v168
	s_delay_alu instid0(VALU_DEP_1) | instskip(NEXT) | instid1(VALU_DEP_1)
	v_dual_fmac_f32 v135, v14, v34 :: v_dual_fmac_f32 v28, v31, v169
	v_fmac_f32_e32 v29, v28, v170
	v_fmac_f32_e32 v133, v12, v30
	s_delay_alu instid0(VALU_DEP_2) | instskip(SKIP_1) | instid1(VALU_DEP_1)
	v_dual_fmac_f32 v138, v16, v18 :: v_dual_fmac_f32 v129, v11, v29
	v_fmac_f32_e32 v26, v29, v171
	v_dual_fmac_f32 v134, v15, v33 :: v_dual_fmac_f32 v127, v8, v26
	v_fmac_f32_e32 v27, v26, v172
	v_fmac_f32_e32 v130, v10, v28
	s_delay_alu instid0(VALU_DEP_2) | instskip(NEXT) | instid1(VALU_DEP_1)
	v_fmac_f32_e32 v24, v27, v173
	v_dual_fmac_f32 v132, v13, v31 :: v_dual_fmac_f32 v125, v6, v24
	v_fmac_f32_e32 v25, v24, v179
	s_delay_alu instid0(VALU_DEP_1) | instskip(NEXT) | instid1(VALU_DEP_1)
	v_dual_fmac_f32 v174, v25, v175 :: v_dual_fmac_f32 v123, v7, v25
	v_fmac_f32_e32 v176, v174, v178
	s_delay_alu instid0(VALU_DEP_1) | instskip(SKIP_1) | instid1(VALU_DEP_1)
	v_dual_fmac_f32 v126, v9, v27 :: v_dual_fmac_f32 v121, v3, v176
	v_dual_fmac_f32 v177, v176, v181 :: v_dual_fmac_f32 v122, v2, v174
	v_fmac_f32_e32 v180, v177, v182
	v_fmac_f32_e32 v120, v4, v177
	s_delay_alu instid0(VALU_DEP_2)
	v_fmac_f32_e32 v124, v5, v180
	s_cbranch_scc1 .LBB156_204
.LBB156_109:                            ;   Parent Loop BB156_12 Depth=1
                                        ; =>  This Inner Loop Header: Depth=2
	s_lshl_b64 s[46:47], s[52:53], 2
	s_mov_b32 s55, s53
	s_add_u32 s46, s76, s46
	s_addc_u32 s47, s78, s47
	v_dual_mov_b32 v4, 0 :: v_dual_mov_b32 v5, 0
	global_load_b32 v163, v1, s[46:47]
	s_lshl_b64 s[46:47], s[54:55], 2
	s_delay_alu instid0(SALU_CYCLE_1)
	v_add_co_u32 v2, vcc_lo, v144, s46
	v_add_co_ci_u32_e32 v3, vcc_lo, s47, v145, vcc_lo
	s_and_saveexec_b32 s46, s13
	s_cbranch_execz .LBB156_111
; %bb.110:                              ;   in Loop: Header=BB156_109 Depth=2
	global_load_b32 v5, v[2:3], off
.LBB156_111:                            ;   in Loop: Header=BB156_109 Depth=2
	s_or_b32 exec_lo, exec_lo, s46
	s_and_saveexec_b32 s46, s14
	s_cbranch_execz .LBB156_113
; %bb.112:                              ;   in Loop: Header=BB156_109 Depth=2
	global_load_b32 v4, v[2:3], off offset:128
.LBB156_113:                            ;   in Loop: Header=BB156_109 Depth=2
	s_or_b32 exec_lo, exec_lo, s46
	v_dual_mov_b32 v6, 0 :: v_dual_mov_b32 v7, 0
	s_and_saveexec_b32 s46, s15
	s_cbranch_execz .LBB156_115
; %bb.114:                              ;   in Loop: Header=BB156_109 Depth=2
	global_load_b32 v7, v[2:3], off offset:256
.LBB156_115:                            ;   in Loop: Header=BB156_109 Depth=2
	s_or_b32 exec_lo, exec_lo, s46
	s_and_saveexec_b32 s46, s16
	s_cbranch_execz .LBB156_117
; %bb.116:                              ;   in Loop: Header=BB156_109 Depth=2
	global_load_b32 v6, v[2:3], off offset:384
.LBB156_117:                            ;   in Loop: Header=BB156_109 Depth=2
	s_or_b32 exec_lo, exec_lo, s46
	v_dual_mov_b32 v8, 0 :: v_dual_mov_b32 v9, 0
	s_and_saveexec_b32 s46, s17
	s_cbranch_execz .LBB156_119
; %bb.118:                              ;   in Loop: Header=BB156_109 Depth=2
	global_load_b32 v9, v[2:3], off offset:512
.LBB156_119:                            ;   in Loop: Header=BB156_109 Depth=2
	;; [unrolled: 13-line block ×7, first 2 shown]
	s_or_b32 exec_lo, exec_lo, s46
	s_and_saveexec_b32 s46, s28
	s_cbranch_execz .LBB156_141
; %bb.140:                              ;   in Loop: Header=BB156_109 Depth=2
	global_load_b32 v18, v[2:3], off offset:1920
.LBB156_141:                            ;   in Loop: Header=BB156_109 Depth=2
	s_or_b32 exec_lo, exec_lo, s46
	s_waitcnt vmcnt(0)
	ds_store_b32 v54, v5
	ds_store_b32 v55, v4 offset:128
	ds_store_b32 v56, v7 offset:256
	;; [unrolled: 1-line block ×15, first 2 shown]
	; wave barrier
	ds_load_2addr_b32 v[34:35], v70 offset1:1
	ds_load_2addr_b32 v[32:33], v70 offset0:2 offset1:3
	ds_load_2addr_b32 v[30:31], v70 offset0:4 offset1:5
	;; [unrolled: 1-line block ×7, first 2 shown]
	s_mov_b32 s57, s53
	v_dual_mov_b32 v4, 0 :: v_dual_mov_b32 v5, 0
	s_lshl_b64 s[46:47], s[56:57], 2
	s_delay_alu instid0(SALU_CYCLE_1)
	v_add_co_u32 v2, vcc_lo, v146, s46
	v_add_co_ci_u32_e32 v3, vcc_lo, s47, v147, vcc_lo
	s_and_saveexec_b32 s46, s13
	s_cbranch_execz .LBB156_143
; %bb.142:                              ;   in Loop: Header=BB156_109 Depth=2
	global_load_b32 v5, v[2:3], off
.LBB156_143:                            ;   in Loop: Header=BB156_109 Depth=2
	s_or_b32 exec_lo, exec_lo, s46
	s_and_saveexec_b32 s46, s14
	s_cbranch_execz .LBB156_145
; %bb.144:                              ;   in Loop: Header=BB156_109 Depth=2
	global_load_b32 v4, v[2:3], off offset:128
.LBB156_145:                            ;   in Loop: Header=BB156_109 Depth=2
	s_or_b32 exec_lo, exec_lo, s46
	v_dual_mov_b32 v6, 0 :: v_dual_mov_b32 v7, 0
	s_and_saveexec_b32 s46, s15
	s_cbranch_execz .LBB156_147
; %bb.146:                              ;   in Loop: Header=BB156_109 Depth=2
	global_load_b32 v7, v[2:3], off offset:256
.LBB156_147:                            ;   in Loop: Header=BB156_109 Depth=2
	s_or_b32 exec_lo, exec_lo, s46
	s_and_saveexec_b32 s46, s16
	s_cbranch_execz .LBB156_149
; %bb.148:                              ;   in Loop: Header=BB156_109 Depth=2
	global_load_b32 v6, v[2:3], off offset:384
.LBB156_149:                            ;   in Loop: Header=BB156_109 Depth=2
	s_or_b32 exec_lo, exec_lo, s46
	v_dual_mov_b32 v8, 0 :: v_dual_mov_b32 v9, 0
	s_and_saveexec_b32 s46, s17
	s_cbranch_execz .LBB156_151
; %bb.150:                              ;   in Loop: Header=BB156_109 Depth=2
	global_load_b32 v9, v[2:3], off offset:512
.LBB156_151:                            ;   in Loop: Header=BB156_109 Depth=2
	;; [unrolled: 13-line block ×7, first 2 shown]
	s_or_b32 exec_lo, exec_lo, s46
	s_and_saveexec_b32 s46, s28
	s_cbranch_execz .LBB156_173
; %bb.172:                              ;   in Loop: Header=BB156_109 Depth=2
	global_load_b32 v18, v[2:3], off offset:1920
.LBB156_173:                            ;   in Loop: Header=BB156_109 Depth=2
	s_or_b32 exec_lo, exec_lo, s46
	s_waitcnt vmcnt(0)
	ds_store_b32 v54, v5 offset:8448
	ds_store_b32 v71, v4 offset:128
	;; [unrolled: 1-line block ×16, first 2 shown]
	v_add_nc_u32_e32 v4, 0x2100, v70
	; wave barrier
	ds_load_2addr_b32 v[14:15], v86 offset0:2 offset1:3
	ds_load_2addr_b32 v[12:13], v86 offset0:4 offset1:5
	;; [unrolled: 1-line block ×6, first 2 shown]
	ds_load_2addr_b32 v[16:17], v4 offset1:1
	ds_load_2addr_b32 v[4:5], v86 offset0:14 offset1:15
	s_and_not1_b32 vcc_lo, exec_lo, s51
	s_cbranch_vccnz .LBB156_175
; %bb.174:                              ;   in Loop: Header=BB156_109 Depth=2
	v_mov_b32_e32 v18, s62
	ds_load_b64 v[18:19], v18
	s_cbranch_execz .LBB156_176
	s_branch .LBB156_179
.LBB156_175:                            ;   in Loop: Header=BB156_109 Depth=2
                                        ; implicit-def: $vgpr18
.LBB156_176:                            ;   in Loop: Header=BB156_109 Depth=2
	s_waitcnt lgkmcnt(0)
	v_mov_b32_e32 v19, 0
	s_and_not1_b32 vcc_lo, exec_lo, s84
	s_cbranch_vccnz .LBB156_178
; %bb.177:                              ;   in Loop: Header=BB156_109 Depth=2
	s_mov_b32 s59, s53
	s_delay_alu instid0(SALU_CYCLE_1) | instskip(NEXT) | instid1(SALU_CYCLE_1)
	s_lshl_b64 s[46:47], s[58:59], 2
	s_add_u32 s46, s88, s46
	s_addc_u32 s47, s89, s47
	global_load_b32 v19, v1, s[46:47]
.LBB156_178:                            ;   in Loop: Header=BB156_109 Depth=2
	v_mov_b32_e32 v18, 1.0
.LBB156_179:                            ;   in Loop: Header=BB156_109 Depth=2
	s_waitcnt lgkmcnt(31)
	v_dual_mul_f32 v177, 0x3fb8aa3b, v163 :: v_dual_mul_f32 v34, v34, v162
	s_waitcnt lgkmcnt(30)
	v_dual_mul_f32 v163, v35, v161 :: v_dual_mul_f32 v164, v32, v160
	;; [unrolled: 2-line block ×3, first 2 shown]
	v_mul_f32_e32 v165, v177, v112
	v_mul_f32_e32 v166, v177, v113
	v_dual_mul_f32 v167, v177, v114 :: v_dual_mul_f32 v28, v28, v156
	v_cndmask_b32_e64 v35, 0, v34, s29
	s_delay_alu instid0(VALU_DEP_4) | instskip(NEXT) | instid1(VALU_DEP_4)
	v_cmp_gt_f32_e64 s46, 0xc2fc0000, v165
	v_cmp_gt_f32_e64 s47, 0xc2fc0000, v166
	s_delay_alu instid0(VALU_DEP_4)
	v_cmp_gt_f32_e64 s48, 0xc2fc0000, v167
	v_cndmask_b32_e64 v34, 0, v164, s31
	v_cndmask_b32_e64 v28, 0, v28, s36
	;; [unrolled: 1-line block ×5, first 2 shown]
	v_cndmask_b32_e64 v169, 1.0, 0x1f800000, s46
	s_delay_alu instid0(VALU_DEP_4) | instskip(NEXT) | instid1(VALU_DEP_4)
	v_dual_mul_f32 v31, v31, v157 :: v_dual_fmac_f32 v166, v177, v112
	v_fmac_f32_e32 v168, v177, v113
	s_delay_alu instid0(VALU_DEP_4) | instskip(SKIP_1) | instid1(VALU_DEP_4)
	v_fmac_f32_e32 v164, v177, v114
	v_cndmask_b32_e64 v170, 1.0, 0x1f800000, s47
	v_cndmask_b32_e64 v31, 0, v31, s35
	v_exp_f32_e32 v166, v166
	v_exp_f32_e32 v168, v168
	v_mul_f32_e32 v167, v177, v116
	v_exp_f32_e32 v172, v164
	v_cndmask_b32_e64 v25, 0, v25, s41
	v_dual_mul_f32 v27, v27, v153 :: v_dual_mul_f32 v30, v30, v158
	v_mul_f32_e32 v24, v24, v152
	v_mul_f32_e32 v26, v26, v154
	;; [unrolled: 1-line block ×3, first 2 shown]
	s_delay_alu instid0(TRANS32_DEP_3) | instskip(NEXT) | instid1(TRANS32_DEP_2)
	v_mul_f32_e32 v164, v166, v169
	v_mul_f32_e32 v166, v168, v170
	v_cndmask_b32_e64 v168, 1.0, 0x1f800000, s48
	v_mul_f32_e32 v32, v177, v111
	v_mul_f32_e32 v170, v177, v118
	v_cndmask_b32_e64 v164, 1.0, v164, s30
	v_cndmask_b32_e64 v30, 0, v30, s34
	v_cndmask_b32_e64 v26, 0, v26, s38
	v_cmp_gt_f32_e32 vcc_lo, 0xc2fc0000, v32
	v_cndmask_b32_e64 v32, 0, v163, s30
	v_mul_f32_e32 v163, v177, v115
	v_cmp_gt_f32_e64 s47, 0xc2fc0000, v170
	v_cndmask_b32_e64 v27, 0, v27, s39
	v_cndmask_b32_e64 v165, 0, 0x42800000, vcc_lo
	v_fma_f32 v179, v164, v35, v32
	v_cmp_gt_f32_e64 s49, 0xc2fc0000, v163
	v_cndmask_b32_e64 v163, 1.0, 0x1f800000, vcc_lo
	v_cmp_gt_f32_e32 vcc_lo, 0xc2fc0000, v167
	v_mul_f32_e32 v167, v172, v168
	v_cndmask_b32_e64 v24, 0, v24, s40
	v_cndmask_b32_e64 v171, 0, 0x42800000, s49
	v_mul_f32_e32 v23, v23, v149
	v_cndmask_b32_e64 v170, 1.0, 0x1f800000, vcc_lo
	v_fmac_f32_e32 v165, v177, v111
	v_cndmask_b32_e64 v169, 0, 0x42800000, vcc_lo
	v_fmac_f32_e32 v171, v177, v115
	s_delay_alu instid0(VALU_DEP_3) | instskip(NEXT) | instid1(VALU_DEP_2)
	v_exp_f32_e32 v165, v165
	v_fmac_f32_e32 v169, v177, v116
	s_delay_alu instid0(VALU_DEP_2) | instskip(SKIP_2) | instid1(VALU_DEP_1)
	v_exp_f32_e32 v168, v171
	s_waitcnt_depctr 0xfff
	v_mul_f32_e32 v163, v165, v163
	v_cndmask_b32_e64 v165, 1.0, v163, s29
	v_cndmask_b32_e64 v163, 1.0, v166, s31
	v_mul_f32_e32 v166, v177, v117
	s_delay_alu instid0(VALU_DEP_1) | instskip(SKIP_3) | instid1(VALU_DEP_4)
	v_cmp_gt_f32_e64 s46, 0xc2fc0000, v166
	v_cndmask_b32_e64 v166, 1.0, v167, s33
	v_cndmask_b32_e64 v167, 1.0, 0x1f800000, s49
	v_mul_f32_e32 v172, v177, v119
	v_cndmask_b32_e64 v171, 0, 0x42800000, s46
	s_delay_alu instid0(VALU_DEP_3) | instskip(SKIP_2) | instid1(VALU_DEP_3)
	v_mul_f32_e32 v167, v168, v167
	v_exp_f32_e32 v168, v169
	v_cndmask_b32_e64 v169, 0, 0x42800000, s47
	v_fmac_f32_e32 v171, v177, v117
	v_cmp_gt_f32_e32 vcc_lo, 0xc2fc0000, v172
	v_cndmask_b32_e64 v167, 1.0, v167, s34
	v_mul_f32_e32 v172, v177, v128
	v_fmac_f32_e32 v169, v177, v118
	v_exp_f32_e32 v171, v171
	s_delay_alu instid0(TRANS32_DEP_2) | instskip(SKIP_1) | instid1(VALU_DEP_3)
	v_mul_f32_e32 v168, v168, v170
	v_cndmask_b32_e64 v170, 1.0, 0x1f800000, s46
	v_exp_f32_e32 v173, v169
	v_cmp_gt_f32_e64 s46, 0xc2fc0000, v172
	v_mul_f32_e32 v172, v177, v137
	v_cndmask_b32_e64 v168, 1.0, v168, s35
	s_delay_alu instid0(TRANS32_DEP_2) | instskip(SKIP_3) | instid1(VALU_DEP_4)
	v_dual_mul_f32 v174, v177, v131 :: v_dual_mul_f32 v169, v171, v170
	v_cndmask_b32_e64 v171, 0, 0x42800000, vcc_lo
	v_cndmask_b32_e64 v170, 1.0, 0x1f800000, s47
	v_cmp_gt_f32_e64 s48, 0xc2fc0000, v172
	v_cmp_gt_f32_e64 s47, 0xc2fc0000, v174
	v_cndmask_b32_e64 v172, 1.0, 0x1f800000, vcc_lo
	v_fmac_f32_e32 v171, v177, v119
	v_mul_f32_e32 v170, v173, v170
	v_cndmask_b32_e64 v173, 0, 0x42800000, s46
	v_cndmask_b32_e64 v174, 0, 0x42800000, s47
	;; [unrolled: 1-line block ×3, first 2 shown]
	v_exp_f32_e32 v171, v171
	v_cndmask_b32_e64 v170, 1.0, v170, s37
	v_fmac_f32_e32 v173, v177, v128
	v_fmac_f32_e32 v174, v177, v131
	v_cndmask_b32_e64 v176, 1.0, 0x1f800000, s47
	v_cndmask_b32_e64 v178, 1.0, 0x1f800000, s48
	;; [unrolled: 1-line block ×3, first 2 shown]
	v_exp_f32_e32 v173, v173
	s_delay_alu instid0(TRANS32_DEP_2) | instskip(SKIP_3) | instid1(VALU_DEP_3)
	v_mul_f32_e32 v171, v171, v172
	v_exp_f32_e32 v172, v174
	v_cndmask_b32_e64 v174, 1.0, 0x1f800000, s46
	v_mul_f32_e32 v33, v33, v159
	v_cndmask_b32_e64 v171, 1.0, v171, s38
	v_fmac_f32_e32 v175, v177, v137
	s_delay_alu instid0(TRANS32_DEP_2) | instid1(VALU_DEP_4)
	v_mul_f32_e32 v173, v173, v174
	v_mul_f32_e32 v174, v177, v139
	s_delay_alu instid0(VALU_DEP_3) | instskip(NEXT) | instid1(TRANS32_DEP_2)
	v_exp_f32_e32 v175, v175
	v_mul_f32_e32 v176, v172, v176
	s_delay_alu instid0(VALU_DEP_2) | instskip(SKIP_2) | instid1(VALU_DEP_4)
	v_cmp_gt_f32_e32 vcc_lo, 0xc2fc0000, v174
	v_cndmask_b32_e64 v172, 1.0, v173, s39
	v_cndmask_b32_e64 v33, 0, v33, s33
	v_cndmask_b32_e64 v173, 1.0, v176, s40
	v_cndmask_b32_e64 v176, 0, 0x42800000, vcc_lo
	s_delay_alu instid0(TRANS32_DEP_1) | instskip(SKIP_1) | instid1(VALU_DEP_3)
	v_dual_mul_f32 v174, v175, v178 :: v_dual_mul_f32 v175, v177, v140
	v_mul_f32_e32 v178, v164, v165
	v_fmac_f32_e32 v176, v177, v139
	s_delay_alu instid0(VALU_DEP_3) | instskip(NEXT) | instid1(VALU_DEP_3)
	v_cmp_gt_f32_e64 s46, 0xc2fc0000, v175
	v_mul_f32_e32 v175, v178, v163
	v_fma_f32 v178, v179, v163, v34
	s_delay_alu instid0(VALU_DEP_4)
	v_exp_f32_e32 v176, v176
	v_cndmask_b32_e64 v179, 1.0, v174, s41
	v_cndmask_b32_e64 v180, 0, 0x42800000, s46
	v_mul_f32_e32 v175, v175, v166
	v_fma_f32 v178, v178, v166, v33
	v_cndmask_b32_e64 v174, 1.0, 0x1f800000, vcc_lo
	v_mul_f32_e32 v29, v29, v155
	s_delay_alu instid0(VALU_DEP_4) | instskip(NEXT) | instid1(VALU_DEP_4)
	v_dual_fmac_f32 v180, v177, v140 :: v_dual_mul_f32 v175, v175, v167
	v_fma_f32 v178, v178, v167, v30
	s_delay_alu instid0(TRANS32_DEP_1) | instid1(VALU_DEP_4)
	v_mul_f32_e32 v176, v176, v174
	v_cndmask_b32_e64 v174, 0, v22, s42
	s_delay_alu instid0(VALU_DEP_4)
	v_exp_f32_e32 v180, v180
	v_mul_f32_e32 v181, v175, v168
	v_fma_f32 v178, v178, v168, v31
	v_mul_f32_e32 v22, v177, v141
	v_cndmask_b32_e64 v182, 1.0, 0x1f800000, s46
	v_cndmask_b32_e64 v175, 1.0, v176, s42
	v_mul_f32_e32 v176, v181, v169
	v_cndmask_b32_e64 v29, 0, v29, s37
	v_fma_f32 v178, v178, v169, v28
	v_cmp_gt_f32_e32 vcc_lo, 0xc2fc0000, v22
	v_mul_f32_e32 v22, v180, v182
	v_mul_f32_e32 v180, v177, v142
	v_mul_f32_e32 v176, v176, v170
	v_fma_f32 v178, v178, v170, v29
	v_cndmask_b32_e64 v181, 0, 0x42800000, vcc_lo
	s_delay_alu instid0(VALU_DEP_4) | instskip(NEXT) | instid1(VALU_DEP_4)
	v_cmp_gt_f32_e64 s46, 0xc2fc0000, v180
	v_mul_f32_e32 v180, v176, v171
	s_delay_alu instid0(VALU_DEP_4) | instskip(SKIP_1) | instid1(VALU_DEP_4)
	v_fma_f32 v178, v178, v171, v26
	v_cndmask_b32_e64 v176, 0, v23, s43
	v_cndmask_b32_e64 v23, 0, 0x42800000, s46
	s_delay_alu instid0(VALU_DEP_4) | instskip(NEXT) | instid1(VALU_DEP_4)
	v_mul_f32_e32 v180, v180, v172
	v_fma_f32 v182, v178, v172, v27
	v_cndmask_b32_e64 v178, 1.0, v22, s43
	s_delay_alu instid0(VALU_DEP_3) | instskip(SKIP_2) | instid1(VALU_DEP_3)
	v_mul_f32_e32 v22, v180, v173
	v_fmac_f32_e32 v181, v177, v141
	v_cndmask_b32_e64 v180, 1.0, 0x1f800000, vcc_lo
	v_mul_f32_e32 v22, v22, v179
	s_delay_alu instid0(VALU_DEP_3) | instskip(SKIP_2) | instid1(VALU_DEP_3)
	v_exp_f32_e32 v181, v181
	v_fmac_f32_e32 v23, v177, v142
	v_fma_f32 v177, v182, v173, v24
	v_mul_f32_e32 v22, v22, v175
	s_delay_alu instid0(VALU_DEP_3) | instskip(NEXT) | instid1(VALU_DEP_2)
	v_exp_f32_e32 v23, v23
	v_fma_f32 v182, v177, v179, v25
	v_cndmask_b32_e64 v177, 0, v20, s44
	v_cndmask_b32_e64 v20, 1.0, 0x1f800000, s46
	s_delay_alu instid0(TRANS32_DEP_2) | instskip(SKIP_3) | instid1(VALU_DEP_4)
	v_mul_f32_e32 v180, v181, v180
	v_mul_f32_e32 v21, v21, v143
	v_fma_f32 v182, v182, v175, v174
	v_mul_f32_e32 v22, v22, v178
	v_cndmask_b32_e64 v181, 1.0, v180, s44
	s_delay_alu instid0(TRANS32_DEP_1) | instskip(NEXT) | instid1(VALU_DEP_4)
	v_mul_f32_e32 v20, v23, v20
	v_fma_f32 v23, v182, v178, v176
	v_cndmask_b32_e64 v180, 0, v21, s45
	s_delay_alu instid0(VALU_DEP_3) | instskip(SKIP_1) | instid1(VALU_DEP_4)
	v_cndmask_b32_e64 v182, 1.0, v20, s45
	v_mul_f32_e32 v20, v22, v181
	v_fma_f32 v21, v23, v181, v177
	s_delay_alu instid0(VALU_DEP_2) | instskip(NEXT) | instid1(VALU_DEP_2)
	v_mul_f32_e32 v20, v20, v182
	v_fma_f32 v21, v21, v182, v180
	s_delay_alu instid0(VALU_DEP_2) | instskip(NEXT) | instid1(VALU_DEP_2)
	v_mov_b32_dpp v23, v20 row_shr:1 row_mask:0xf bank_mask:0xf
	v_mov_b32_dpp v22, v21 row_shr:1 row_mask:0xf bank_mask:0xf
	s_and_saveexec_b32 s46, s0
; %bb.180:                              ;   in Loop: Header=BB156_109 Depth=2
	s_delay_alu instid0(VALU_DEP_2) | instskip(NEXT) | instid1(VALU_DEP_1)
	v_mul_f32_e32 v23, v20, v23
	v_dual_fmac_f32 v21, v20, v22 :: v_dual_mov_b32 v20, v23
; %bb.181:                              ;   in Loop: Header=BB156_109 Depth=2
	s_or_b32 exec_lo, exec_lo, s46
	s_delay_alu instid0(VALU_DEP_1) | instskip(NEXT) | instid1(VALU_DEP_2)
	v_mov_b32_dpp v22, v20 row_shr:2 row_mask:0xf bank_mask:0xf
	v_mov_b32_dpp v23, v21 row_shr:2 row_mask:0xf bank_mask:0xf
	s_and_saveexec_b32 s46, s1
; %bb.182:                              ;   in Loop: Header=BB156_109 Depth=2
	s_delay_alu instid0(VALU_DEP_1) | instskip(NEXT) | instid1(VALU_DEP_3)
	v_fmac_f32_e32 v21, v20, v23
	v_mul_f32_e32 v20, v20, v22
; %bb.183:                              ;   in Loop: Header=BB156_109 Depth=2
	s_or_b32 exec_lo, exec_lo, s46
	s_delay_alu instid0(VALU_DEP_1) | instskip(NEXT) | instid1(VALU_DEP_3)
	v_mov_b32_dpp v22, v20 row_shr:4 row_mask:0xf bank_mask:0xf
	v_mov_b32_dpp v23, v21 row_shr:4 row_mask:0xf bank_mask:0xf
	s_and_saveexec_b32 s46, s2
; %bb.184:                              ;   in Loop: Header=BB156_109 Depth=2
	s_delay_alu instid0(VALU_DEP_1) | instskip(NEXT) | instid1(VALU_DEP_3)
	v_fmac_f32_e32 v21, v20, v23
	v_mul_f32_e32 v20, v20, v22
; %bb.185:                              ;   in Loop: Header=BB156_109 Depth=2
	s_or_b32 exec_lo, exec_lo, s46
	s_delay_alu instid0(VALU_DEP_1) | instskip(NEXT) | instid1(VALU_DEP_3)
	v_mov_b32_dpp v22, v20 row_shr:8 row_mask:0xf bank_mask:0xf
	v_mov_b32_dpp v23, v21 row_shr:8 row_mask:0xf bank_mask:0xf
	s_and_saveexec_b32 s46, s3
; %bb.186:                              ;   in Loop: Header=BB156_109 Depth=2
	s_delay_alu instid0(VALU_DEP_1) | instskip(NEXT) | instid1(VALU_DEP_3)
	v_fmac_f32_e32 v21, v20, v23
	v_mul_f32_e32 v20, v20, v22
; %bb.187:                              ;   in Loop: Header=BB156_109 Depth=2
	s_or_b32 exec_lo, exec_lo, s46
	ds_swizzle_b32 v23, v20 offset:swizzle(BROADCAST,32,15)
	ds_swizzle_b32 v22, v21 offset:swizzle(BROADCAST,32,15)
	s_and_saveexec_b32 s46, s4
	s_cbranch_execz .LBB156_189
; %bb.188:                              ;   in Loop: Header=BB156_109 Depth=2
	s_waitcnt lgkmcnt(1)
	v_mul_f32_e32 v23, v20, v23
	s_waitcnt lgkmcnt(0)
	s_delay_alu instid0(VALU_DEP_1)
	v_dual_fmac_f32 v21, v20, v22 :: v_dual_mov_b32 v20, v23
.LBB156_189:                            ;   in Loop: Header=BB156_109 Depth=2
	s_or_b32 exec_lo, exec_lo, s46
	s_and_saveexec_b32 s46, s5
	s_cbranch_execz .LBB156_191
; %bb.190:                              ;   in Loop: Header=BB156_109 Depth=2
	ds_store_b64 v87, v[20:21] offset:16896
.LBB156_191:                            ;   in Loop: Header=BB156_109 Depth=2
	s_or_b32 exec_lo, exec_lo, s46
	s_waitcnt vmcnt(0) lgkmcnt(0)
	s_waitcnt_vscnt null, 0x0
	s_barrier
	buffer_gl0_inv
	s_and_saveexec_b32 s46, s6
	s_cbranch_execz .LBB156_195
; %bb.192:                              ;   in Loop: Header=BB156_109 Depth=2
	ds_load_b64 v[22:23], v88 offset:16896
	s_waitcnt lgkmcnt(0)
	v_mov_b32_dpp v185, v22 row_shr:1 row_mask:0xf bank_mask:0xf
	v_mov_b32_dpp v184, v23 row_shr:1 row_mask:0xf bank_mask:0xf
	v_mov_b32_e32 v183, v22
	s_and_saveexec_b32 s47, s7
; %bb.193:                              ;   in Loop: Header=BB156_109 Depth=2
	s_delay_alu instid0(VALU_DEP_3) | instskip(NEXT) | instid1(VALU_DEP_1)
	v_mul_f32_e32 v183, v22, v185
	v_dual_fmac_f32 v23, v22, v184 :: v_dual_mov_b32 v22, v183
; %bb.194:                              ;   in Loop: Header=BB156_109 Depth=2
	s_or_b32 exec_lo, exec_lo, s47
	v_mov_b32_dpp v183, v183 row_shr:2 row_mask:0xf bank_mask:0xf
	s_delay_alu instid0(VALU_DEP_2) | instskip(NEXT) | instid1(VALU_DEP_2)
	v_mov_b32_dpp v184, v23 row_shr:2 row_mask:0xf bank_mask:0xf
	v_mul_f32_e32 v183, v22, v183
	s_delay_alu instid0(VALU_DEP_2) | instskip(NEXT) | instid1(VALU_DEP_2)
	v_fma_f32 v184, v22, v184, v23
	v_cndmask_b32_e64 v22, v22, v183, s8
	s_delay_alu instid0(VALU_DEP_2)
	v_cndmask_b32_e64 v23, v23, v184, s8
	ds_store_b64 v88, v[22:23] offset:16896
.LBB156_195:                            ;   in Loop: Header=BB156_109 Depth=2
	s_or_b32 exec_lo, exec_lo, s46
	s_waitcnt lgkmcnt(0)
	s_barrier
	buffer_gl0_inv
                                        ; implicit-def: $vgpr23
	s_and_saveexec_b32 s46, s10
	s_cbranch_execz .LBB156_197
; %bb.196:                              ;   in Loop: Header=BB156_109 Depth=2
	ds_load_b64 v[22:23], v87 offset:16888
	s_waitcnt lgkmcnt(0)
	v_mul_f32_e32 v183, v20, v22
	s_delay_alu instid0(VALU_DEP_1)
	v_dual_fmac_f32 v21, v20, v23 :: v_dual_mov_b32 v20, v183
.LBB156_197:                            ;   in Loop: Header=BB156_109 Depth=2
	s_or_b32 exec_lo, exec_lo, s46
	ds_bpermute_b32 v183, v89, v20
	ds_bpermute_b32 v184, v89, v21
	s_and_saveexec_b32 s46, s9
	s_cbranch_execz .LBB156_201
; %bb.198:                              ;   in Loop: Header=BB156_109 Depth=2
	ds_load_b64 v[20:21], v1 offset:16920
	s_and_saveexec_b32 s47, s11
	s_cbranch_execz .LBB156_200
; %bb.199:                              ;   in Loop: Header=BB156_109 Depth=2
	ds_store_b64 v1, v[18:19] offset:16920
.LBB156_200:                            ;   in Loop: Header=BB156_109 Depth=2
	s_or_b32 exec_lo, exec_lo, s47
	s_waitcnt lgkmcnt(0)
	v_fmac_f32_e32 v21, v19, v20
	s_delay_alu instid0(VALU_DEP_1)
	v_dual_mul_f32 v18, v18, v20 :: v_dual_mov_b32 v19, v21
.LBB156_201:                            ;   in Loop: Header=BB156_109 Depth=2
	s_or_b32 exec_lo, exec_lo, s46
	s_waitcnt lgkmcnt(0)
	s_barrier
	buffer_gl0_inv
	ds_load_b32 v20, v1 offset:16924
	s_and_saveexec_b32 s46, s11
	s_cbranch_execz .LBB156_108
; %bb.202:                              ;   in Loop: Header=BB156_109 Depth=2
	v_mov_b32_e32 v21, s62
	s_and_not1_b32 vcc_lo, exec_lo, s60
	ds_store_b64 v21, v[18:19]
	s_cbranch_vccnz .LBB156_108
; %bb.203:                              ;   in Loop: Header=BB156_109 Depth=2
	s_mov_b32 s59, s53
	s_delay_alu instid0(SALU_CYCLE_1) | instskip(NEXT) | instid1(SALU_CYCLE_1)
	s_lshl_b64 s[48:49], s[58:59], 2
	s_add_u32 s48, s88, s48
	s_addc_u32 s49, s89, s49
	global_store_b32 v1, v19, s[48:49]
	s_branch .LBB156_108
.LBB156_204:                            ;   in Loop: Header=BB156_12 Depth=1
	s_waitcnt_vscnt null, 0x0
	s_barrier
	buffer_gl0_inv
	ds_store_2addr_b32 v70, v138, v136 offset1:1
	ds_store_2addr_b32 v70, v135, v134 offset0:2 offset1:3
	ds_store_2addr_b32 v70, v133, v132 offset0:4 offset1:5
	;; [unrolled: 1-line block ×7, first 2 shown]
	; wave barrier
	ds_load_b32 v18, v55 offset:128
	ds_load_b32 v17, v56 offset:256
	;; [unrolled: 1-line block ×15, first 2 shown]
	s_mov_b32 s51, s53
	s_delay_alu instid0(SALU_CYCLE_1) | instskip(NEXT) | instid1(SALU_CYCLE_1)
	s_lshl_b64 s[34:35], s[50:51], 2
	v_add_co_u32 v2, vcc_lo, v0, s34
	v_add_co_ci_u32_e32 v3, vcc_lo, s35, v90, vcc_lo
	s_and_saveexec_b32 s29, s13
	s_cbranch_execnz .LBB156_256
; %bb.205:                              ;   in Loop: Header=BB156_12 Depth=1
	s_or_b32 exec_lo, exec_lo, s29
	s_and_saveexec_b32 s29, s14
	s_cbranch_execnz .LBB156_257
.LBB156_206:                            ;   in Loop: Header=BB156_12 Depth=1
	s_or_b32 exec_lo, exec_lo, s29
	s_and_saveexec_b32 s29, s15
	s_cbranch_execnz .LBB156_258
.LBB156_207:                            ;   in Loop: Header=BB156_12 Depth=1
	s_or_b32 exec_lo, exec_lo, s29
	s_and_saveexec_b32 s29, s16
	s_cbranch_execnz .LBB156_259
.LBB156_208:                            ;   in Loop: Header=BB156_12 Depth=1
	s_or_b32 exec_lo, exec_lo, s29
	s_and_saveexec_b32 s29, s17
	s_cbranch_execnz .LBB156_260
.LBB156_209:                            ;   in Loop: Header=BB156_12 Depth=1
	s_or_b32 exec_lo, exec_lo, s29
	s_and_saveexec_b32 s29, s18
	s_cbranch_execnz .LBB156_261
.LBB156_210:                            ;   in Loop: Header=BB156_12 Depth=1
	s_or_b32 exec_lo, exec_lo, s29
	s_and_saveexec_b32 s29, s19
	s_cbranch_execnz .LBB156_262
.LBB156_211:                            ;   in Loop: Header=BB156_12 Depth=1
	s_or_b32 exec_lo, exec_lo, s29
	s_and_saveexec_b32 s29, s20
	s_cbranch_execnz .LBB156_263
.LBB156_212:                            ;   in Loop: Header=BB156_12 Depth=1
	s_or_b32 exec_lo, exec_lo, s29
	s_and_saveexec_b32 s29, s21
	s_cbranch_execnz .LBB156_264
.LBB156_213:                            ;   in Loop: Header=BB156_12 Depth=1
	s_or_b32 exec_lo, exec_lo, s29
	s_and_saveexec_b32 s29, s22
	s_cbranch_execnz .LBB156_265
.LBB156_214:                            ;   in Loop: Header=BB156_12 Depth=1
	s_or_b32 exec_lo, exec_lo, s29
	s_and_saveexec_b32 s29, s23
	s_cbranch_execnz .LBB156_266
.LBB156_215:                            ;   in Loop: Header=BB156_12 Depth=1
	s_or_b32 exec_lo, exec_lo, s29
	s_and_saveexec_b32 s29, s24
	s_cbranch_execnz .LBB156_267
.LBB156_216:                            ;   in Loop: Header=BB156_12 Depth=1
	s_or_b32 exec_lo, exec_lo, s29
	s_and_saveexec_b32 s29, s25
	s_cbranch_execnz .LBB156_268
.LBB156_217:                            ;   in Loop: Header=BB156_12 Depth=1
	s_or_b32 exec_lo, exec_lo, s29
	s_and_saveexec_b32 s29, s26
	s_cbranch_execnz .LBB156_269
.LBB156_218:                            ;   in Loop: Header=BB156_12 Depth=1
	s_or_b32 exec_lo, exec_lo, s29
	s_and_saveexec_b32 s29, s27
	s_cbranch_execnz .LBB156_270
.LBB156_219:                            ;   in Loop: Header=BB156_12 Depth=1
	s_or_b32 exec_lo, exec_lo, s29
	s_and_saveexec_b32 s29, s28
	s_cbranch_execz .LBB156_221
.LBB156_220:                            ;   in Loop: Header=BB156_12 Depth=1
	s_waitcnt lgkmcnt(0)
	global_store_b32 v[2:3], v4, off offset:1920
.LBB156_221:                            ;   in Loop: Header=BB156_12 Depth=1
	s_or_b32 exec_lo, exec_lo, s29
	s_mov_b32 s52, s53
	s_mov_b32 s54, s53
	;; [unrolled: 1-line block ×15, first 2 shown]
	s_waitcnt lgkmcnt(14)
	v_add_co_u32 v18, vcc_lo, v91, s34
	s_waitcnt lgkmcnt(0)
	v_dual_mov_b32 v2, s52 :: v_dual_mov_b32 v3, s53
	v_add_co_ci_u32_e32 v19, vcc_lo, s35, v92, vcc_lo
	v_dual_mov_b32 v4, s54 :: v_dual_mov_b32 v5, s55
	v_dual_mov_b32 v6, s56 :: v_dual_mov_b32 v7, s57
	;; [unrolled: 1-line block ×7, first 2 shown]
	v_mov_b32_e32 v20, 0
	s_waitcnt_vscnt null, 0x0
	s_barrier
	buffer_gl0_inv
	s_and_saveexec_b32 s29, s13
	s_cbranch_execnz .LBB156_271
; %bb.222:                              ;   in Loop: Header=BB156_12 Depth=1
	s_or_b32 exec_lo, exec_lo, s29
	s_and_saveexec_b32 s29, s14
	s_cbranch_execnz .LBB156_272
.LBB156_223:                            ;   in Loop: Header=BB156_12 Depth=1
	s_or_b32 exec_lo, exec_lo, s29
	s_and_saveexec_b32 s29, s15
	s_cbranch_execnz .LBB156_273
.LBB156_224:                            ;   in Loop: Header=BB156_12 Depth=1
	s_or_b32 exec_lo, exec_lo, s29
	s_and_saveexec_b32 s29, s16
	s_cbranch_execnz .LBB156_274
.LBB156_225:                            ;   in Loop: Header=BB156_12 Depth=1
	s_or_b32 exec_lo, exec_lo, s29
	s_and_saveexec_b32 s29, s17
	s_cbranch_execnz .LBB156_275
.LBB156_226:                            ;   in Loop: Header=BB156_12 Depth=1
	s_or_b32 exec_lo, exec_lo, s29
	s_and_saveexec_b32 s29, s18
	s_cbranch_execnz .LBB156_276
.LBB156_227:                            ;   in Loop: Header=BB156_12 Depth=1
	s_or_b32 exec_lo, exec_lo, s29
	s_and_saveexec_b32 s29, s19
	s_cbranch_execnz .LBB156_277
.LBB156_228:                            ;   in Loop: Header=BB156_12 Depth=1
	s_or_b32 exec_lo, exec_lo, s29
	s_and_saveexec_b32 s29, s20
	s_cbranch_execnz .LBB156_278
.LBB156_229:                            ;   in Loop: Header=BB156_12 Depth=1
	s_or_b32 exec_lo, exec_lo, s29
	s_and_saveexec_b32 s29, s21
	s_cbranch_execnz .LBB156_279
.LBB156_230:                            ;   in Loop: Header=BB156_12 Depth=1
	s_or_b32 exec_lo, exec_lo, s29
	s_and_saveexec_b32 s29, s22
	s_cbranch_execnz .LBB156_280
.LBB156_231:                            ;   in Loop: Header=BB156_12 Depth=1
	s_or_b32 exec_lo, exec_lo, s29
	s_and_saveexec_b32 s29, s23
	s_cbranch_execnz .LBB156_281
.LBB156_232:                            ;   in Loop: Header=BB156_12 Depth=1
	s_or_b32 exec_lo, exec_lo, s29
	s_and_saveexec_b32 s29, s24
	s_cbranch_execnz .LBB156_282
.LBB156_233:                            ;   in Loop: Header=BB156_12 Depth=1
	s_or_b32 exec_lo, exec_lo, s29
	s_and_saveexec_b32 s29, s25
	s_cbranch_execnz .LBB156_283
.LBB156_234:                            ;   in Loop: Header=BB156_12 Depth=1
	s_or_b32 exec_lo, exec_lo, s29
	s_and_saveexec_b32 s29, s26
	s_cbranch_execnz .LBB156_284
.LBB156_235:                            ;   in Loop: Header=BB156_12 Depth=1
	s_or_b32 exec_lo, exec_lo, s29
	s_and_saveexec_b32 s29, s27
	s_cbranch_execnz .LBB156_285
.LBB156_236:                            ;   in Loop: Header=BB156_12 Depth=1
	s_or_b32 exec_lo, exec_lo, s29
	s_and_saveexec_b32 s29, s28
	s_cbranch_execz .LBB156_238
.LBB156_237:                            ;   in Loop: Header=BB156_12 Depth=1
	global_load_b32 v17, v[18:19], off offset:1920
.LBB156_238:                            ;   in Loop: Header=BB156_12 Depth=1
	s_or_b32 exec_lo, exec_lo, s29
	s_waitcnt vmcnt(0)
	ds_store_b32 v54, v20
	ds_store_b32 v55, v3 offset:128
	ds_store_b32 v56, v4 offset:256
	;; [unrolled: 1-line block ×15, first 2 shown]
	; wave barrier
	ds_load_2addr_b32 v[12:13], v70 offset1:1
	ds_load_2addr_b32 v[14:15], v70 offset0:2 offset1:3
	ds_load_2addr_b32 v[16:17], v70 offset0:4 offset1:5
	;; [unrolled: 1-line block ×3, first 2 shown]
	s_waitcnt lgkmcnt(3)
	v_dual_mul_f32 v2, 0xbfb8aa3b, v12 :: v_dual_mul_f32 v19, 0xbfb8aa3b, v13
	s_waitcnt lgkmcnt(2)
	v_dual_mul_f32 v23, 0xbfb8aa3b, v14 :: v_dual_mul_f32 v24, 0xbfb8aa3b, v15
	v_cmp_nlt_f32_e32 vcc_lo, 0x42ce8ed0, v12
	s_delay_alu instid0(VALU_DEP_3) | instskip(SKIP_4) | instid1(VALU_DEP_4)
	v_rndne_f32_e32 v18, v2
	v_fma_f32 v3, 0xbfb8aa3b, v12, -v2
	v_rndne_f32_e32 v20, v19
	v_fma_f32 v21, 0xbfb8aa3b, v13, -v19
	v_fma_f32 v26, 0xbfb8aa3b, v14, -v23
	v_dual_sub_f32 v2, v2, v18 :: v_dual_fmac_f32 v3, 0xb2a5705f, v12
	s_delay_alu instid0(VALU_DEP_4)
	v_sub_f32_e32 v19, v19, v20
	v_cvt_i32_f32_e32 v18, v18
	v_rndne_f32_e32 v27, v24
	s_waitcnt lgkmcnt(1)
	v_dual_mul_f32 v25, 0xbfb8aa3b, v16 :: v_dual_add_f32 v22, v2, v3
	v_cvt_i32_f32_e32 v20, v20
	v_fma_f32 v28, 0xbfb8aa3b, v15, -v24
	v_sub_f32_e32 v24, v24, v27
	v_cvt_i32_f32_e32 v27, v27
	v_exp_f32_e32 v22, v22
	v_cmp_ngt_f32_e64 s29, 0xc2b17218, v14
	v_cmp_ngt_f32_e64 s30, 0xc2b17218, v15
	ds_load_2addr_b32 v[8:9], v70 offset0:8 offset1:9
	ds_load_2addr_b32 v[6:7], v70 offset0:10 offset1:11
	;; [unrolled: 1-line block ×4, first 2 shown]
	s_waitcnt lgkmcnt(0)
	s_barrier
	buffer_gl0_inv
	v_fmac_f32_e32 v26, 0xb2a5705f, v14
	v_ldexp_f32 v18, v22, v18
	v_fmac_f32_e32 v21, 0xb2a5705f, v13
	v_rndne_f32_e32 v22, v25
	v_fmac_f32_e32 v28, 0xb2a5705f, v15
	s_delay_alu instid0(VALU_DEP_3) | instskip(SKIP_2) | instid1(VALU_DEP_3)
	v_dual_cndmask_b32 v18, 0, v18 :: v_dual_add_f32 v19, v19, v21
	v_rndne_f32_e32 v21, v23
	v_cmp_ngt_f32_e32 vcc_lo, 0xc2b17218, v12
	v_exp_f32_e32 v19, v19
	s_delay_alu instid0(VALU_DEP_2)
	v_dual_sub_f32 v23, v23, v21 :: v_dual_cndmask_b32 v18, 0x7f800000, v18
	v_cmp_nlt_f32_e32 vcc_lo, 0x42ce8ed0, v13
	v_cvt_i32_f32_e32 v21, v21
	s_waitcnt_depctr 0xfff
	v_ldexp_f32 v19, v19, v20
	v_add_f32_e32 v20, v23, v26
	v_fma_f32 v26, 0xbfb8aa3b, v16, -v25
	v_sub_f32_e32 v25, v25, v22
	v_dual_add_f32 v18, 1.0, v18 :: v_dual_add_f32 v23, v24, v28
	v_cndmask_b32_e32 v19, 0, v19, vcc_lo
	v_exp_f32_e32 v20, v20
	v_cmp_ngt_f32_e32 vcc_lo, 0xc2b17218, v13
	s_delay_alu instid0(VALU_DEP_3) | instskip(SKIP_3) | instid1(VALU_DEP_3)
	v_div_scale_f32 v24, null, v18, v18, v12
	v_exp_f32_e32 v23, v23
	v_cvt_i32_f32_e32 v22, v22
	v_fmac_f32_e32 v26, 0xb2a5705f, v16
	v_rcp_f32_e32 v28, v24
	s_delay_alu instid0(TRANS32_DEP_3) | instskip(NEXT) | instid1(VALU_DEP_2)
	v_ldexp_f32 v20, v20, v21
	v_add_f32_e32 v25, v25, v26
	s_waitcnt_depctr 0xfff
	v_ldexp_f32 v21, v23, v27
	v_exp_f32_e32 v25, v25
	v_fma_f32 v27, -v24, v28, 1.0
	v_cndmask_b32_e32 v19, 0x7f800000, v19, vcc_lo
	v_cmp_nlt_f32_e32 vcc_lo, 0x42ce8ed0, v14
	s_delay_alu instid0(VALU_DEP_2) | instskip(SKIP_3) | instid1(VALU_DEP_1)
	v_dual_fmac_f32 v28, v27, v28 :: v_dual_add_f32 v19, 1.0, v19
	s_waitcnt_depctr 0xfff
	v_ldexp_f32 v22, v25, v22
	v_div_scale_f32 v29, null, v19, v19, v13
	v_rcp_f32_e32 v23, v29
	s_waitcnt_depctr 0xfff
	v_fma_f32 v27, -v29, v23, 1.0
	v_cndmask_b32_e32 v20, 0, v20, vcc_lo
	v_div_scale_f32 v30, vcc_lo, v12, v18, v12
	s_delay_alu instid0(VALU_DEP_3) | instskip(NEXT) | instid1(VALU_DEP_3)
	v_fmac_f32_e32 v23, v27, v23
	v_cndmask_b32_e64 v20, 0x7f800000, v20, s29
	v_cmp_nlt_f32_e64 s29, 0x42ce8ed0, v15
	s_delay_alu instid0(VALU_DEP_2) | instskip(NEXT) | instid1(VALU_DEP_2)
	v_add_f32_e32 v20, 1.0, v20
	v_cndmask_b32_e64 v21, 0, v21, s29
	v_div_scale_f32 v32, s29, v13, v19, v13
	v_mul_f32_e32 v31, v30, v28
	s_delay_alu instid0(VALU_DEP_4) | instskip(NEXT) | instid1(VALU_DEP_3)
	v_div_scale_f32 v33, null, v20, v20, v14
	v_mul_f32_e32 v34, v32, v23
	v_cndmask_b32_e64 v21, 0x7f800000, v21, s30
	s_delay_alu instid0(VALU_DEP_4) | instskip(NEXT) | instid1(VALU_DEP_4)
	v_fma_f32 v27, -v24, v31, v30
	v_rcp_f32_e32 v26, v33
	s_delay_alu instid0(VALU_DEP_1) | instskip(SKIP_2) | instid1(VALU_DEP_3)
	v_fmac_f32_e32 v31, v27, v28
	v_fma_f32 v27, -v29, v34, v32
	v_add_f32_e32 v21, 1.0, v21
	v_fma_f32 v24, -v24, v31, v30
	s_delay_alu instid0(VALU_DEP_3) | instskip(SKIP_1) | instid1(VALU_DEP_3)
	v_fmac_f32_e32 v34, v27, v23
	v_mul_f32_e32 v30, 0xbfb8aa3b, v17
	v_div_fmas_f32 v24, v24, v28, v31
	s_delay_alu instid0(TRANS32_DEP_1) | instskip(NEXT) | instid1(VALU_DEP_3)
	v_fma_f32 v28, -v33, v26, 1.0
	v_rndne_f32_e32 v25, v30
	v_cmp_nlt_f32_e32 vcc_lo, 0x42ce8ed0, v16
	v_div_scale_f32 v31, s30, v14, v20, v14
	v_div_fixup_f32 v12, v24, v18, v12
	v_div_scale_f32 v18, null, v21, v21, v15
	v_fma_f32 v24, -v29, v34, v32
	s_delay_alu instid0(VALU_DEP_2) | instskip(SKIP_3) | instid1(VALU_DEP_2)
	v_rcp_f32_e32 v29, v18
	v_fmac_f32_e32 v26, v28, v26
	v_fma_f32 v28, 0xbfb8aa3b, v17, -v30
	v_sub_f32_e32 v30, v30, v25
	v_fmac_f32_e32 v28, 0xb2a5705f, v17
	s_delay_alu instid0(VALU_DEP_1) | instskip(SKIP_2) | instid1(VALU_DEP_1)
	v_add_f32_e32 v28, v30, v28
	s_waitcnt_depctr 0xfff
	v_fma_f32 v30, -v18, v29, 1.0
	v_dual_fmac_f32 v29, v30, v29 :: v_dual_cndmask_b32 v22, 0, v22
	s_mov_b32 vcc_lo, s29
	v_mul_f32_e32 v27, v31, v26
	v_div_fmas_f32 v23, v24, v23, v34
	v_cmp_ngt_f32_e32 vcc_lo, 0xc2b17218, v16
	s_delay_alu instid0(VALU_DEP_3) | instskip(NEXT) | instid1(VALU_DEP_3)
	v_fma_f32 v24, -v33, v27, v31
	v_div_fixup_f32 v13, v23, v19, v13
	v_exp_f32_e32 v19, v28
	v_cvt_i32_f32_e32 v23, v25
	v_div_scale_f32 v28, s29, v15, v21, v15
	v_fmac_f32_e32 v27, v24, v26
	v_dual_mul_f32 v24, 0xbfb8aa3b, v10 :: v_dual_mul_f32 v13, v13, v136
	s_delay_alu instid0(VALU_DEP_2)
	v_fma_f32 v31, -v33, v27, v31
	s_waitcnt_depctr 0xfff
	v_ldexp_f32 v19, v19, v23
	v_rndne_f32_e32 v23, v24
	v_fma_f32 v30, 0xbfb8aa3b, v10, -v24
	v_dual_mul_f32 v33, v28, v29 :: v_dual_cndmask_b32 v22, 0x7f800000, v22
	v_cmp_nlt_f32_e32 vcc_lo, 0x42ce8ed0, v17
	s_delay_alu instid0(VALU_DEP_4) | instskip(NEXT) | instid1(VALU_DEP_4)
	v_sub_f32_e32 v24, v24, v23
	v_fmac_f32_e32 v30, 0xb2a5705f, v10
	v_mul_f32_e32 v12, v12, v138
	v_cvt_i32_f32_e32 v23, v23
	v_cndmask_b32_e32 v19, 0, v19, vcc_lo
	v_cmp_ngt_f32_e32 vcc_lo, 0xc2b17218, v17
	v_add_f32_e32 v24, v24, v30
	v_fma_f32 v30, -v18, v33, v28
	s_delay_alu instid0(VALU_DEP_4) | instskip(NEXT) | instid1(VALU_DEP_3)
	v_dual_add_f32 v22, 1.0, v22 :: v_dual_cndmask_b32 v19, 0x7f800000, v19
	v_exp_f32_e32 v24, v24
	s_delay_alu instid0(VALU_DEP_2) | instskip(SKIP_1) | instid1(VALU_DEP_2)
	v_fmac_f32_e32 v33, v30, v29
	s_mov_b32 vcc_lo, s30
	v_div_scale_f32 v25, null, v22, v22, v16
	v_div_fmas_f32 v26, v31, v26, v27
	v_cmp_nlt_f32_e32 vcc_lo, 0x42ce8ed0, v10
	v_add_f32_e32 v19, 1.0, v19
	v_fma_f32 v18, -v18, v33, v28
	v_rcp_f32_e32 v32, v25
	s_delay_alu instid0(TRANS32_DEP_2) | instskip(SKIP_2) | instid1(VALU_DEP_3)
	v_ldexp_f32 v23, v24, v23
	v_div_fixup_f32 v14, v26, v20, v14
	v_div_scale_f32 v31, null, v19, v19, v17
	v_cndmask_b32_e32 v20, 0, v23, vcc_lo
	v_cmp_ngt_f32_e32 vcc_lo, 0xc2b17218, v10
	s_delay_alu instid0(VALU_DEP_3) | instskip(NEXT) | instid1(TRANS32_DEP_2)
	v_rcp_f32_e32 v34, v31
	v_fma_f32 v27, -v25, v32, 1.0
	s_delay_alu instid0(VALU_DEP_3)
	v_cndmask_b32_e32 v20, 0x7f800000, v20, vcc_lo
	s_mov_b32 vcc_lo, s29
	v_div_fmas_f32 v18, v18, v29, v33
	s_waitcnt_depctr 0xfff
	v_fma_f32 v26, -v31, v34, 1.0
	v_div_fixup_f32 v15, v18, v21, v15
	s_delay_alu instid0(VALU_DEP_2) | instskip(SKIP_1) | instid1(VALU_DEP_3)
	v_fmac_f32_e32 v34, v26, v34
	v_div_scale_f32 v26, s29, v17, v19, v17
	v_dual_mul_f32 v15, v15, v134 :: v_dual_add_f32 v20, 1.0, v20
	v_fmac_f32_e32 v32, v27, v32
	v_div_scale_f32 v27, s30, v16, v22, v16
	s_delay_alu instid0(VALU_DEP_1) | instskip(NEXT) | instid1(VALU_DEP_3)
	s_mov_b32 vcc_lo, s30
	v_div_scale_f32 v30, null, v20, v20, v10
	s_delay_alu instid0(VALU_DEP_2) | instskip(NEXT) | instid1(VALU_DEP_2)
	v_mul_f32_e32 v24, v27, v32
	v_rcp_f32_e32 v33, v30
	s_delay_alu instid0(VALU_DEP_1) | instskip(SKIP_3) | instid1(VALU_DEP_2)
	v_fma_f32 v23, -v25, v24, v27
	s_waitcnt_depctr 0xfff
	v_fma_f32 v21, -v30, v33, 1.0
	v_dual_fmac_f32 v24, v23, v32 :: v_dual_mul_f32 v23, 0xbfb8aa3b, v11
	v_fmac_f32_e32 v33, v21, v33
	s_delay_alu instid0(VALU_DEP_2) | instskip(NEXT) | instid1(VALU_DEP_3)
	v_fma_f32 v25, -v25, v24, v27
	v_rndne_f32_e32 v28, v23
	v_fma_f32 v29, 0xbfb8aa3b, v11, -v23
	v_mul_f32_e32 v27, v26, v34
	v_div_scale_f32 v21, s30, v10, v20, v10
	s_delay_alu instid0(VALU_DEP_4) | instskip(NEXT) | instid1(VALU_DEP_4)
	v_sub_f32_e32 v23, v23, v28
	v_fmac_f32_e32 v29, 0xb2a5705f, v11
	v_div_fmas_f32 v24, v25, v32, v24
	v_fma_f32 v25, -v31, v27, v26
	s_mov_b32 vcc_lo, s29
	v_cmp_nlt_f32_e64 s29, 0x42ce8ed0, v9
	v_add_f32_e32 v23, v23, v29
	v_div_fixup_f32 v16, v24, v22, v16
	v_fmac_f32_e32 v27, v25, v34
	v_cvt_i32_f32_e32 v22, v28
	v_mul_f32_e32 v24, 0xbfb8aa3b, v8
	v_exp_f32_e32 v18, v23
	s_delay_alu instid0(VALU_DEP_3) | instskip(NEXT) | instid1(VALU_DEP_2)
	v_fma_f32 v23, -v31, v27, v26
	v_fma_f32 v25, 0xbfb8aa3b, v8, -v24
	s_delay_alu instid0(VALU_DEP_1)
	v_dual_mul_f32 v16, v16, v133 :: v_dual_fmac_f32 v25, 0xb2a5705f, v8
	s_waitcnt_depctr 0xfff
	v_ldexp_f32 v18, v18, v22
	v_div_fmas_f32 v22, v23, v34, v27
	v_mul_f32_e32 v23, v21, v33
	v_cmp_nlt_f32_e32 vcc_lo, 0x42ce8ed0, v11
	s_delay_alu instid0(VALU_DEP_3) | instskip(NEXT) | instid1(VALU_DEP_3)
	v_div_fixup_f32 v17, v22, v19, v17
	v_fma_f32 v19, -v30, v23, v21
	v_rndne_f32_e32 v22, v24
	s_delay_alu instid0(VALU_DEP_3) | instskip(NEXT) | instid1(VALU_DEP_3)
	v_dual_mul_f32 v14, v14, v135 :: v_dual_mul_f32 v17, v17, v132
	v_fmac_f32_e32 v23, v19, v33
	s_delay_alu instid0(VALU_DEP_3) | instskip(SKIP_2) | instid1(VALU_DEP_4)
	v_dual_sub_f32 v19, v24, v22 :: v_dual_mul_f32 v24, 0xbfb8aa3b, v9
	v_cndmask_b32_e32 v18, 0, v18, vcc_lo
	v_cmp_ngt_f32_e32 vcc_lo, 0xc2b17218, v11
	v_fma_f32 v21, -v30, v23, v21
	s_delay_alu instid0(VALU_DEP_4) | instskip(SKIP_3) | instid1(VALU_DEP_4)
	v_add_f32_e32 v19, v19, v25
	v_rndne_f32_e32 v25, v24
	v_fma_f32 v27, 0xbfb8aa3b, v9, -v24
	v_cvt_i32_f32_e32 v22, v22
	v_exp_f32_e32 v19, v19
	s_delay_alu instid0(VALU_DEP_3) | instskip(NEXT) | instid1(VALU_DEP_3)
	v_sub_f32_e32 v24, v24, v25
	v_fmac_f32_e32 v27, 0xb2a5705f, v9
	v_cndmask_b32_e32 v18, 0x7f800000, v18, vcc_lo
	s_mov_b32 vcc_lo, s30
	v_div_fmas_f32 v21, v21, v33, v23
	v_cmp_nlt_f32_e32 vcc_lo, 0x42ce8ed0, v8
	s_waitcnt_depctr 0xfff
	v_ldexp_f32 v19, v19, v22
	v_div_fixup_f32 v10, v21, v20, v10
	s_delay_alu instid0(VALU_DEP_2) | instskip(SKIP_1) | instid1(VALU_DEP_2)
	v_cndmask_b32_e32 v19, 0, v19, vcc_lo
	v_cmp_ngt_f32_e32 vcc_lo, 0xc2b17218, v8
	v_cndmask_b32_e32 v19, 0x7f800000, v19, vcc_lo
	s_delay_alu instid0(VALU_DEP_1) | instskip(NEXT) | instid1(VALU_DEP_1)
	v_dual_mul_f32 v28, 0xbfb8aa3b, v6 :: v_dual_add_f32 v19, 1.0, v19
	v_fma_f32 v31, 0xbfb8aa3b, v6, -v28
	v_rndne_f32_e32 v30, v28
	s_delay_alu instid0(VALU_DEP_2) | instskip(SKIP_1) | instid1(VALU_DEP_3)
	v_fmac_f32_e32 v31, 0xb2a5705f, v6
	v_dual_add_f32 v23, v24, v27 :: v_dual_add_f32 v18, 1.0, v18
	v_sub_f32_e32 v24, v28, v30
	s_delay_alu instid0(VALU_DEP_2) | instskip(NEXT) | instid1(VALU_DEP_2)
	v_exp_f32_e32 v20, v23
	v_div_scale_f32 v26, null, v18, v18, v11
	s_delay_alu instid0(VALU_DEP_2) | instskip(SKIP_1) | instid1(VALU_DEP_3)
	v_add_f32_e32 v22, v24, v31
	v_cvt_i32_f32_e32 v23, v25
	v_rcp_f32_e32 v29, v26
	s_waitcnt_depctr 0xfff
	v_ldexp_f32 v20, v20, v23
	s_delay_alu instid0(VALU_DEP_1) | instskip(SKIP_2) | instid1(VALU_DEP_2)
	v_cndmask_b32_e64 v20, 0, v20, s29
	v_fma_f32 v21, -v26, v29, 1.0
	v_cmp_ngt_f32_e64 s29, 0xc2b17218, v9
	v_fmac_f32_e32 v29, v21, v29
	v_exp_f32_e32 v21, v22
	v_cvt_i32_f32_e32 v22, v30
	v_div_scale_f32 v23, vcc_lo, v11, v18, v11
	v_cndmask_b32_e64 v20, 0x7f800000, v20, s29
	v_cmp_nlt_f32_e64 s29, 0x42ce8ed0, v6
	s_delay_alu instid0(VALU_DEP_3) | instskip(SKIP_4) | instid1(VALU_DEP_3)
	v_mul_f32_e32 v24, v23, v29
	s_waitcnt_depctr 0xfff
	v_ldexp_f32 v21, v21, v22
	v_div_scale_f32 v22, null, v19, v19, v8
	v_fma_f32 v27, -v26, v24, v23
	v_cndmask_b32_e64 v21, 0, v21, s29
	s_delay_alu instid0(VALU_DEP_3) | instskip(SKIP_1) | instid1(VALU_DEP_3)
	v_rcp_f32_e32 v25, v22
	v_cmp_ngt_f32_e64 s29, 0xc2b17218, v6
	v_fmac_f32_e32 v24, v27, v29
	s_delay_alu instid0(VALU_DEP_2) | instskip(NEXT) | instid1(VALU_DEP_2)
	v_cndmask_b32_e64 v21, 0x7f800000, v21, s29
	v_fma_f32 v23, -v26, v24, v23
	s_waitcnt_depctr 0xfff
	v_fma_f32 v27, -v22, v25, 1.0
	v_dual_add_f32 v20, 1.0, v20 :: v_dual_add_f32 v21, 1.0, v21
	v_div_fmas_f32 v23, v23, v29, v24
	v_cmp_nlt_f32_e32 vcc_lo, 0x42ce8ed0, v7
	s_delay_alu instid0(VALU_DEP_4) | instskip(NEXT) | instid1(VALU_DEP_4)
	v_fmac_f32_e32 v25, v27, v25
	v_div_scale_f32 v28, null, v20, v20, v9
	v_div_scale_f32 v31, null, v21, v21, v6
	v_div_fixup_f32 v11, v23, v18, v11
	s_delay_alu instid0(VALU_DEP_3) | instskip(SKIP_1) | instid1(VALU_DEP_3)
	v_rcp_f32_e32 v30, v28
	v_div_scale_f32 v27, s29, v8, v19, v8
	v_rcp_f32_e32 v33, v31
	s_delay_alu instid0(VALU_DEP_2) | instskip(NEXT) | instid1(VALU_DEP_2)
	v_mul_f32_e32 v11, v11, v129
	v_mul_f32_e32 v26, v27, v25
	s_waitcnt_depctr 0xfff
	v_fma_f32 v111, -v28, v30, 1.0
	v_fma_f32 v24, -v22, v26, v27
	v_fma_f32 v112, -v31, v33, 1.0
	s_delay_alu instid0(VALU_DEP_3) | instskip(SKIP_1) | instid1(VALU_DEP_3)
	v_fmac_f32_e32 v30, v111, v30
	v_div_scale_f32 v111, s30, v9, v20, v9
	v_dual_fmac_f32 v33, v112, v33 :: v_dual_mul_f32 v32, 0xbfb8aa3b, v7
	s_delay_alu instid0(VALU_DEP_2) | instskip(NEXT) | instid1(VALU_DEP_2)
	v_dual_fmac_f32 v26, v24, v25 :: v_dual_mul_f32 v29, v111, v30
	v_rndne_f32_e32 v34, v32
	v_fma_f32 v35, 0xbfb8aa3b, v7, -v32
	v_mul_f32_e32 v10, v10, v130
	s_delay_alu instid0(VALU_DEP_4) | instskip(SKIP_1) | instid1(VALU_DEP_4)
	v_fma_f32 v23, -v28, v29, v111
	v_fma_f32 v22, -v22, v26, v27
	v_dual_sub_f32 v32, v32, v34 :: v_dual_fmac_f32 v35, 0xb2a5705f, v7
	v_cvt_i32_f32_e32 v18, v34
	s_delay_alu instid0(VALU_DEP_2) | instskip(SKIP_1) | instid1(VALU_DEP_2)
	v_dual_fmac_f32 v29, v23, v30 :: v_dual_add_f32 v32, v32, v35
	v_div_scale_f32 v35, s31, v6, v21, v6
	v_exp_f32_e32 v32, v32
	s_delay_alu instid0(VALU_DEP_1) | instskip(NEXT) | instid1(VALU_DEP_1)
	v_mul_f32_e32 v24, v35, v33
	v_fma_f32 v23, -v31, v24, v35
	s_waitcnt_depctr 0xfff
	v_ldexp_f32 v18, v32, v18
	v_dual_fmac_f32 v24, v23, v33 :: v_dual_mul_f32 v23, 0xbfb8aa3b, v4
	s_delay_alu instid0(VALU_DEP_2) | instskip(SKIP_1) | instid1(VALU_DEP_2)
	v_cndmask_b32_e32 v18, 0, v18, vcc_lo
	s_mov_b32 vcc_lo, s29
	v_rndne_f32_e32 v27, v23
	v_div_fmas_f32 v22, v22, v25, v26
	v_cmp_ngt_f32_e32 vcc_lo, 0xc2b17218, v7
	v_fma_f32 v25, -v28, v29, v111
	v_fma_f32 v26, -v31, v24, v35
	v_fma_f32 v28, 0xbfb8aa3b, v4, -v23
	v_dual_sub_f32 v23, v23, v27 :: v_dual_cndmask_b32 v18, 0x7f800000, v18
	s_mov_b32 vcc_lo, s30
	v_div_fixup_f32 v8, v22, v19, v8
	v_div_fmas_f32 v25, v25, v30, v29
	s_mov_b32 vcc_lo, s31
	v_fmac_f32_e32 v28, 0xb2a5705f, v4
	v_div_fmas_f32 v24, v26, v33, v24
	v_cvt_i32_f32_e32 v27, v27
	v_div_fixup_f32 v9, v25, v20, v9
	v_cmp_nlt_f32_e32 vcc_lo, 0x42ce8ed0, v4
	s_delay_alu instid0(VALU_DEP_4) | instskip(SKIP_1) | instid1(VALU_DEP_4)
	v_div_fixup_f32 v6, v24, v21, v6
	v_dual_mul_f32 v21, 0xbfb8aa3b, v5 :: v_dual_mul_f32 v24, 0xbfb8aa3b, v2
	v_mul_f32_e32 v9, v9, v126
	s_delay_alu instid0(VALU_DEP_2) | instskip(NEXT) | instid1(VALU_DEP_3)
	v_rndne_f32_e32 v22, v21
	v_fma_f32 v29, 0xbfb8aa3b, v2, -v24
	v_add_f32_e32 v20, v23, v28
	v_fma_f32 v23, 0xbfb8aa3b, v5, -v21
	v_rndne_f32_e32 v28, v24
	v_sub_f32_e32 v21, v21, v22
	v_fmac_f32_e32 v29, 0xb2a5705f, v2
	v_exp_f32_e32 v20, v20
	v_fmac_f32_e32 v23, 0xb2a5705f, v5
	v_cvt_i32_f32_e32 v22, v22
	s_delay_alu instid0(VALU_DEP_2)
	v_add_f32_e32 v21, v21, v23
	v_dual_sub_f32 v23, v24, v28 :: v_dual_add_f32 v18, 1.0, v18
	s_waitcnt_depctr 0xfff
	v_ldexp_f32 v20, v20, v27
	v_exp_f32_e32 v21, v21
	v_add_f32_e32 v23, v23, v29
	v_div_scale_f32 v26, null, v18, v18, v7
	s_delay_alu instid0(VALU_DEP_2) | instskip(NEXT) | instid1(VALU_DEP_1)
	v_exp_f32_e32 v23, v23
	v_rcp_f32_e32 v19, v26
	s_delay_alu instid0(TRANS32_DEP_3) | instskip(SKIP_4) | instid1(VALU_DEP_3)
	v_ldexp_f32 v21, v21, v22
	s_waitcnt_depctr 0xfff
	v_fma_f32 v25, -v26, v19, 1.0
	v_cndmask_b32_e32 v20, 0, v20, vcc_lo
	v_cmp_ngt_f32_e32 vcc_lo, 0xc2b17218, v4
	v_fmac_f32_e32 v19, v25, v19
	v_cvt_i32_f32_e32 v25, v28
	s_delay_alu instid0(VALU_DEP_4) | instskip(SKIP_2) | instid1(VALU_DEP_4)
	v_cndmask_b32_e32 v20, 0x7f800000, v20, vcc_lo
	v_cmp_nlt_f32_e32 vcc_lo, 0x42ce8ed0, v5
	v_mul_f32_e32 v30, 0xbfb8aa3b, v3
	v_ldexp_f32 v23, v23, v25
	v_cndmask_b32_e32 v21, 0, v21, vcc_lo
	s_delay_alu instid0(VALU_DEP_3)
	v_rndne_f32_e32 v24, v30
	v_fma_f32 v27, 0xbfb8aa3b, v3, -v30
	v_mul_f32_e32 v8, v8, v127
	v_mul_f32_e32 v6, v6, v125
	v_cmp_nlt_f32_e32 vcc_lo, 0x42ce8ed0, v2
	v_sub_f32_e32 v29, v30, v24
	v_fmac_f32_e32 v27, 0xb2a5705f, v3
	v_cvt_i32_f32_e32 v24, v24
	s_delay_alu instid0(VALU_DEP_2) | instskip(NEXT) | instid1(VALU_DEP_1)
	v_add_f32_e32 v27, v29, v27
	v_exp_f32_e32 v22, v27
	s_waitcnt_depctr 0xfff
	v_ldexp_f32 v22, v22, v24
	v_cndmask_b32_e32 v23, 0, v23, vcc_lo
	v_cmp_ngt_f32_e32 vcc_lo, 0xc2b17218, v5
	v_cndmask_b32_e32 v21, 0x7f800000, v21, vcc_lo
	v_cmp_ngt_f32_e32 vcc_lo, 0xc2b17218, v2
	s_delay_alu instid0(VALU_DEP_2) | instskip(SKIP_2) | instid1(VALU_DEP_3)
	v_dual_add_f32 v21, 1.0, v21 :: v_dual_add_f32 v20, 1.0, v20
	v_cndmask_b32_e32 v23, 0x7f800000, v23, vcc_lo
	v_cmp_nlt_f32_e32 vcc_lo, 0x42ce8ed0, v3
	v_div_scale_f32 v25, null, v21, v21, v5
	s_delay_alu instid0(VALU_DEP_4) | instskip(SKIP_3) | instid1(VALU_DEP_4)
	v_div_scale_f32 v27, null, v20, v20, v4
	v_cndmask_b32_e32 v22, 0, v22, vcc_lo
	v_cmp_ngt_f32_e32 vcc_lo, 0xc2b17218, v3
	v_add_f32_e32 v23, 1.0, v23
	v_rcp_f32_e32 v24, v27
	v_rcp_f32_e32 v30, v25
	v_cndmask_b32_e32 v22, 0x7f800000, v22, vcc_lo
	s_delay_alu instid0(VALU_DEP_2) | instskip(SKIP_1) | instid1(VALU_DEP_3)
	v_div_scale_f32 v28, null, v23, v23, v2
	v_div_scale_f32 v29, vcc_lo, v7, v18, v7
	v_add_f32_e32 v22, 1.0, v22
	s_delay_alu instid0(VALU_DEP_3) | instskip(NEXT) | instid1(TRANS32_DEP_3)
	v_rcp_f32_e32 v32, v28
	v_fma_f32 v31, -v27, v24, 1.0
	s_delay_alu instid0(VALU_DEP_3) | instskip(NEXT) | instid1(TRANS32_DEP_2)
	v_mul_f32_e32 v33, v29, v19
	v_fma_f32 v35, -v25, v30, 1.0
	v_div_scale_f32 v34, null, v22, v22, v3
	s_delay_alu instid0(VALU_DEP_4) | instskip(SKIP_1) | instid1(VALU_DEP_3)
	v_fmac_f32_e32 v24, v31, v24
	v_div_scale_f32 v31, s29, v4, v20, v4
	v_rcp_f32_e32 v111, v34
	v_fma_f32 v112, -v26, v33, v29
	s_delay_alu instid0(TRANS32_DEP_2) | instskip(NEXT) | instid1(VALU_DEP_2)
	v_fma_f32 v113, -v28, v32, 1.0
	v_dual_mul_f32 v114, v31, v24 :: v_dual_fmac_f32 v33, v112, v19
	s_delay_alu instid0(VALU_DEP_1)
	v_fma_f32 v112, -v27, v114, v31
	s_waitcnt_depctr 0xfff
	v_fma_f32 v115, -v34, v111, 1.0
	v_fmac_f32_e32 v32, v113, v32
	v_div_scale_f32 v113, s31, v2, v23, v2
	v_fma_f32 v26, -v26, v33, v29
	s_delay_alu instid0(VALU_DEP_4) | instskip(NEXT) | instid1(VALU_DEP_3)
	v_fmac_f32_e32 v111, v115, v111
	v_dual_fmac_f32 v30, v35, v30 :: v_dual_mul_f32 v117, v113, v32
	v_div_scale_f32 v35, s30, v5, v21, v5
	s_delay_alu instid0(VALU_DEP_4) | instskip(SKIP_2) | instid1(VALU_DEP_2)
	v_div_fmas_f32 v19, v26, v19, v33
	s_mov_b32 vcc_lo, s29
	v_div_scale_f32 v115, s33, v3, v22, v3
	v_div_fixup_f32 v7, v19, v18, v7
	v_fmac_f32_e32 v114, v112, v24
	v_fma_f32 v112, -v28, v117, v113
	v_mul_f32_e32 v116, v35, v30
	s_delay_alu instid0(VALU_DEP_4) | instskip(NEXT) | instid1(VALU_DEP_4)
	v_mul_f32_e32 v7, v7, v123
	v_fma_f32 v26, -v27, v114, v31
	s_delay_alu instid0(VALU_DEP_4) | instskip(NEXT) | instid1(VALU_DEP_4)
	v_fmac_f32_e32 v117, v112, v32
	v_fma_f32 v29, -v25, v116, v35
	s_delay_alu instid0(VALU_DEP_3) | instskip(SKIP_1) | instid1(VALU_DEP_2)
	v_div_fmas_f32 v24, v26, v24, v114
	s_mov_b32 vcc_lo, s30
	v_fmac_f32_e32 v116, v29, v30
	v_fma_f32 v26, -v28, v117, v113
	s_delay_alu instid0(VALU_DEP_3) | instskip(NEXT) | instid1(VALU_DEP_3)
	v_div_fixup_f32 v4, v24, v20, v4
	v_fma_f32 v25, -v25, v116, v35
	s_delay_alu instid0(VALU_DEP_2) | instskip(NEXT) | instid1(VALU_DEP_2)
	v_mul_f32_e32 v4, v4, v122
	v_div_fmas_f32 v25, v25, v30, v116
	s_mov_b32 vcc_lo, s31
	v_div_fmas_f32 v26, v26, v32, v117
	s_mov_b32 vcc_lo, s33
	s_delay_alu instid0(VALU_DEP_2) | instskip(SKIP_1) | instid1(VALU_DEP_3)
	v_div_fixup_f32 v5, v25, v21, v5
	v_mul_f32_e32 v118, v115, v111
	v_div_fixup_f32 v2, v26, v23, v2
	s_delay_alu instid0(VALU_DEP_3) | instskip(NEXT) | instid1(VALU_DEP_3)
	v_mul_f32_e32 v5, v5, v121
	v_fma_f32 v27, -v34, v118, v115
	s_delay_alu instid0(VALU_DEP_3) | instskip(NEXT) | instid1(VALU_DEP_2)
	v_mul_f32_e32 v2, v2, v120
	v_fmac_f32_e32 v118, v27, v111
	s_delay_alu instid0(VALU_DEP_1) | instskip(NEXT) | instid1(VALU_DEP_1)
	v_fma_f32 v27, -v34, v118, v115
	v_div_fmas_f32 v27, v27, v111, v118
	s_delay_alu instid0(VALU_DEP_1) | instskip(NEXT) | instid1(VALU_DEP_1)
	v_div_fixup_f32 v3, v27, v22, v3
	v_mul_f32_e32 v3, v3, v124
	ds_store_2addr_b32 v70, v12, v13 offset1:1
	ds_store_2addr_b32 v70, v14, v15 offset0:2 offset1:3
	ds_store_2addr_b32 v70, v16, v17 offset0:4 offset1:5
	;; [unrolled: 1-line block ×7, first 2 shown]
	; wave barrier
	ds_load_b32 v18, v55 offset:128
	ds_load_b32 v17, v56 offset:256
	;; [unrolled: 1-line block ×15, first 2 shown]
	v_add_co_u32 v2, vcc_lo, v93, s34
	v_add_co_ci_u32_e32 v3, vcc_lo, s35, v94, vcc_lo
	s_and_saveexec_b32 s29, s13
	s_cbranch_execnz .LBB156_286
; %bb.239:                              ;   in Loop: Header=BB156_12 Depth=1
	s_or_b32 exec_lo, exec_lo, s29
	s_and_saveexec_b32 s13, s14
	s_cbranch_execnz .LBB156_287
.LBB156_240:                            ;   in Loop: Header=BB156_12 Depth=1
	s_or_b32 exec_lo, exec_lo, s13
	s_and_saveexec_b32 s13, s15
	s_cbranch_execnz .LBB156_288
.LBB156_241:                            ;   in Loop: Header=BB156_12 Depth=1
	s_or_b32 exec_lo, exec_lo, s13
	s_and_saveexec_b32 s13, s16
	s_cbranch_execnz .LBB156_289
.LBB156_242:                            ;   in Loop: Header=BB156_12 Depth=1
	s_or_b32 exec_lo, exec_lo, s13
	s_and_saveexec_b32 s13, s17
	s_cbranch_execnz .LBB156_290
.LBB156_243:                            ;   in Loop: Header=BB156_12 Depth=1
	s_or_b32 exec_lo, exec_lo, s13
	s_and_saveexec_b32 s13, s18
	s_cbranch_execnz .LBB156_291
.LBB156_244:                            ;   in Loop: Header=BB156_12 Depth=1
	s_or_b32 exec_lo, exec_lo, s13
	s_and_saveexec_b32 s13, s19
	s_cbranch_execnz .LBB156_292
.LBB156_245:                            ;   in Loop: Header=BB156_12 Depth=1
	s_or_b32 exec_lo, exec_lo, s13
	s_and_saveexec_b32 s13, s20
	s_cbranch_execnz .LBB156_293
.LBB156_246:                            ;   in Loop: Header=BB156_12 Depth=1
	s_or_b32 exec_lo, exec_lo, s13
	s_and_saveexec_b32 s13, s21
	s_cbranch_execnz .LBB156_294
.LBB156_247:                            ;   in Loop: Header=BB156_12 Depth=1
	s_or_b32 exec_lo, exec_lo, s13
	s_and_saveexec_b32 s13, s22
	s_cbranch_execnz .LBB156_295
.LBB156_248:                            ;   in Loop: Header=BB156_12 Depth=1
	s_or_b32 exec_lo, exec_lo, s13
	s_and_saveexec_b32 s13, s23
	s_cbranch_execnz .LBB156_296
.LBB156_249:                            ;   in Loop: Header=BB156_12 Depth=1
	s_or_b32 exec_lo, exec_lo, s13
	s_and_saveexec_b32 s13, s24
	s_cbranch_execnz .LBB156_297
.LBB156_250:                            ;   in Loop: Header=BB156_12 Depth=1
	s_or_b32 exec_lo, exec_lo, s13
	s_and_saveexec_b32 s13, s25
	s_cbranch_execnz .LBB156_298
.LBB156_251:                            ;   in Loop: Header=BB156_12 Depth=1
	s_or_b32 exec_lo, exec_lo, s13
	s_and_saveexec_b32 s13, s26
	s_cbranch_execnz .LBB156_299
.LBB156_252:                            ;   in Loop: Header=BB156_12 Depth=1
	s_or_b32 exec_lo, exec_lo, s13
	s_and_saveexec_b32 s13, s27
	s_cbranch_execnz .LBB156_300
.LBB156_253:                            ;   in Loop: Header=BB156_12 Depth=1
	s_or_b32 exec_lo, exec_lo, s13
	s_and_saveexec_b32 s13, s28
	s_cbranch_execz .LBB156_11
	s_branch .LBB156_301
.LBB156_254:                            ;   in Loop: Header=BB156_12 Depth=1
	global_load_b32 v35, v[18:19], off offset:1664
	s_or_b32 exec_lo, exec_lo, s29
	s_and_saveexec_b32 s29, s27
	s_cbranch_execz .LBB156_72
.LBB156_255:                            ;   in Loop: Header=BB156_12 Depth=1
	global_load_b32 v33, v[18:19], off offset:1792
	s_or_b32 exec_lo, exec_lo, s29
	v_mov_b32_e32 v111, 0
	s_and_saveexec_b32 s29, s28
	s_cbranch_execnz .LBB156_73
	s_branch .LBB156_74
.LBB156_256:                            ;   in Loop: Header=BB156_12 Depth=1
	ds_load_b32 v19, v54
	s_waitcnt lgkmcnt(0)
	global_store_b32 v[2:3], v19, off
	s_or_b32 exec_lo, exec_lo, s29
	s_and_saveexec_b32 s29, s14
	s_cbranch_execz .LBB156_206
.LBB156_257:                            ;   in Loop: Header=BB156_12 Depth=1
	s_waitcnt lgkmcnt(14)
	global_store_b32 v[2:3], v18, off offset:128
	s_or_b32 exec_lo, exec_lo, s29
	s_and_saveexec_b32 s29, s15
	s_cbranch_execz .LBB156_207
.LBB156_258:                            ;   in Loop: Header=BB156_12 Depth=1
	s_waitcnt lgkmcnt(13)
	global_store_b32 v[2:3], v17, off offset:256
	s_or_b32 exec_lo, exec_lo, s29
	s_and_saveexec_b32 s29, s16
	s_cbranch_execz .LBB156_208
.LBB156_259:                            ;   in Loop: Header=BB156_12 Depth=1
	s_waitcnt lgkmcnt(12)
	global_store_b32 v[2:3], v16, off offset:384
	s_or_b32 exec_lo, exec_lo, s29
	s_and_saveexec_b32 s29, s17
	s_cbranch_execz .LBB156_209
.LBB156_260:                            ;   in Loop: Header=BB156_12 Depth=1
	s_waitcnt lgkmcnt(11)
	global_store_b32 v[2:3], v15, off offset:512
	s_or_b32 exec_lo, exec_lo, s29
	s_and_saveexec_b32 s29, s18
	s_cbranch_execz .LBB156_210
.LBB156_261:                            ;   in Loop: Header=BB156_12 Depth=1
	s_waitcnt lgkmcnt(10)
	global_store_b32 v[2:3], v14, off offset:640
	s_or_b32 exec_lo, exec_lo, s29
	s_and_saveexec_b32 s29, s19
	s_cbranch_execz .LBB156_211
.LBB156_262:                            ;   in Loop: Header=BB156_12 Depth=1
	s_waitcnt lgkmcnt(9)
	global_store_b32 v[2:3], v13, off offset:768
	s_or_b32 exec_lo, exec_lo, s29
	s_and_saveexec_b32 s29, s20
	s_cbranch_execz .LBB156_212
.LBB156_263:                            ;   in Loop: Header=BB156_12 Depth=1
	s_waitcnt lgkmcnt(8)
	global_store_b32 v[2:3], v12, off offset:896
	s_or_b32 exec_lo, exec_lo, s29
	s_and_saveexec_b32 s29, s21
	s_cbranch_execz .LBB156_213
.LBB156_264:                            ;   in Loop: Header=BB156_12 Depth=1
	s_waitcnt lgkmcnt(7)
	global_store_b32 v[2:3], v11, off offset:1024
	s_or_b32 exec_lo, exec_lo, s29
	s_and_saveexec_b32 s29, s22
	s_cbranch_execz .LBB156_214
.LBB156_265:                            ;   in Loop: Header=BB156_12 Depth=1
	s_waitcnt lgkmcnt(6)
	global_store_b32 v[2:3], v10, off offset:1152
	s_or_b32 exec_lo, exec_lo, s29
	s_and_saveexec_b32 s29, s23
	s_cbranch_execz .LBB156_215
.LBB156_266:                            ;   in Loop: Header=BB156_12 Depth=1
	s_waitcnt lgkmcnt(5)
	global_store_b32 v[2:3], v9, off offset:1280
	s_or_b32 exec_lo, exec_lo, s29
	s_and_saveexec_b32 s29, s24
	s_cbranch_execz .LBB156_216
.LBB156_267:                            ;   in Loop: Header=BB156_12 Depth=1
	s_waitcnt lgkmcnt(4)
	global_store_b32 v[2:3], v8, off offset:1408
	s_or_b32 exec_lo, exec_lo, s29
	s_and_saveexec_b32 s29, s25
	s_cbranch_execz .LBB156_217
.LBB156_268:                            ;   in Loop: Header=BB156_12 Depth=1
	s_waitcnt lgkmcnt(3)
	global_store_b32 v[2:3], v7, off offset:1536
	s_or_b32 exec_lo, exec_lo, s29
	s_and_saveexec_b32 s29, s26
	s_cbranch_execz .LBB156_218
.LBB156_269:                            ;   in Loop: Header=BB156_12 Depth=1
	s_waitcnt lgkmcnt(2)
	global_store_b32 v[2:3], v6, off offset:1664
	s_or_b32 exec_lo, exec_lo, s29
	s_and_saveexec_b32 s29, s27
	s_cbranch_execz .LBB156_219
.LBB156_270:                            ;   in Loop: Header=BB156_12 Depth=1
	s_waitcnt lgkmcnt(1)
	global_store_b32 v[2:3], v5, off offset:1792
	s_or_b32 exec_lo, exec_lo, s29
	s_and_saveexec_b32 s29, s28
	s_cbranch_execnz .LBB156_220
	s_branch .LBB156_221
.LBB156_271:                            ;   in Loop: Header=BB156_12 Depth=1
	global_load_b32 v20, v[18:19], off
	v_mov_b32_e32 v15, v1
	v_mov_b32_e32 v2, v1
	;; [unrolled: 1-line block ×15, first 2 shown]
	s_delay_alu instid0(VALU_DEP_2)
	v_dual_mov_b32 v16, v14 :: v_dual_mov_b32 v15, v13
	v_mov_b32_e32 v14, v12
	v_mov_b32_e32 v13, v11
	;; [unrolled: 1-line block ×13, first 2 shown]
	s_or_b32 exec_lo, exec_lo, s29
	s_and_saveexec_b32 s29, s14
	s_cbranch_execz .LBB156_223
.LBB156_272:                            ;   in Loop: Header=BB156_12 Depth=1
	global_load_b32 v3, v[18:19], off offset:128
	s_or_b32 exec_lo, exec_lo, s29
	s_and_saveexec_b32 s29, s15
	s_cbranch_execz .LBB156_224
.LBB156_273:                            ;   in Loop: Header=BB156_12 Depth=1
	global_load_b32 v4, v[18:19], off offset:256
	s_or_b32 exec_lo, exec_lo, s29
	s_and_saveexec_b32 s29, s16
	s_cbranch_execz .LBB156_225
.LBB156_274:                            ;   in Loop: Header=BB156_12 Depth=1
	global_load_b32 v5, v[18:19], off offset:384
	s_or_b32 exec_lo, exec_lo, s29
	s_and_saveexec_b32 s29, s17
	s_cbranch_execz .LBB156_226
.LBB156_275:                            ;   in Loop: Header=BB156_12 Depth=1
	global_load_b32 v6, v[18:19], off offset:512
	s_or_b32 exec_lo, exec_lo, s29
	s_and_saveexec_b32 s29, s18
	s_cbranch_execz .LBB156_227
.LBB156_276:                            ;   in Loop: Header=BB156_12 Depth=1
	global_load_b32 v7, v[18:19], off offset:640
	s_or_b32 exec_lo, exec_lo, s29
	s_and_saveexec_b32 s29, s19
	s_cbranch_execz .LBB156_228
.LBB156_277:                            ;   in Loop: Header=BB156_12 Depth=1
	global_load_b32 v8, v[18:19], off offset:768
	s_or_b32 exec_lo, exec_lo, s29
	s_and_saveexec_b32 s29, s20
	s_cbranch_execz .LBB156_229
.LBB156_278:                            ;   in Loop: Header=BB156_12 Depth=1
	global_load_b32 v9, v[18:19], off offset:896
	s_or_b32 exec_lo, exec_lo, s29
	s_and_saveexec_b32 s29, s21
	s_cbranch_execz .LBB156_230
.LBB156_279:                            ;   in Loop: Header=BB156_12 Depth=1
	global_load_b32 v10, v[18:19], off offset:1024
	s_or_b32 exec_lo, exec_lo, s29
	s_and_saveexec_b32 s29, s22
	s_cbranch_execz .LBB156_231
.LBB156_280:                            ;   in Loop: Header=BB156_12 Depth=1
	global_load_b32 v11, v[18:19], off offset:1152
	s_or_b32 exec_lo, exec_lo, s29
	s_and_saveexec_b32 s29, s23
	s_cbranch_execz .LBB156_232
.LBB156_281:                            ;   in Loop: Header=BB156_12 Depth=1
	global_load_b32 v12, v[18:19], off offset:1280
	s_or_b32 exec_lo, exec_lo, s29
	s_and_saveexec_b32 s29, s24
	s_cbranch_execz .LBB156_233
.LBB156_282:                            ;   in Loop: Header=BB156_12 Depth=1
	global_load_b32 v13, v[18:19], off offset:1408
	s_or_b32 exec_lo, exec_lo, s29
	s_and_saveexec_b32 s29, s25
	s_cbranch_execz .LBB156_234
.LBB156_283:                            ;   in Loop: Header=BB156_12 Depth=1
	global_load_b32 v14, v[18:19], off offset:1536
	s_or_b32 exec_lo, exec_lo, s29
	s_and_saveexec_b32 s29, s26
	s_cbranch_execz .LBB156_235
.LBB156_284:                            ;   in Loop: Header=BB156_12 Depth=1
	global_load_b32 v15, v[18:19], off offset:1664
	s_or_b32 exec_lo, exec_lo, s29
	s_and_saveexec_b32 s29, s27
	s_cbranch_execz .LBB156_236
.LBB156_285:                            ;   in Loop: Header=BB156_12 Depth=1
	global_load_b32 v16, v[18:19], off offset:1792
	s_or_b32 exec_lo, exec_lo, s29
	s_and_saveexec_b32 s29, s28
	s_cbranch_execnz .LBB156_237
	s_branch .LBB156_238
.LBB156_286:                            ;   in Loop: Header=BB156_12 Depth=1
	ds_load_b32 v19, v54
	s_waitcnt lgkmcnt(0)
	global_store_b32 v[2:3], v19, off
	s_or_b32 exec_lo, exec_lo, s29
	s_and_saveexec_b32 s13, s14
	s_cbranch_execz .LBB156_240
.LBB156_287:                            ;   in Loop: Header=BB156_12 Depth=1
	s_waitcnt lgkmcnt(14)
	global_store_b32 v[2:3], v18, off offset:128
	s_or_b32 exec_lo, exec_lo, s13
	s_and_saveexec_b32 s13, s15
	s_cbranch_execz .LBB156_241
.LBB156_288:                            ;   in Loop: Header=BB156_12 Depth=1
	s_waitcnt lgkmcnt(13)
	global_store_b32 v[2:3], v17, off offset:256
	s_or_b32 exec_lo, exec_lo, s13
	s_and_saveexec_b32 s13, s16
	s_cbranch_execz .LBB156_242
.LBB156_289:                            ;   in Loop: Header=BB156_12 Depth=1
	s_waitcnt lgkmcnt(12)
	global_store_b32 v[2:3], v16, off offset:384
	s_or_b32 exec_lo, exec_lo, s13
	s_and_saveexec_b32 s13, s17
	s_cbranch_execz .LBB156_243
.LBB156_290:                            ;   in Loop: Header=BB156_12 Depth=1
	s_waitcnt lgkmcnt(11)
	global_store_b32 v[2:3], v15, off offset:512
	s_or_b32 exec_lo, exec_lo, s13
	s_and_saveexec_b32 s13, s18
	s_cbranch_execz .LBB156_244
.LBB156_291:                            ;   in Loop: Header=BB156_12 Depth=1
	s_waitcnt lgkmcnt(10)
	global_store_b32 v[2:3], v14, off offset:640
	s_or_b32 exec_lo, exec_lo, s13
	s_and_saveexec_b32 s13, s19
	s_cbranch_execz .LBB156_245
.LBB156_292:                            ;   in Loop: Header=BB156_12 Depth=1
	s_waitcnt lgkmcnt(9)
	global_store_b32 v[2:3], v13, off offset:768
	s_or_b32 exec_lo, exec_lo, s13
	s_and_saveexec_b32 s13, s20
	s_cbranch_execz .LBB156_246
.LBB156_293:                            ;   in Loop: Header=BB156_12 Depth=1
	s_waitcnt lgkmcnt(8)
	global_store_b32 v[2:3], v12, off offset:896
	s_or_b32 exec_lo, exec_lo, s13
	s_and_saveexec_b32 s13, s21
	s_cbranch_execz .LBB156_247
.LBB156_294:                            ;   in Loop: Header=BB156_12 Depth=1
	s_waitcnt lgkmcnt(7)
	global_store_b32 v[2:3], v11, off offset:1024
	s_or_b32 exec_lo, exec_lo, s13
	s_and_saveexec_b32 s13, s22
	s_cbranch_execz .LBB156_248
.LBB156_295:                            ;   in Loop: Header=BB156_12 Depth=1
	s_waitcnt lgkmcnt(6)
	global_store_b32 v[2:3], v10, off offset:1152
	s_or_b32 exec_lo, exec_lo, s13
	s_and_saveexec_b32 s13, s23
	s_cbranch_execz .LBB156_249
.LBB156_296:                            ;   in Loop: Header=BB156_12 Depth=1
	s_waitcnt lgkmcnt(5)
	global_store_b32 v[2:3], v9, off offset:1280
	s_or_b32 exec_lo, exec_lo, s13
	s_and_saveexec_b32 s13, s24
	s_cbranch_execz .LBB156_250
.LBB156_297:                            ;   in Loop: Header=BB156_12 Depth=1
	s_waitcnt lgkmcnt(4)
	global_store_b32 v[2:3], v8, off offset:1408
	s_or_b32 exec_lo, exec_lo, s13
	s_and_saveexec_b32 s13, s25
	s_cbranch_execz .LBB156_251
.LBB156_298:                            ;   in Loop: Header=BB156_12 Depth=1
	s_waitcnt lgkmcnt(3)
	global_store_b32 v[2:3], v7, off offset:1536
	s_or_b32 exec_lo, exec_lo, s13
	s_and_saveexec_b32 s13, s26
	s_cbranch_execz .LBB156_252
.LBB156_299:                            ;   in Loop: Header=BB156_12 Depth=1
	s_waitcnt lgkmcnt(2)
	global_store_b32 v[2:3], v6, off offset:1664
	s_or_b32 exec_lo, exec_lo, s13
	s_and_saveexec_b32 s13, s27
	s_cbranch_execz .LBB156_253
.LBB156_300:                            ;   in Loop: Header=BB156_12 Depth=1
	s_waitcnt lgkmcnt(1)
	global_store_b32 v[2:3], v5, off offset:1792
	s_or_b32 exec_lo, exec_lo, s13
	s_and_saveexec_b32 s13, s28
	s_cbranch_execz .LBB156_11
.LBB156_301:                            ;   in Loop: Header=BB156_12 Depth=1
	s_waitcnt lgkmcnt(0)
	global_store_b32 v[2:3], v4, off offset:1920
	s_branch .LBB156_11
.LBB156_302:
	s_nop 0
	s_sendmsg sendmsg(MSG_DEALLOC_VGPRS)
	s_endpgm
	.section	.rodata,"a",@progbits
	.p2align	6, 0x0
	.amdhsa_kernel _Z25selective_scan_fwd_kernelI32Selective_Scan_fwd_kernel_traitsILi128ELi16ELi1ELb0ELb1ELb1ELb1ELb1EfffEEv13SSMParamsBase
		.amdhsa_group_segment_fixed_size 0
		.amdhsa_private_segment_fixed_size 0
		.amdhsa_kernarg_size 248
		.amdhsa_user_sgpr_count 14
		.amdhsa_user_sgpr_dispatch_ptr 0
		.amdhsa_user_sgpr_queue_ptr 0
		.amdhsa_user_sgpr_kernarg_segment_ptr 1
		.amdhsa_user_sgpr_dispatch_id 0
		.amdhsa_user_sgpr_private_segment_size 0
		.amdhsa_wavefront_size32 1
		.amdhsa_uses_dynamic_stack 0
		.amdhsa_enable_private_segment 0
		.amdhsa_system_sgpr_workgroup_id_x 1
		.amdhsa_system_sgpr_workgroup_id_y 1
		.amdhsa_system_sgpr_workgroup_id_z 0
		.amdhsa_system_sgpr_workgroup_info 0
		.amdhsa_system_vgpr_workitem_id 0
		.amdhsa_next_free_vgpr 186
		.amdhsa_next_free_sgpr 97
		.amdhsa_reserve_vcc 1
		.amdhsa_float_round_mode_32 0
		.amdhsa_float_round_mode_16_64 0
		.amdhsa_float_denorm_mode_32 3
		.amdhsa_float_denorm_mode_16_64 3
		.amdhsa_dx10_clamp 1
		.amdhsa_ieee_mode 1
		.amdhsa_fp16_overflow 0
		.amdhsa_workgroup_processor_mode 1
		.amdhsa_memory_ordered 1
		.amdhsa_forward_progress 0
		.amdhsa_shared_vgpr_count 0
		.amdhsa_exception_fp_ieee_invalid_op 0
		.amdhsa_exception_fp_denorm_src 0
		.amdhsa_exception_fp_ieee_div_zero 0
		.amdhsa_exception_fp_ieee_overflow 0
		.amdhsa_exception_fp_ieee_underflow 0
		.amdhsa_exception_fp_ieee_inexact 0
		.amdhsa_exception_int_div_zero 0
	.end_amdhsa_kernel
	.section	.text._Z25selective_scan_fwd_kernelI32Selective_Scan_fwd_kernel_traitsILi128ELi16ELi1ELb0ELb1ELb1ELb1ELb1EfffEEv13SSMParamsBase,"axG",@progbits,_Z25selective_scan_fwd_kernelI32Selective_Scan_fwd_kernel_traitsILi128ELi16ELi1ELb0ELb1ELb1ELb1ELb1EfffEEv13SSMParamsBase,comdat
.Lfunc_end156:
	.size	_Z25selective_scan_fwd_kernelI32Selective_Scan_fwd_kernel_traitsILi128ELi16ELi1ELb0ELb1ELb1ELb1ELb1EfffEEv13SSMParamsBase, .Lfunc_end156-_Z25selective_scan_fwd_kernelI32Selective_Scan_fwd_kernel_traitsILi128ELi16ELi1ELb0ELb1ELb1ELb1ELb1EfffEEv13SSMParamsBase
                                        ; -- End function
	.section	.AMDGPU.csdata,"",@progbits
; Kernel info:
; codeLenInByte = 25588
; NumSgprs: 99
; NumVgprs: 186
; ScratchSize: 0
; MemoryBound: 0
; FloatMode: 240
; IeeeMode: 1
; LDSByteSize: 0 bytes/workgroup (compile time only)
; SGPRBlocks: 12
; VGPRBlocks: 23
; NumSGPRsForWavesPerEU: 99
; NumVGPRsForWavesPerEU: 186
; Occupancy: 8
; WaveLimiterHint : 1
; COMPUTE_PGM_RSRC2:SCRATCH_EN: 0
; COMPUTE_PGM_RSRC2:USER_SGPR: 14
; COMPUTE_PGM_RSRC2:TRAP_HANDLER: 0
; COMPUTE_PGM_RSRC2:TGID_X_EN: 1
; COMPUTE_PGM_RSRC2:TGID_Y_EN: 1
; COMPUTE_PGM_RSRC2:TGID_Z_EN: 0
; COMPUTE_PGM_RSRC2:TIDIG_COMP_CNT: 0
	.section	.text._Z25selective_scan_fwd_kernelI32Selective_Scan_fwd_kernel_traitsILi128ELi16ELi1ELb0ELb1ELb1ELb1ELb0EfffEEv13SSMParamsBase,"axG",@progbits,_Z25selective_scan_fwd_kernelI32Selective_Scan_fwd_kernel_traitsILi128ELi16ELi1ELb0ELb1ELb1ELb1ELb0EfffEEv13SSMParamsBase,comdat
	.protected	_Z25selective_scan_fwd_kernelI32Selective_Scan_fwd_kernel_traitsILi128ELi16ELi1ELb0ELb1ELb1ELb1ELb0EfffEEv13SSMParamsBase ; -- Begin function _Z25selective_scan_fwd_kernelI32Selective_Scan_fwd_kernel_traitsILi128ELi16ELi1ELb0ELb1ELb1ELb1ELb0EfffEEv13SSMParamsBase
	.globl	_Z25selective_scan_fwd_kernelI32Selective_Scan_fwd_kernel_traitsILi128ELi16ELi1ELb0ELb1ELb1ELb1ELb0EfffEEv13SSMParamsBase
	.p2align	8
	.type	_Z25selective_scan_fwd_kernelI32Selective_Scan_fwd_kernel_traitsILi128ELi16ELi1ELb0ELb1ELb1ELb1ELb0EfffEEv13SSMParamsBase,@function
_Z25selective_scan_fwd_kernelI32Selective_Scan_fwd_kernel_traitsILi128ELi16ELi1ELb0ELb1ELb1ELb1ELb0EfffEEv13SSMParamsBase: ; @_Z25selective_scan_fwd_kernelI32Selective_Scan_fwd_kernel_traitsILi128ELi16ELi1ELb0ELb1ELb1ELb1ELb0EfffEEv13SSMParamsBase
; %bb.0:
	s_clause 0x1
	s_load_b32 s9, s[0:1], 0x18
	s_load_b128 s[4:7], s[0:1], 0xe8
	s_mov_b32 s34, s15
	s_mov_b32 s84, 0
	s_waitcnt lgkmcnt(0)
	s_abs_i32 s8, s9
	s_cmp_eq_u64 s[6:7], 0
	v_cvt_f32_u32_e32 v1, s8
	s_delay_alu instid0(VALU_DEP_1) | instskip(SKIP_2) | instid1(VALU_DEP_1)
	v_rcp_iflag_f32_e32 v1, v1
	s_waitcnt_depctr 0xfff
	v_mul_f32_e32 v1, 0x4f7ffffe, v1
	v_cvt_u32_f32_e32 v1, v1
	s_delay_alu instid0(VALU_DEP_1)
	v_readfirstlane_b32 s10, v1
	s_cbranch_scc1 .LBB157_2
; %bb.1:
	v_mov_b32_e32 v1, 0
	s_ashr_i32 s3, s14, 31
	s_add_u32 s2, s6, s14
	s_addc_u32 s3, s7, s3
	global_load_u8 v1, v1, s[2:3]
	s_waitcnt vmcnt(0)
	v_and_b32_e32 v1, 1, v1
	s_delay_alu instid0(VALU_DEP_1)
	v_cmp_eq_u32_e64 s84, 1, v1
.LBB157_2:
	s_load_b64 s[6:7], s[0:1], 0x20
	s_cmp_eq_u64 s[4:5], 0
	s_cbranch_scc1 .LBB157_4
; %bb.3:
	s_ashr_i32 s15, s14, 31
	s_delay_alu instid0(SALU_CYCLE_1) | instskip(NEXT) | instid1(SALU_CYCLE_1)
	s_lshl_b64 s[2:3], s[14:15], 2
	s_add_u32 s2, s4, s2
	s_addc_u32 s3, s5, s3
	s_load_b32 s2, s[2:3], 0x0
	s_waitcnt lgkmcnt(0)
	s_ashr_i32 s3, s2, 31
	s_delay_alu instid0(SALU_CYCLE_1)
	s_cmp_eq_u64 s[6:7], s[2:3]
	s_cbranch_scc0 .LBB157_5
	s_branch .LBB157_302
.LBB157_4:
	s_mov_b32 s2, s14
	s_delay_alu instid0(SALU_CYCLE_1)
	s_ashr_i32 s3, s2, 31
	s_waitcnt lgkmcnt(0)
	s_cmp_eq_u64 s[6:7], s[2:3]
	s_cbranch_scc1 .LBB157_302
.LBB157_5:
	s_clause 0x1
	s_load_b512 s[16:31], s[0:1], 0x88
	s_load_b64 s[50:51], s[0:1], 0x8
	s_mov_b32 s85, 0
	s_mov_b32 s86, 0
	s_waitcnt lgkmcnt(0)
	s_cmp_eq_u64 s[22:23], 0
	s_cbranch_scc1 .LBB157_7
; %bb.6:
	s_ashr_i32 s35, s34, 31
	s_delay_alu instid0(SALU_CYCLE_1) | instskip(NEXT) | instid1(SALU_CYCLE_1)
	s_lshl_b64 s[4:5], s[34:35], 2
	s_add_u32 s4, s22, s4
	s_addc_u32 s5, s23, s5
	s_load_b32 s86, s[4:5], 0x0
.LBB157_7:
	s_cmp_eq_u64 s[28:29], 0
	s_cbranch_scc1 .LBB157_9
; %bb.8:
	s_ashr_i32 s35, s34, 31
	s_delay_alu instid0(SALU_CYCLE_1) | instskip(NEXT) | instid1(SALU_CYCLE_1)
	s_lshl_b64 s[4:5], s[34:35], 2
	s_add_u32 s4, s28, s4
	s_addc_u32 s5, s29, s5
	s_load_b32 s85, s[4:5], 0x0
.LBB157_9:
	s_cmp_lt_i32 s50, 1
	s_cbranch_scc1 .LBB157_302
; %bb.10:
	s_sub_i32 s3, 0, s8
	s_load_b256 s[68:75], s[0:1], 0x4c
	s_mul_i32 s3, s3, s10
	s_abs_i32 s4, s34
	s_mul_hi_u32 s3, s10, s3
	s_ashr_i32 s6, s9, 31
	s_add_i32 s10, s10, s3
	s_ashr_i32 s3, s34, 31
	s_mul_hi_u32 s5, s4, s10
	s_xor_b32 s3, s3, s6
	s_mul_i32 s7, s5, s8
	s_add_i32 s6, s5, 1
	s_sub_i32 s4, s4, s7
	s_load_b256 s[76:83], s[0:1], 0x2c
	s_sub_i32 s7, s4, s8
	s_cmp_ge_u32 s4, s8
	s_mov_b32 s53, 0
	s_cselect_b32 s5, s6, s5
	s_cselect_b32 s4, s7, s4
	s_add_i32 s6, s5, 1
	s_cmp_ge_u32 s4, s8
	s_waitcnt lgkmcnt(0)
	s_mul_i32 s52, s70, s14
	s_cselect_b32 s6, s6, s5
	s_lshl_b64 s[4:5], s[52:53], 2
	s_xor_b32 s6, s6, s3
	s_mul_i32 s52, s71, s34
	s_sub_i32 s3, s6, s3
	s_add_u32 s6, s24, s4
	s_addc_u32 s7, s25, s5
	s_lshl_b64 s[4:5], s[52:53], 2
	s_mul_i32 s52, s72, s14
	s_add_u32 s70, s6, s4
	s_addc_u32 s71, s7, s5
	s_lshl_b64 s[4:5], s[52:53], 2
	s_mul_i32 s52, s73, s34
	;; [unrolled: 4-line block ×4, first 2 shown]
	s_load_b64 s[6:7], s[0:1], 0x7c
	s_add_u32 s76, s16, s4
	s_addc_u32 s78, s17, s5
	s_lshl_b64 s[4:5], s[52:53], 2
	s_mul_i32 s52, s3, s81
	s_load_b128 s[24:27], s[0:1], 0xc8
	s_add_u32 s8, s18, s4
	s_addc_u32 s9, s19, s5
	s_lshl_b64 s[4:5], s[52:53], 2
	s_mul_i32 s52, s82, s14
	s_add_u32 s79, s8, s4
	v_dual_mov_b32 v1, 0 :: v_dual_lshlrev_b32 v36, 4, v0
	s_addc_u32 s81, s9, s5
	s_lshl_b64 s[4:5], s[52:53], 2
	s_load_b128 s[16:19], s[0:1], 0x6c
	s_add_u32 s8, s20, s4
	s_mul_i32 s52, s3, s69
	s_addc_u32 s3, s21, s5
	s_clause 0x2
	s_load_b32 s69, s[0:1], 0x84
	s_load_b64 s[20:21], s[0:1], 0xd8
	s_load_b32 s0, s[0:1], 0x28
	v_mbcnt_lo_u32_b32 v37, -1, 0
	v_and_b32_e32 v2, 0x600, v36
	s_lshl_b64 s[4:5], s[52:53], 2
	s_waitcnt lgkmcnt(0)
	s_mul_i32 s52, s2, s6
	s_add_u32 s82, s8, s4
	s_addc_u32 s83, s3, s5
	v_or_b32_e32 v38, v37, v2
	s_lshl_b64 s[2:3], s[52:53], 2
	v_lshrrev_b32_e32 v3, 5, v2
	v_and_b32_e32 v15, 0x60, v0
	s_mul_i32 s52, s7, s34
	v_or_b32_e32 v39, 32, v38
	s_add_u32 s4, s24, s2
	s_addc_u32 s5, s25, s3
	s_lshl_b64 s[2:3], s[52:53], 2
	v_or_b32_e32 v40, 64, v38
	s_add_u32 s87, s4, s2
	v_or_b32_e32 v41, 0x60, v38
	v_or_b32_e32 v42, 0x80, v38
	;; [unrolled: 1-line block ×11, first 2 shown]
	v_add_nc_u32_e32 v3, v3, v38
	v_lshrrev_b32_e32 v4, 5, v39
	v_or_b32_e32 v52, 0x1c0, v38
	v_or_b32_e32 v53, 0x1e0, v38
	;; [unrolled: 1-line block ×3, first 2 shown]
	s_addc_u32 s88, s5, s3
	s_add_i32 s2, s50, 0x7ff
	v_lshrrev_b32_e32 v5, 5, v40
	s_lshr_b32 s89, s2, 11
	s_bitcmp1_b32 s0, 0
	v_lshl_add_u32 v54, v3, 2, 0
	v_add_lshl_u32 v3, v4, v38, 2
	v_lshrrev_b32_e32 v4, 5, v41
	v_lshrrev_b32_e32 v6, 5, v42
	;; [unrolled: 1-line block ×13, first 2 shown]
	v_lshlrev_b32_e32 v20, 4, v18
	v_bfe_u32 v18, v18, 1, 27
	s_cselect_b32 s90, -1, 0
	s_cmp_gt_i32 s51, 0
	v_add_lshl_u32 v5, v5, v38, 2
	s_cselect_b32 s91, -1, 0
	s_add_i32 s0, 0, 0x2100
	v_add_nc_u32_e32 v55, 0, v3
	v_add_lshl_u32 v4, v4, v38, 2
	v_add_lshl_u32 v6, v6, v38, 2
	;; [unrolled: 1-line block ×14, first 2 shown]
	v_add_nc_u32_e32 v71, s0, v3
	v_and_b32_e32 v3, 15, v37
	s_and_b32 s1, s50, 0x7ff
	v_add_nc_u32_e32 v72, s0, v5
	v_add_nc_u32_e32 v73, s0, v4
	;; [unrolled: 1-line block ×14, first 2 shown]
	s_cmp_eq_u32 s1, 0
	v_add_nc_u32_e32 v86, s0, v18
	v_cmp_ne_u32_e64 s0, 0, v3
	v_cmp_lt_u32_e64 s1, 1, v3
	v_cmp_lt_u32_e64 s2, 3, v3
	;; [unrolled: 1-line block ×3, first 2 shown]
	v_add_nc_u32_e32 v3, -1, v37
	v_add_nc_u32_e32 v57, 0, v4
	v_lshrrev_b32_e32 v4, 2, v0
	s_mul_i32 s52, s16, s14
	s_cselect_b32 s92, -1, 0
	v_cmp_gt_i32_e32 vcc_lo, 0, v3
	s_lshl_b64 s[12:13], s[52:53], 2
	v_and_b32_e32 v4, 24, v4
	s_add_i32 s93, s89, -1
	s_mul_i32 s52, s17, s34
	v_cndmask_b32_e32 v3, v3, v37, vcc_lo
	s_add_u32 s15, s30, s12
	s_addc_u32 s13, s31, s13
	s_lshl_b64 s[16:17], s[52:53], 2
	v_add_nc_u32_e32 v56, 0, v5
	v_add_nc_u32_e32 v58, 0, v6
	v_and_b32_e32 v5, 16, v37
	v_or_b32_e32 v6, 31, v15
	v_lshlrev_b32_e32 v89, 2, v3
	s_mul_i32 s52, s74, s14
	v_lshlrev_b32_e32 v3, 2, v37
	s_add_u32 s15, s15, s16
	v_add_nc_u32_e32 v87, 0, v4
	v_and_b32_e32 v4, 3, v37
	s_addc_u32 s13, s13, s17
	s_lshl_b64 s[16:17], s[52:53], 2
	s_mul_i32 s52, s75, s34
	s_add_u32 s22, s26, s16
	v_cmp_ne_u32_e64 s4, 0, v5
	v_cmp_eq_u32_e64 s5, v6, v0
	v_cmp_gt_u32_e64 s6, 4, v0
	v_lshl_add_u32 v88, v0, 3, 0
	v_cmp_gt_u32_e64 s9, 32, v0
	v_cmp_lt_u32_e64 s10, 31, v0
	v_cmp_eq_u32_e64 s11, 0, v0
	s_addc_u32 s23, s27, s17
	s_lshl_b64 s[16:17], s[52:53], 2
	v_add_co_u32 v0, s15, s15, v3
	v_lshlrev_b32_e32 v5, 2, v2
	s_mul_i32 s52, s18, s14
	v_cmp_ne_u32_e64 s7, 0, v4
	v_cmp_lt_u32_e64 s8, 1, v4
	v_add_co_ci_u32_e64 v4, null, s13, 0, s15
	s_add_u32 s13, s22, s16
	s_addc_u32 s16, s23, s17
	s_lshl_b64 s[14:15], s[52:53], 2
	s_mul_i32 s52, s19, s34
	s_add_u32 s17, s20, s14
	v_add_co_u32 v0, vcc_lo, v0, v5
	s_addc_u32 s18, s21, s15
	s_lshl_b64 s[14:15], s[52:53], 2
	v_add_co_ci_u32_e32 v90, vcc_lo, 0, v4, vcc_lo
	v_add_co_u32 v4, s13, s13, v3
	s_add_u32 s14, s17, s14
	v_add_co_ci_u32_e64 v6, null, s16, 0, s13
	s_addc_u32 s15, s18, s15
	v_add_co_u32 v3, s13, s14, v3
	v_add_nc_u32_e32 v59, 0, v7
	v_add_co_ci_u32_e64 v7, null, s15, 0, s13
	v_add_co_u32 v91, vcc_lo, v4, v5
	v_add_co_ci_u32_e32 v92, vcc_lo, 0, v6, vcc_lo
	v_add_co_u32 v93, vcc_lo, v3, v5
	v_add_nc_u32_e32 v60, 0, v8
	v_add_nc_u32_e32 v61, 0, v9
	;; [unrolled: 1-line block ×11, first 2 shown]
	v_cmp_eq_u32_e64 s12, 0, v37
	v_add_co_ci_u32_e32 v94, vcc_lo, 0, v7, vcc_lo
	v_or_b32_e32 v95, 1, v36
	v_or_b32_e32 v96, 2, v36
	;; [unrolled: 1-line block ×15, first 2 shown]
	v_lshlrev_b32_e32 v110, 2, v2
	s_mov_b32 s74, 0x3e9b6dac
	s_add_i32 s75, 0, 0x4220
	s_mov_b32 s94, 0
	s_branch .LBB157_12
.LBB157_11:                             ;   in Loop: Header=BB157_12 Depth=1
	s_or_b32 exec_lo, exec_lo, s13
	s_add_u32 s72, s72, 0x2000
	s_addc_u32 s73, s73, 0
	s_add_u32 s70, s70, 0x2000
	s_addc_u32 s71, s71, 0
	;; [unrolled: 2-line block ×4, first 2 shown]
	s_add_i32 s94, s94, 1
	s_delay_alu instid0(SALU_CYCLE_1)
	s_cmp_lg_u32 s94, s89
	s_cbranch_scc0 .LBB157_302
.LBB157_12:                             ; =>This Loop Header: Depth=1
                                        ;     Child Loop BB157_109 Depth 2
	v_lshlrev_b32_e32 v34, 2, v37
	s_lshl_b32 s54, s94, 11
	s_waitcnt lgkmcnt(0)
	v_mov_b32_e32 v4, 0
	s_sub_i32 s41, s50, s54
	v_add_co_u32 v2, s13, s70, v34
	s_delay_alu instid0(VALU_DEP_1) | instskip(SKIP_1) | instid1(VALU_DEP_3)
	v_add_co_ci_u32_e64 v3, null, s71, 0, s13
	v_cmp_gt_u32_e64 s13, s41, v38
	v_add_co_u32 v2, vcc_lo, v2, v110
	s_delay_alu instid0(VALU_DEP_3)
	v_add_co_ci_u32_e32 v3, vcc_lo, 0, v3, vcc_lo
	s_waitcnt_vscnt null, 0x0
	s_barrier
	buffer_gl0_inv
	s_and_saveexec_b32 s14, s13
	s_cbranch_execz .LBB157_14
; %bb.13:                               ;   in Loop: Header=BB157_12 Depth=1
	global_load_b32 v4, v[2:3], off
.LBB157_14:                             ;   in Loop: Header=BB157_12 Depth=1
	s_or_b32 exec_lo, exec_lo, s14
	v_cmp_gt_u32_e64 s14, s41, v39
	v_dual_mov_b32 v5, 0 :: v_dual_mov_b32 v6, 0
	s_delay_alu instid0(VALU_DEP_2)
	s_and_saveexec_b32 s15, s14
	s_cbranch_execz .LBB157_16
; %bb.15:                               ;   in Loop: Header=BB157_12 Depth=1
	global_load_b32 v6, v[2:3], off offset:128
.LBB157_16:                             ;   in Loop: Header=BB157_12 Depth=1
	s_or_b32 exec_lo, exec_lo, s15
	v_cmp_gt_u32_e64 s15, s41, v40
	s_delay_alu instid0(VALU_DEP_1)
	s_and_saveexec_b32 s16, s15
	s_cbranch_execz .LBB157_18
; %bb.17:                               ;   in Loop: Header=BB157_12 Depth=1
	global_load_b32 v5, v[2:3], off offset:256
.LBB157_18:                             ;   in Loop: Header=BB157_12 Depth=1
	s_or_b32 exec_lo, exec_lo, s16
	v_cmp_gt_u32_e64 s16, s41, v41
	v_dual_mov_b32 v7, 0 :: v_dual_mov_b32 v8, 0
	s_delay_alu instid0(VALU_DEP_2)
	s_and_saveexec_b32 s17, s16
	s_cbranch_execz .LBB157_20
; %bb.19:                               ;   in Loop: Header=BB157_12 Depth=1
	global_load_b32 v8, v[2:3], off offset:384
.LBB157_20:                             ;   in Loop: Header=BB157_12 Depth=1
	s_or_b32 exec_lo, exec_lo, s17
	v_cmp_gt_u32_e64 s17, s41, v42
	s_delay_alu instid0(VALU_DEP_1)
	s_and_saveexec_b32 s18, s17
	s_cbranch_execz .LBB157_22
; %bb.21:                               ;   in Loop: Header=BB157_12 Depth=1
	global_load_b32 v7, v[2:3], off offset:512
.LBB157_22:                             ;   in Loop: Header=BB157_12 Depth=1
	;; [unrolled: 17-line block ×7, first 2 shown]
	s_or_b32 exec_lo, exec_lo, s28
	v_cmp_gt_u32_e64 s28, s41, v53
	v_dual_mov_b32 v20, 0 :: v_dual_mov_b32 v19, 0
	s_delay_alu instid0(VALU_DEP_2)
	s_and_saveexec_b32 s29, s28
	s_cbranch_execz .LBB157_44
; %bb.43:                               ;   in Loop: Header=BB157_12 Depth=1
	global_load_b32 v19, v[2:3], off offset:1920
.LBB157_44:                             ;   in Loop: Header=BB157_12 Depth=1
	s_or_b32 exec_lo, exec_lo, s29
	s_waitcnt vmcnt(0)
	ds_store_b32 v54, v4
	ds_store_b32 v55, v6 offset:128
	ds_store_b32 v56, v5 offset:256
	;; [unrolled: 1-line block ×15, first 2 shown]
	; wave barrier
	ds_load_2addr_b32 v[2:3], v70 offset1:1
	ds_load_2addr_b32 v[4:5], v70 offset0:2 offset1:3
	ds_load_2addr_b32 v[6:7], v70 offset0:4 offset1:5
	;; [unrolled: 1-line block ×7, first 2 shown]
	v_add_co_u32 v18, s29, s72, v34
	s_delay_alu instid0(VALU_DEP_1) | instskip(SKIP_1) | instid1(VALU_DEP_2)
	v_add_co_ci_u32_e64 v19, null, s73, 0, s29
	s_waitcnt lgkmcnt(0)
	v_add_co_u32 v18, vcc_lo, v18, v110
	s_delay_alu instid0(VALU_DEP_2)
	v_add_co_ci_u32_e32 v19, vcc_lo, 0, v19, vcc_lo
	s_barrier
	buffer_gl0_inv
	s_and_saveexec_b32 s29, s13
	s_cbranch_execz .LBB157_46
; %bb.45:                               ;   in Loop: Header=BB157_12 Depth=1
	global_load_b32 v20, v[18:19], off
.LBB157_46:                             ;   in Loop: Header=BB157_12 Depth=1
	s_or_b32 exec_lo, exec_lo, s29
	v_dual_mov_b32 v21, 0 :: v_dual_mov_b32 v22, 0
	s_and_saveexec_b32 s29, s14
	s_cbranch_execz .LBB157_48
; %bb.47:                               ;   in Loop: Header=BB157_12 Depth=1
	global_load_b32 v22, v[18:19], off offset:128
.LBB157_48:                             ;   in Loop: Header=BB157_12 Depth=1
	s_or_b32 exec_lo, exec_lo, s29
	s_and_saveexec_b32 s29, s15
	s_cbranch_execz .LBB157_50
; %bb.49:                               ;   in Loop: Header=BB157_12 Depth=1
	global_load_b32 v21, v[18:19], off offset:256
.LBB157_50:                             ;   in Loop: Header=BB157_12 Depth=1
	s_or_b32 exec_lo, exec_lo, s29
	v_dual_mov_b32 v23, 0 :: v_dual_mov_b32 v24, 0
	s_and_saveexec_b32 s29, s16
	s_cbranch_execz .LBB157_52
; %bb.51:                               ;   in Loop: Header=BB157_12 Depth=1
	global_load_b32 v24, v[18:19], off offset:384
.LBB157_52:                             ;   in Loop: Header=BB157_12 Depth=1
	s_or_b32 exec_lo, exec_lo, s29
	s_and_saveexec_b32 s29, s17
	s_cbranch_execz .LBB157_54
; %bb.53:                               ;   in Loop: Header=BB157_12 Depth=1
	global_load_b32 v23, v[18:19], off offset:512
.LBB157_54:                             ;   in Loop: Header=BB157_12 Depth=1
	;; [unrolled: 13-line block ×6, first 2 shown]
	s_or_b32 exec_lo, exec_lo, s29
	v_mov_b32_e32 v33, 0
	v_mov_b32_e32 v35, 0
	s_and_saveexec_b32 s29, s26
	s_cbranch_execnz .LBB157_254
; %bb.71:                               ;   in Loop: Header=BB157_12 Depth=1
	s_or_b32 exec_lo, exec_lo, s29
	s_and_saveexec_b32 s29, s27
	s_cbranch_execnz .LBB157_255
.LBB157_72:                             ;   in Loop: Header=BB157_12 Depth=1
	s_or_b32 exec_lo, exec_lo, s29
	v_mov_b32_e32 v111, 0
	s_and_saveexec_b32 s29, s28
	s_cbranch_execz .LBB157_74
.LBB157_73:                             ;   in Loop: Header=BB157_12 Depth=1
	global_load_b32 v111, v[18:19], off offset:1920
.LBB157_74:                             ;   in Loop: Header=BB157_12 Depth=1
	s_or_b32 exec_lo, exec_lo, s29
	s_waitcnt vmcnt(0)
	ds_store_b32 v54, v20
	ds_store_b32 v55, v22 offset:128
	ds_store_b32 v56, v21 offset:256
	;; [unrolled: 1-line block ×15, first 2 shown]
	; wave barrier
	ds_load_2addr_b32 v[32:33], v70 offset1:1
	ds_load_2addr_b32 v[30:31], v70 offset0:2 offset1:3
	ds_load_2addr_b32 v[28:29], v70 offset0:4 offset1:5
	;; [unrolled: 1-line block ×7, first 2 shown]
	s_waitcnt lgkmcnt(7)
	v_add_f32_e32 v111, s85, v32
	s_delay_alu instid0(VALU_DEP_1) | instskip(SKIP_1) | instid1(SALU_CYCLE_1)
	v_cmp_ge_f32_e32 vcc_lo, 0x41a00000, v111
	s_and_b32 s29, s90, vcc_lo
	s_and_saveexec_b32 s30, s29
	s_cbranch_execz .LBB157_76
; %bb.75:                               ;   in Loop: Header=BB157_12 Depth=1
	v_mul_f32_e32 v32, 0x3fb8aa3b, v111
	v_cmp_ngt_f32_e32 vcc_lo, 0xc2ce8ed0, v111
	s_delay_alu instid0(VALU_DEP_2) | instskip(SKIP_1) | instid1(VALU_DEP_2)
	v_rndne_f32_e32 v35, v32
	v_fma_f32 v112, 0x3fb8aa3b, v111, -v32
	v_sub_f32_e32 v32, v32, v35
	s_delay_alu instid0(VALU_DEP_2) | instskip(SKIP_1) | instid1(VALU_DEP_2)
	v_fmac_f32_e32 v112, 0x32a5705f, v111
	v_cvt_i32_f32_e32 v35, v35
	v_add_f32_e32 v32, v32, v112
	s_delay_alu instid0(VALU_DEP_1) | instskip(SKIP_2) | instid1(VALU_DEP_1)
	v_exp_f32_e32 v32, v32
	s_waitcnt_depctr 0xfff
	v_ldexp_f32 v32, v32, v35
	v_cndmask_b32_e32 v32, 0, v32, vcc_lo
	v_cmp_nlt_f32_e32 vcc_lo, 0x42b17218, v111
	s_delay_alu instid0(VALU_DEP_2) | instskip(NEXT) | instid1(VALU_DEP_1)
	v_cndmask_b32_e32 v32, 0x7f800000, v32, vcc_lo
	v_add_f32_e32 v35, 1.0, v32
	s_delay_alu instid0(VALU_DEP_1) | instskip(NEXT) | instid1(VALU_DEP_1)
	v_cvt_f64_f32_e32 v[111:112], v35
	v_frexp_exp_i32_f64_e32 v111, v[111:112]
	v_frexp_mant_f32_e32 v112, v35
	s_delay_alu instid0(VALU_DEP_1) | instskip(SKIP_1) | instid1(VALU_DEP_1)
	v_cmp_gt_f32_e32 vcc_lo, 0x3f2aaaab, v112
	v_add_f32_e32 v112, -1.0, v35
	v_sub_f32_e32 v114, v112, v35
	v_sub_f32_e32 v112, v32, v112
	s_delay_alu instid0(VALU_DEP_2) | instskip(NEXT) | instid1(VALU_DEP_1)
	v_add_f32_e32 v114, 1.0, v114
	v_add_f32_e32 v112, v112, v114
	v_subrev_co_ci_u32_e32 v111, vcc_lo, 0, v111, vcc_lo
	s_delay_alu instid0(VALU_DEP_1) | instskip(SKIP_1) | instid1(VALU_DEP_2)
	v_sub_nc_u32_e32 v113, 0, v111
	v_cvt_f32_i32_e32 v111, v111
	v_ldexp_f32 v35, v35, v113
	v_ldexp_f32 v112, v112, v113
	s_delay_alu instid0(VALU_DEP_2) | instskip(SKIP_1) | instid1(VALU_DEP_2)
	v_add_f32_e32 v115, 1.0, v35
	v_add_f32_e32 v113, -1.0, v35
	v_add_f32_e32 v114, -1.0, v115
	s_delay_alu instid0(VALU_DEP_2) | instskip(NEXT) | instid1(VALU_DEP_2)
	v_add_f32_e32 v116, 1.0, v113
	v_sub_f32_e32 v114, v35, v114
	s_delay_alu instid0(VALU_DEP_1) | instskip(NEXT) | instid1(VALU_DEP_1)
	v_dual_sub_f32 v35, v35, v116 :: v_dual_add_f32 v114, v112, v114
	v_add_f32_e32 v35, v112, v35
	v_cmp_eq_f32_e32 vcc_lo, 0x7f800000, v32
	v_cmp_gt_f32_e64 s29, 0x33800000, v32
	s_delay_alu instid0(VALU_DEP_3) | instskip(NEXT) | instid1(VALU_DEP_2)
	v_dual_add_f32 v116, v115, v114 :: v_dual_add_f32 v117, v113, v35
	s_or_b32 vcc_lo, s29, vcc_lo
	s_delay_alu instid0(VALU_DEP_1) | instskip(NEXT) | instid1(VALU_DEP_1)
	v_rcp_f32_e32 v112, v116
	v_sub_f32_e32 v113, v113, v117
	v_sub_f32_e32 v115, v115, v116
	s_delay_alu instid0(VALU_DEP_1) | instskip(SKIP_2) | instid1(VALU_DEP_1)
	v_dual_add_f32 v35, v35, v113 :: v_dual_add_f32 v114, v114, v115
	s_waitcnt_depctr 0xfff
	v_mul_f32_e32 v118, v117, v112
	v_mul_f32_e32 v119, v116, v118
	s_delay_alu instid0(VALU_DEP_1) | instskip(NEXT) | instid1(VALU_DEP_1)
	v_fma_f32 v115, v118, v116, -v119
	v_fmac_f32_e32 v115, v118, v114
	s_delay_alu instid0(VALU_DEP_1) | instskip(NEXT) | instid1(VALU_DEP_1)
	v_add_f32_e32 v120, v119, v115
	v_sub_f32_e32 v121, v117, v120
	v_sub_f32_e32 v113, v120, v119
	s_delay_alu instid0(VALU_DEP_2) | instskip(NEXT) | instid1(VALU_DEP_2)
	v_sub_f32_e32 v117, v117, v121
	v_sub_f32_e32 v113, v113, v115
	s_delay_alu instid0(VALU_DEP_2) | instskip(NEXT) | instid1(VALU_DEP_1)
	v_sub_f32_e32 v117, v117, v120
	v_add_f32_e32 v35, v35, v117
	s_delay_alu instid0(VALU_DEP_1) | instskip(NEXT) | instid1(VALU_DEP_1)
	v_add_f32_e32 v35, v113, v35
	v_add_f32_e32 v113, v121, v35
	s_delay_alu instid0(VALU_DEP_1) | instskip(NEXT) | instid1(VALU_DEP_1)
	v_mul_f32_e32 v115, v112, v113
	v_dual_sub_f32 v120, v121, v113 :: v_dual_mul_f32 v117, v116, v115
	s_delay_alu instid0(VALU_DEP_1) | instskip(NEXT) | instid1(VALU_DEP_1)
	v_fma_f32 v116, v115, v116, -v117
	v_fmac_f32_e32 v116, v115, v114
	s_delay_alu instid0(VALU_DEP_3) | instskip(NEXT) | instid1(VALU_DEP_2)
	v_add_f32_e32 v35, v35, v120
	v_add_f32_e32 v114, v117, v116
	s_delay_alu instid0(VALU_DEP_1) | instskip(NEXT) | instid1(VALU_DEP_1)
	v_sub_f32_e32 v119, v113, v114
	v_sub_f32_e32 v113, v113, v119
	s_delay_alu instid0(VALU_DEP_1) | instskip(NEXT) | instid1(VALU_DEP_1)
	v_sub_f32_e32 v113, v113, v114
	v_add_f32_e32 v35, v35, v113
	v_add_f32_e32 v113, v118, v115
	v_sub_f32_e32 v117, v114, v117
	s_delay_alu instid0(VALU_DEP_1) | instskip(NEXT) | instid1(VALU_DEP_1)
	v_sub_f32_e32 v114, v117, v116
	v_dual_add_f32 v35, v114, v35 :: v_dual_sub_f32 v114, v113, v118
	s_delay_alu instid0(VALU_DEP_1) | instskip(NEXT) | instid1(VALU_DEP_1)
	v_add_f32_e32 v35, v119, v35
	v_dual_sub_f32 v114, v115, v114 :: v_dual_mul_f32 v35, v112, v35
	s_delay_alu instid0(VALU_DEP_1) | instskip(NEXT) | instid1(VALU_DEP_1)
	v_add_f32_e32 v35, v114, v35
	v_add_f32_e32 v112, v113, v35
	s_delay_alu instid0(VALU_DEP_1) | instskip(NEXT) | instid1(VALU_DEP_1)
	v_mul_f32_e32 v114, v112, v112
	v_fmaak_f32 v115, s74, v114, 0x3ecc95a3
	v_mul_f32_e32 v116, v112, v114
	s_delay_alu instid0(VALU_DEP_2) | instskip(SKIP_2) | instid1(VALU_DEP_3)
	v_fmaak_f32 v114, v114, v115, 0x3f2aaada
	v_ldexp_f32 v115, v112, 1
	v_sub_f32_e32 v112, v112, v113
	v_mul_f32_e32 v114, v116, v114
	s_delay_alu instid0(VALU_DEP_1) | instskip(NEXT) | instid1(VALU_DEP_1)
	v_dual_mul_f32 v116, 0x3f317218, v111 :: v_dual_add_f32 v113, v115, v114
	v_dual_sub_f32 v35, v35, v112 :: v_dual_sub_f32 v112, v113, v115
	s_delay_alu instid0(VALU_DEP_1) | instskip(NEXT) | instid1(VALU_DEP_3)
	v_ldexp_f32 v35, v35, 1
	v_fma_f32 v115, 0x3f317218, v111, -v116
	s_delay_alu instid0(VALU_DEP_3) | instskip(NEXT) | instid1(VALU_DEP_1)
	v_sub_f32_e32 v112, v114, v112
	v_add_f32_e32 v35, v35, v112
	s_delay_alu instid0(VALU_DEP_1) | instskip(NEXT) | instid1(VALU_DEP_4)
	v_add_f32_e32 v112, v113, v35
	v_fmac_f32_e32 v115, 0xb102e308, v111
	s_delay_alu instid0(VALU_DEP_1) | instskip(NEXT) | instid1(VALU_DEP_1)
	v_add_f32_e32 v111, v116, v115
	v_add_f32_e32 v114, v111, v112
	v_dual_sub_f32 v116, v111, v116 :: v_dual_sub_f32 v113, v112, v113
	s_delay_alu instid0(VALU_DEP_2) | instskip(NEXT) | instid1(VALU_DEP_1)
	v_sub_f32_e32 v117, v114, v111
	v_dual_sub_f32 v115, v115, v116 :: v_dual_sub_f32 v112, v112, v117
	v_sub_f32_e32 v118, v114, v117
	s_delay_alu instid0(VALU_DEP_4) | instskip(NEXT) | instid1(VALU_DEP_2)
	v_sub_f32_e32 v35, v35, v113
	v_sub_f32_e32 v111, v111, v118
	s_delay_alu instid0(VALU_DEP_2) | instskip(NEXT) | instid1(VALU_DEP_2)
	v_add_f32_e32 v113, v115, v35
	v_add_f32_e32 v111, v112, v111
	s_delay_alu instid0(VALU_DEP_2) | instskip(NEXT) | instid1(VALU_DEP_2)
	v_sub_f32_e32 v112, v113, v115
	v_add_f32_e32 v111, v113, v111
	s_delay_alu instid0(VALU_DEP_2) | instskip(NEXT) | instid1(VALU_DEP_2)
	v_sub_f32_e32 v113, v113, v112
	v_dual_sub_f32 v35, v35, v112 :: v_dual_add_f32 v116, v114, v111
	s_delay_alu instid0(VALU_DEP_1) | instskip(NEXT) | instid1(VALU_DEP_1)
	v_dual_sub_f32 v113, v115, v113 :: v_dual_sub_f32 v112, v116, v114
	v_add_f32_e32 v35, v35, v113
	s_delay_alu instid0(VALU_DEP_2) | instskip(NEXT) | instid1(VALU_DEP_1)
	v_sub_f32_e32 v111, v111, v112
	v_add_f32_e32 v35, v35, v111
	s_delay_alu instid0(VALU_DEP_1) | instskip(NEXT) | instid1(VALU_DEP_1)
	v_add_f32_e32 v35, v116, v35
	v_cndmask_b32_e32 v111, v35, v32, vcc_lo
.LBB157_76:                             ;   in Loop: Header=BB157_12 Depth=1
	s_or_b32 exec_lo, exec_lo, s30
	v_add_f32_e32 v112, s85, v33
	s_delay_alu instid0(VALU_DEP_1) | instskip(SKIP_1) | instid1(SALU_CYCLE_1)
	v_cmp_ge_f32_e32 vcc_lo, 0x41a00000, v112
	s_and_b32 s29, s90, vcc_lo
	s_and_saveexec_b32 s30, s29
	s_cbranch_execz .LBB157_78
; %bb.77:                               ;   in Loop: Header=BB157_12 Depth=1
	v_mul_f32_e32 v32, 0x3fb8aa3b, v112
	v_cmp_ngt_f32_e32 vcc_lo, 0xc2ce8ed0, v112
	s_delay_alu instid0(VALU_DEP_2) | instskip(SKIP_1) | instid1(VALU_DEP_1)
	v_rndne_f32_e32 v33, v32
	v_fma_f32 v35, 0x3fb8aa3b, v112, -v32
	v_dual_sub_f32 v32, v32, v33 :: v_dual_fmac_f32 v35, 0x32a5705f, v112
	v_cvt_i32_f32_e32 v33, v33
	s_delay_alu instid0(VALU_DEP_2) | instskip(NEXT) | instid1(VALU_DEP_1)
	v_add_f32_e32 v32, v32, v35
	v_exp_f32_e32 v32, v32
	s_waitcnt_depctr 0xfff
	v_ldexp_f32 v32, v32, v33
	s_delay_alu instid0(VALU_DEP_1) | instskip(SKIP_1) | instid1(VALU_DEP_2)
	v_cndmask_b32_e32 v32, 0, v32, vcc_lo
	v_cmp_nlt_f32_e32 vcc_lo, 0x42b17218, v112
	v_cndmask_b32_e32 v35, 0x7f800000, v32, vcc_lo
	s_delay_alu instid0(VALU_DEP_1) | instskip(NEXT) | instid1(VALU_DEP_1)
	v_add_f32_e32 v112, 1.0, v35
	v_cvt_f64_f32_e32 v[32:33], v112
	s_delay_alu instid0(VALU_DEP_1) | instskip(SKIP_1) | instid1(VALU_DEP_1)
	v_frexp_exp_i32_f64_e32 v32, v[32:33]
	v_frexp_mant_f32_e32 v33, v112
	v_cmp_gt_f32_e32 vcc_lo, 0x3f2aaaab, v33
	v_add_f32_e32 v33, -1.0, v112
	s_delay_alu instid0(VALU_DEP_1) | instskip(NEXT) | instid1(VALU_DEP_1)
	v_sub_f32_e32 v114, v33, v112
	v_dual_add_f32 v114, 1.0, v114 :: v_dual_sub_f32 v33, v35, v33
	v_cmp_gt_f32_e64 s29, 0x33800000, v35
	s_delay_alu instid0(VALU_DEP_2) | instskip(SKIP_2) | instid1(VALU_DEP_2)
	v_add_f32_e32 v33, v33, v114
	v_subrev_co_ci_u32_e32 v32, vcc_lo, 0, v32, vcc_lo
	v_cmp_eq_f32_e32 vcc_lo, 0x7f800000, v35
	v_sub_nc_u32_e32 v113, 0, v32
	v_cvt_f32_i32_e32 v32, v32
	s_or_b32 vcc_lo, s29, vcc_lo
	s_delay_alu instid0(VALU_DEP_2) | instskip(SKIP_1) | instid1(VALU_DEP_2)
	v_ldexp_f32 v112, v112, v113
	v_ldexp_f32 v33, v33, v113
	v_add_f32_e32 v115, 1.0, v112
	s_delay_alu instid0(VALU_DEP_1) | instskip(NEXT) | instid1(VALU_DEP_1)
	v_dual_add_f32 v113, -1.0, v112 :: v_dual_add_f32 v114, -1.0, v115
	v_add_f32_e32 v116, 1.0, v113
	s_delay_alu instid0(VALU_DEP_2) | instskip(NEXT) | instid1(VALU_DEP_2)
	v_sub_f32_e32 v114, v112, v114
	v_sub_f32_e32 v112, v112, v116
	s_delay_alu instid0(VALU_DEP_2) | instskip(NEXT) | instid1(VALU_DEP_2)
	v_add_f32_e32 v114, v33, v114
	v_add_f32_e32 v33, v33, v112
	s_delay_alu instid0(VALU_DEP_1) | instskip(NEXT) | instid1(VALU_DEP_1)
	v_dual_add_f32 v117, v113, v33 :: v_dual_add_f32 v116, v115, v114
	v_sub_f32_e32 v113, v113, v117
	s_delay_alu instid0(VALU_DEP_2) | instskip(SKIP_1) | instid1(VALU_DEP_1)
	v_rcp_f32_e32 v112, v116
	v_sub_f32_e32 v115, v115, v116
	v_dual_add_f32 v114, v114, v115 :: v_dual_add_f32 v33, v33, v113
	s_waitcnt_depctr 0xfff
	v_mul_f32_e32 v118, v117, v112
	s_delay_alu instid0(VALU_DEP_1) | instskip(NEXT) | instid1(VALU_DEP_1)
	v_mul_f32_e32 v119, v116, v118
	v_fma_f32 v115, v118, v116, -v119
	s_delay_alu instid0(VALU_DEP_1) | instskip(NEXT) | instid1(VALU_DEP_1)
	v_fmac_f32_e32 v115, v118, v114
	v_add_f32_e32 v120, v119, v115
	s_delay_alu instid0(VALU_DEP_1) | instskip(NEXT) | instid1(VALU_DEP_1)
	v_sub_f32_e32 v121, v117, v120
	v_sub_f32_e32 v117, v117, v121
	;; [unrolled: 1-line block ×3, first 2 shown]
	s_delay_alu instid0(VALU_DEP_2) | instskip(NEXT) | instid1(VALU_DEP_2)
	v_sub_f32_e32 v117, v117, v120
	v_sub_f32_e32 v113, v113, v115
	s_delay_alu instid0(VALU_DEP_2) | instskip(NEXT) | instid1(VALU_DEP_1)
	v_add_f32_e32 v33, v33, v117
	v_add_f32_e32 v33, v113, v33
	s_delay_alu instid0(VALU_DEP_1) | instskip(NEXT) | instid1(VALU_DEP_1)
	v_add_f32_e32 v113, v121, v33
	v_mul_f32_e32 v115, v112, v113
	s_delay_alu instid0(VALU_DEP_1) | instskip(NEXT) | instid1(VALU_DEP_1)
	v_dual_sub_f32 v120, v121, v113 :: v_dual_mul_f32 v117, v116, v115
	v_add_f32_e32 v33, v33, v120
	s_delay_alu instid0(VALU_DEP_2) | instskip(NEXT) | instid1(VALU_DEP_1)
	v_fma_f32 v116, v115, v116, -v117
	v_fmac_f32_e32 v116, v115, v114
	s_delay_alu instid0(VALU_DEP_1) | instskip(NEXT) | instid1(VALU_DEP_1)
	v_add_f32_e32 v114, v117, v116
	v_sub_f32_e32 v119, v113, v114
	s_delay_alu instid0(VALU_DEP_1) | instskip(NEXT) | instid1(VALU_DEP_1)
	v_sub_f32_e32 v113, v113, v119
	v_sub_f32_e32 v113, v113, v114
	s_delay_alu instid0(VALU_DEP_1) | instskip(SKIP_2) | instid1(VALU_DEP_1)
	v_add_f32_e32 v33, v33, v113
	v_add_f32_e32 v113, v118, v115
	v_sub_f32_e32 v117, v114, v117
	v_sub_f32_e32 v114, v117, v116
	s_delay_alu instid0(VALU_DEP_1) | instskip(NEXT) | instid1(VALU_DEP_1)
	v_dual_add_f32 v33, v114, v33 :: v_dual_sub_f32 v114, v113, v118
	v_add_f32_e32 v33, v119, v33
	s_delay_alu instid0(VALU_DEP_1) | instskip(NEXT) | instid1(VALU_DEP_1)
	v_dual_sub_f32 v114, v115, v114 :: v_dual_mul_f32 v33, v112, v33
	v_add_f32_e32 v33, v114, v33
	s_delay_alu instid0(VALU_DEP_1) | instskip(NEXT) | instid1(VALU_DEP_1)
	v_add_f32_e32 v112, v113, v33
	v_mul_f32_e32 v114, v112, v112
	s_delay_alu instid0(VALU_DEP_1) | instskip(SKIP_1) | instid1(VALU_DEP_2)
	v_fmaak_f32 v115, s74, v114, 0x3ecc95a3
	v_mul_f32_e32 v116, v112, v114
	v_fmaak_f32 v114, v114, v115, 0x3f2aaada
	v_ldexp_f32 v115, v112, 1
	v_sub_f32_e32 v112, v112, v113
	s_delay_alu instid0(VALU_DEP_3) | instskip(SKIP_1) | instid1(VALU_DEP_3)
	v_mul_f32_e32 v114, v116, v114
	v_mul_f32_e32 v116, 0x3f317218, v32
	v_sub_f32_e32 v33, v33, v112
	s_delay_alu instid0(VALU_DEP_3) | instskip(NEXT) | instid1(VALU_DEP_2)
	v_add_f32_e32 v113, v115, v114
	v_ldexp_f32 v33, v33, 1
	s_delay_alu instid0(VALU_DEP_2) | instskip(SKIP_1) | instid1(VALU_DEP_2)
	v_sub_f32_e32 v112, v113, v115
	v_fma_f32 v115, 0x3f317218, v32, -v116
	v_sub_f32_e32 v112, v114, v112
	s_delay_alu instid0(VALU_DEP_2) | instskip(NEXT) | instid1(VALU_DEP_1)
	v_fmac_f32_e32 v115, 0xb102e308, v32
	v_dual_add_f32 v32, v33, v112 :: v_dual_add_f32 v33, v116, v115
	s_delay_alu instid0(VALU_DEP_1) | instskip(NEXT) | instid1(VALU_DEP_2)
	v_add_f32_e32 v112, v113, v32
	v_sub_f32_e32 v116, v33, v116
	s_delay_alu instid0(VALU_DEP_2) | instskip(NEXT) | instid1(VALU_DEP_1)
	v_dual_add_f32 v114, v33, v112 :: v_dual_sub_f32 v113, v112, v113
	v_sub_f32_e32 v117, v114, v33
	s_delay_alu instid0(VALU_DEP_2) | instskip(NEXT) | instid1(VALU_DEP_2)
	v_sub_f32_e32 v32, v32, v113
	v_sub_f32_e32 v118, v114, v117
	v_dual_sub_f32 v112, v112, v117 :: v_dual_sub_f32 v115, v115, v116
	s_delay_alu instid0(VALU_DEP_2) | instskip(NEXT) | instid1(VALU_DEP_2)
	v_sub_f32_e32 v33, v33, v118
	v_add_f32_e32 v113, v115, v32
	s_delay_alu instid0(VALU_DEP_2) | instskip(NEXT) | instid1(VALU_DEP_1)
	v_add_f32_e32 v33, v112, v33
	v_add_f32_e32 v33, v113, v33
	s_delay_alu instid0(VALU_DEP_1) | instskip(SKIP_1) | instid1(VALU_DEP_1)
	v_add_f32_e32 v116, v114, v33
	v_sub_f32_e32 v112, v113, v115
	v_sub_f32_e32 v113, v113, v112
	;; [unrolled: 1-line block ×3, first 2 shown]
	s_delay_alu instid0(VALU_DEP_2) | instskip(NEXT) | instid1(VALU_DEP_1)
	v_dual_sub_f32 v112, v116, v114 :: v_dual_sub_f32 v113, v115, v113
	v_dual_sub_f32 v33, v33, v112 :: v_dual_add_f32 v32, v32, v113
	s_delay_alu instid0(VALU_DEP_1) | instskip(NEXT) | instid1(VALU_DEP_1)
	v_add_f32_e32 v32, v32, v33
	v_add_f32_e32 v32, v116, v32
	s_delay_alu instid0(VALU_DEP_1)
	v_cndmask_b32_e32 v112, v32, v35, vcc_lo
.LBB157_78:                             ;   in Loop: Header=BB157_12 Depth=1
	s_or_b32 exec_lo, exec_lo, s30
	s_waitcnt lgkmcnt(6)
	v_add_f32_e32 v113, s85, v30
	s_delay_alu instid0(VALU_DEP_1) | instskip(SKIP_1) | instid1(SALU_CYCLE_1)
	v_cmp_ge_f32_e32 vcc_lo, 0x41a00000, v113
	s_and_b32 s29, s90, vcc_lo
	s_and_saveexec_b32 s30, s29
	s_cbranch_execz .LBB157_80
; %bb.79:                               ;   in Loop: Header=BB157_12 Depth=1
	v_mul_f32_e32 v30, 0x3fb8aa3b, v113
	v_cmp_ngt_f32_e32 vcc_lo, 0xc2ce8ed0, v113
	s_delay_alu instid0(VALU_DEP_2) | instskip(SKIP_1) | instid1(VALU_DEP_1)
	v_rndne_f32_e32 v32, v30
	v_fma_f32 v33, 0x3fb8aa3b, v113, -v30
	v_dual_sub_f32 v30, v30, v32 :: v_dual_fmac_f32 v33, 0x32a5705f, v113
	v_cvt_i32_f32_e32 v32, v32
	s_delay_alu instid0(VALU_DEP_2) | instskip(NEXT) | instid1(VALU_DEP_1)
	v_add_f32_e32 v30, v30, v33
	v_exp_f32_e32 v30, v30
	s_waitcnt_depctr 0xfff
	v_ldexp_f32 v30, v30, v32
	s_delay_alu instid0(VALU_DEP_1) | instskip(SKIP_1) | instid1(VALU_DEP_2)
	v_cndmask_b32_e32 v30, 0, v30, vcc_lo
	v_cmp_nlt_f32_e32 vcc_lo, 0x42b17218, v113
	v_cndmask_b32_e32 v30, 0x7f800000, v30, vcc_lo
	s_delay_alu instid0(VALU_DEP_1) | instskip(NEXT) | instid1(VALU_DEP_1)
	v_add_f32_e32 v35, 1.0, v30
	v_cvt_f64_f32_e32 v[32:33], v35
	s_delay_alu instid0(VALU_DEP_1) | instskip(SKIP_1) | instid1(VALU_DEP_1)
	v_frexp_exp_i32_f64_e32 v32, v[32:33]
	v_frexp_mant_f32_e32 v33, v35
	v_cmp_gt_f32_e32 vcc_lo, 0x3f2aaaab, v33
	v_add_f32_e32 v33, -1.0, v35
	s_delay_alu instid0(VALU_DEP_1) | instskip(NEXT) | instid1(VALU_DEP_1)
	v_dual_sub_f32 v114, v33, v35 :: v_dual_sub_f32 v33, v30, v33
	v_add_f32_e32 v114, 1.0, v114
	s_delay_alu instid0(VALU_DEP_1) | instskip(SKIP_1) | instid1(VALU_DEP_1)
	v_add_f32_e32 v33, v33, v114
	v_subrev_co_ci_u32_e32 v32, vcc_lo, 0, v32, vcc_lo
	v_sub_nc_u32_e32 v113, 0, v32
	v_cvt_f32_i32_e32 v32, v32
	s_delay_alu instid0(VALU_DEP_2) | instskip(SKIP_1) | instid1(VALU_DEP_2)
	v_ldexp_f32 v35, v35, v113
	v_ldexp_f32 v33, v33, v113
	v_add_f32_e32 v115, 1.0, v35
	v_add_f32_e32 v113, -1.0, v35
	s_delay_alu instid0(VALU_DEP_2) | instskip(NEXT) | instid1(VALU_DEP_2)
	v_add_f32_e32 v114, -1.0, v115
	v_add_f32_e32 v116, 1.0, v113
	s_delay_alu instid0(VALU_DEP_2) | instskip(NEXT) | instid1(VALU_DEP_2)
	v_sub_f32_e32 v114, v35, v114
	v_sub_f32_e32 v35, v35, v116
	v_cmp_eq_f32_e32 vcc_lo, 0x7f800000, v30
	v_cmp_gt_f32_e64 s29, 0x33800000, v30
	s_delay_alu instid0(VALU_DEP_4) | instskip(NEXT) | instid1(VALU_DEP_4)
	v_add_f32_e32 v114, v33, v114
	v_add_f32_e32 v33, v33, v35
	s_delay_alu instid0(VALU_DEP_3) | instskip(NEXT) | instid1(VALU_DEP_1)
	s_or_b32 vcc_lo, s29, vcc_lo
	v_dual_add_f32 v117, v113, v33 :: v_dual_add_f32 v116, v115, v114
	s_delay_alu instid0(VALU_DEP_1) | instskip(NEXT) | instid1(VALU_DEP_2)
	v_sub_f32_e32 v113, v113, v117
	v_rcp_f32_e32 v35, v116
	v_sub_f32_e32 v115, v115, v116
	s_delay_alu instid0(VALU_DEP_1) | instskip(SKIP_2) | instid1(VALU_DEP_1)
	v_dual_add_f32 v33, v33, v113 :: v_dual_add_f32 v114, v114, v115
	s_waitcnt_depctr 0xfff
	v_mul_f32_e32 v118, v117, v35
	v_mul_f32_e32 v119, v116, v118
	s_delay_alu instid0(VALU_DEP_1) | instskip(NEXT) | instid1(VALU_DEP_1)
	v_fma_f32 v115, v118, v116, -v119
	v_fmac_f32_e32 v115, v118, v114
	s_delay_alu instid0(VALU_DEP_1) | instskip(NEXT) | instid1(VALU_DEP_1)
	v_add_f32_e32 v120, v119, v115
	v_sub_f32_e32 v121, v117, v120
	v_sub_f32_e32 v113, v120, v119
	s_delay_alu instid0(VALU_DEP_2) | instskip(NEXT) | instid1(VALU_DEP_2)
	v_sub_f32_e32 v117, v117, v121
	v_sub_f32_e32 v113, v113, v115
	s_delay_alu instid0(VALU_DEP_2) | instskip(NEXT) | instid1(VALU_DEP_1)
	v_sub_f32_e32 v117, v117, v120
	v_add_f32_e32 v33, v33, v117
	s_delay_alu instid0(VALU_DEP_1) | instskip(NEXT) | instid1(VALU_DEP_1)
	v_add_f32_e32 v33, v113, v33
	v_add_f32_e32 v113, v121, v33
	s_delay_alu instid0(VALU_DEP_1) | instskip(NEXT) | instid1(VALU_DEP_1)
	v_mul_f32_e32 v115, v35, v113
	v_dual_sub_f32 v120, v121, v113 :: v_dual_mul_f32 v117, v116, v115
	s_delay_alu instid0(VALU_DEP_1) | instskip(NEXT) | instid1(VALU_DEP_2)
	v_add_f32_e32 v33, v33, v120
	v_fma_f32 v116, v115, v116, -v117
	s_delay_alu instid0(VALU_DEP_1) | instskip(NEXT) | instid1(VALU_DEP_1)
	v_fmac_f32_e32 v116, v115, v114
	v_add_f32_e32 v114, v117, v116
	s_delay_alu instid0(VALU_DEP_1) | instskip(NEXT) | instid1(VALU_DEP_1)
	v_sub_f32_e32 v119, v113, v114
	v_sub_f32_e32 v113, v113, v119
	s_delay_alu instid0(VALU_DEP_1) | instskip(NEXT) | instid1(VALU_DEP_1)
	v_sub_f32_e32 v113, v113, v114
	v_add_f32_e32 v33, v33, v113
	v_add_f32_e32 v113, v118, v115
	v_sub_f32_e32 v117, v114, v117
	s_delay_alu instid0(VALU_DEP_1) | instskip(NEXT) | instid1(VALU_DEP_1)
	v_sub_f32_e32 v114, v117, v116
	v_dual_add_f32 v33, v114, v33 :: v_dual_sub_f32 v114, v113, v118
	s_delay_alu instid0(VALU_DEP_1) | instskip(NEXT) | instid1(VALU_DEP_2)
	v_add_f32_e32 v33, v119, v33
	v_sub_f32_e32 v114, v115, v114
	s_delay_alu instid0(VALU_DEP_2) | instskip(NEXT) | instid1(VALU_DEP_1)
	v_mul_f32_e32 v33, v35, v33
	v_add_f32_e32 v33, v114, v33
	s_delay_alu instid0(VALU_DEP_1) | instskip(NEXT) | instid1(VALU_DEP_1)
	v_add_f32_e32 v35, v113, v33
	v_mul_f32_e32 v114, v35, v35
	s_delay_alu instid0(VALU_DEP_1) | instskip(SKIP_1) | instid1(VALU_DEP_2)
	v_fmaak_f32 v115, s74, v114, 0x3ecc95a3
	v_mul_f32_e32 v116, v35, v114
	v_fmaak_f32 v114, v114, v115, 0x3f2aaada
	v_ldexp_f32 v115, v35, 1
	s_delay_alu instid0(VALU_DEP_2) | instskip(NEXT) | instid1(VALU_DEP_1)
	v_dual_sub_f32 v35, v35, v113 :: v_dual_mul_f32 v114, v116, v114
	v_dual_mul_f32 v116, 0x3f317218, v32 :: v_dual_sub_f32 v33, v33, v35
	s_delay_alu instid0(VALU_DEP_2) | instskip(NEXT) | instid1(VALU_DEP_2)
	v_add_f32_e32 v113, v115, v114
	v_ldexp_f32 v33, v33, 1
	s_delay_alu instid0(VALU_DEP_2) | instskip(NEXT) | instid1(VALU_DEP_4)
	v_sub_f32_e32 v35, v113, v115
	v_fma_f32 v115, 0x3f317218, v32, -v116
	s_delay_alu instid0(VALU_DEP_2) | instskip(NEXT) | instid1(VALU_DEP_1)
	v_sub_f32_e32 v35, v114, v35
	v_dual_fmac_f32 v115, 0xb102e308, v32 :: v_dual_add_f32 v32, v33, v35
	s_delay_alu instid0(VALU_DEP_1) | instskip(NEXT) | instid1(VALU_DEP_2)
	v_add_f32_e32 v33, v116, v115
	v_add_f32_e32 v35, v113, v32
	s_delay_alu instid0(VALU_DEP_2) | instskip(NEXT) | instid1(VALU_DEP_2)
	v_sub_f32_e32 v116, v33, v116
	v_dual_add_f32 v114, v33, v35 :: v_dual_sub_f32 v113, v35, v113
	s_delay_alu instid0(VALU_DEP_2) | instskip(NEXT) | instid1(VALU_DEP_2)
	v_sub_f32_e32 v115, v115, v116
	v_sub_f32_e32 v117, v114, v33
	s_delay_alu instid0(VALU_DEP_3) | instskip(NEXT) | instid1(VALU_DEP_2)
	v_sub_f32_e32 v32, v32, v113
	v_sub_f32_e32 v118, v114, v117
	;; [unrolled: 1-line block ×3, first 2 shown]
	s_delay_alu instid0(VALU_DEP_3) | instskip(NEXT) | instid1(VALU_DEP_3)
	v_add_f32_e32 v113, v115, v32
	v_sub_f32_e32 v33, v33, v118
	s_delay_alu instid0(VALU_DEP_1) | instskip(NEXT) | instid1(VALU_DEP_3)
	v_add_f32_e32 v33, v35, v33
	v_sub_f32_e32 v35, v113, v115
	s_delay_alu instid0(VALU_DEP_2) | instskip(NEXT) | instid1(VALU_DEP_2)
	v_add_f32_e32 v33, v113, v33
	v_sub_f32_e32 v113, v113, v35
	v_sub_f32_e32 v32, v32, v35
	s_delay_alu instid0(VALU_DEP_3) | instskip(NEXT) | instid1(VALU_DEP_3)
	v_add_f32_e32 v116, v114, v33
	v_sub_f32_e32 v113, v115, v113
	s_delay_alu instid0(VALU_DEP_2) | instskip(NEXT) | instid1(VALU_DEP_1)
	v_sub_f32_e32 v35, v116, v114
	v_dual_add_f32 v32, v32, v113 :: v_dual_sub_f32 v33, v33, v35
	s_delay_alu instid0(VALU_DEP_1) | instskip(NEXT) | instid1(VALU_DEP_1)
	v_add_f32_e32 v32, v32, v33
	v_add_f32_e32 v32, v116, v32
	s_delay_alu instid0(VALU_DEP_1)
	v_cndmask_b32_e32 v113, v32, v30, vcc_lo
.LBB157_80:                             ;   in Loop: Header=BB157_12 Depth=1
	s_or_b32 exec_lo, exec_lo, s30
	v_add_f32_e32 v114, s85, v31
	s_delay_alu instid0(VALU_DEP_1) | instskip(SKIP_1) | instid1(SALU_CYCLE_1)
	v_cmp_ge_f32_e32 vcc_lo, 0x41a00000, v114
	s_and_b32 s29, s90, vcc_lo
	s_and_saveexec_b32 s30, s29
	s_cbranch_execz .LBB157_82
; %bb.81:                               ;   in Loop: Header=BB157_12 Depth=1
	v_mul_f32_e32 v30, 0x3fb8aa3b, v114
	v_cmp_ngt_f32_e32 vcc_lo, 0xc2ce8ed0, v114
	s_delay_alu instid0(VALU_DEP_2) | instskip(SKIP_1) | instid1(VALU_DEP_2)
	v_rndne_f32_e32 v31, v30
	v_fma_f32 v32, 0x3fb8aa3b, v114, -v30
	v_sub_f32_e32 v30, v30, v31
	s_delay_alu instid0(VALU_DEP_2) | instskip(SKIP_1) | instid1(VALU_DEP_2)
	v_fmac_f32_e32 v32, 0x32a5705f, v114
	v_cvt_i32_f32_e32 v31, v31
	v_add_f32_e32 v30, v30, v32
	s_delay_alu instid0(VALU_DEP_1) | instskip(SKIP_2) | instid1(VALU_DEP_1)
	v_exp_f32_e32 v30, v30
	s_waitcnt_depctr 0xfff
	v_ldexp_f32 v30, v30, v31
	v_cndmask_b32_e32 v30, 0, v30, vcc_lo
	v_cmp_nlt_f32_e32 vcc_lo, 0x42b17218, v114
	s_delay_alu instid0(VALU_DEP_2) | instskip(NEXT) | instid1(VALU_DEP_1)
	v_cndmask_b32_e32 v32, 0x7f800000, v30, vcc_lo
	v_add_f32_e32 v33, 1.0, v32
	s_delay_alu instid0(VALU_DEP_1) | instskip(NEXT) | instid1(VALU_DEP_1)
	v_cvt_f64_f32_e32 v[30:31], v33
	v_frexp_exp_i32_f64_e32 v30, v[30:31]
	v_frexp_mant_f32_e32 v31, v33
	s_delay_alu instid0(VALU_DEP_1) | instskip(SKIP_1) | instid1(VALU_DEP_1)
	v_cmp_gt_f32_e32 vcc_lo, 0x3f2aaaab, v31
	v_add_f32_e32 v31, -1.0, v33
	v_dual_sub_f32 v114, v31, v33 :: v_dual_sub_f32 v31, v32, v31
	s_delay_alu instid0(VALU_DEP_1) | instskip(SKIP_1) | instid1(VALU_DEP_1)
	v_add_f32_e32 v114, 1.0, v114
	v_subrev_co_ci_u32_e32 v30, vcc_lo, 0, v30, vcc_lo
	v_sub_nc_u32_e32 v35, 0, v30
	v_cvt_f32_i32_e32 v30, v30
	s_delay_alu instid0(VALU_DEP_2) | instskip(NEXT) | instid1(VALU_DEP_1)
	v_ldexp_f32 v33, v33, v35
	v_add_f32_e32 v115, 1.0, v33
	s_delay_alu instid0(VALU_DEP_1) | instskip(NEXT) | instid1(VALU_DEP_1)
	v_dual_add_f32 v31, v31, v114 :: v_dual_add_f32 v114, -1.0, v115
	v_ldexp_f32 v31, v31, v35
	s_delay_alu instid0(VALU_DEP_2) | instskip(NEXT) | instid1(VALU_DEP_1)
	v_dual_add_f32 v35, -1.0, v33 :: v_dual_sub_f32 v114, v33, v114
	v_add_f32_e32 v116, 1.0, v35
	s_delay_alu instid0(VALU_DEP_1) | instskip(SKIP_2) | instid1(VALU_DEP_3)
	v_dual_add_f32 v114, v31, v114 :: v_dual_sub_f32 v33, v33, v116
	v_cmp_eq_f32_e32 vcc_lo, 0x7f800000, v32
	v_cmp_gt_f32_e64 s29, 0x33800000, v32
	v_add_f32_e32 v31, v31, v33
	s_delay_alu instid0(VALU_DEP_2) | instskip(NEXT) | instid1(VALU_DEP_1)
	s_or_b32 vcc_lo, s29, vcc_lo
	v_add_f32_e32 v117, v35, v31
	v_add_f32_e32 v116, v115, v114
	s_delay_alu instid0(VALU_DEP_2) | instskip(NEXT) | instid1(VALU_DEP_2)
	v_sub_f32_e32 v35, v35, v117
	v_rcp_f32_e32 v33, v116
	v_sub_f32_e32 v115, v115, v116
	s_delay_alu instid0(VALU_DEP_2) | instskip(NEXT) | instid1(VALU_DEP_2)
	v_add_f32_e32 v31, v31, v35
	v_add_f32_e32 v114, v114, v115
	s_waitcnt_depctr 0xfff
	v_mul_f32_e32 v118, v117, v33
	s_delay_alu instid0(VALU_DEP_1) | instskip(NEXT) | instid1(VALU_DEP_1)
	v_mul_f32_e32 v119, v116, v118
	v_fma_f32 v115, v118, v116, -v119
	s_delay_alu instid0(VALU_DEP_1) | instskip(NEXT) | instid1(VALU_DEP_1)
	v_fmac_f32_e32 v115, v118, v114
	v_add_f32_e32 v120, v119, v115
	s_delay_alu instid0(VALU_DEP_1) | instskip(SKIP_1) | instid1(VALU_DEP_2)
	v_sub_f32_e32 v121, v117, v120
	v_sub_f32_e32 v35, v120, v119
	;; [unrolled: 1-line block ×3, first 2 shown]
	s_delay_alu instid0(VALU_DEP_2) | instskip(NEXT) | instid1(VALU_DEP_2)
	v_sub_f32_e32 v35, v35, v115
	v_sub_f32_e32 v117, v117, v120
	s_delay_alu instid0(VALU_DEP_1) | instskip(NEXT) | instid1(VALU_DEP_1)
	v_add_f32_e32 v31, v31, v117
	v_add_f32_e32 v31, v35, v31
	s_delay_alu instid0(VALU_DEP_1) | instskip(NEXT) | instid1(VALU_DEP_1)
	v_add_f32_e32 v35, v121, v31
	v_mul_f32_e32 v115, v33, v35
	v_sub_f32_e32 v120, v121, v35
	s_delay_alu instid0(VALU_DEP_2) | instskip(NEXT) | instid1(VALU_DEP_2)
	v_mul_f32_e32 v117, v116, v115
	v_add_f32_e32 v31, v31, v120
	s_delay_alu instid0(VALU_DEP_2) | instskip(NEXT) | instid1(VALU_DEP_1)
	v_fma_f32 v116, v115, v116, -v117
	v_fmac_f32_e32 v116, v115, v114
	s_delay_alu instid0(VALU_DEP_1) | instskip(NEXT) | instid1(VALU_DEP_1)
	v_add_f32_e32 v114, v117, v116
	v_sub_f32_e32 v119, v35, v114
	v_sub_f32_e32 v117, v114, v117
	s_delay_alu instid0(VALU_DEP_2) | instskip(NEXT) | instid1(VALU_DEP_1)
	v_sub_f32_e32 v35, v35, v119
	v_dual_sub_f32 v35, v35, v114 :: v_dual_sub_f32 v114, v117, v116
	s_delay_alu instid0(VALU_DEP_1) | instskip(SKIP_1) | instid1(VALU_DEP_1)
	v_add_f32_e32 v31, v31, v35
	v_add_f32_e32 v35, v118, v115
	v_dual_add_f32 v31, v114, v31 :: v_dual_sub_f32 v114, v35, v118
	s_delay_alu instid0(VALU_DEP_1) | instskip(NEXT) | instid1(VALU_DEP_1)
	v_add_f32_e32 v31, v119, v31
	v_dual_sub_f32 v114, v115, v114 :: v_dual_mul_f32 v31, v33, v31
	s_delay_alu instid0(VALU_DEP_1) | instskip(NEXT) | instid1(VALU_DEP_1)
	v_add_f32_e32 v31, v114, v31
	v_add_f32_e32 v33, v35, v31
	s_delay_alu instid0(VALU_DEP_1) | instskip(NEXT) | instid1(VALU_DEP_1)
	v_mul_f32_e32 v114, v33, v33
	v_fmaak_f32 v115, s74, v114, 0x3ecc95a3
	v_mul_f32_e32 v116, v33, v114
	s_delay_alu instid0(VALU_DEP_2) | instskip(SKIP_1) | instid1(VALU_DEP_2)
	v_fmaak_f32 v114, v114, v115, 0x3f2aaada
	v_ldexp_f32 v115, v33, 1
	v_mul_f32_e32 v114, v116, v114
	v_dual_mul_f32 v116, 0x3f317218, v30 :: v_dual_sub_f32 v33, v33, v35
	s_delay_alu instid0(VALU_DEP_2) | instskip(NEXT) | instid1(VALU_DEP_2)
	v_add_f32_e32 v35, v115, v114
	v_sub_f32_e32 v31, v31, v33
	s_delay_alu instid0(VALU_DEP_2) | instskip(NEXT) | instid1(VALU_DEP_4)
	v_sub_f32_e32 v33, v35, v115
	v_fma_f32 v115, 0x3f317218, v30, -v116
	s_delay_alu instid0(VALU_DEP_3) | instskip(NEXT) | instid1(VALU_DEP_3)
	v_ldexp_f32 v31, v31, 1
	v_sub_f32_e32 v33, v114, v33
	s_delay_alu instid0(VALU_DEP_1) | instskip(NEXT) | instid1(VALU_DEP_1)
	v_dual_fmac_f32 v115, 0xb102e308, v30 :: v_dual_add_f32 v30, v31, v33
	v_add_f32_e32 v31, v116, v115
	s_delay_alu instid0(VALU_DEP_2) | instskip(NEXT) | instid1(VALU_DEP_2)
	v_add_f32_e32 v33, v35, v30
	v_sub_f32_e32 v116, v31, v116
	s_delay_alu instid0(VALU_DEP_2) | instskip(NEXT) | instid1(VALU_DEP_2)
	v_dual_add_f32 v114, v31, v33 :: v_dual_sub_f32 v35, v33, v35
	v_sub_f32_e32 v115, v115, v116
	s_delay_alu instid0(VALU_DEP_2) | instskip(NEXT) | instid1(VALU_DEP_3)
	v_sub_f32_e32 v117, v114, v31
	v_sub_f32_e32 v30, v30, v35
	s_delay_alu instid0(VALU_DEP_2) | instskip(SKIP_1) | instid1(VALU_DEP_3)
	v_sub_f32_e32 v118, v114, v117
	v_sub_f32_e32 v33, v33, v117
	v_add_f32_e32 v35, v115, v30
	s_delay_alu instid0(VALU_DEP_3) | instskip(NEXT) | instid1(VALU_DEP_1)
	v_sub_f32_e32 v31, v31, v118
	v_add_f32_e32 v31, v33, v31
	s_delay_alu instid0(VALU_DEP_3) | instskip(NEXT) | instid1(VALU_DEP_2)
	v_sub_f32_e32 v33, v35, v115
	v_add_f32_e32 v31, v35, v31
	s_delay_alu instid0(VALU_DEP_2) | instskip(SKIP_1) | instid1(VALU_DEP_3)
	v_sub_f32_e32 v35, v35, v33
	v_sub_f32_e32 v30, v30, v33
	v_add_f32_e32 v116, v114, v31
	s_delay_alu instid0(VALU_DEP_3) | instskip(NEXT) | instid1(VALU_DEP_1)
	v_sub_f32_e32 v35, v115, v35
	v_dual_sub_f32 v33, v116, v114 :: v_dual_add_f32 v30, v30, v35
	s_delay_alu instid0(VALU_DEP_1) | instskip(NEXT) | instid1(VALU_DEP_1)
	v_sub_f32_e32 v31, v31, v33
	v_add_f32_e32 v30, v30, v31
	s_delay_alu instid0(VALU_DEP_1) | instskip(NEXT) | instid1(VALU_DEP_1)
	v_add_f32_e32 v30, v116, v30
	v_cndmask_b32_e32 v114, v30, v32, vcc_lo
.LBB157_82:                             ;   in Loop: Header=BB157_12 Depth=1
	s_or_b32 exec_lo, exec_lo, s30
	s_waitcnt lgkmcnt(5)
	v_add_f32_e32 v115, s85, v28
	s_delay_alu instid0(VALU_DEP_1) | instskip(SKIP_1) | instid1(SALU_CYCLE_1)
	v_cmp_ge_f32_e32 vcc_lo, 0x41a00000, v115
	s_and_b32 s29, s90, vcc_lo
	s_and_saveexec_b32 s30, s29
	s_cbranch_execz .LBB157_84
; %bb.83:                               ;   in Loop: Header=BB157_12 Depth=1
	v_mul_f32_e32 v28, 0x3fb8aa3b, v115
	v_cmp_ngt_f32_e32 vcc_lo, 0xc2ce8ed0, v115
	s_delay_alu instid0(VALU_DEP_2) | instskip(SKIP_1) | instid1(VALU_DEP_1)
	v_rndne_f32_e32 v30, v28
	v_fma_f32 v31, 0x3fb8aa3b, v115, -v28
	v_dual_sub_f32 v28, v28, v30 :: v_dual_fmac_f32 v31, 0x32a5705f, v115
	v_cvt_i32_f32_e32 v30, v30
	s_delay_alu instid0(VALU_DEP_2) | instskip(NEXT) | instid1(VALU_DEP_1)
	v_add_f32_e32 v28, v28, v31
	v_exp_f32_e32 v28, v28
	s_waitcnt_depctr 0xfff
	v_ldexp_f32 v28, v28, v30
	s_delay_alu instid0(VALU_DEP_1) | instskip(SKIP_1) | instid1(VALU_DEP_2)
	v_cndmask_b32_e32 v28, 0, v28, vcc_lo
	v_cmp_nlt_f32_e32 vcc_lo, 0x42b17218, v115
	v_cndmask_b32_e32 v28, 0x7f800000, v28, vcc_lo
	s_delay_alu instid0(VALU_DEP_1) | instskip(NEXT) | instid1(VALU_DEP_1)
	v_add_f32_e32 v32, 1.0, v28
	v_cvt_f64_f32_e32 v[30:31], v32
	s_delay_alu instid0(VALU_DEP_1) | instskip(SKIP_1) | instid1(VALU_DEP_1)
	v_frexp_exp_i32_f64_e32 v30, v[30:31]
	v_frexp_mant_f32_e32 v31, v32
	v_cmp_gt_f32_e32 vcc_lo, 0x3f2aaaab, v31
	v_add_f32_e32 v31, -1.0, v32
	s_delay_alu instid0(VALU_DEP_1) | instskip(SKIP_1) | instid1(VALU_DEP_2)
	v_sub_f32_e32 v35, v31, v32
	v_sub_f32_e32 v31, v28, v31
	v_add_f32_e32 v35, 1.0, v35
	s_delay_alu instid0(VALU_DEP_1) | instskip(SKIP_3) | instid1(VALU_DEP_2)
	v_add_f32_e32 v31, v31, v35
	v_cmp_gt_f32_e64 s29, 0x33800000, v28
	v_subrev_co_ci_u32_e32 v30, vcc_lo, 0, v30, vcc_lo
	v_cmp_eq_f32_e32 vcc_lo, 0x7f800000, v28
	v_sub_nc_u32_e32 v33, 0, v30
	v_cvt_f32_i32_e32 v30, v30
	s_or_b32 vcc_lo, s29, vcc_lo
	s_delay_alu instid0(VALU_DEP_2) | instskip(SKIP_1) | instid1(VALU_DEP_2)
	v_ldexp_f32 v32, v32, v33
	v_ldexp_f32 v31, v31, v33
	v_add_f32_e32 v33, -1.0, v32
	s_delay_alu instid0(VALU_DEP_1) | instskip(NEXT) | instid1(VALU_DEP_1)
	v_dual_add_f32 v115, 1.0, v32 :: v_dual_add_f32 v116, 1.0, v33
	v_add_f32_e32 v35, -1.0, v115
	s_delay_alu instid0(VALU_DEP_1) | instskip(NEXT) | instid1(VALU_DEP_1)
	v_sub_f32_e32 v35, v32, v35
	v_dual_sub_f32 v32, v32, v116 :: v_dual_add_f32 v35, v31, v35
	s_delay_alu instid0(VALU_DEP_1) | instskip(NEXT) | instid1(VALU_DEP_2)
	v_add_f32_e32 v31, v31, v32
	v_add_f32_e32 v116, v115, v35
	s_delay_alu instid0(VALU_DEP_2) | instskip(NEXT) | instid1(VALU_DEP_2)
	v_add_f32_e32 v117, v33, v31
	v_rcp_f32_e32 v32, v116
	v_sub_f32_e32 v115, v115, v116
	s_delay_alu instid0(VALU_DEP_2) | instskip(NEXT) | instid1(VALU_DEP_2)
	v_sub_f32_e32 v33, v33, v117
	v_add_f32_e32 v35, v35, v115
	s_waitcnt_depctr 0xfff
	v_dual_add_f32 v31, v31, v33 :: v_dual_mul_f32 v118, v117, v32
	s_delay_alu instid0(VALU_DEP_1) | instskip(NEXT) | instid1(VALU_DEP_1)
	v_mul_f32_e32 v119, v116, v118
	v_fma_f32 v115, v118, v116, -v119
	s_delay_alu instid0(VALU_DEP_1) | instskip(NEXT) | instid1(VALU_DEP_1)
	v_fmac_f32_e32 v115, v118, v35
	v_add_f32_e32 v120, v119, v115
	s_delay_alu instid0(VALU_DEP_1) | instskip(SKIP_1) | instid1(VALU_DEP_2)
	v_sub_f32_e32 v121, v117, v120
	v_sub_f32_e32 v33, v120, v119
	;; [unrolled: 1-line block ×3, first 2 shown]
	s_delay_alu instid0(VALU_DEP_2) | instskip(NEXT) | instid1(VALU_DEP_2)
	v_sub_f32_e32 v33, v33, v115
	v_sub_f32_e32 v117, v117, v120
	s_delay_alu instid0(VALU_DEP_1) | instskip(NEXT) | instid1(VALU_DEP_1)
	v_add_f32_e32 v31, v31, v117
	v_add_f32_e32 v31, v33, v31
	s_delay_alu instid0(VALU_DEP_1) | instskip(NEXT) | instid1(VALU_DEP_1)
	v_add_f32_e32 v33, v121, v31
	v_mul_f32_e32 v115, v32, v33
	s_delay_alu instid0(VALU_DEP_1) | instskip(NEXT) | instid1(VALU_DEP_1)
	v_dual_sub_f32 v120, v121, v33 :: v_dual_mul_f32 v117, v116, v115
	v_add_f32_e32 v31, v31, v120
	s_delay_alu instid0(VALU_DEP_2) | instskip(NEXT) | instid1(VALU_DEP_1)
	v_fma_f32 v116, v115, v116, -v117
	v_fmac_f32_e32 v116, v115, v35
	s_delay_alu instid0(VALU_DEP_1) | instskip(NEXT) | instid1(VALU_DEP_1)
	v_add_f32_e32 v35, v117, v116
	v_sub_f32_e32 v119, v33, v35
	v_sub_f32_e32 v117, v35, v117
	s_delay_alu instid0(VALU_DEP_2) | instskip(NEXT) | instid1(VALU_DEP_1)
	v_sub_f32_e32 v33, v33, v119
	v_sub_f32_e32 v33, v33, v35
	s_delay_alu instid0(VALU_DEP_3) | instskip(NEXT) | instid1(VALU_DEP_2)
	v_sub_f32_e32 v35, v117, v116
	v_add_f32_e32 v31, v31, v33
	v_add_f32_e32 v33, v118, v115
	s_delay_alu instid0(VALU_DEP_2) | instskip(NEXT) | instid1(VALU_DEP_2)
	v_add_f32_e32 v31, v35, v31
	v_sub_f32_e32 v35, v33, v118
	s_delay_alu instid0(VALU_DEP_2) | instskip(NEXT) | instid1(VALU_DEP_2)
	v_add_f32_e32 v31, v119, v31
	v_sub_f32_e32 v35, v115, v35
	s_delay_alu instid0(VALU_DEP_2) | instskip(NEXT) | instid1(VALU_DEP_1)
	v_mul_f32_e32 v31, v32, v31
	v_add_f32_e32 v31, v35, v31
	s_delay_alu instid0(VALU_DEP_1) | instskip(NEXT) | instid1(VALU_DEP_1)
	v_add_f32_e32 v32, v33, v31
	v_mul_f32_e32 v35, v32, v32
	s_delay_alu instid0(VALU_DEP_1) | instskip(SKIP_1) | instid1(VALU_DEP_2)
	v_fmaak_f32 v115, s74, v35, 0x3ecc95a3
	v_mul_f32_e32 v116, v32, v35
	v_fmaak_f32 v35, v35, v115, 0x3f2aaada
	v_ldexp_f32 v115, v32, 1
	v_sub_f32_e32 v32, v32, v33
	s_delay_alu instid0(VALU_DEP_3) | instskip(NEXT) | instid1(VALU_DEP_2)
	v_dual_mul_f32 v35, v116, v35 :: v_dual_mul_f32 v116, 0x3f317218, v30
	v_sub_f32_e32 v31, v31, v32
	s_delay_alu instid0(VALU_DEP_2) | instskip(NEXT) | instid1(VALU_DEP_2)
	v_add_f32_e32 v33, v115, v35
	v_ldexp_f32 v31, v31, 1
	s_delay_alu instid0(VALU_DEP_2) | instskip(SKIP_1) | instid1(VALU_DEP_1)
	v_sub_f32_e32 v32, v33, v115
	v_fma_f32 v115, 0x3f317218, v30, -v116
	v_dual_sub_f32 v32, v35, v32 :: v_dual_fmac_f32 v115, 0xb102e308, v30
	s_delay_alu instid0(VALU_DEP_1) | instskip(NEXT) | instid1(VALU_DEP_1)
	v_dual_add_f32 v30, v31, v32 :: v_dual_add_f32 v31, v116, v115
	v_add_f32_e32 v32, v33, v30
	s_delay_alu instid0(VALU_DEP_2) | instskip(NEXT) | instid1(VALU_DEP_2)
	v_sub_f32_e32 v116, v31, v116
	v_add_f32_e32 v35, v31, v32
	v_sub_f32_e32 v33, v32, v33
	s_delay_alu instid0(VALU_DEP_3) | instskip(NEXT) | instid1(VALU_DEP_2)
	v_sub_f32_e32 v115, v115, v116
	v_dual_sub_f32 v117, v35, v31 :: v_dual_sub_f32 v30, v30, v33
	s_delay_alu instid0(VALU_DEP_1) | instskip(NEXT) | instid1(VALU_DEP_2)
	v_sub_f32_e32 v118, v35, v117
	v_dual_sub_f32 v32, v32, v117 :: v_dual_add_f32 v33, v115, v30
	s_delay_alu instid0(VALU_DEP_2) | instskip(NEXT) | instid1(VALU_DEP_1)
	v_sub_f32_e32 v31, v31, v118
	v_add_f32_e32 v31, v32, v31
	s_delay_alu instid0(VALU_DEP_3) | instskip(NEXT) | instid1(VALU_DEP_2)
	v_sub_f32_e32 v32, v33, v115
	v_add_f32_e32 v31, v33, v31
	s_delay_alu instid0(VALU_DEP_2) | instskip(SKIP_1) | instid1(VALU_DEP_3)
	v_sub_f32_e32 v33, v33, v32
	v_sub_f32_e32 v30, v30, v32
	v_add_f32_e32 v116, v35, v31
	s_delay_alu instid0(VALU_DEP_1) | instskip(NEXT) | instid1(VALU_DEP_1)
	v_dual_sub_f32 v33, v115, v33 :: v_dual_sub_f32 v32, v116, v35
	v_dual_add_f32 v30, v30, v33 :: v_dual_sub_f32 v31, v31, v32
	s_delay_alu instid0(VALU_DEP_1) | instskip(NEXT) | instid1(VALU_DEP_1)
	v_add_f32_e32 v30, v30, v31
	v_add_f32_e32 v30, v116, v30
	s_delay_alu instid0(VALU_DEP_1)
	v_cndmask_b32_e32 v115, v30, v28, vcc_lo
.LBB157_84:                             ;   in Loop: Header=BB157_12 Depth=1
	s_or_b32 exec_lo, exec_lo, s30
	v_add_f32_e32 v116, s85, v29
	s_delay_alu instid0(VALU_DEP_1) | instskip(SKIP_1) | instid1(SALU_CYCLE_1)
	v_cmp_ge_f32_e32 vcc_lo, 0x41a00000, v116
	s_and_b32 s29, s90, vcc_lo
	s_and_saveexec_b32 s30, s29
	s_cbranch_execz .LBB157_86
; %bb.85:                               ;   in Loop: Header=BB157_12 Depth=1
	v_mul_f32_e32 v28, 0x3fb8aa3b, v116
	v_cmp_ngt_f32_e32 vcc_lo, 0xc2ce8ed0, v116
	s_delay_alu instid0(VALU_DEP_2) | instskip(SKIP_1) | instid1(VALU_DEP_2)
	v_rndne_f32_e32 v29, v28
	v_fma_f32 v30, 0x3fb8aa3b, v116, -v28
	v_sub_f32_e32 v28, v28, v29
	s_delay_alu instid0(VALU_DEP_2) | instskip(SKIP_1) | instid1(VALU_DEP_2)
	v_fmac_f32_e32 v30, 0x32a5705f, v116
	v_cvt_i32_f32_e32 v29, v29
	v_add_f32_e32 v28, v28, v30
	s_delay_alu instid0(VALU_DEP_1) | instskip(SKIP_2) | instid1(VALU_DEP_1)
	v_exp_f32_e32 v28, v28
	s_waitcnt_depctr 0xfff
	v_ldexp_f32 v28, v28, v29
	v_cndmask_b32_e32 v28, 0, v28, vcc_lo
	v_cmp_nlt_f32_e32 vcc_lo, 0x42b17218, v116
	s_delay_alu instid0(VALU_DEP_2) | instskip(NEXT) | instid1(VALU_DEP_1)
	v_cndmask_b32_e32 v30, 0x7f800000, v28, vcc_lo
	v_add_f32_e32 v31, 1.0, v30
	s_delay_alu instid0(VALU_DEP_1) | instskip(NEXT) | instid1(VALU_DEP_1)
	v_cvt_f64_f32_e32 v[28:29], v31
	v_frexp_exp_i32_f64_e32 v28, v[28:29]
	v_frexp_mant_f32_e32 v29, v31
	s_delay_alu instid0(VALU_DEP_1) | instskip(SKIP_1) | instid1(VALU_DEP_1)
	v_cmp_gt_f32_e32 vcc_lo, 0x3f2aaaab, v29
	v_add_f32_e32 v29, -1.0, v31
	v_sub_f32_e32 v33, v29, v31
	s_delay_alu instid0(VALU_DEP_1) | instskip(SKIP_1) | instid1(VALU_DEP_1)
	v_add_f32_e32 v33, 1.0, v33
	v_subrev_co_ci_u32_e32 v28, vcc_lo, 0, v28, vcc_lo
	v_sub_nc_u32_e32 v32, 0, v28
	v_cvt_f32_i32_e32 v28, v28
	s_delay_alu instid0(VALU_DEP_2) | instskip(NEXT) | instid1(VALU_DEP_1)
	v_ldexp_f32 v31, v31, v32
	v_add_f32_e32 v35, 1.0, v31
	v_sub_f32_e32 v29, v30, v29
	v_cmp_eq_f32_e32 vcc_lo, 0x7f800000, v30
	v_cmp_gt_f32_e64 s29, 0x33800000, v30
	s_delay_alu instid0(VALU_DEP_3) | instskip(NEXT) | instid1(VALU_DEP_2)
	v_add_f32_e32 v29, v29, v33
	s_or_b32 vcc_lo, s29, vcc_lo
	s_delay_alu instid0(VALU_DEP_1) | instskip(SKIP_1) | instid1(VALU_DEP_1)
	v_ldexp_f32 v29, v29, v32
	v_add_f32_e32 v32, -1.0, v31
	v_dual_add_f32 v33, -1.0, v35 :: v_dual_add_f32 v116, 1.0, v32
	s_delay_alu instid0(VALU_DEP_1) | instskip(NEXT) | instid1(VALU_DEP_2)
	v_sub_f32_e32 v33, v31, v33
	v_sub_f32_e32 v31, v31, v116
	s_delay_alu instid0(VALU_DEP_2) | instskip(NEXT) | instid1(VALU_DEP_1)
	v_add_f32_e32 v33, v29, v33
	v_dual_add_f32 v29, v29, v31 :: v_dual_add_f32 v116, v35, v33
	s_delay_alu instid0(VALU_DEP_1) | instskip(NEXT) | instid1(VALU_DEP_2)
	v_add_f32_e32 v117, v32, v29
	v_rcp_f32_e32 v31, v116
	s_delay_alu instid0(VALU_DEP_1) | instskip(SKIP_2) | instid1(VALU_DEP_1)
	v_sub_f32_e32 v32, v32, v117
	s_waitcnt_depctr 0xfff
	v_mul_f32_e32 v118, v117, v31
	v_mul_f32_e32 v119, v116, v118
	v_sub_f32_e32 v35, v35, v116
	s_delay_alu instid0(VALU_DEP_1) | instskip(NEXT) | instid1(VALU_DEP_3)
	v_add_f32_e32 v33, v33, v35
	v_fma_f32 v35, v118, v116, -v119
	v_add_f32_e32 v29, v29, v32
	s_delay_alu instid0(VALU_DEP_2) | instskip(NEXT) | instid1(VALU_DEP_1)
	v_fmac_f32_e32 v35, v118, v33
	v_add_f32_e32 v120, v119, v35
	s_delay_alu instid0(VALU_DEP_1) | instskip(NEXT) | instid1(VALU_DEP_1)
	v_dual_sub_f32 v32, v120, v119 :: v_dual_sub_f32 v121, v117, v120
	v_dual_sub_f32 v32, v32, v35 :: v_dual_sub_f32 v117, v117, v121
	s_delay_alu instid0(VALU_DEP_1) | instskip(NEXT) | instid1(VALU_DEP_1)
	v_sub_f32_e32 v117, v117, v120
	v_add_f32_e32 v29, v29, v117
	s_delay_alu instid0(VALU_DEP_1) | instskip(NEXT) | instid1(VALU_DEP_1)
	v_add_f32_e32 v29, v32, v29
	v_add_f32_e32 v32, v121, v29
	s_delay_alu instid0(VALU_DEP_1) | instskip(NEXT) | instid1(VALU_DEP_1)
	v_mul_f32_e32 v35, v31, v32
	v_dual_sub_f32 v120, v121, v32 :: v_dual_mul_f32 v117, v116, v35
	s_delay_alu instid0(VALU_DEP_1) | instskip(NEXT) | instid1(VALU_DEP_2)
	v_add_f32_e32 v29, v29, v120
	v_fma_f32 v116, v35, v116, -v117
	s_delay_alu instid0(VALU_DEP_1) | instskip(NEXT) | instid1(VALU_DEP_1)
	v_fmac_f32_e32 v116, v35, v33
	v_add_f32_e32 v33, v117, v116
	s_delay_alu instid0(VALU_DEP_1) | instskip(NEXT) | instid1(VALU_DEP_1)
	v_sub_f32_e32 v119, v32, v33
	v_dual_sub_f32 v117, v33, v117 :: v_dual_sub_f32 v32, v32, v119
	s_delay_alu instid0(VALU_DEP_1) | instskip(NEXT) | instid1(VALU_DEP_1)
	v_dual_sub_f32 v32, v32, v33 :: v_dual_sub_f32 v33, v117, v116
	v_dual_add_f32 v29, v29, v32 :: v_dual_add_f32 v32, v118, v35
	s_delay_alu instid0(VALU_DEP_1) | instskip(NEXT) | instid1(VALU_DEP_2)
	v_add_f32_e32 v29, v33, v29
	v_sub_f32_e32 v33, v32, v118
	s_delay_alu instid0(VALU_DEP_2) | instskip(NEXT) | instid1(VALU_DEP_2)
	v_add_f32_e32 v29, v119, v29
	v_sub_f32_e32 v33, v35, v33
	s_delay_alu instid0(VALU_DEP_2) | instskip(NEXT) | instid1(VALU_DEP_1)
	v_mul_f32_e32 v29, v31, v29
	v_add_f32_e32 v29, v33, v29
	s_delay_alu instid0(VALU_DEP_1) | instskip(NEXT) | instid1(VALU_DEP_1)
	v_add_f32_e32 v31, v32, v29
	v_mul_f32_e32 v33, v31, v31
	s_delay_alu instid0(VALU_DEP_1) | instskip(NEXT) | instid1(VALU_DEP_1)
	v_fmaak_f32 v35, s74, v33, 0x3ecc95a3
	v_dual_mul_f32 v116, v31, v33 :: v_dual_fmaak_f32 v33, v33, v35, 0x3f2aaada
	v_ldexp_f32 v35, v31, 1
	v_sub_f32_e32 v31, v31, v32
	s_delay_alu instid0(VALU_DEP_3) | instskip(NEXT) | instid1(VALU_DEP_1)
	v_dual_mul_f32 v33, v116, v33 :: v_dual_mul_f32 v116, 0x3f317218, v28
	v_dual_sub_f32 v29, v29, v31 :: v_dual_add_f32 v32, v35, v33
	s_delay_alu instid0(VALU_DEP_1) | instskip(NEXT) | instid1(VALU_DEP_2)
	v_ldexp_f32 v29, v29, 1
	v_sub_f32_e32 v31, v32, v35
	s_delay_alu instid0(VALU_DEP_4) | instskip(NEXT) | instid1(VALU_DEP_2)
	v_fma_f32 v35, 0x3f317218, v28, -v116
	v_sub_f32_e32 v31, v33, v31
	s_delay_alu instid0(VALU_DEP_1) | instskip(NEXT) | instid1(VALU_DEP_1)
	v_dual_fmac_f32 v35, 0xb102e308, v28 :: v_dual_add_f32 v28, v29, v31
	v_add_f32_e32 v29, v116, v35
	s_delay_alu instid0(VALU_DEP_2) | instskip(NEXT) | instid1(VALU_DEP_2)
	v_add_f32_e32 v31, v32, v28
	v_sub_f32_e32 v116, v29, v116
	s_delay_alu instid0(VALU_DEP_2) | instskip(NEXT) | instid1(VALU_DEP_2)
	v_dual_add_f32 v33, v29, v31 :: v_dual_sub_f32 v32, v31, v32
	v_sub_f32_e32 v35, v35, v116
	s_delay_alu instid0(VALU_DEP_2) | instskip(NEXT) | instid1(VALU_DEP_1)
	v_dual_sub_f32 v117, v33, v29 :: v_dual_sub_f32 v28, v28, v32
	v_sub_f32_e32 v118, v33, v117
	v_sub_f32_e32 v31, v31, v117
	s_delay_alu instid0(VALU_DEP_2) | instskip(NEXT) | instid1(VALU_DEP_1)
	v_dual_add_f32 v32, v35, v28 :: v_dual_sub_f32 v29, v29, v118
	v_add_f32_e32 v29, v31, v29
	s_delay_alu instid0(VALU_DEP_2) | instskip(NEXT) | instid1(VALU_DEP_2)
	v_sub_f32_e32 v31, v32, v35
	v_add_f32_e32 v29, v32, v29
	s_delay_alu instid0(VALU_DEP_2) | instskip(SKIP_1) | instid1(VALU_DEP_3)
	v_sub_f32_e32 v32, v32, v31
	v_sub_f32_e32 v28, v28, v31
	v_add_f32_e32 v116, v33, v29
	s_delay_alu instid0(VALU_DEP_1) | instskip(NEXT) | instid1(VALU_DEP_1)
	v_dual_sub_f32 v32, v35, v32 :: v_dual_sub_f32 v31, v116, v33
	v_dual_add_f32 v28, v28, v32 :: v_dual_sub_f32 v29, v29, v31
	s_delay_alu instid0(VALU_DEP_1) | instskip(NEXT) | instid1(VALU_DEP_1)
	v_add_f32_e32 v28, v28, v29
	v_add_f32_e32 v28, v116, v28
	s_delay_alu instid0(VALU_DEP_1)
	v_cndmask_b32_e32 v116, v28, v30, vcc_lo
.LBB157_86:                             ;   in Loop: Header=BB157_12 Depth=1
	s_or_b32 exec_lo, exec_lo, s30
	s_waitcnt lgkmcnt(4)
	v_add_f32_e32 v117, s85, v26
	s_delay_alu instid0(VALU_DEP_1) | instskip(SKIP_1) | instid1(SALU_CYCLE_1)
	v_cmp_ge_f32_e32 vcc_lo, 0x41a00000, v117
	s_and_b32 s29, s90, vcc_lo
	s_and_saveexec_b32 s30, s29
	s_cbranch_execz .LBB157_88
; %bb.87:                               ;   in Loop: Header=BB157_12 Depth=1
	v_mul_f32_e32 v26, 0x3fb8aa3b, v117
	v_cmp_ngt_f32_e32 vcc_lo, 0xc2ce8ed0, v117
	s_delay_alu instid0(VALU_DEP_2) | instskip(SKIP_1) | instid1(VALU_DEP_1)
	v_rndne_f32_e32 v28, v26
	v_fma_f32 v29, 0x3fb8aa3b, v117, -v26
	v_dual_sub_f32 v26, v26, v28 :: v_dual_fmac_f32 v29, 0x32a5705f, v117
	v_cvt_i32_f32_e32 v28, v28
	s_delay_alu instid0(VALU_DEP_2) | instskip(NEXT) | instid1(VALU_DEP_1)
	v_add_f32_e32 v26, v26, v29
	v_exp_f32_e32 v26, v26
	s_waitcnt_depctr 0xfff
	v_ldexp_f32 v26, v26, v28
	s_delay_alu instid0(VALU_DEP_1) | instskip(SKIP_1) | instid1(VALU_DEP_2)
	v_cndmask_b32_e32 v26, 0, v26, vcc_lo
	v_cmp_nlt_f32_e32 vcc_lo, 0x42b17218, v117
	v_cndmask_b32_e32 v26, 0x7f800000, v26, vcc_lo
	s_delay_alu instid0(VALU_DEP_1) | instskip(NEXT) | instid1(VALU_DEP_1)
	v_add_f32_e32 v30, 1.0, v26
	v_cvt_f64_f32_e32 v[28:29], v30
	s_delay_alu instid0(VALU_DEP_1) | instskip(SKIP_1) | instid1(VALU_DEP_1)
	v_frexp_exp_i32_f64_e32 v28, v[28:29]
	v_frexp_mant_f32_e32 v29, v30
	v_cmp_gt_f32_e32 vcc_lo, 0x3f2aaaab, v29
	v_add_f32_e32 v29, -1.0, v30
	s_delay_alu instid0(VALU_DEP_1) | instskip(SKIP_1) | instid1(VALU_DEP_1)
	v_dual_sub_f32 v32, v29, v30 :: v_dual_sub_f32 v29, v26, v29
	v_subrev_co_ci_u32_e32 v28, vcc_lo, 0, v28, vcc_lo
	v_sub_nc_u32_e32 v31, 0, v28
	v_cvt_f32_i32_e32 v28, v28
	s_delay_alu instid0(VALU_DEP_2) | instskip(NEXT) | instid1(VALU_DEP_1)
	v_ldexp_f32 v30, v30, v31
	v_dual_add_f32 v32, 1.0, v32 :: v_dual_add_f32 v33, 1.0, v30
	s_delay_alu instid0(VALU_DEP_1) | instskip(NEXT) | instid1(VALU_DEP_1)
	v_add_f32_e32 v29, v29, v32
	v_ldexp_f32 v29, v29, v31
	s_delay_alu instid0(VALU_DEP_3) | instskip(NEXT) | instid1(VALU_DEP_1)
	v_dual_add_f32 v31, -1.0, v30 :: v_dual_add_f32 v32, -1.0, v33
	v_dual_add_f32 v35, 1.0, v31 :: v_dual_sub_f32 v32, v30, v32
	v_cmp_eq_f32_e32 vcc_lo, 0x7f800000, v26
	v_cmp_gt_f32_e64 s29, 0x33800000, v26
	s_delay_alu instid0(VALU_DEP_3) | instskip(NEXT) | instid1(VALU_DEP_4)
	v_add_f32_e32 v32, v29, v32
	v_sub_f32_e32 v30, v30, v35
	s_delay_alu instid0(VALU_DEP_3) | instskip(NEXT) | instid1(VALU_DEP_2)
	s_or_b32 vcc_lo, s29, vcc_lo
	v_add_f32_e32 v35, v33, v32
	s_delay_alu instid0(VALU_DEP_2) | instskip(NEXT) | instid1(VALU_DEP_2)
	v_add_f32_e32 v29, v29, v30
	v_rcp_f32_e32 v30, v35
	s_delay_alu instid0(VALU_DEP_1) | instskip(SKIP_3) | instid1(VALU_DEP_1)
	v_add_f32_e32 v117, v31, v29
	v_sub_f32_e32 v33, v33, v35
	s_waitcnt_depctr 0xfff
	v_dual_sub_f32 v31, v31, v117 :: v_dual_mul_f32 v118, v117, v30
	v_add_f32_e32 v29, v29, v31
	s_delay_alu instid0(VALU_DEP_2) | instskip(NEXT) | instid1(VALU_DEP_1)
	v_dual_mul_f32 v119, v35, v118 :: v_dual_add_f32 v32, v32, v33
	v_fma_f32 v33, v118, v35, -v119
	s_delay_alu instid0(VALU_DEP_1) | instskip(NEXT) | instid1(VALU_DEP_1)
	v_fmac_f32_e32 v33, v118, v32
	v_add_f32_e32 v120, v119, v33
	s_delay_alu instid0(VALU_DEP_1) | instskip(SKIP_1) | instid1(VALU_DEP_2)
	v_sub_f32_e32 v121, v117, v120
	v_sub_f32_e32 v31, v120, v119
	v_sub_f32_e32 v117, v117, v121
	s_delay_alu instid0(VALU_DEP_2) | instskip(NEXT) | instid1(VALU_DEP_2)
	v_sub_f32_e32 v31, v31, v33
	v_sub_f32_e32 v117, v117, v120
	s_delay_alu instid0(VALU_DEP_1) | instskip(NEXT) | instid1(VALU_DEP_1)
	v_add_f32_e32 v29, v29, v117
	v_add_f32_e32 v29, v31, v29
	s_delay_alu instid0(VALU_DEP_1) | instskip(NEXT) | instid1(VALU_DEP_1)
	v_add_f32_e32 v31, v121, v29
	v_mul_f32_e32 v33, v30, v31
	s_delay_alu instid0(VALU_DEP_1) | instskip(NEXT) | instid1(VALU_DEP_1)
	v_dual_sub_f32 v120, v121, v31 :: v_dual_mul_f32 v117, v35, v33
	v_add_f32_e32 v29, v29, v120
	s_delay_alu instid0(VALU_DEP_2) | instskip(NEXT) | instid1(VALU_DEP_1)
	v_fma_f32 v35, v33, v35, -v117
	v_fmac_f32_e32 v35, v33, v32
	s_delay_alu instid0(VALU_DEP_1) | instskip(NEXT) | instid1(VALU_DEP_1)
	v_add_f32_e32 v32, v117, v35
	v_sub_f32_e32 v119, v31, v32
	v_sub_f32_e32 v117, v32, v117
	s_delay_alu instid0(VALU_DEP_2) | instskip(NEXT) | instid1(VALU_DEP_1)
	v_sub_f32_e32 v31, v31, v119
	v_dual_sub_f32 v31, v31, v32 :: v_dual_sub_f32 v32, v117, v35
	s_delay_alu instid0(VALU_DEP_1) | instskip(SKIP_1) | instid1(VALU_DEP_1)
	v_add_f32_e32 v29, v29, v31
	v_add_f32_e32 v31, v118, v33
	v_dual_add_f32 v29, v32, v29 :: v_dual_sub_f32 v32, v31, v118
	s_delay_alu instid0(VALU_DEP_1) | instskip(NEXT) | instid1(VALU_DEP_1)
	v_dual_add_f32 v29, v119, v29 :: v_dual_sub_f32 v32, v33, v32
	v_mul_f32_e32 v29, v30, v29
	s_delay_alu instid0(VALU_DEP_1) | instskip(NEXT) | instid1(VALU_DEP_1)
	v_add_f32_e32 v29, v32, v29
	v_add_f32_e32 v30, v31, v29
	s_delay_alu instid0(VALU_DEP_1) | instskip(NEXT) | instid1(VALU_DEP_1)
	v_mul_f32_e32 v32, v30, v30
	v_fmaak_f32 v33, s74, v32, 0x3ecc95a3
	s_delay_alu instid0(VALU_DEP_1) | instskip(SKIP_2) | instid1(VALU_DEP_3)
	v_dual_mul_f32 v35, v30, v32 :: v_dual_fmaak_f32 v32, v32, v33, 0x3f2aaada
	v_ldexp_f32 v33, v30, 1
	v_sub_f32_e32 v30, v30, v31
	v_mul_f32_e32 v32, v35, v32
	v_mul_f32_e32 v35, 0x3f317218, v28
	s_delay_alu instid0(VALU_DEP_3) | instskip(NEXT) | instid1(VALU_DEP_3)
	v_sub_f32_e32 v29, v29, v30
	v_add_f32_e32 v31, v33, v32
	s_delay_alu instid0(VALU_DEP_2) | instskip(NEXT) | instid1(VALU_DEP_2)
	v_ldexp_f32 v29, v29, 1
	v_sub_f32_e32 v30, v31, v33
	v_fma_f32 v33, 0x3f317218, v28, -v35
	s_delay_alu instid0(VALU_DEP_1) | instskip(NEXT) | instid1(VALU_DEP_1)
	v_dual_sub_f32 v30, v32, v30 :: v_dual_fmac_f32 v33, 0xb102e308, v28
	v_dual_add_f32 v28, v29, v30 :: v_dual_add_f32 v29, v35, v33
	s_delay_alu instid0(VALU_DEP_1) | instskip(NEXT) | instid1(VALU_DEP_1)
	v_dual_add_f32 v30, v31, v28 :: v_dual_sub_f32 v35, v29, v35
	v_dual_add_f32 v32, v29, v30 :: v_dual_sub_f32 v31, v30, v31
	s_delay_alu instid0(VALU_DEP_2) | instskip(NEXT) | instid1(VALU_DEP_2)
	v_sub_f32_e32 v33, v33, v35
	v_sub_f32_e32 v117, v32, v29
	s_delay_alu instid0(VALU_DEP_3) | instskip(NEXT) | instid1(VALU_DEP_2)
	v_sub_f32_e32 v28, v28, v31
	v_sub_f32_e32 v118, v32, v117
	s_delay_alu instid0(VALU_DEP_2) | instskip(NEXT) | instid1(VALU_DEP_2)
	v_dual_sub_f32 v30, v30, v117 :: v_dual_add_f32 v31, v33, v28
	v_sub_f32_e32 v29, v29, v118
	s_delay_alu instid0(VALU_DEP_1) | instskip(NEXT) | instid1(VALU_DEP_3)
	v_add_f32_e32 v29, v30, v29
	v_sub_f32_e32 v30, v31, v33
	s_delay_alu instid0(VALU_DEP_2) | instskip(NEXT) | instid1(VALU_DEP_2)
	v_add_f32_e32 v29, v31, v29
	v_sub_f32_e32 v31, v31, v30
	v_sub_f32_e32 v28, v28, v30
	s_delay_alu instid0(VALU_DEP_3) | instskip(NEXT) | instid1(VALU_DEP_1)
	v_add_f32_e32 v35, v32, v29
	v_dual_sub_f32 v31, v33, v31 :: v_dual_sub_f32 v30, v35, v32
	s_delay_alu instid0(VALU_DEP_1) | instskip(NEXT) | instid1(VALU_DEP_1)
	v_dual_add_f32 v28, v28, v31 :: v_dual_sub_f32 v29, v29, v30
	v_add_f32_e32 v28, v28, v29
	s_delay_alu instid0(VALU_DEP_1) | instskip(NEXT) | instid1(VALU_DEP_1)
	v_add_f32_e32 v28, v35, v28
	v_cndmask_b32_e32 v117, v28, v26, vcc_lo
.LBB157_88:                             ;   in Loop: Header=BB157_12 Depth=1
	s_or_b32 exec_lo, exec_lo, s30
	v_add_f32_e32 v118, s85, v27
	s_delay_alu instid0(VALU_DEP_1) | instskip(SKIP_1) | instid1(SALU_CYCLE_1)
	v_cmp_ge_f32_e32 vcc_lo, 0x41a00000, v118
	s_and_b32 s29, s90, vcc_lo
	s_and_saveexec_b32 s30, s29
	s_cbranch_execz .LBB157_90
; %bb.89:                               ;   in Loop: Header=BB157_12 Depth=1
	v_mul_f32_e32 v26, 0x3fb8aa3b, v118
	v_cmp_ngt_f32_e32 vcc_lo, 0xc2ce8ed0, v118
	s_delay_alu instid0(VALU_DEP_2) | instskip(SKIP_1) | instid1(VALU_DEP_2)
	v_rndne_f32_e32 v27, v26
	v_fma_f32 v28, 0x3fb8aa3b, v118, -v26
	v_sub_f32_e32 v26, v26, v27
	s_delay_alu instid0(VALU_DEP_2) | instskip(SKIP_1) | instid1(VALU_DEP_2)
	v_fmac_f32_e32 v28, 0x32a5705f, v118
	v_cvt_i32_f32_e32 v27, v27
	v_add_f32_e32 v26, v26, v28
	s_delay_alu instid0(VALU_DEP_1) | instskip(SKIP_2) | instid1(VALU_DEP_1)
	v_exp_f32_e32 v26, v26
	s_waitcnt_depctr 0xfff
	v_ldexp_f32 v26, v26, v27
	v_cndmask_b32_e32 v26, 0, v26, vcc_lo
	v_cmp_nlt_f32_e32 vcc_lo, 0x42b17218, v118
	s_delay_alu instid0(VALU_DEP_2) | instskip(NEXT) | instid1(VALU_DEP_1)
	v_cndmask_b32_e32 v28, 0x7f800000, v26, vcc_lo
	v_add_f32_e32 v29, 1.0, v28
	s_delay_alu instid0(VALU_DEP_1) | instskip(NEXT) | instid1(VALU_DEP_1)
	v_cvt_f64_f32_e32 v[26:27], v29
	v_frexp_exp_i32_f64_e32 v26, v[26:27]
	v_frexp_mant_f32_e32 v27, v29
	s_delay_alu instid0(VALU_DEP_1) | instskip(SKIP_1) | instid1(VALU_DEP_1)
	v_cmp_gt_f32_e32 vcc_lo, 0x3f2aaaab, v27
	v_add_f32_e32 v27, -1.0, v29
	v_sub_f32_e32 v31, v27, v29
	v_sub_f32_e32 v27, v28, v27
	s_delay_alu instid0(VALU_DEP_2) | instskip(NEXT) | instid1(VALU_DEP_1)
	v_add_f32_e32 v31, 1.0, v31
	v_add_f32_e32 v27, v27, v31
	v_cmp_gt_f32_e64 s29, 0x33800000, v28
	v_subrev_co_ci_u32_e32 v26, vcc_lo, 0, v26, vcc_lo
	v_cmp_eq_f32_e32 vcc_lo, 0x7f800000, v28
	s_delay_alu instid0(VALU_DEP_2) | instskip(SKIP_2) | instid1(VALU_DEP_2)
	v_sub_nc_u32_e32 v30, 0, v26
	v_cvt_f32_i32_e32 v26, v26
	s_or_b32 vcc_lo, s29, vcc_lo
	v_ldexp_f32 v29, v29, v30
	v_ldexp_f32 v27, v27, v30
	s_delay_alu instid0(VALU_DEP_2) | instskip(NEXT) | instid1(VALU_DEP_1)
	v_add_f32_e32 v32, 1.0, v29
	v_dual_add_f32 v30, -1.0, v29 :: v_dual_add_f32 v31, -1.0, v32
	s_delay_alu instid0(VALU_DEP_1) | instskip(NEXT) | instid1(VALU_DEP_2)
	v_add_f32_e32 v33, 1.0, v30
	v_sub_f32_e32 v31, v29, v31
	s_delay_alu instid0(VALU_DEP_2) | instskip(NEXT) | instid1(VALU_DEP_2)
	v_sub_f32_e32 v29, v29, v33
	v_add_f32_e32 v31, v27, v31
	s_delay_alu instid0(VALU_DEP_2) | instskip(NEXT) | instid1(VALU_DEP_2)
	v_add_f32_e32 v27, v27, v29
	v_add_f32_e32 v33, v32, v31
	s_delay_alu instid0(VALU_DEP_1) | instskip(NEXT) | instid1(VALU_DEP_2)
	v_rcp_f32_e32 v29, v33
	v_dual_add_f32 v35, v30, v27 :: v_dual_sub_f32 v32, v32, v33
	s_delay_alu instid0(VALU_DEP_1) | instskip(SKIP_3) | instid1(VALU_DEP_2)
	v_sub_f32_e32 v30, v30, v35
	s_waitcnt_depctr 0xfff
	v_mul_f32_e32 v118, v35, v29
	v_add_f32_e32 v27, v27, v30
	v_mul_f32_e32 v119, v33, v118
	v_add_f32_e32 v31, v31, v32
	s_delay_alu instid0(VALU_DEP_2) | instskip(NEXT) | instid1(VALU_DEP_1)
	v_fma_f32 v32, v118, v33, -v119
	v_fmac_f32_e32 v32, v118, v31
	s_delay_alu instid0(VALU_DEP_1) | instskip(NEXT) | instid1(VALU_DEP_1)
	v_add_f32_e32 v120, v119, v32
	v_dual_sub_f32 v30, v120, v119 :: v_dual_sub_f32 v121, v35, v120
	s_delay_alu instid0(VALU_DEP_1) | instskip(NEXT) | instid1(VALU_DEP_1)
	v_dual_sub_f32 v30, v30, v32 :: v_dual_sub_f32 v35, v35, v121
	v_sub_f32_e32 v35, v35, v120
	s_delay_alu instid0(VALU_DEP_1) | instskip(NEXT) | instid1(VALU_DEP_1)
	v_add_f32_e32 v27, v27, v35
	v_add_f32_e32 v27, v30, v27
	s_delay_alu instid0(VALU_DEP_1) | instskip(NEXT) | instid1(VALU_DEP_1)
	v_add_f32_e32 v30, v121, v27
	v_mul_f32_e32 v32, v29, v30
	v_sub_f32_e32 v120, v121, v30
	s_delay_alu instid0(VALU_DEP_2) | instskip(NEXT) | instid1(VALU_DEP_2)
	v_mul_f32_e32 v35, v33, v32
	v_add_f32_e32 v27, v27, v120
	s_delay_alu instid0(VALU_DEP_2) | instskip(NEXT) | instid1(VALU_DEP_1)
	v_fma_f32 v33, v32, v33, -v35
	v_fmac_f32_e32 v33, v32, v31
	s_delay_alu instid0(VALU_DEP_1) | instskip(NEXT) | instid1(VALU_DEP_1)
	v_add_f32_e32 v31, v35, v33
	v_sub_f32_e32 v119, v30, v31
	v_sub_f32_e32 v35, v31, v35
	s_delay_alu instid0(VALU_DEP_2) | instskip(NEXT) | instid1(VALU_DEP_1)
	v_sub_f32_e32 v30, v30, v119
	v_dual_sub_f32 v30, v30, v31 :: v_dual_sub_f32 v31, v35, v33
	s_delay_alu instid0(VALU_DEP_1) | instskip(NEXT) | instid1(VALU_DEP_1)
	v_dual_add_f32 v27, v27, v30 :: v_dual_add_f32 v30, v118, v32
	v_add_f32_e32 v27, v31, v27
	s_delay_alu instid0(VALU_DEP_2) | instskip(NEXT) | instid1(VALU_DEP_2)
	v_sub_f32_e32 v31, v30, v118
	v_add_f32_e32 v27, v119, v27
	s_delay_alu instid0(VALU_DEP_2) | instskip(NEXT) | instid1(VALU_DEP_2)
	v_sub_f32_e32 v31, v32, v31
	v_mul_f32_e32 v27, v29, v27
	s_delay_alu instid0(VALU_DEP_1) | instskip(NEXT) | instid1(VALU_DEP_1)
	v_add_f32_e32 v27, v31, v27
	v_add_f32_e32 v29, v30, v27
	s_delay_alu instid0(VALU_DEP_1) | instskip(NEXT) | instid1(VALU_DEP_1)
	v_mul_f32_e32 v31, v29, v29
	v_fmaak_f32 v32, s74, v31, 0x3ecc95a3
	v_mul_f32_e32 v33, v29, v31
	s_delay_alu instid0(VALU_DEP_2) | instskip(SKIP_2) | instid1(VALU_DEP_3)
	v_fmaak_f32 v31, v31, v32, 0x3f2aaada
	v_ldexp_f32 v32, v29, 1
	v_sub_f32_e32 v29, v29, v30
	v_mul_f32_e32 v31, v33, v31
	v_mul_f32_e32 v33, 0x3f317218, v26
	s_delay_alu instid0(VALU_DEP_2) | instskip(NEXT) | instid1(VALU_DEP_1)
	v_dual_sub_f32 v27, v27, v29 :: v_dual_add_f32 v30, v32, v31
	v_ldexp_f32 v27, v27, 1
	s_delay_alu instid0(VALU_DEP_2) | instskip(NEXT) | instid1(VALU_DEP_4)
	v_sub_f32_e32 v29, v30, v32
	v_fma_f32 v32, 0x3f317218, v26, -v33
	s_delay_alu instid0(VALU_DEP_1) | instskip(NEXT) | instid1(VALU_DEP_1)
	v_dual_sub_f32 v29, v31, v29 :: v_dual_fmac_f32 v32, 0xb102e308, v26
	v_dual_add_f32 v26, v27, v29 :: v_dual_add_f32 v27, v33, v32
	s_delay_alu instid0(VALU_DEP_1) | instskip(NEXT) | instid1(VALU_DEP_2)
	v_add_f32_e32 v29, v30, v26
	v_sub_f32_e32 v33, v27, v33
	s_delay_alu instid0(VALU_DEP_2) | instskip(NEXT) | instid1(VALU_DEP_1)
	v_dual_add_f32 v31, v27, v29 :: v_dual_sub_f32 v30, v29, v30
	v_dual_sub_f32 v32, v32, v33 :: v_dual_sub_f32 v35, v31, v27
	s_delay_alu instid0(VALU_DEP_2) | instskip(NEXT) | instid1(VALU_DEP_2)
	v_sub_f32_e32 v26, v26, v30
	v_sub_f32_e32 v118, v31, v35
	s_delay_alu instid0(VALU_DEP_2) | instskip(NEXT) | instid1(VALU_DEP_2)
	v_dual_sub_f32 v29, v29, v35 :: v_dual_add_f32 v30, v32, v26
	v_sub_f32_e32 v27, v27, v118
	s_delay_alu instid0(VALU_DEP_1) | instskip(NEXT) | instid1(VALU_DEP_3)
	v_add_f32_e32 v27, v29, v27
	v_sub_f32_e32 v29, v30, v32
	s_delay_alu instid0(VALU_DEP_2) | instskip(NEXT) | instid1(VALU_DEP_2)
	v_add_f32_e32 v27, v30, v27
	v_sub_f32_e32 v30, v30, v29
	s_delay_alu instid0(VALU_DEP_2) | instskip(NEXT) | instid1(VALU_DEP_1)
	v_dual_sub_f32 v26, v26, v29 :: v_dual_add_f32 v33, v31, v27
	v_dual_sub_f32 v30, v32, v30 :: v_dual_sub_f32 v29, v33, v31
	s_delay_alu instid0(VALU_DEP_1) | instskip(NEXT) | instid1(VALU_DEP_1)
	v_dual_add_f32 v26, v26, v30 :: v_dual_sub_f32 v27, v27, v29
	v_add_f32_e32 v26, v26, v27
	s_delay_alu instid0(VALU_DEP_1) | instskip(NEXT) | instid1(VALU_DEP_1)
	v_add_f32_e32 v26, v33, v26
	v_cndmask_b32_e32 v118, v26, v28, vcc_lo
.LBB157_90:                             ;   in Loop: Header=BB157_12 Depth=1
	s_or_b32 exec_lo, exec_lo, s30
	s_waitcnt lgkmcnt(3)
	v_add_f32_e32 v119, s85, v24
	s_delay_alu instid0(VALU_DEP_1) | instskip(SKIP_1) | instid1(SALU_CYCLE_1)
	v_cmp_ge_f32_e32 vcc_lo, 0x41a00000, v119
	s_and_b32 s29, s90, vcc_lo
	s_and_saveexec_b32 s30, s29
	s_cbranch_execz .LBB157_92
; %bb.91:                               ;   in Loop: Header=BB157_12 Depth=1
	v_mul_f32_e32 v24, 0x3fb8aa3b, v119
	v_cmp_ngt_f32_e32 vcc_lo, 0xc2ce8ed0, v119
	s_delay_alu instid0(VALU_DEP_2) | instskip(SKIP_1) | instid1(VALU_DEP_1)
	v_rndne_f32_e32 v26, v24
	v_fma_f32 v27, 0x3fb8aa3b, v119, -v24
	v_dual_sub_f32 v24, v24, v26 :: v_dual_fmac_f32 v27, 0x32a5705f, v119
	v_cvt_i32_f32_e32 v26, v26
	s_delay_alu instid0(VALU_DEP_2) | instskip(NEXT) | instid1(VALU_DEP_1)
	v_add_f32_e32 v24, v24, v27
	v_exp_f32_e32 v24, v24
	s_waitcnt_depctr 0xfff
	v_ldexp_f32 v24, v24, v26
	s_delay_alu instid0(VALU_DEP_1) | instskip(SKIP_1) | instid1(VALU_DEP_2)
	v_cndmask_b32_e32 v24, 0, v24, vcc_lo
	v_cmp_nlt_f32_e32 vcc_lo, 0x42b17218, v119
	v_cndmask_b32_e32 v24, 0x7f800000, v24, vcc_lo
	s_delay_alu instid0(VALU_DEP_1) | instskip(NEXT) | instid1(VALU_DEP_1)
	v_add_f32_e32 v28, 1.0, v24
	v_cvt_f64_f32_e32 v[26:27], v28
	s_delay_alu instid0(VALU_DEP_1) | instskip(SKIP_1) | instid1(VALU_DEP_1)
	v_frexp_exp_i32_f64_e32 v26, v[26:27]
	v_frexp_mant_f32_e32 v27, v28
	v_cmp_gt_f32_e32 vcc_lo, 0x3f2aaaab, v27
	v_add_f32_e32 v27, -1.0, v28
	s_delay_alu instid0(VALU_DEP_1) | instskip(SKIP_1) | instid1(VALU_DEP_1)
	v_dual_sub_f32 v30, v27, v28 :: v_dual_sub_f32 v27, v24, v27
	v_subrev_co_ci_u32_e32 v26, vcc_lo, 0, v26, vcc_lo
	v_sub_nc_u32_e32 v29, 0, v26
	v_cvt_f32_i32_e32 v26, v26
	s_delay_alu instid0(VALU_DEP_2) | instskip(NEXT) | instid1(VALU_DEP_1)
	v_ldexp_f32 v28, v28, v29
	v_dual_add_f32 v30, 1.0, v30 :: v_dual_add_f32 v31, 1.0, v28
	s_delay_alu instid0(VALU_DEP_1) | instskip(NEXT) | instid1(VALU_DEP_1)
	v_add_f32_e32 v27, v27, v30
	v_ldexp_f32 v27, v27, v29
	s_delay_alu instid0(VALU_DEP_3) | instskip(NEXT) | instid1(VALU_DEP_1)
	v_dual_add_f32 v29, -1.0, v28 :: v_dual_add_f32 v30, -1.0, v31
	v_add_f32_e32 v32, 1.0, v29
	s_delay_alu instid0(VALU_DEP_2) | instskip(NEXT) | instid1(VALU_DEP_2)
	v_sub_f32_e32 v30, v28, v30
	v_sub_f32_e32 v28, v28, v32
	s_delay_alu instid0(VALU_DEP_2) | instskip(NEXT) | instid1(VALU_DEP_2)
	v_add_f32_e32 v30, v27, v30
	v_add_f32_e32 v27, v27, v28
	s_delay_alu instid0(VALU_DEP_1) | instskip(SKIP_2) | instid1(VALU_DEP_3)
	v_dual_add_f32 v33, v29, v27 :: v_dual_add_f32 v32, v31, v30
	v_cmp_eq_f32_e32 vcc_lo, 0x7f800000, v24
	v_cmp_gt_f32_e64 s29, 0x33800000, v24
	v_sub_f32_e32 v29, v29, v33
	s_delay_alu instid0(VALU_DEP_4) | instskip(SKIP_1) | instid1(VALU_DEP_3)
	v_rcp_f32_e32 v28, v32
	v_sub_f32_e32 v31, v31, v32
	s_or_b32 vcc_lo, s29, vcc_lo
	s_delay_alu instid0(VALU_DEP_1) | instskip(SKIP_2) | instid1(VALU_DEP_1)
	v_dual_add_f32 v27, v27, v29 :: v_dual_add_f32 v30, v30, v31
	s_waitcnt_depctr 0xfff
	v_mul_f32_e32 v35, v33, v28
	v_mul_f32_e32 v119, v32, v35
	s_delay_alu instid0(VALU_DEP_1) | instskip(NEXT) | instid1(VALU_DEP_1)
	v_fma_f32 v31, v35, v32, -v119
	v_fmac_f32_e32 v31, v35, v30
	s_delay_alu instid0(VALU_DEP_1) | instskip(NEXT) | instid1(VALU_DEP_1)
	v_add_f32_e32 v120, v119, v31
	v_sub_f32_e32 v121, v33, v120
	v_sub_f32_e32 v29, v120, v119
	s_delay_alu instid0(VALU_DEP_2) | instskip(NEXT) | instid1(VALU_DEP_2)
	v_sub_f32_e32 v33, v33, v121
	v_sub_f32_e32 v29, v29, v31
	s_delay_alu instid0(VALU_DEP_2) | instskip(NEXT) | instid1(VALU_DEP_1)
	v_sub_f32_e32 v33, v33, v120
	v_add_f32_e32 v27, v27, v33
	s_delay_alu instid0(VALU_DEP_1) | instskip(NEXT) | instid1(VALU_DEP_1)
	v_add_f32_e32 v27, v29, v27
	v_add_f32_e32 v29, v121, v27
	s_delay_alu instid0(VALU_DEP_1) | instskip(NEXT) | instid1(VALU_DEP_1)
	v_mul_f32_e32 v31, v28, v29
	v_dual_sub_f32 v120, v121, v29 :: v_dual_mul_f32 v33, v32, v31
	s_delay_alu instid0(VALU_DEP_1) | instskip(NEXT) | instid1(VALU_DEP_2)
	v_add_f32_e32 v27, v27, v120
	v_fma_f32 v32, v31, v32, -v33
	s_delay_alu instid0(VALU_DEP_1) | instskip(NEXT) | instid1(VALU_DEP_1)
	v_fmac_f32_e32 v32, v31, v30
	v_add_f32_e32 v30, v33, v32
	s_delay_alu instid0(VALU_DEP_1) | instskip(NEXT) | instid1(VALU_DEP_1)
	v_sub_f32_e32 v119, v29, v30
	v_sub_f32_e32 v29, v29, v119
	s_delay_alu instid0(VALU_DEP_1) | instskip(NEXT) | instid1(VALU_DEP_1)
	v_sub_f32_e32 v29, v29, v30
	v_add_f32_e32 v27, v27, v29
	v_add_f32_e32 v29, v35, v31
	v_sub_f32_e32 v33, v30, v33
	s_delay_alu instid0(VALU_DEP_1) | instskip(NEXT) | instid1(VALU_DEP_1)
	v_sub_f32_e32 v30, v33, v32
	v_add_f32_e32 v27, v30, v27
	s_delay_alu instid0(VALU_DEP_4) | instskip(NEXT) | instid1(VALU_DEP_2)
	v_sub_f32_e32 v30, v29, v35
	v_add_f32_e32 v27, v119, v27
	s_delay_alu instid0(VALU_DEP_1) | instskip(NEXT) | instid1(VALU_DEP_1)
	v_dual_sub_f32 v30, v31, v30 :: v_dual_mul_f32 v27, v28, v27
	v_add_f32_e32 v27, v30, v27
	s_delay_alu instid0(VALU_DEP_1) | instskip(NEXT) | instid1(VALU_DEP_1)
	v_add_f32_e32 v28, v29, v27
	v_mul_f32_e32 v30, v28, v28
	s_delay_alu instid0(VALU_DEP_1) | instskip(SKIP_1) | instid1(VALU_DEP_2)
	v_fmaak_f32 v31, s74, v30, 0x3ecc95a3
	v_mul_f32_e32 v32, v28, v30
	v_fmaak_f32 v30, v30, v31, 0x3f2aaada
	v_ldexp_f32 v31, v28, 1
	v_sub_f32_e32 v28, v28, v29
	s_delay_alu instid0(VALU_DEP_3) | instskip(NEXT) | instid1(VALU_DEP_2)
	v_mul_f32_e32 v30, v32, v30
	v_dual_mul_f32 v32, 0x3f317218, v26 :: v_dual_sub_f32 v27, v27, v28
	s_delay_alu instid0(VALU_DEP_2) | instskip(NEXT) | instid1(VALU_DEP_2)
	v_add_f32_e32 v29, v31, v30
	v_ldexp_f32 v27, v27, 1
	s_delay_alu instid0(VALU_DEP_2) | instskip(NEXT) | instid1(VALU_DEP_4)
	v_sub_f32_e32 v28, v29, v31
	v_fma_f32 v31, 0x3f317218, v26, -v32
	s_delay_alu instid0(VALU_DEP_1) | instskip(NEXT) | instid1(VALU_DEP_1)
	v_dual_sub_f32 v28, v30, v28 :: v_dual_fmac_f32 v31, 0xb102e308, v26
	v_add_f32_e32 v26, v27, v28
	s_delay_alu instid0(VALU_DEP_1) | instskip(NEXT) | instid1(VALU_DEP_1)
	v_add_f32_e32 v28, v29, v26
	v_sub_f32_e32 v29, v28, v29
	s_delay_alu instid0(VALU_DEP_1) | instskip(NEXT) | instid1(VALU_DEP_1)
	v_dual_sub_f32 v26, v26, v29 :: v_dual_add_f32 v27, v32, v31
	v_add_f32_e32 v30, v27, v28
	s_delay_alu instid0(VALU_DEP_1) | instskip(NEXT) | instid1(VALU_DEP_1)
	v_dual_sub_f32 v32, v27, v32 :: v_dual_sub_f32 v33, v30, v27
	v_dual_sub_f32 v31, v31, v32 :: v_dual_sub_f32 v28, v28, v33
	s_delay_alu instid0(VALU_DEP_1) | instskip(SKIP_1) | instid1(VALU_DEP_1)
	v_add_f32_e32 v29, v31, v26
	v_sub_f32_e32 v35, v30, v33
	v_sub_f32_e32 v27, v27, v35
	s_delay_alu instid0(VALU_DEP_1) | instskip(NEXT) | instid1(VALU_DEP_4)
	v_add_f32_e32 v27, v28, v27
	v_sub_f32_e32 v28, v29, v31
	s_delay_alu instid0(VALU_DEP_2) | instskip(NEXT) | instid1(VALU_DEP_2)
	v_add_f32_e32 v27, v29, v27
	v_sub_f32_e32 v29, v29, v28
	v_sub_f32_e32 v26, v26, v28
	s_delay_alu instid0(VALU_DEP_2) | instskip(NEXT) | instid1(VALU_DEP_1)
	v_dual_add_f32 v32, v30, v27 :: v_dual_sub_f32 v29, v31, v29
	v_sub_f32_e32 v28, v32, v30
	s_delay_alu instid0(VALU_DEP_1) | instskip(NEXT) | instid1(VALU_DEP_1)
	v_dual_add_f32 v26, v26, v29 :: v_dual_sub_f32 v27, v27, v28
	v_add_f32_e32 v26, v26, v27
	s_delay_alu instid0(VALU_DEP_1) | instskip(NEXT) | instid1(VALU_DEP_1)
	v_add_f32_e32 v26, v32, v26
	v_cndmask_b32_e32 v119, v26, v24, vcc_lo
.LBB157_92:                             ;   in Loop: Header=BB157_12 Depth=1
	s_or_b32 exec_lo, exec_lo, s30
	v_add_f32_e32 v128, s85, v25
	s_delay_alu instid0(VALU_DEP_1) | instskip(SKIP_1) | instid1(SALU_CYCLE_1)
	v_cmp_ge_f32_e32 vcc_lo, 0x41a00000, v128
	s_and_b32 s29, s90, vcc_lo
	s_and_saveexec_b32 s30, s29
	s_cbranch_execz .LBB157_94
; %bb.93:                               ;   in Loop: Header=BB157_12 Depth=1
	v_mul_f32_e32 v24, 0x3fb8aa3b, v128
	v_cmp_ngt_f32_e32 vcc_lo, 0xc2ce8ed0, v128
	s_delay_alu instid0(VALU_DEP_2) | instskip(SKIP_1) | instid1(VALU_DEP_2)
	v_rndne_f32_e32 v25, v24
	v_fma_f32 v26, 0x3fb8aa3b, v128, -v24
	v_sub_f32_e32 v24, v24, v25
	s_delay_alu instid0(VALU_DEP_2) | instskip(SKIP_1) | instid1(VALU_DEP_2)
	v_fmac_f32_e32 v26, 0x32a5705f, v128
	v_cvt_i32_f32_e32 v25, v25
	v_add_f32_e32 v24, v24, v26
	s_delay_alu instid0(VALU_DEP_1) | instskip(SKIP_2) | instid1(VALU_DEP_1)
	v_exp_f32_e32 v24, v24
	s_waitcnt_depctr 0xfff
	v_ldexp_f32 v24, v24, v25
	v_cndmask_b32_e32 v24, 0, v24, vcc_lo
	v_cmp_nlt_f32_e32 vcc_lo, 0x42b17218, v128
	s_delay_alu instid0(VALU_DEP_2) | instskip(NEXT) | instid1(VALU_DEP_1)
	v_cndmask_b32_e32 v26, 0x7f800000, v24, vcc_lo
	v_add_f32_e32 v27, 1.0, v26
	s_delay_alu instid0(VALU_DEP_1) | instskip(NEXT) | instid1(VALU_DEP_1)
	v_cvt_f64_f32_e32 v[24:25], v27
	v_frexp_exp_i32_f64_e32 v24, v[24:25]
	v_frexp_mant_f32_e32 v25, v27
	s_delay_alu instid0(VALU_DEP_1) | instskip(SKIP_1) | instid1(VALU_DEP_1)
	v_cmp_gt_f32_e32 vcc_lo, 0x3f2aaaab, v25
	v_add_f32_e32 v25, -1.0, v27
	v_sub_f32_e32 v29, v25, v27
	v_sub_f32_e32 v25, v26, v25
	s_delay_alu instid0(VALU_DEP_2) | instskip(NEXT) | instid1(VALU_DEP_1)
	v_add_f32_e32 v29, 1.0, v29
	v_add_f32_e32 v25, v25, v29
	v_cmp_gt_f32_e64 s29, 0x33800000, v26
	v_subrev_co_ci_u32_e32 v24, vcc_lo, 0, v24, vcc_lo
	v_cmp_eq_f32_e32 vcc_lo, 0x7f800000, v26
	s_delay_alu instid0(VALU_DEP_2) | instskip(SKIP_2) | instid1(VALU_DEP_2)
	v_sub_nc_u32_e32 v28, 0, v24
	v_cvt_f32_i32_e32 v24, v24
	s_or_b32 vcc_lo, s29, vcc_lo
	v_ldexp_f32 v27, v27, v28
	v_ldexp_f32 v25, v25, v28
	s_delay_alu instid0(VALU_DEP_2) | instskip(NEXT) | instid1(VALU_DEP_1)
	v_add_f32_e32 v30, 1.0, v27
	v_dual_add_f32 v28, -1.0, v27 :: v_dual_add_f32 v29, -1.0, v30
	s_delay_alu instid0(VALU_DEP_1) | instskip(NEXT) | instid1(VALU_DEP_2)
	v_add_f32_e32 v31, 1.0, v28
	v_sub_f32_e32 v29, v27, v29
	s_delay_alu instid0(VALU_DEP_2) | instskip(NEXT) | instid1(VALU_DEP_2)
	v_sub_f32_e32 v27, v27, v31
	v_add_f32_e32 v29, v25, v29
	s_delay_alu instid0(VALU_DEP_2) | instskip(NEXT) | instid1(VALU_DEP_2)
	v_add_f32_e32 v25, v25, v27
	v_add_f32_e32 v31, v30, v29
	s_delay_alu instid0(VALU_DEP_2) | instskip(NEXT) | instid1(VALU_DEP_2)
	v_add_f32_e32 v32, v28, v25
	v_rcp_f32_e32 v27, v31
	v_sub_f32_e32 v30, v30, v31
	s_delay_alu instid0(VALU_DEP_1) | instskip(SKIP_2) | instid1(VALU_DEP_1)
	v_dual_sub_f32 v28, v28, v32 :: v_dual_add_f32 v29, v29, v30
	s_waitcnt_depctr 0xfff
	v_mul_f32_e32 v33, v32, v27
	v_mul_f32_e32 v35, v31, v33
	s_delay_alu instid0(VALU_DEP_1) | instskip(NEXT) | instid1(VALU_DEP_1)
	v_fma_f32 v30, v33, v31, -v35
	v_fmac_f32_e32 v30, v33, v29
	s_delay_alu instid0(VALU_DEP_1) | instskip(NEXT) | instid1(VALU_DEP_1)
	v_add_f32_e32 v120, v35, v30
	v_sub_f32_e32 v121, v32, v120
	s_delay_alu instid0(VALU_DEP_1) | instskip(NEXT) | instid1(VALU_DEP_1)
	v_sub_f32_e32 v32, v32, v121
	v_sub_f32_e32 v32, v32, v120
	v_dual_add_f32 v25, v25, v28 :: v_dual_sub_f32 v28, v120, v35
	s_delay_alu instid0(VALU_DEP_1) | instskip(NEXT) | instid1(VALU_DEP_1)
	v_dual_add_f32 v25, v25, v32 :: v_dual_sub_f32 v28, v28, v30
	v_add_f32_e32 v25, v28, v25
	s_delay_alu instid0(VALU_DEP_1) | instskip(NEXT) | instid1(VALU_DEP_1)
	v_add_f32_e32 v28, v121, v25
	v_mul_f32_e32 v30, v27, v28
	s_delay_alu instid0(VALU_DEP_1) | instskip(SKIP_1) | instid1(VALU_DEP_2)
	v_mul_f32_e32 v32, v31, v30
	v_sub_f32_e32 v120, v121, v28
	v_fma_f32 v31, v30, v31, -v32
	s_delay_alu instid0(VALU_DEP_2) | instskip(NEXT) | instid1(VALU_DEP_2)
	v_add_f32_e32 v25, v25, v120
	v_fmac_f32_e32 v31, v30, v29
	s_delay_alu instid0(VALU_DEP_1) | instskip(NEXT) | instid1(VALU_DEP_1)
	v_add_f32_e32 v29, v32, v31
	v_sub_f32_e32 v35, v28, v29
	s_delay_alu instid0(VALU_DEP_1) | instskip(NEXT) | instid1(VALU_DEP_1)
	v_sub_f32_e32 v28, v28, v35
	v_sub_f32_e32 v28, v28, v29
	s_delay_alu instid0(VALU_DEP_1) | instskip(SKIP_2) | instid1(VALU_DEP_1)
	v_add_f32_e32 v25, v25, v28
	v_add_f32_e32 v28, v33, v30
	v_sub_f32_e32 v32, v29, v32
	v_sub_f32_e32 v29, v32, v31
	s_delay_alu instid0(VALU_DEP_1) | instskip(NEXT) | instid1(VALU_DEP_4)
	v_add_f32_e32 v25, v29, v25
	v_sub_f32_e32 v29, v28, v33
	s_delay_alu instid0(VALU_DEP_2) | instskip(NEXT) | instid1(VALU_DEP_2)
	v_add_f32_e32 v25, v35, v25
	v_sub_f32_e32 v29, v30, v29
	s_delay_alu instid0(VALU_DEP_2) | instskip(NEXT) | instid1(VALU_DEP_1)
	v_mul_f32_e32 v25, v27, v25
	v_add_f32_e32 v25, v29, v25
	s_delay_alu instid0(VALU_DEP_1) | instskip(NEXT) | instid1(VALU_DEP_1)
	v_add_f32_e32 v27, v28, v25
	v_mul_f32_e32 v29, v27, v27
	s_delay_alu instid0(VALU_DEP_1) | instskip(SKIP_1) | instid1(VALU_DEP_2)
	v_fmaak_f32 v30, s74, v29, 0x3ecc95a3
	v_mul_f32_e32 v31, v27, v29
	v_fmaak_f32 v29, v29, v30, 0x3f2aaada
	v_ldexp_f32 v30, v27, 1
	s_delay_alu instid0(VALU_DEP_2) | instskip(SKIP_1) | instid1(VALU_DEP_2)
	v_mul_f32_e32 v29, v31, v29
	v_sub_f32_e32 v27, v27, v28
	v_dual_mul_f32 v31, 0x3f317218, v24 :: v_dual_add_f32 v28, v30, v29
	s_delay_alu instid0(VALU_DEP_2) | instskip(NEXT) | instid1(VALU_DEP_2)
	v_sub_f32_e32 v25, v25, v27
	v_sub_f32_e32 v27, v28, v30
	s_delay_alu instid0(VALU_DEP_3) | instskip(NEXT) | instid1(VALU_DEP_3)
	v_fma_f32 v30, 0x3f317218, v24, -v31
	v_ldexp_f32 v25, v25, 1
	s_delay_alu instid0(VALU_DEP_2) | instskip(NEXT) | instid1(VALU_DEP_1)
	v_dual_sub_f32 v27, v29, v27 :: v_dual_fmac_f32 v30, 0xb102e308, v24
	v_dual_add_f32 v24, v25, v27 :: v_dual_add_f32 v25, v31, v30
	s_delay_alu instid0(VALU_DEP_1) | instskip(NEXT) | instid1(VALU_DEP_1)
	v_add_f32_e32 v27, v28, v24
	v_dual_add_f32 v29, v25, v27 :: v_dual_sub_f32 v28, v27, v28
	s_delay_alu instid0(VALU_DEP_1) | instskip(NEXT) | instid1(VALU_DEP_2)
	v_sub_f32_e32 v32, v29, v25
	v_dual_sub_f32 v31, v25, v31 :: v_dual_sub_f32 v24, v24, v28
	s_delay_alu instid0(VALU_DEP_1) | instskip(SKIP_1) | instid1(VALU_DEP_2)
	v_dual_sub_f32 v33, v29, v32 :: v_dual_sub_f32 v30, v30, v31
	v_sub_f32_e32 v27, v27, v32
	v_dual_sub_f32 v25, v25, v33 :: v_dual_add_f32 v28, v30, v24
	s_delay_alu instid0(VALU_DEP_1) | instskip(NEXT) | instid1(VALU_DEP_2)
	v_add_f32_e32 v25, v27, v25
	v_sub_f32_e32 v27, v28, v30
	s_delay_alu instid0(VALU_DEP_2) | instskip(NEXT) | instid1(VALU_DEP_2)
	v_add_f32_e32 v25, v28, v25
	v_sub_f32_e32 v28, v28, v27
	s_delay_alu instid0(VALU_DEP_2) | instskip(NEXT) | instid1(VALU_DEP_1)
	v_dual_sub_f32 v24, v24, v27 :: v_dual_add_f32 v31, v29, v25
	v_dual_sub_f32 v28, v30, v28 :: v_dual_sub_f32 v27, v31, v29
	s_delay_alu instid0(VALU_DEP_1) | instskip(NEXT) | instid1(VALU_DEP_1)
	v_dual_add_f32 v24, v24, v28 :: v_dual_sub_f32 v25, v25, v27
	v_add_f32_e32 v24, v24, v25
	s_delay_alu instid0(VALU_DEP_1) | instskip(NEXT) | instid1(VALU_DEP_1)
	v_add_f32_e32 v24, v31, v24
	v_cndmask_b32_e32 v128, v24, v26, vcc_lo
.LBB157_94:                             ;   in Loop: Header=BB157_12 Depth=1
	s_or_b32 exec_lo, exec_lo, s30
	s_waitcnt lgkmcnt(2)
	v_add_f32_e32 v131, s85, v22
	s_delay_alu instid0(VALU_DEP_1) | instskip(SKIP_1) | instid1(SALU_CYCLE_1)
	v_cmp_ge_f32_e32 vcc_lo, 0x41a00000, v131
	s_and_b32 s29, s90, vcc_lo
	s_and_saveexec_b32 s30, s29
	s_cbranch_execz .LBB157_96
; %bb.95:                               ;   in Loop: Header=BB157_12 Depth=1
	v_mul_f32_e32 v22, 0x3fb8aa3b, v131
	v_cmp_ngt_f32_e32 vcc_lo, 0xc2ce8ed0, v131
	s_delay_alu instid0(VALU_DEP_2) | instskip(SKIP_1) | instid1(VALU_DEP_1)
	v_rndne_f32_e32 v24, v22
	v_fma_f32 v25, 0x3fb8aa3b, v131, -v22
	v_dual_sub_f32 v22, v22, v24 :: v_dual_fmac_f32 v25, 0x32a5705f, v131
	v_cvt_i32_f32_e32 v24, v24
	s_delay_alu instid0(VALU_DEP_2) | instskip(NEXT) | instid1(VALU_DEP_1)
	v_add_f32_e32 v22, v22, v25
	v_exp_f32_e32 v22, v22
	s_waitcnt_depctr 0xfff
	v_ldexp_f32 v22, v22, v24
	s_delay_alu instid0(VALU_DEP_1) | instskip(SKIP_1) | instid1(VALU_DEP_2)
	v_cndmask_b32_e32 v22, 0, v22, vcc_lo
	v_cmp_nlt_f32_e32 vcc_lo, 0x42b17218, v131
	v_cndmask_b32_e32 v22, 0x7f800000, v22, vcc_lo
	s_delay_alu instid0(VALU_DEP_1) | instskip(NEXT) | instid1(VALU_DEP_1)
	v_add_f32_e32 v26, 1.0, v22
	v_cvt_f64_f32_e32 v[24:25], v26
	s_delay_alu instid0(VALU_DEP_1) | instskip(SKIP_1) | instid1(VALU_DEP_1)
	v_frexp_exp_i32_f64_e32 v24, v[24:25]
	v_frexp_mant_f32_e32 v25, v26
	v_cmp_gt_f32_e32 vcc_lo, 0x3f2aaaab, v25
	v_add_f32_e32 v25, -1.0, v26
	s_delay_alu instid0(VALU_DEP_1) | instskip(SKIP_1) | instid1(VALU_DEP_1)
	v_dual_sub_f32 v28, v25, v26 :: v_dual_sub_f32 v25, v22, v25
	v_subrev_co_ci_u32_e32 v24, vcc_lo, 0, v24, vcc_lo
	v_sub_nc_u32_e32 v27, 0, v24
	v_cvt_f32_i32_e32 v24, v24
	s_delay_alu instid0(VALU_DEP_2) | instskip(NEXT) | instid1(VALU_DEP_1)
	v_ldexp_f32 v26, v26, v27
	v_dual_add_f32 v28, 1.0, v28 :: v_dual_add_f32 v29, 1.0, v26
	s_delay_alu instid0(VALU_DEP_1) | instskip(NEXT) | instid1(VALU_DEP_1)
	v_add_f32_e32 v25, v25, v28
	v_ldexp_f32 v25, v25, v27
	s_delay_alu instid0(VALU_DEP_3) | instskip(NEXT) | instid1(VALU_DEP_1)
	v_dual_add_f32 v27, -1.0, v26 :: v_dual_add_f32 v28, -1.0, v29
	v_add_f32_e32 v30, 1.0, v27
	s_delay_alu instid0(VALU_DEP_2) | instskip(NEXT) | instid1(VALU_DEP_2)
	v_sub_f32_e32 v28, v26, v28
	v_sub_f32_e32 v26, v26, v30
	s_delay_alu instid0(VALU_DEP_2) | instskip(NEXT) | instid1(VALU_DEP_2)
	v_add_f32_e32 v28, v25, v28
	v_add_f32_e32 v25, v25, v26
	s_delay_alu instid0(VALU_DEP_1) | instskip(SKIP_2) | instid1(VALU_DEP_3)
	v_add_f32_e32 v31, v27, v25
	v_cmp_eq_f32_e32 vcc_lo, 0x7f800000, v22
	v_cmp_gt_f32_e64 s29, 0x33800000, v22
	v_dual_sub_f32 v27, v27, v31 :: v_dual_add_f32 v30, v29, v28
	s_delay_alu instid0(VALU_DEP_2) | instskip(NEXT) | instid1(VALU_DEP_1)
	s_or_b32 vcc_lo, s29, vcc_lo
	v_add_f32_e32 v25, v25, v27
	s_delay_alu instid0(VALU_DEP_2) | instskip(SKIP_1) | instid1(VALU_DEP_1)
	v_rcp_f32_e32 v26, v30
	v_sub_f32_e32 v29, v29, v30
	v_add_f32_e32 v28, v28, v29
	s_waitcnt_depctr 0xfff
	v_mul_f32_e32 v32, v31, v26
	s_delay_alu instid0(VALU_DEP_1) | instskip(NEXT) | instid1(VALU_DEP_1)
	v_mul_f32_e32 v33, v30, v32
	v_fma_f32 v29, v32, v30, -v33
	s_delay_alu instid0(VALU_DEP_1) | instskip(NEXT) | instid1(VALU_DEP_1)
	v_fmac_f32_e32 v29, v32, v28
	v_add_f32_e32 v35, v33, v29
	s_delay_alu instid0(VALU_DEP_1) | instskip(SKIP_1) | instid1(VALU_DEP_2)
	v_sub_f32_e32 v27, v35, v33
	v_sub_f32_e32 v120, v31, v35
	v_sub_f32_e32 v27, v27, v29
	s_delay_alu instid0(VALU_DEP_2) | instskip(NEXT) | instid1(VALU_DEP_1)
	v_sub_f32_e32 v31, v31, v120
	v_sub_f32_e32 v31, v31, v35
	s_delay_alu instid0(VALU_DEP_1) | instskip(NEXT) | instid1(VALU_DEP_1)
	v_add_f32_e32 v25, v25, v31
	v_add_f32_e32 v25, v27, v25
	s_delay_alu instid0(VALU_DEP_1) | instskip(NEXT) | instid1(VALU_DEP_1)
	v_add_f32_e32 v27, v120, v25
	v_mul_f32_e32 v29, v26, v27
	s_delay_alu instid0(VALU_DEP_1) | instskip(SKIP_1) | instid1(VALU_DEP_2)
	v_mul_f32_e32 v31, v30, v29
	v_sub_f32_e32 v35, v120, v27
	v_fma_f32 v30, v29, v30, -v31
	s_delay_alu instid0(VALU_DEP_2) | instskip(NEXT) | instid1(VALU_DEP_2)
	v_add_f32_e32 v25, v25, v35
	v_fmac_f32_e32 v30, v29, v28
	s_delay_alu instid0(VALU_DEP_1) | instskip(NEXT) | instid1(VALU_DEP_1)
	v_add_f32_e32 v28, v31, v30
	v_sub_f32_e32 v33, v27, v28
	v_sub_f32_e32 v31, v28, v31
	s_delay_alu instid0(VALU_DEP_2) | instskip(NEXT) | instid1(VALU_DEP_1)
	v_sub_f32_e32 v27, v27, v33
	v_sub_f32_e32 v27, v27, v28
	s_delay_alu instid0(VALU_DEP_1) | instskip(SKIP_1) | instid1(VALU_DEP_1)
	v_dual_sub_f32 v28, v31, v30 :: v_dual_add_f32 v25, v25, v27
	v_add_f32_e32 v27, v32, v29
	v_dual_add_f32 v25, v28, v25 :: v_dual_sub_f32 v28, v27, v32
	s_delay_alu instid0(VALU_DEP_1) | instskip(NEXT) | instid1(VALU_DEP_1)
	v_add_f32_e32 v25, v33, v25
	v_dual_sub_f32 v28, v29, v28 :: v_dual_mul_f32 v25, v26, v25
	s_delay_alu instid0(VALU_DEP_1) | instskip(NEXT) | instid1(VALU_DEP_1)
	v_add_f32_e32 v25, v28, v25
	v_add_f32_e32 v26, v27, v25
	s_delay_alu instid0(VALU_DEP_1) | instskip(NEXT) | instid1(VALU_DEP_1)
	v_mul_f32_e32 v28, v26, v26
	v_fmaak_f32 v29, s74, v28, 0x3ecc95a3
	v_mul_f32_e32 v30, v26, v28
	s_delay_alu instid0(VALU_DEP_2) | instskip(SKIP_2) | instid1(VALU_DEP_3)
	v_fmaak_f32 v28, v28, v29, 0x3f2aaada
	v_ldexp_f32 v29, v26, 1
	v_sub_f32_e32 v26, v26, v27
	v_mul_f32_e32 v28, v30, v28
	s_delay_alu instid0(VALU_DEP_2) | instskip(NEXT) | instid1(VALU_DEP_2)
	v_dual_mul_f32 v30, 0x3f317218, v24 :: v_dual_sub_f32 v25, v25, v26
	v_add_f32_e32 v27, v29, v28
	s_delay_alu instid0(VALU_DEP_2) | instskip(NEXT) | instid1(VALU_DEP_2)
	v_ldexp_f32 v25, v25, 1
	v_sub_f32_e32 v26, v27, v29
	s_delay_alu instid0(VALU_DEP_4) | instskip(NEXT) | instid1(VALU_DEP_1)
	v_fma_f32 v29, 0x3f317218, v24, -v30
	v_dual_sub_f32 v26, v28, v26 :: v_dual_fmac_f32 v29, 0xb102e308, v24
	s_delay_alu instid0(VALU_DEP_1) | instskip(NEXT) | instid1(VALU_DEP_1)
	v_add_f32_e32 v24, v25, v26
	v_add_f32_e32 v26, v27, v24
	s_delay_alu instid0(VALU_DEP_1) | instskip(NEXT) | instid1(VALU_DEP_1)
	v_sub_f32_e32 v27, v26, v27
	v_dual_sub_f32 v24, v24, v27 :: v_dual_add_f32 v25, v30, v29
	s_delay_alu instid0(VALU_DEP_1) | instskip(NEXT) | instid1(VALU_DEP_1)
	v_add_f32_e32 v28, v25, v26
	v_dual_sub_f32 v30, v25, v30 :: v_dual_sub_f32 v31, v28, v25
	s_delay_alu instid0(VALU_DEP_1) | instskip(NEXT) | instid1(VALU_DEP_1)
	v_dual_sub_f32 v29, v29, v30 :: v_dual_sub_f32 v32, v28, v31
	v_dual_sub_f32 v26, v26, v31 :: v_dual_add_f32 v27, v29, v24
	s_delay_alu instid0(VALU_DEP_2) | instskip(NEXT) | instid1(VALU_DEP_1)
	v_sub_f32_e32 v25, v25, v32
	v_add_f32_e32 v25, v26, v25
	s_delay_alu instid0(VALU_DEP_3) | instskip(NEXT) | instid1(VALU_DEP_2)
	v_sub_f32_e32 v26, v27, v29
	v_add_f32_e32 v25, v27, v25
	s_delay_alu instid0(VALU_DEP_2) | instskip(SKIP_1) | instid1(VALU_DEP_2)
	v_sub_f32_e32 v27, v27, v26
	v_sub_f32_e32 v24, v24, v26
	v_dual_add_f32 v30, v28, v25 :: v_dual_sub_f32 v27, v29, v27
	s_delay_alu instid0(VALU_DEP_1) | instskip(NEXT) | instid1(VALU_DEP_1)
	v_sub_f32_e32 v26, v30, v28
	v_dual_add_f32 v24, v24, v27 :: v_dual_sub_f32 v25, v25, v26
	s_delay_alu instid0(VALU_DEP_1) | instskip(NEXT) | instid1(VALU_DEP_1)
	v_add_f32_e32 v24, v24, v25
	v_add_f32_e32 v24, v30, v24
	s_delay_alu instid0(VALU_DEP_1)
	v_cndmask_b32_e32 v131, v24, v22, vcc_lo
.LBB157_96:                             ;   in Loop: Header=BB157_12 Depth=1
	s_or_b32 exec_lo, exec_lo, s30
	v_add_f32_e32 v137, s85, v23
	s_delay_alu instid0(VALU_DEP_1) | instskip(SKIP_1) | instid1(SALU_CYCLE_1)
	v_cmp_ge_f32_e32 vcc_lo, 0x41a00000, v137
	s_and_b32 s29, s90, vcc_lo
	s_and_saveexec_b32 s30, s29
	s_cbranch_execz .LBB157_98
; %bb.97:                               ;   in Loop: Header=BB157_12 Depth=1
	v_mul_f32_e32 v22, 0x3fb8aa3b, v137
	v_cmp_ngt_f32_e32 vcc_lo, 0xc2ce8ed0, v137
	s_delay_alu instid0(VALU_DEP_2) | instskip(SKIP_1) | instid1(VALU_DEP_2)
	v_rndne_f32_e32 v23, v22
	v_fma_f32 v24, 0x3fb8aa3b, v137, -v22
	v_sub_f32_e32 v22, v22, v23
	s_delay_alu instid0(VALU_DEP_2) | instskip(SKIP_1) | instid1(VALU_DEP_2)
	v_fmac_f32_e32 v24, 0x32a5705f, v137
	v_cvt_i32_f32_e32 v23, v23
	v_add_f32_e32 v22, v22, v24
	s_delay_alu instid0(VALU_DEP_1) | instskip(SKIP_2) | instid1(VALU_DEP_1)
	v_exp_f32_e32 v22, v22
	s_waitcnt_depctr 0xfff
	v_ldexp_f32 v22, v22, v23
	v_cndmask_b32_e32 v22, 0, v22, vcc_lo
	v_cmp_nlt_f32_e32 vcc_lo, 0x42b17218, v137
	s_delay_alu instid0(VALU_DEP_2) | instskip(NEXT) | instid1(VALU_DEP_1)
	v_cndmask_b32_e32 v24, 0x7f800000, v22, vcc_lo
	v_add_f32_e32 v25, 1.0, v24
	s_delay_alu instid0(VALU_DEP_1) | instskip(NEXT) | instid1(VALU_DEP_1)
	v_cvt_f64_f32_e32 v[22:23], v25
	v_frexp_exp_i32_f64_e32 v22, v[22:23]
	v_frexp_mant_f32_e32 v23, v25
	s_delay_alu instid0(VALU_DEP_1) | instskip(SKIP_1) | instid1(VALU_DEP_1)
	v_cmp_gt_f32_e32 vcc_lo, 0x3f2aaaab, v23
	v_add_f32_e32 v23, -1.0, v25
	v_sub_f32_e32 v27, v23, v25
	v_sub_f32_e32 v23, v24, v23
	s_delay_alu instid0(VALU_DEP_2) | instskip(NEXT) | instid1(VALU_DEP_1)
	v_add_f32_e32 v27, 1.0, v27
	v_add_f32_e32 v23, v23, v27
	v_cmp_gt_f32_e64 s29, 0x33800000, v24
	v_subrev_co_ci_u32_e32 v22, vcc_lo, 0, v22, vcc_lo
	v_cmp_eq_f32_e32 vcc_lo, 0x7f800000, v24
	s_delay_alu instid0(VALU_DEP_2) | instskip(SKIP_2) | instid1(VALU_DEP_2)
	v_sub_nc_u32_e32 v26, 0, v22
	v_cvt_f32_i32_e32 v22, v22
	s_or_b32 vcc_lo, s29, vcc_lo
	v_ldexp_f32 v25, v25, v26
	v_ldexp_f32 v23, v23, v26
	s_delay_alu instid0(VALU_DEP_2) | instskip(NEXT) | instid1(VALU_DEP_1)
	v_add_f32_e32 v28, 1.0, v25
	v_dual_add_f32 v26, -1.0, v25 :: v_dual_add_f32 v27, -1.0, v28
	s_delay_alu instid0(VALU_DEP_1) | instskip(NEXT) | instid1(VALU_DEP_2)
	v_add_f32_e32 v29, 1.0, v26
	v_sub_f32_e32 v27, v25, v27
	s_delay_alu instid0(VALU_DEP_2) | instskip(NEXT) | instid1(VALU_DEP_2)
	v_sub_f32_e32 v25, v25, v29
	v_add_f32_e32 v27, v23, v27
	s_delay_alu instid0(VALU_DEP_2) | instskip(NEXT) | instid1(VALU_DEP_1)
	v_add_f32_e32 v23, v23, v25
	v_add_f32_e32 v30, v26, v23
	s_delay_alu instid0(VALU_DEP_1) | instskip(NEXT) | instid1(VALU_DEP_1)
	v_dual_add_f32 v29, v28, v27 :: v_dual_sub_f32 v26, v26, v30
	v_rcp_f32_e32 v25, v29
	v_sub_f32_e32 v28, v28, v29
	s_delay_alu instid0(VALU_DEP_1) | instskip(SKIP_2) | instid1(VALU_DEP_1)
	v_add_f32_e32 v27, v27, v28
	s_waitcnt_depctr 0xfff
	v_mul_f32_e32 v31, v30, v25
	v_mul_f32_e32 v32, v29, v31
	s_delay_alu instid0(VALU_DEP_1) | instskip(NEXT) | instid1(VALU_DEP_1)
	v_fma_f32 v28, v31, v29, -v32
	v_fmac_f32_e32 v28, v31, v27
	s_delay_alu instid0(VALU_DEP_1) | instskip(NEXT) | instid1(VALU_DEP_1)
	v_add_f32_e32 v33, v32, v28
	v_sub_f32_e32 v35, v30, v33
	s_delay_alu instid0(VALU_DEP_1) | instskip(SKIP_1) | instid1(VALU_DEP_2)
	v_dual_sub_f32 v30, v30, v35 :: v_dual_add_f32 v23, v23, v26
	v_sub_f32_e32 v26, v33, v32
	v_sub_f32_e32 v30, v30, v33
	s_delay_alu instid0(VALU_DEP_1) | instskip(NEXT) | instid1(VALU_DEP_1)
	v_dual_sub_f32 v26, v26, v28 :: v_dual_add_f32 v23, v23, v30
	v_add_f32_e32 v23, v26, v23
	s_delay_alu instid0(VALU_DEP_1) | instskip(NEXT) | instid1(VALU_DEP_1)
	v_add_f32_e32 v26, v35, v23
	v_mul_f32_e32 v28, v25, v26
	s_delay_alu instid0(VALU_DEP_1) | instskip(NEXT) | instid1(VALU_DEP_1)
	v_dual_sub_f32 v33, v35, v26 :: v_dual_mul_f32 v30, v29, v28
	v_fma_f32 v29, v28, v29, -v30
	s_delay_alu instid0(VALU_DEP_1) | instskip(NEXT) | instid1(VALU_DEP_1)
	v_fmac_f32_e32 v29, v28, v27
	v_add_f32_e32 v27, v30, v29
	s_delay_alu instid0(VALU_DEP_1) | instskip(NEXT) | instid1(VALU_DEP_1)
	v_sub_f32_e32 v32, v26, v27
	v_dual_sub_f32 v26, v26, v32 :: v_dual_add_f32 v23, v23, v33
	s_delay_alu instid0(VALU_DEP_1) | instskip(NEXT) | instid1(VALU_DEP_1)
	v_sub_f32_e32 v26, v26, v27
	v_add_f32_e32 v23, v23, v26
	v_add_f32_e32 v26, v31, v28
	v_sub_f32_e32 v30, v27, v30
	s_delay_alu instid0(VALU_DEP_1) | instskip(NEXT) | instid1(VALU_DEP_1)
	v_sub_f32_e32 v27, v30, v29
	v_add_f32_e32 v23, v27, v23
	s_delay_alu instid0(VALU_DEP_4) | instskip(NEXT) | instid1(VALU_DEP_2)
	v_sub_f32_e32 v27, v26, v31
	v_add_f32_e32 v23, v32, v23
	s_delay_alu instid0(VALU_DEP_2) | instskip(NEXT) | instid1(VALU_DEP_2)
	v_sub_f32_e32 v27, v28, v27
	v_mul_f32_e32 v23, v25, v23
	s_delay_alu instid0(VALU_DEP_1) | instskip(NEXT) | instid1(VALU_DEP_1)
	v_add_f32_e32 v23, v27, v23
	v_add_f32_e32 v25, v26, v23
	s_delay_alu instid0(VALU_DEP_1) | instskip(NEXT) | instid1(VALU_DEP_1)
	v_mul_f32_e32 v27, v25, v25
	v_fmaak_f32 v28, s74, v27, 0x3ecc95a3
	v_mul_f32_e32 v29, v25, v27
	s_delay_alu instid0(VALU_DEP_2) | instskip(SKIP_1) | instid1(VALU_DEP_2)
	v_fmaak_f32 v27, v27, v28, 0x3f2aaada
	v_ldexp_f32 v28, v25, 1
	v_mul_f32_e32 v27, v29, v27
	v_sub_f32_e32 v25, v25, v26
	s_delay_alu instid0(VALU_DEP_2) | instskip(NEXT) | instid1(VALU_DEP_2)
	v_dual_mul_f32 v29, 0x3f317218, v22 :: v_dual_add_f32 v26, v28, v27
	v_sub_f32_e32 v23, v23, v25
	s_delay_alu instid0(VALU_DEP_2) | instskip(NEXT) | instid1(VALU_DEP_3)
	v_sub_f32_e32 v25, v26, v28
	v_fma_f32 v28, 0x3f317218, v22, -v29
	s_delay_alu instid0(VALU_DEP_3) | instskip(NEXT) | instid1(VALU_DEP_2)
	v_ldexp_f32 v23, v23, 1
	v_dual_sub_f32 v25, v27, v25 :: v_dual_fmac_f32 v28, 0xb102e308, v22
	s_delay_alu instid0(VALU_DEP_1) | instskip(NEXT) | instid1(VALU_DEP_1)
	v_dual_add_f32 v22, v23, v25 :: v_dual_add_f32 v23, v29, v28
	v_add_f32_e32 v25, v26, v22
	s_delay_alu instid0(VALU_DEP_1) | instskip(NEXT) | instid1(VALU_DEP_1)
	v_dual_add_f32 v27, v23, v25 :: v_dual_sub_f32 v26, v25, v26
	v_sub_f32_e32 v30, v27, v23
	s_delay_alu instid0(VALU_DEP_2) | instskip(NEXT) | instid1(VALU_DEP_1)
	v_dual_sub_f32 v29, v23, v29 :: v_dual_sub_f32 v22, v22, v26
	v_dual_sub_f32 v31, v27, v30 :: v_dual_sub_f32 v28, v28, v29
	v_sub_f32_e32 v25, v25, v30
	s_delay_alu instid0(VALU_DEP_2) | instskip(NEXT) | instid1(VALU_DEP_1)
	v_dual_sub_f32 v23, v23, v31 :: v_dual_add_f32 v26, v28, v22
	v_add_f32_e32 v23, v25, v23
	s_delay_alu instid0(VALU_DEP_2) | instskip(NEXT) | instid1(VALU_DEP_2)
	v_sub_f32_e32 v25, v26, v28
	v_add_f32_e32 v23, v26, v23
	s_delay_alu instid0(VALU_DEP_2) | instskip(NEXT) | instid1(VALU_DEP_2)
	v_sub_f32_e32 v26, v26, v25
	v_dual_sub_f32 v22, v22, v25 :: v_dual_add_f32 v29, v27, v23
	s_delay_alu instid0(VALU_DEP_1) | instskip(NEXT) | instid1(VALU_DEP_1)
	v_dual_sub_f32 v26, v28, v26 :: v_dual_sub_f32 v25, v29, v27
	v_dual_add_f32 v22, v22, v26 :: v_dual_sub_f32 v23, v23, v25
	s_delay_alu instid0(VALU_DEP_1) | instskip(NEXT) | instid1(VALU_DEP_1)
	v_add_f32_e32 v22, v22, v23
	v_add_f32_e32 v22, v29, v22
	s_delay_alu instid0(VALU_DEP_1)
	v_cndmask_b32_e32 v137, v22, v24, vcc_lo
.LBB157_98:                             ;   in Loop: Header=BB157_12 Depth=1
	s_or_b32 exec_lo, exec_lo, s30
	s_waitcnt lgkmcnt(1)
	v_add_f32_e32 v139, s85, v20
	s_delay_alu instid0(VALU_DEP_1) | instskip(SKIP_1) | instid1(SALU_CYCLE_1)
	v_cmp_ge_f32_e32 vcc_lo, 0x41a00000, v139
	s_and_b32 s29, s90, vcc_lo
	s_and_saveexec_b32 s30, s29
	s_cbranch_execz .LBB157_100
; %bb.99:                               ;   in Loop: Header=BB157_12 Depth=1
	v_mul_f32_e32 v20, 0x3fb8aa3b, v139
	v_cmp_ngt_f32_e32 vcc_lo, 0xc2ce8ed0, v139
	s_delay_alu instid0(VALU_DEP_2) | instskip(SKIP_1) | instid1(VALU_DEP_1)
	v_rndne_f32_e32 v22, v20
	v_fma_f32 v23, 0x3fb8aa3b, v139, -v20
	v_dual_sub_f32 v20, v20, v22 :: v_dual_fmac_f32 v23, 0x32a5705f, v139
	v_cvt_i32_f32_e32 v22, v22
	s_delay_alu instid0(VALU_DEP_2) | instskip(NEXT) | instid1(VALU_DEP_1)
	v_add_f32_e32 v20, v20, v23
	v_exp_f32_e32 v20, v20
	s_waitcnt_depctr 0xfff
	v_ldexp_f32 v20, v20, v22
	s_delay_alu instid0(VALU_DEP_1) | instskip(SKIP_1) | instid1(VALU_DEP_2)
	v_cndmask_b32_e32 v20, 0, v20, vcc_lo
	v_cmp_nlt_f32_e32 vcc_lo, 0x42b17218, v139
	v_cndmask_b32_e32 v20, 0x7f800000, v20, vcc_lo
	s_delay_alu instid0(VALU_DEP_1) | instskip(NEXT) | instid1(VALU_DEP_1)
	v_add_f32_e32 v24, 1.0, v20
	v_cvt_f64_f32_e32 v[22:23], v24
	s_delay_alu instid0(VALU_DEP_1) | instskip(SKIP_1) | instid1(VALU_DEP_1)
	v_frexp_exp_i32_f64_e32 v22, v[22:23]
	v_frexp_mant_f32_e32 v23, v24
	v_cmp_gt_f32_e32 vcc_lo, 0x3f2aaaab, v23
	v_add_f32_e32 v23, -1.0, v24
	s_delay_alu instid0(VALU_DEP_1) | instskip(SKIP_1) | instid1(VALU_DEP_1)
	v_dual_sub_f32 v26, v23, v24 :: v_dual_sub_f32 v23, v20, v23
	v_subrev_co_ci_u32_e32 v22, vcc_lo, 0, v22, vcc_lo
	v_sub_nc_u32_e32 v25, 0, v22
	v_cvt_f32_i32_e32 v22, v22
	s_delay_alu instid0(VALU_DEP_2) | instskip(NEXT) | instid1(VALU_DEP_1)
	v_ldexp_f32 v24, v24, v25
	v_dual_add_f32 v26, 1.0, v26 :: v_dual_add_f32 v27, 1.0, v24
	s_delay_alu instid0(VALU_DEP_1) | instskip(NEXT) | instid1(VALU_DEP_1)
	v_add_f32_e32 v23, v23, v26
	v_ldexp_f32 v23, v23, v25
	s_delay_alu instid0(VALU_DEP_3) | instskip(NEXT) | instid1(VALU_DEP_1)
	v_dual_add_f32 v25, -1.0, v24 :: v_dual_add_f32 v26, -1.0, v27
	v_add_f32_e32 v28, 1.0, v25
	s_delay_alu instid0(VALU_DEP_2) | instskip(NEXT) | instid1(VALU_DEP_2)
	v_sub_f32_e32 v26, v24, v26
	v_sub_f32_e32 v24, v24, v28
	s_delay_alu instid0(VALU_DEP_2) | instskip(NEXT) | instid1(VALU_DEP_2)
	v_add_f32_e32 v26, v23, v26
	v_add_f32_e32 v23, v23, v24
	s_delay_alu instid0(VALU_DEP_1) | instskip(SKIP_2) | instid1(VALU_DEP_3)
	v_dual_add_f32 v29, v25, v23 :: v_dual_add_f32 v28, v27, v26
	v_cmp_eq_f32_e32 vcc_lo, 0x7f800000, v20
	v_cmp_gt_f32_e64 s29, 0x33800000, v20
	v_sub_f32_e32 v25, v25, v29
	s_delay_alu instid0(VALU_DEP_4) | instskip(SKIP_1) | instid1(VALU_DEP_3)
	v_rcp_f32_e32 v24, v28
	v_sub_f32_e32 v27, v27, v28
	s_or_b32 vcc_lo, s29, vcc_lo
	s_delay_alu instid0(VALU_DEP_1) | instskip(SKIP_2) | instid1(VALU_DEP_1)
	v_dual_add_f32 v23, v23, v25 :: v_dual_add_f32 v26, v26, v27
	s_waitcnt_depctr 0xfff
	v_mul_f32_e32 v30, v29, v24
	v_mul_f32_e32 v31, v28, v30
	s_delay_alu instid0(VALU_DEP_1) | instskip(NEXT) | instid1(VALU_DEP_1)
	v_fma_f32 v27, v30, v28, -v31
	v_fmac_f32_e32 v27, v30, v26
	s_delay_alu instid0(VALU_DEP_1) | instskip(NEXT) | instid1(VALU_DEP_1)
	v_add_f32_e32 v32, v31, v27
	v_sub_f32_e32 v33, v29, v32
	s_delay_alu instid0(VALU_DEP_1) | instskip(NEXT) | instid1(VALU_DEP_1)
	v_sub_f32_e32 v29, v29, v33
	v_sub_f32_e32 v29, v29, v32
	;; [unrolled: 1-line block ×3, first 2 shown]
	s_delay_alu instid0(VALU_DEP_2) | instskip(NEXT) | instid1(VALU_DEP_2)
	v_add_f32_e32 v23, v23, v29
	v_sub_f32_e32 v25, v25, v27
	s_delay_alu instid0(VALU_DEP_1) | instskip(NEXT) | instid1(VALU_DEP_1)
	v_add_f32_e32 v23, v25, v23
	v_add_f32_e32 v25, v33, v23
	s_delay_alu instid0(VALU_DEP_1) | instskip(NEXT) | instid1(VALU_DEP_1)
	v_mul_f32_e32 v27, v24, v25
	v_dual_sub_f32 v32, v33, v25 :: v_dual_mul_f32 v29, v28, v27
	s_delay_alu instid0(VALU_DEP_1) | instskip(NEXT) | instid1(VALU_DEP_2)
	v_add_f32_e32 v23, v23, v32
	v_fma_f32 v28, v27, v28, -v29
	s_delay_alu instid0(VALU_DEP_1) | instskip(NEXT) | instid1(VALU_DEP_1)
	v_fmac_f32_e32 v28, v27, v26
	v_add_f32_e32 v26, v29, v28
	s_delay_alu instid0(VALU_DEP_1) | instskip(NEXT) | instid1(VALU_DEP_1)
	v_sub_f32_e32 v31, v25, v26
	v_sub_f32_e32 v25, v25, v31
	s_delay_alu instid0(VALU_DEP_1) | instskip(NEXT) | instid1(VALU_DEP_1)
	v_sub_f32_e32 v25, v25, v26
	v_add_f32_e32 v23, v23, v25
	v_add_f32_e32 v25, v30, v27
	v_sub_f32_e32 v29, v26, v29
	s_delay_alu instid0(VALU_DEP_1) | instskip(NEXT) | instid1(VALU_DEP_1)
	v_sub_f32_e32 v26, v29, v28
	v_dual_add_f32 v23, v26, v23 :: v_dual_sub_f32 v26, v25, v30
	s_delay_alu instid0(VALU_DEP_1) | instskip(NEXT) | instid1(VALU_DEP_1)
	v_add_f32_e32 v23, v31, v23
	v_dual_sub_f32 v26, v27, v26 :: v_dual_mul_f32 v23, v24, v23
	s_delay_alu instid0(VALU_DEP_1) | instskip(NEXT) | instid1(VALU_DEP_1)
	v_add_f32_e32 v23, v26, v23
	v_add_f32_e32 v24, v25, v23
	s_delay_alu instid0(VALU_DEP_1) | instskip(NEXT) | instid1(VALU_DEP_1)
	v_mul_f32_e32 v26, v24, v24
	v_fmaak_f32 v27, s74, v26, 0x3ecc95a3
	v_mul_f32_e32 v28, v24, v26
	s_delay_alu instid0(VALU_DEP_2) | instskip(SKIP_2) | instid1(VALU_DEP_3)
	v_fmaak_f32 v26, v26, v27, 0x3f2aaada
	v_ldexp_f32 v27, v24, 1
	v_sub_f32_e32 v24, v24, v25
	v_mul_f32_e32 v26, v28, v26
	v_mul_f32_e32 v28, 0x3f317218, v22
	s_delay_alu instid0(VALU_DEP_2) | instskip(NEXT) | instid1(VALU_DEP_1)
	v_add_f32_e32 v25, v27, v26
	v_dual_sub_f32 v23, v23, v24 :: v_dual_sub_f32 v24, v25, v27
	s_delay_alu instid0(VALU_DEP_3) | instskip(NEXT) | instid1(VALU_DEP_2)
	v_fma_f32 v27, 0x3f317218, v22, -v28
	v_ldexp_f32 v23, v23, 1
	s_delay_alu instid0(VALU_DEP_2) | instskip(NEXT) | instid1(VALU_DEP_1)
	v_dual_sub_f32 v24, v26, v24 :: v_dual_fmac_f32 v27, 0xb102e308, v22
	v_dual_add_f32 v22, v23, v24 :: v_dual_add_f32 v23, v28, v27
	s_delay_alu instid0(VALU_DEP_1) | instskip(NEXT) | instid1(VALU_DEP_1)
	v_add_f32_e32 v24, v25, v22
	v_add_f32_e32 v26, v23, v24
	s_delay_alu instid0(VALU_DEP_1) | instskip(NEXT) | instid1(VALU_DEP_1)
	v_sub_f32_e32 v29, v26, v23
	v_sub_f32_e32 v30, v26, v29
	;; [unrolled: 1-line block ×4, first 2 shown]
	s_delay_alu instid0(VALU_DEP_2) | instskip(SKIP_1) | instid1(VALU_DEP_1)
	v_sub_f32_e32 v22, v22, v25
	v_sub_f32_e32 v28, v23, v28
	;; [unrolled: 1-line block ×3, first 2 shown]
	s_delay_alu instid0(VALU_DEP_1) | instskip(SKIP_1) | instid1(VALU_DEP_1)
	v_add_f32_e32 v25, v27, v22
	v_sub_f32_e32 v23, v23, v30
	v_add_f32_e32 v23, v24, v23
	s_delay_alu instid0(VALU_DEP_3) | instskip(NEXT) | instid1(VALU_DEP_1)
	v_sub_f32_e32 v24, v25, v27
	v_dual_sub_f32 v22, v22, v24 :: v_dual_add_f32 v23, v25, v23
	s_delay_alu instid0(VALU_DEP_1) | instskip(NEXT) | instid1(VALU_DEP_1)
	v_dual_sub_f32 v25, v25, v24 :: v_dual_add_f32 v28, v26, v23
	v_dual_sub_f32 v25, v27, v25 :: v_dual_sub_f32 v24, v28, v26
	s_delay_alu instid0(VALU_DEP_1) | instskip(NEXT) | instid1(VALU_DEP_1)
	v_dual_add_f32 v22, v22, v25 :: v_dual_sub_f32 v23, v23, v24
	v_add_f32_e32 v22, v22, v23
	s_delay_alu instid0(VALU_DEP_1) | instskip(NEXT) | instid1(VALU_DEP_1)
	v_add_f32_e32 v22, v28, v22
	v_cndmask_b32_e32 v139, v22, v20, vcc_lo
.LBB157_100:                            ;   in Loop: Header=BB157_12 Depth=1
	s_or_b32 exec_lo, exec_lo, s30
	v_add_f32_e32 v140, s85, v21
	s_delay_alu instid0(VALU_DEP_1) | instskip(SKIP_1) | instid1(SALU_CYCLE_1)
	v_cmp_ge_f32_e32 vcc_lo, 0x41a00000, v140
	s_and_b32 s29, s90, vcc_lo
	s_and_saveexec_b32 s30, s29
	s_cbranch_execz .LBB157_102
; %bb.101:                              ;   in Loop: Header=BB157_12 Depth=1
	v_mul_f32_e32 v20, 0x3fb8aa3b, v140
	v_cmp_ngt_f32_e32 vcc_lo, 0xc2ce8ed0, v140
	s_delay_alu instid0(VALU_DEP_2) | instskip(SKIP_1) | instid1(VALU_DEP_2)
	v_rndne_f32_e32 v21, v20
	v_fma_f32 v22, 0x3fb8aa3b, v140, -v20
	v_sub_f32_e32 v20, v20, v21
	s_delay_alu instid0(VALU_DEP_2) | instskip(SKIP_1) | instid1(VALU_DEP_2)
	v_fmac_f32_e32 v22, 0x32a5705f, v140
	v_cvt_i32_f32_e32 v21, v21
	v_add_f32_e32 v20, v20, v22
	s_delay_alu instid0(VALU_DEP_1) | instskip(SKIP_2) | instid1(VALU_DEP_1)
	v_exp_f32_e32 v20, v20
	s_waitcnt_depctr 0xfff
	v_ldexp_f32 v20, v20, v21
	v_cndmask_b32_e32 v20, 0, v20, vcc_lo
	v_cmp_nlt_f32_e32 vcc_lo, 0x42b17218, v140
	s_delay_alu instid0(VALU_DEP_2) | instskip(NEXT) | instid1(VALU_DEP_1)
	v_cndmask_b32_e32 v22, 0x7f800000, v20, vcc_lo
	v_add_f32_e32 v23, 1.0, v22
	s_delay_alu instid0(VALU_DEP_1) | instskip(NEXT) | instid1(VALU_DEP_1)
	v_cvt_f64_f32_e32 v[20:21], v23
	v_frexp_exp_i32_f64_e32 v20, v[20:21]
	v_frexp_mant_f32_e32 v21, v23
	s_delay_alu instid0(VALU_DEP_1) | instskip(SKIP_1) | instid1(VALU_DEP_1)
	v_cmp_gt_f32_e32 vcc_lo, 0x3f2aaaab, v21
	v_add_f32_e32 v21, -1.0, v23
	v_sub_f32_e32 v25, v21, v23
	v_sub_f32_e32 v21, v22, v21
	s_delay_alu instid0(VALU_DEP_2) | instskip(NEXT) | instid1(VALU_DEP_1)
	v_add_f32_e32 v25, 1.0, v25
	v_add_f32_e32 v21, v21, v25
	v_cmp_gt_f32_e64 s29, 0x33800000, v22
	v_subrev_co_ci_u32_e32 v20, vcc_lo, 0, v20, vcc_lo
	v_cmp_eq_f32_e32 vcc_lo, 0x7f800000, v22
	s_delay_alu instid0(VALU_DEP_2) | instskip(SKIP_2) | instid1(VALU_DEP_2)
	v_sub_nc_u32_e32 v24, 0, v20
	v_cvt_f32_i32_e32 v20, v20
	s_or_b32 vcc_lo, s29, vcc_lo
	v_ldexp_f32 v23, v23, v24
	v_ldexp_f32 v21, v21, v24
	s_delay_alu instid0(VALU_DEP_2) | instskip(NEXT) | instid1(VALU_DEP_1)
	v_add_f32_e32 v26, 1.0, v23
	v_dual_add_f32 v24, -1.0, v23 :: v_dual_add_f32 v25, -1.0, v26
	s_delay_alu instid0(VALU_DEP_1) | instskip(NEXT) | instid1(VALU_DEP_2)
	v_add_f32_e32 v27, 1.0, v24
	v_sub_f32_e32 v25, v23, v25
	s_delay_alu instid0(VALU_DEP_2) | instskip(NEXT) | instid1(VALU_DEP_2)
	v_sub_f32_e32 v23, v23, v27
	v_add_f32_e32 v25, v21, v25
	s_delay_alu instid0(VALU_DEP_2) | instskip(NEXT) | instid1(VALU_DEP_1)
	v_add_f32_e32 v21, v21, v23
	v_add_f32_e32 v28, v24, v21
	s_delay_alu instid0(VALU_DEP_1) | instskip(NEXT) | instid1(VALU_DEP_1)
	v_dual_add_f32 v27, v26, v25 :: v_dual_sub_f32 v24, v24, v28
	v_rcp_f32_e32 v23, v27
	v_sub_f32_e32 v26, v26, v27
	s_delay_alu instid0(VALU_DEP_1) | instskip(SKIP_2) | instid1(VALU_DEP_1)
	v_add_f32_e32 v25, v25, v26
	s_waitcnt_depctr 0xfff
	v_mul_f32_e32 v29, v28, v23
	v_mul_f32_e32 v30, v27, v29
	s_delay_alu instid0(VALU_DEP_1) | instskip(NEXT) | instid1(VALU_DEP_1)
	v_fma_f32 v26, v29, v27, -v30
	v_fmac_f32_e32 v26, v29, v25
	s_delay_alu instid0(VALU_DEP_1) | instskip(NEXT) | instid1(VALU_DEP_1)
	v_add_f32_e32 v31, v30, v26
	v_sub_f32_e32 v32, v28, v31
	s_delay_alu instid0(VALU_DEP_1) | instskip(SKIP_1) | instid1(VALU_DEP_2)
	v_sub_f32_e32 v28, v28, v32
	v_dual_add_f32 v21, v21, v24 :: v_dual_sub_f32 v24, v31, v30
	v_sub_f32_e32 v28, v28, v31
	s_delay_alu instid0(VALU_DEP_1) | instskip(NEXT) | instid1(VALU_DEP_1)
	v_dual_sub_f32 v24, v24, v26 :: v_dual_add_f32 v21, v21, v28
	v_add_f32_e32 v21, v24, v21
	s_delay_alu instid0(VALU_DEP_1) | instskip(NEXT) | instid1(VALU_DEP_1)
	v_add_f32_e32 v24, v32, v21
	v_mul_f32_e32 v26, v23, v24
	s_delay_alu instid0(VALU_DEP_1) | instskip(NEXT) | instid1(VALU_DEP_1)
	v_dual_sub_f32 v31, v32, v24 :: v_dual_mul_f32 v28, v27, v26
	v_add_f32_e32 v21, v21, v31
	s_delay_alu instid0(VALU_DEP_2) | instskip(NEXT) | instid1(VALU_DEP_1)
	v_fma_f32 v27, v26, v27, -v28
	v_fmac_f32_e32 v27, v26, v25
	s_delay_alu instid0(VALU_DEP_1) | instskip(NEXT) | instid1(VALU_DEP_1)
	v_add_f32_e32 v25, v28, v27
	v_sub_f32_e32 v30, v24, v25
	s_delay_alu instid0(VALU_DEP_1) | instskip(NEXT) | instid1(VALU_DEP_1)
	v_sub_f32_e32 v24, v24, v30
	v_sub_f32_e32 v24, v24, v25
	s_delay_alu instid0(VALU_DEP_1) | instskip(SKIP_2) | instid1(VALU_DEP_1)
	v_add_f32_e32 v21, v21, v24
	v_add_f32_e32 v24, v29, v26
	v_sub_f32_e32 v28, v25, v28
	v_sub_f32_e32 v25, v28, v27
	s_delay_alu instid0(VALU_DEP_1) | instskip(NEXT) | instid1(VALU_DEP_4)
	v_add_f32_e32 v21, v25, v21
	v_sub_f32_e32 v25, v24, v29
	s_delay_alu instid0(VALU_DEP_2) | instskip(NEXT) | instid1(VALU_DEP_2)
	v_add_f32_e32 v21, v30, v21
	v_sub_f32_e32 v25, v26, v25
	s_delay_alu instid0(VALU_DEP_2) | instskip(NEXT) | instid1(VALU_DEP_1)
	v_mul_f32_e32 v21, v23, v21
	v_add_f32_e32 v21, v25, v21
	s_delay_alu instid0(VALU_DEP_1) | instskip(NEXT) | instid1(VALU_DEP_1)
	v_add_f32_e32 v23, v24, v21
	v_mul_f32_e32 v25, v23, v23
	s_delay_alu instid0(VALU_DEP_1) | instskip(SKIP_1) | instid1(VALU_DEP_2)
	v_fmaak_f32 v26, s74, v25, 0x3ecc95a3
	v_mul_f32_e32 v27, v23, v25
	v_fmaak_f32 v25, v25, v26, 0x3f2aaada
	v_ldexp_f32 v26, v23, 1
	s_delay_alu instid0(VALU_DEP_2) | instskip(SKIP_1) | instid1(VALU_DEP_2)
	v_mul_f32_e32 v25, v27, v25
	v_sub_f32_e32 v23, v23, v24
	v_dual_mul_f32 v27, 0x3f317218, v20 :: v_dual_add_f32 v24, v26, v25
	s_delay_alu instid0(VALU_DEP_2) | instskip(NEXT) | instid1(VALU_DEP_2)
	v_sub_f32_e32 v21, v21, v23
	v_sub_f32_e32 v23, v24, v26
	s_delay_alu instid0(VALU_DEP_3) | instskip(NEXT) | instid1(VALU_DEP_3)
	v_fma_f32 v26, 0x3f317218, v20, -v27
	v_ldexp_f32 v21, v21, 1
	s_delay_alu instid0(VALU_DEP_2) | instskip(NEXT) | instid1(VALU_DEP_1)
	v_dual_sub_f32 v23, v25, v23 :: v_dual_fmac_f32 v26, 0xb102e308, v20
	v_dual_add_f32 v20, v21, v23 :: v_dual_add_f32 v21, v27, v26
	s_delay_alu instid0(VALU_DEP_1) | instskip(NEXT) | instid1(VALU_DEP_1)
	v_add_f32_e32 v23, v24, v20
	v_dual_add_f32 v25, v21, v23 :: v_dual_sub_f32 v24, v23, v24
	s_delay_alu instid0(VALU_DEP_1) | instskip(NEXT) | instid1(VALU_DEP_2)
	v_sub_f32_e32 v28, v25, v21
	v_dual_sub_f32 v27, v21, v27 :: v_dual_sub_f32 v20, v20, v24
	s_delay_alu instid0(VALU_DEP_1) | instskip(SKIP_1) | instid1(VALU_DEP_2)
	v_dual_sub_f32 v29, v25, v28 :: v_dual_sub_f32 v26, v26, v27
	v_sub_f32_e32 v23, v23, v28
	v_dual_sub_f32 v21, v21, v29 :: v_dual_add_f32 v24, v26, v20
	s_delay_alu instid0(VALU_DEP_1) | instskip(NEXT) | instid1(VALU_DEP_2)
	v_add_f32_e32 v21, v23, v21
	v_sub_f32_e32 v23, v24, v26
	s_delay_alu instid0(VALU_DEP_2) | instskip(NEXT) | instid1(VALU_DEP_2)
	v_add_f32_e32 v21, v24, v21
	v_sub_f32_e32 v24, v24, v23
	s_delay_alu instid0(VALU_DEP_2) | instskip(NEXT) | instid1(VALU_DEP_1)
	v_dual_sub_f32 v20, v20, v23 :: v_dual_add_f32 v27, v25, v21
	v_dual_sub_f32 v24, v26, v24 :: v_dual_sub_f32 v23, v27, v25
	s_delay_alu instid0(VALU_DEP_1) | instskip(NEXT) | instid1(VALU_DEP_1)
	v_dual_add_f32 v20, v20, v24 :: v_dual_sub_f32 v21, v21, v23
	v_add_f32_e32 v20, v20, v21
	s_delay_alu instid0(VALU_DEP_1) | instskip(NEXT) | instid1(VALU_DEP_1)
	v_add_f32_e32 v20, v27, v20
	v_cndmask_b32_e32 v140, v20, v22, vcc_lo
.LBB157_102:                            ;   in Loop: Header=BB157_12 Depth=1
	s_or_b32 exec_lo, exec_lo, s30
	s_waitcnt lgkmcnt(0)
	v_add_f32_e32 v141, s85, v18
	s_delay_alu instid0(VALU_DEP_1) | instskip(SKIP_1) | instid1(SALU_CYCLE_1)
	v_cmp_ge_f32_e32 vcc_lo, 0x41a00000, v141
	s_and_b32 s29, s90, vcc_lo
	s_and_saveexec_b32 s30, s29
	s_cbranch_execz .LBB157_104
; %bb.103:                              ;   in Loop: Header=BB157_12 Depth=1
	v_mul_f32_e32 v18, 0x3fb8aa3b, v141
	v_cmp_ngt_f32_e32 vcc_lo, 0xc2ce8ed0, v141
	s_delay_alu instid0(VALU_DEP_2) | instskip(SKIP_1) | instid1(VALU_DEP_1)
	v_rndne_f32_e32 v20, v18
	v_fma_f32 v21, 0x3fb8aa3b, v141, -v18
	v_dual_sub_f32 v18, v18, v20 :: v_dual_fmac_f32 v21, 0x32a5705f, v141
	v_cvt_i32_f32_e32 v20, v20
	s_delay_alu instid0(VALU_DEP_2) | instskip(NEXT) | instid1(VALU_DEP_1)
	v_add_f32_e32 v18, v18, v21
	v_exp_f32_e32 v18, v18
	s_waitcnt_depctr 0xfff
	v_ldexp_f32 v18, v18, v20
	s_delay_alu instid0(VALU_DEP_1) | instskip(SKIP_1) | instid1(VALU_DEP_2)
	v_cndmask_b32_e32 v18, 0, v18, vcc_lo
	v_cmp_nlt_f32_e32 vcc_lo, 0x42b17218, v141
	v_cndmask_b32_e32 v18, 0x7f800000, v18, vcc_lo
	s_delay_alu instid0(VALU_DEP_1) | instskip(NEXT) | instid1(VALU_DEP_1)
	v_add_f32_e32 v22, 1.0, v18
	v_cvt_f64_f32_e32 v[20:21], v22
	s_delay_alu instid0(VALU_DEP_1) | instskip(SKIP_1) | instid1(VALU_DEP_1)
	v_frexp_exp_i32_f64_e32 v20, v[20:21]
	v_frexp_mant_f32_e32 v21, v22
	v_cmp_gt_f32_e32 vcc_lo, 0x3f2aaaab, v21
	v_add_f32_e32 v21, -1.0, v22
	s_delay_alu instid0(VALU_DEP_1) | instskip(SKIP_1) | instid1(VALU_DEP_1)
	v_dual_sub_f32 v24, v21, v22 :: v_dual_sub_f32 v21, v18, v21
	v_subrev_co_ci_u32_e32 v20, vcc_lo, 0, v20, vcc_lo
	v_sub_nc_u32_e32 v23, 0, v20
	v_cvt_f32_i32_e32 v20, v20
	s_delay_alu instid0(VALU_DEP_2) | instskip(NEXT) | instid1(VALU_DEP_1)
	v_ldexp_f32 v22, v22, v23
	v_dual_add_f32 v24, 1.0, v24 :: v_dual_add_f32 v25, 1.0, v22
	s_delay_alu instid0(VALU_DEP_1) | instskip(NEXT) | instid1(VALU_DEP_1)
	v_add_f32_e32 v21, v21, v24
	v_ldexp_f32 v21, v21, v23
	s_delay_alu instid0(VALU_DEP_3) | instskip(NEXT) | instid1(VALU_DEP_1)
	v_dual_add_f32 v23, -1.0, v22 :: v_dual_add_f32 v24, -1.0, v25
	v_add_f32_e32 v26, 1.0, v23
	s_delay_alu instid0(VALU_DEP_2) | instskip(NEXT) | instid1(VALU_DEP_2)
	v_sub_f32_e32 v24, v22, v24
	v_sub_f32_e32 v22, v22, v26
	s_delay_alu instid0(VALU_DEP_2) | instskip(NEXT) | instid1(VALU_DEP_2)
	v_add_f32_e32 v24, v21, v24
	v_add_f32_e32 v21, v21, v22
	s_delay_alu instid0(VALU_DEP_1) | instskip(SKIP_2) | instid1(VALU_DEP_3)
	v_dual_add_f32 v27, v23, v21 :: v_dual_add_f32 v26, v25, v24
	v_cmp_eq_f32_e32 vcc_lo, 0x7f800000, v18
	v_cmp_gt_f32_e64 s29, 0x33800000, v18
	v_sub_f32_e32 v23, v23, v27
	s_delay_alu instid0(VALU_DEP_4) | instskip(SKIP_1) | instid1(VALU_DEP_3)
	v_rcp_f32_e32 v22, v26
	v_sub_f32_e32 v25, v25, v26
	s_or_b32 vcc_lo, s29, vcc_lo
	s_delay_alu instid0(VALU_DEP_1) | instskip(SKIP_2) | instid1(VALU_DEP_1)
	v_dual_add_f32 v21, v21, v23 :: v_dual_add_f32 v24, v24, v25
	s_waitcnt_depctr 0xfff
	v_mul_f32_e32 v28, v27, v22
	v_mul_f32_e32 v29, v26, v28
	s_delay_alu instid0(VALU_DEP_1) | instskip(NEXT) | instid1(VALU_DEP_1)
	v_fma_f32 v25, v28, v26, -v29
	v_fmac_f32_e32 v25, v28, v24
	s_delay_alu instid0(VALU_DEP_1) | instskip(NEXT) | instid1(VALU_DEP_1)
	v_add_f32_e32 v30, v29, v25
	v_sub_f32_e32 v31, v27, v30
	s_delay_alu instid0(VALU_DEP_1) | instskip(NEXT) | instid1(VALU_DEP_1)
	v_sub_f32_e32 v27, v27, v31
	v_sub_f32_e32 v27, v27, v30
	;; [unrolled: 1-line block ×3, first 2 shown]
	s_delay_alu instid0(VALU_DEP_2) | instskip(NEXT) | instid1(VALU_DEP_2)
	v_add_f32_e32 v21, v21, v27
	v_sub_f32_e32 v23, v23, v25
	s_delay_alu instid0(VALU_DEP_1) | instskip(NEXT) | instid1(VALU_DEP_1)
	v_add_f32_e32 v21, v23, v21
	v_add_f32_e32 v23, v31, v21
	s_delay_alu instid0(VALU_DEP_1) | instskip(NEXT) | instid1(VALU_DEP_1)
	v_mul_f32_e32 v25, v22, v23
	v_dual_sub_f32 v30, v31, v23 :: v_dual_mul_f32 v27, v26, v25
	s_delay_alu instid0(VALU_DEP_1) | instskip(NEXT) | instid1(VALU_DEP_2)
	v_add_f32_e32 v21, v21, v30
	v_fma_f32 v26, v25, v26, -v27
	s_delay_alu instid0(VALU_DEP_1) | instskip(NEXT) | instid1(VALU_DEP_1)
	v_fmac_f32_e32 v26, v25, v24
	v_add_f32_e32 v24, v27, v26
	s_delay_alu instid0(VALU_DEP_1) | instskip(NEXT) | instid1(VALU_DEP_1)
	v_sub_f32_e32 v29, v23, v24
	v_sub_f32_e32 v23, v23, v29
	s_delay_alu instid0(VALU_DEP_1) | instskip(NEXT) | instid1(VALU_DEP_1)
	v_sub_f32_e32 v23, v23, v24
	v_add_f32_e32 v21, v21, v23
	v_add_f32_e32 v23, v28, v25
	v_sub_f32_e32 v27, v24, v27
	s_delay_alu instid0(VALU_DEP_1) | instskip(NEXT) | instid1(VALU_DEP_1)
	v_sub_f32_e32 v24, v27, v26
	v_dual_add_f32 v21, v24, v21 :: v_dual_sub_f32 v24, v23, v28
	s_delay_alu instid0(VALU_DEP_1) | instskip(NEXT) | instid1(VALU_DEP_1)
	v_add_f32_e32 v21, v29, v21
	v_dual_sub_f32 v24, v25, v24 :: v_dual_mul_f32 v21, v22, v21
	s_delay_alu instid0(VALU_DEP_1) | instskip(NEXT) | instid1(VALU_DEP_1)
	v_add_f32_e32 v21, v24, v21
	v_add_f32_e32 v22, v23, v21
	s_delay_alu instid0(VALU_DEP_1) | instskip(NEXT) | instid1(VALU_DEP_1)
	v_mul_f32_e32 v24, v22, v22
	v_fmaak_f32 v25, s74, v24, 0x3ecc95a3
	v_mul_f32_e32 v26, v22, v24
	s_delay_alu instid0(VALU_DEP_2) | instskip(SKIP_2) | instid1(VALU_DEP_3)
	v_fmaak_f32 v24, v24, v25, 0x3f2aaada
	v_ldexp_f32 v25, v22, 1
	v_sub_f32_e32 v22, v22, v23
	v_mul_f32_e32 v24, v26, v24
	v_mul_f32_e32 v26, 0x3f317218, v20
	s_delay_alu instid0(VALU_DEP_2) | instskip(NEXT) | instid1(VALU_DEP_1)
	v_add_f32_e32 v23, v25, v24
	v_dual_sub_f32 v21, v21, v22 :: v_dual_sub_f32 v22, v23, v25
	s_delay_alu instid0(VALU_DEP_3) | instskip(NEXT) | instid1(VALU_DEP_2)
	v_fma_f32 v25, 0x3f317218, v20, -v26
	v_ldexp_f32 v21, v21, 1
	s_delay_alu instid0(VALU_DEP_2) | instskip(NEXT) | instid1(VALU_DEP_1)
	v_dual_sub_f32 v22, v24, v22 :: v_dual_fmac_f32 v25, 0xb102e308, v20
	v_dual_add_f32 v20, v21, v22 :: v_dual_add_f32 v21, v26, v25
	s_delay_alu instid0(VALU_DEP_1) | instskip(NEXT) | instid1(VALU_DEP_1)
	v_add_f32_e32 v22, v23, v20
	v_add_f32_e32 v24, v21, v22
	s_delay_alu instid0(VALU_DEP_1) | instskip(NEXT) | instid1(VALU_DEP_1)
	v_sub_f32_e32 v27, v24, v21
	v_sub_f32_e32 v28, v24, v27
	;; [unrolled: 1-line block ×4, first 2 shown]
	s_delay_alu instid0(VALU_DEP_2) | instskip(SKIP_1) | instid1(VALU_DEP_1)
	v_sub_f32_e32 v20, v20, v23
	v_sub_f32_e32 v26, v21, v26
	;; [unrolled: 1-line block ×3, first 2 shown]
	s_delay_alu instid0(VALU_DEP_1) | instskip(SKIP_1) | instid1(VALU_DEP_1)
	v_add_f32_e32 v23, v25, v20
	v_sub_f32_e32 v21, v21, v28
	v_add_f32_e32 v21, v22, v21
	s_delay_alu instid0(VALU_DEP_3) | instskip(NEXT) | instid1(VALU_DEP_1)
	v_sub_f32_e32 v22, v23, v25
	v_dual_sub_f32 v20, v20, v22 :: v_dual_add_f32 v21, v23, v21
	s_delay_alu instid0(VALU_DEP_1) | instskip(NEXT) | instid1(VALU_DEP_1)
	v_dual_sub_f32 v23, v23, v22 :: v_dual_add_f32 v26, v24, v21
	v_dual_sub_f32 v23, v25, v23 :: v_dual_sub_f32 v22, v26, v24
	s_delay_alu instid0(VALU_DEP_1) | instskip(NEXT) | instid1(VALU_DEP_1)
	v_dual_add_f32 v20, v20, v23 :: v_dual_sub_f32 v21, v21, v22
	v_add_f32_e32 v20, v20, v21
	s_delay_alu instid0(VALU_DEP_1) | instskip(NEXT) | instid1(VALU_DEP_1)
	v_add_f32_e32 v20, v26, v20
	v_cndmask_b32_e32 v141, v20, v18, vcc_lo
.LBB157_104:                            ;   in Loop: Header=BB157_12 Depth=1
	s_or_b32 exec_lo, exec_lo, s30
	v_add_f32_e32 v142, s85, v19
	s_delay_alu instid0(VALU_DEP_1) | instskip(SKIP_1) | instid1(SALU_CYCLE_1)
	v_cmp_ge_f32_e32 vcc_lo, 0x41a00000, v142
	s_and_b32 s29, s90, vcc_lo
	s_and_saveexec_b32 s30, s29
	s_cbranch_execz .LBB157_106
; %bb.105:                              ;   in Loop: Header=BB157_12 Depth=1
	v_mul_f32_e32 v18, 0x3fb8aa3b, v142
	v_cmp_ngt_f32_e32 vcc_lo, 0xc2ce8ed0, v142
	s_delay_alu instid0(VALU_DEP_2) | instskip(SKIP_1) | instid1(VALU_DEP_2)
	v_rndne_f32_e32 v19, v18
	v_fma_f32 v20, 0x3fb8aa3b, v142, -v18
	v_sub_f32_e32 v18, v18, v19
	s_delay_alu instid0(VALU_DEP_2) | instskip(SKIP_1) | instid1(VALU_DEP_2)
	v_fmac_f32_e32 v20, 0x32a5705f, v142
	v_cvt_i32_f32_e32 v19, v19
	v_add_f32_e32 v18, v18, v20
	s_delay_alu instid0(VALU_DEP_1) | instskip(SKIP_2) | instid1(VALU_DEP_1)
	v_exp_f32_e32 v18, v18
	s_waitcnt_depctr 0xfff
	v_ldexp_f32 v18, v18, v19
	v_cndmask_b32_e32 v18, 0, v18, vcc_lo
	v_cmp_nlt_f32_e32 vcc_lo, 0x42b17218, v142
	s_delay_alu instid0(VALU_DEP_2) | instskip(NEXT) | instid1(VALU_DEP_1)
	v_cndmask_b32_e32 v20, 0x7f800000, v18, vcc_lo
	v_add_f32_e32 v21, 1.0, v20
	s_delay_alu instid0(VALU_DEP_1) | instskip(NEXT) | instid1(VALU_DEP_1)
	v_cvt_f64_f32_e32 v[18:19], v21
	v_frexp_exp_i32_f64_e32 v18, v[18:19]
	v_frexp_mant_f32_e32 v19, v21
	s_delay_alu instid0(VALU_DEP_1) | instskip(SKIP_1) | instid1(VALU_DEP_1)
	v_cmp_gt_f32_e32 vcc_lo, 0x3f2aaaab, v19
	v_add_f32_e32 v19, -1.0, v21
	v_sub_f32_e32 v23, v19, v21
	v_sub_f32_e32 v19, v20, v19
	s_delay_alu instid0(VALU_DEP_2) | instskip(NEXT) | instid1(VALU_DEP_1)
	v_add_f32_e32 v23, 1.0, v23
	v_add_f32_e32 v19, v19, v23
	v_cmp_gt_f32_e64 s29, 0x33800000, v20
	v_subrev_co_ci_u32_e32 v18, vcc_lo, 0, v18, vcc_lo
	v_cmp_eq_f32_e32 vcc_lo, 0x7f800000, v20
	s_delay_alu instid0(VALU_DEP_2) | instskip(SKIP_2) | instid1(VALU_DEP_2)
	v_sub_nc_u32_e32 v22, 0, v18
	v_cvt_f32_i32_e32 v18, v18
	s_or_b32 vcc_lo, s29, vcc_lo
	v_ldexp_f32 v21, v21, v22
	v_ldexp_f32 v19, v19, v22
	s_delay_alu instid0(VALU_DEP_2) | instskip(NEXT) | instid1(VALU_DEP_1)
	v_add_f32_e32 v24, 1.0, v21
	v_dual_add_f32 v22, -1.0, v21 :: v_dual_add_f32 v23, -1.0, v24
	s_delay_alu instid0(VALU_DEP_1) | instskip(NEXT) | instid1(VALU_DEP_2)
	v_add_f32_e32 v25, 1.0, v22
	v_sub_f32_e32 v23, v21, v23
	s_delay_alu instid0(VALU_DEP_2) | instskip(NEXT) | instid1(VALU_DEP_2)
	v_sub_f32_e32 v21, v21, v25
	v_add_f32_e32 v23, v19, v23
	s_delay_alu instid0(VALU_DEP_2) | instskip(NEXT) | instid1(VALU_DEP_1)
	v_add_f32_e32 v19, v19, v21
	v_add_f32_e32 v26, v22, v19
	s_delay_alu instid0(VALU_DEP_1) | instskip(NEXT) | instid1(VALU_DEP_1)
	v_dual_add_f32 v25, v24, v23 :: v_dual_sub_f32 v22, v22, v26
	v_rcp_f32_e32 v21, v25
	v_sub_f32_e32 v24, v24, v25
	s_delay_alu instid0(VALU_DEP_1) | instskip(SKIP_2) | instid1(VALU_DEP_1)
	v_add_f32_e32 v23, v23, v24
	s_waitcnt_depctr 0xfff
	v_mul_f32_e32 v27, v26, v21
	v_mul_f32_e32 v28, v25, v27
	s_delay_alu instid0(VALU_DEP_1) | instskip(NEXT) | instid1(VALU_DEP_1)
	v_fma_f32 v24, v27, v25, -v28
	v_fmac_f32_e32 v24, v27, v23
	s_delay_alu instid0(VALU_DEP_1) | instskip(NEXT) | instid1(VALU_DEP_1)
	v_add_f32_e32 v29, v28, v24
	v_sub_f32_e32 v30, v26, v29
	s_delay_alu instid0(VALU_DEP_1) | instskip(SKIP_1) | instid1(VALU_DEP_2)
	v_sub_f32_e32 v26, v26, v30
	v_dual_add_f32 v19, v19, v22 :: v_dual_sub_f32 v22, v29, v28
	v_sub_f32_e32 v26, v26, v29
	s_delay_alu instid0(VALU_DEP_1) | instskip(NEXT) | instid1(VALU_DEP_1)
	v_dual_sub_f32 v22, v22, v24 :: v_dual_add_f32 v19, v19, v26
	v_add_f32_e32 v19, v22, v19
	s_delay_alu instid0(VALU_DEP_1) | instskip(NEXT) | instid1(VALU_DEP_1)
	v_add_f32_e32 v22, v30, v19
	v_mul_f32_e32 v24, v21, v22
	s_delay_alu instid0(VALU_DEP_1) | instskip(NEXT) | instid1(VALU_DEP_1)
	v_dual_sub_f32 v29, v30, v22 :: v_dual_mul_f32 v26, v25, v24
	v_add_f32_e32 v19, v19, v29
	s_delay_alu instid0(VALU_DEP_2) | instskip(NEXT) | instid1(VALU_DEP_1)
	v_fma_f32 v25, v24, v25, -v26
	v_fmac_f32_e32 v25, v24, v23
	s_delay_alu instid0(VALU_DEP_1) | instskip(NEXT) | instid1(VALU_DEP_1)
	v_add_f32_e32 v23, v26, v25
	v_sub_f32_e32 v28, v22, v23
	s_delay_alu instid0(VALU_DEP_1) | instskip(NEXT) | instid1(VALU_DEP_1)
	v_sub_f32_e32 v22, v22, v28
	v_sub_f32_e32 v22, v22, v23
	s_delay_alu instid0(VALU_DEP_1) | instskip(SKIP_2) | instid1(VALU_DEP_1)
	v_add_f32_e32 v19, v19, v22
	v_add_f32_e32 v22, v27, v24
	v_sub_f32_e32 v26, v23, v26
	v_sub_f32_e32 v23, v26, v25
	s_delay_alu instid0(VALU_DEP_1) | instskip(NEXT) | instid1(VALU_DEP_4)
	v_add_f32_e32 v19, v23, v19
	v_sub_f32_e32 v23, v22, v27
	s_delay_alu instid0(VALU_DEP_2) | instskip(NEXT) | instid1(VALU_DEP_2)
	v_add_f32_e32 v19, v28, v19
	v_sub_f32_e32 v23, v24, v23
	s_delay_alu instid0(VALU_DEP_2) | instskip(NEXT) | instid1(VALU_DEP_1)
	v_mul_f32_e32 v19, v21, v19
	v_add_f32_e32 v19, v23, v19
	s_delay_alu instid0(VALU_DEP_1) | instskip(NEXT) | instid1(VALU_DEP_1)
	v_add_f32_e32 v21, v22, v19
	v_mul_f32_e32 v23, v21, v21
	s_delay_alu instid0(VALU_DEP_1) | instskip(SKIP_1) | instid1(VALU_DEP_2)
	v_fmaak_f32 v24, s74, v23, 0x3ecc95a3
	v_mul_f32_e32 v25, v21, v23
	v_fmaak_f32 v23, v23, v24, 0x3f2aaada
	v_ldexp_f32 v24, v21, 1
	s_delay_alu instid0(VALU_DEP_2) | instskip(SKIP_1) | instid1(VALU_DEP_2)
	v_mul_f32_e32 v23, v25, v23
	v_sub_f32_e32 v21, v21, v22
	v_dual_mul_f32 v25, 0x3f317218, v18 :: v_dual_add_f32 v22, v24, v23
	s_delay_alu instid0(VALU_DEP_2) | instskip(NEXT) | instid1(VALU_DEP_2)
	v_sub_f32_e32 v19, v19, v21
	v_sub_f32_e32 v21, v22, v24
	s_delay_alu instid0(VALU_DEP_3) | instskip(NEXT) | instid1(VALU_DEP_3)
	v_fma_f32 v24, 0x3f317218, v18, -v25
	v_ldexp_f32 v19, v19, 1
	s_delay_alu instid0(VALU_DEP_2) | instskip(NEXT) | instid1(VALU_DEP_1)
	v_dual_sub_f32 v21, v23, v21 :: v_dual_fmac_f32 v24, 0xb102e308, v18
	v_dual_add_f32 v18, v19, v21 :: v_dual_add_f32 v19, v25, v24
	s_delay_alu instid0(VALU_DEP_1) | instskip(NEXT) | instid1(VALU_DEP_1)
	v_add_f32_e32 v21, v22, v18
	v_dual_add_f32 v23, v19, v21 :: v_dual_sub_f32 v22, v21, v22
	s_delay_alu instid0(VALU_DEP_1) | instskip(NEXT) | instid1(VALU_DEP_2)
	v_sub_f32_e32 v26, v23, v19
	v_dual_sub_f32 v25, v19, v25 :: v_dual_sub_f32 v18, v18, v22
	s_delay_alu instid0(VALU_DEP_1) | instskip(SKIP_1) | instid1(VALU_DEP_2)
	v_dual_sub_f32 v27, v23, v26 :: v_dual_sub_f32 v24, v24, v25
	v_sub_f32_e32 v21, v21, v26
	v_dual_sub_f32 v19, v19, v27 :: v_dual_add_f32 v22, v24, v18
	s_delay_alu instid0(VALU_DEP_1) | instskip(NEXT) | instid1(VALU_DEP_2)
	v_add_f32_e32 v19, v21, v19
	v_sub_f32_e32 v21, v22, v24
	s_delay_alu instid0(VALU_DEP_2) | instskip(NEXT) | instid1(VALU_DEP_2)
	v_add_f32_e32 v19, v22, v19
	v_sub_f32_e32 v22, v22, v21
	s_delay_alu instid0(VALU_DEP_2) | instskip(NEXT) | instid1(VALU_DEP_1)
	v_dual_sub_f32 v18, v18, v21 :: v_dual_add_f32 v25, v23, v19
	v_dual_sub_f32 v22, v24, v22 :: v_dual_sub_f32 v21, v25, v23
	s_delay_alu instid0(VALU_DEP_1) | instskip(NEXT) | instid1(VALU_DEP_1)
	v_dual_add_f32 v18, v18, v22 :: v_dual_sub_f32 v19, v19, v21
	v_add_f32_e32 v18, v18, v19
	s_delay_alu instid0(VALU_DEP_1) | instskip(NEXT) | instid1(VALU_DEP_1)
	v_add_f32_e32 v18, v25, v18
	v_cndmask_b32_e32 v142, v18, v20, vcc_lo
.LBB157_106:                            ;   in Loop: Header=BB157_12 Depth=1
	s_or_b32 exec_lo, exec_lo, s30
	v_dual_mul_f32 v120, s86, v16 :: v_dual_mul_f32 v121, s86, v15
	v_dual_mul_f32 v122, s86, v14 :: v_dual_mul_f32 v123, s86, v13
	;; [unrolled: 1-line block ×7, first 2 shown]
	v_mul_f32_e32 v138, s86, v2
	v_mul_f32_e32 v124, s86, v17
	s_and_b32 vcc_lo, exec_lo, s91
	s_barrier
	buffer_gl0_inv
	s_cbranch_vccz .LBB157_204
; %bb.107:                              ;   in Loop: Header=BB157_12 Depth=1
	v_dual_mul_f32 v143, v17, v142 :: v_dual_mul_f32 v148, v16, v141
	v_add_co_u32 v17, s29, s79, v34
	s_delay_alu instid0(VALU_DEP_1) | instskip(SKIP_1) | instid1(VALU_DEP_1)
	v_add_co_ci_u32_e64 v18, null, s81, 0, s29
	v_add_co_u32 v19, s29, s82, v34
	v_add_co_ci_u32_e64 v20, null, s83, 0, s29
	s_delay_alu instid0(VALU_DEP_4) | instskip(NEXT) | instid1(VALU_DEP_4)
	v_add_co_u32 v144, vcc_lo, v17, v110
	v_add_co_ci_u32_e32 v145, vcc_lo, 0, v18, vcc_lo
	s_delay_alu instid0(VALU_DEP_4) | instskip(NEXT) | instid1(VALU_DEP_4)
	v_add_co_u32 v146, vcc_lo, v19, v110
	v_add_co_ci_u32_e32 v147, vcc_lo, 0, v20, vcc_lo
	v_cmp_gt_u32_e32 vcc_lo, s41, v36
	s_cmp_lg_u32 s94, 0
	v_cmp_gt_u32_e64 s31, s41, v96
	s_cselect_b32 s55, -1, 0
	s_cmp_eq_u32 s94, s93
	v_cmp_gt_u32_e64 s33, s41, v97
	s_cselect_b32 s62, -1, 0
	s_or_b32 s29, s92, vcc_lo
	v_cmp_gt_u32_e32 vcc_lo, s41, v95
	v_cmp_gt_u32_e64 s34, s41, v98
	v_cmp_gt_u32_e64 s35, s41, v99
	v_cmp_gt_u32_e64 s37, s41, v101
	v_cmp_gt_u32_e64 s38, s41, v102
	s_or_b32 s30, s92, vcc_lo
	v_cmp_gt_u32_e32 vcc_lo, s41, v100
	v_cmp_gt_u32_e64 s39, s41, v103
	v_cmp_gt_u32_e64 s40, s41, v104
	;; [unrolled: 1-line block ×4, first 2 shown]
	s_or_b32 s36, s92, vcc_lo
	v_cmp_gt_u32_e32 vcc_lo, s41, v105
	v_cmp_gt_u32_e64 s44, s41, v108
	v_cmp_gt_u32_e64 s45, s41, v109
	v_dual_mul_f32 v149, v15, v140 :: v_dual_mul_f32 v150, v14, v139
	v_dual_mul_f32 v151, v13, v137 :: v_dual_mul_f32 v152, v12, v131
	;; [unrolled: 1-line block ×7, first 2 shown]
	s_mov_b32 s52, 0
	s_or_b32 s31, s92, s31
	s_or_b32 s33, s92, s33
	;; [unrolled: 1-line block ×8, first 2 shown]
	s_or_b32 s41, s92, vcc_lo
	s_or_b32 s42, s92, s42
	s_or_b32 s43, s92, s43
	;; [unrolled: 1-line block ×4, first 2 shown]
	s_mov_b32 s56, s52
	s_mov_b32 s58, s52
	;; [unrolled: 1-line block ×5, first 2 shown]
	s_branch .LBB157_109
.LBB157_108:                            ;   in Loop: Header=BB157_109 Depth=2
	s_or_b32 exec_lo, exec_lo, s46
	v_cndmask_b32_e64 v18, v184, v23, s12
	v_cndmask_b32_e64 v19, v183, v22, s12
	s_add_i32 s63, s63, -1
	s_add_i32 s64, s64, 8
	s_add_i32 s60, s60, s69
	v_fma_f32 v18, v18, v165, v35
	v_mul_f32_e32 v19, v19, v165
	s_add_i32 s58, s58, s68
	s_add_i32 s56, s56, s80
	;; [unrolled: 1-line block ×3, first 2 shown]
	v_cndmask_b32_e64 v18, v18, v35, s11
	v_cndmask_b32_e64 v19, v19, v165, s11
	s_cmp_eq_u32 s63, 0
	s_waitcnt lgkmcnt(0)
	s_delay_alu instid0(VALU_DEP_1) | instskip(NEXT) | instid1(VALU_DEP_1)
	v_fmac_f32_e32 v18, v20, v19
	v_fmac_f32_e32 v32, v18, v164
	s_delay_alu instid0(VALU_DEP_1) | instskip(NEXT) | instid1(VALU_DEP_1)
	v_fmac_f32_e32 v34, v32, v163
	v_dual_fmac_f32 v136, v17, v32 :: v_dual_fmac_f32 v33, v34, v166
	s_delay_alu instid0(VALU_DEP_1) | instskip(NEXT) | instid1(VALU_DEP_1)
	v_fmac_f32_e32 v30, v33, v167
	v_fmac_f32_e32 v31, v30, v168
	s_delay_alu instid0(VALU_DEP_1) | instskip(NEXT) | instid1(VALU_DEP_1)
	v_dual_fmac_f32 v135, v14, v34 :: v_dual_fmac_f32 v28, v31, v169
	v_fmac_f32_e32 v29, v28, v170
	v_fmac_f32_e32 v133, v12, v30
	s_delay_alu instid0(VALU_DEP_2) | instskip(SKIP_1) | instid1(VALU_DEP_1)
	v_dual_fmac_f32 v138, v16, v18 :: v_dual_fmac_f32 v129, v11, v29
	v_fmac_f32_e32 v26, v29, v171
	v_dual_fmac_f32 v134, v15, v33 :: v_dual_fmac_f32 v127, v8, v26
	v_fmac_f32_e32 v27, v26, v172
	v_fmac_f32_e32 v130, v10, v28
	s_delay_alu instid0(VALU_DEP_2) | instskip(NEXT) | instid1(VALU_DEP_1)
	v_fmac_f32_e32 v24, v27, v173
	v_dual_fmac_f32 v132, v13, v31 :: v_dual_fmac_f32 v125, v6, v24
	v_fmac_f32_e32 v25, v24, v179
	s_delay_alu instid0(VALU_DEP_1) | instskip(NEXT) | instid1(VALU_DEP_1)
	v_dual_fmac_f32 v174, v25, v175 :: v_dual_fmac_f32 v123, v7, v25
	v_fmac_f32_e32 v176, v174, v178
	s_delay_alu instid0(VALU_DEP_1) | instskip(SKIP_1) | instid1(VALU_DEP_1)
	v_dual_fmac_f32 v126, v9, v27 :: v_dual_fmac_f32 v121, v3, v176
	v_dual_fmac_f32 v177, v176, v181 :: v_dual_fmac_f32 v122, v2, v174
	v_fmac_f32_e32 v180, v177, v182
	v_fmac_f32_e32 v120, v4, v177
	s_delay_alu instid0(VALU_DEP_2)
	v_fmac_f32_e32 v124, v5, v180
	s_cbranch_scc1 .LBB157_204
.LBB157_109:                            ;   Parent Loop BB157_12 Depth=1
                                        ; =>  This Inner Loop Header: Depth=2
	s_lshl_b64 s[46:47], s[52:53], 2
	s_mov_b32 s57, s53
	s_add_u32 s46, s76, s46
	s_addc_u32 s47, s78, s47
	v_dual_mov_b32 v4, 0 :: v_dual_mov_b32 v5, 0
	global_load_b32 v163, v1, s[46:47]
	s_lshl_b64 s[46:47], s[56:57], 2
	s_delay_alu instid0(SALU_CYCLE_1)
	v_add_co_u32 v2, vcc_lo, v144, s46
	v_add_co_ci_u32_e32 v3, vcc_lo, s47, v145, vcc_lo
	s_and_saveexec_b32 s46, s13
	s_cbranch_execz .LBB157_111
; %bb.110:                              ;   in Loop: Header=BB157_109 Depth=2
	global_load_b32 v5, v[2:3], off
.LBB157_111:                            ;   in Loop: Header=BB157_109 Depth=2
	s_or_b32 exec_lo, exec_lo, s46
	s_and_saveexec_b32 s46, s14
	s_cbranch_execz .LBB157_113
; %bb.112:                              ;   in Loop: Header=BB157_109 Depth=2
	global_load_b32 v4, v[2:3], off offset:128
.LBB157_113:                            ;   in Loop: Header=BB157_109 Depth=2
	s_or_b32 exec_lo, exec_lo, s46
	v_dual_mov_b32 v6, 0 :: v_dual_mov_b32 v7, 0
	s_and_saveexec_b32 s46, s15
	s_cbranch_execz .LBB157_115
; %bb.114:                              ;   in Loop: Header=BB157_109 Depth=2
	global_load_b32 v7, v[2:3], off offset:256
.LBB157_115:                            ;   in Loop: Header=BB157_109 Depth=2
	s_or_b32 exec_lo, exec_lo, s46
	s_and_saveexec_b32 s46, s16
	s_cbranch_execz .LBB157_117
; %bb.116:                              ;   in Loop: Header=BB157_109 Depth=2
	global_load_b32 v6, v[2:3], off offset:384
.LBB157_117:                            ;   in Loop: Header=BB157_109 Depth=2
	s_or_b32 exec_lo, exec_lo, s46
	v_dual_mov_b32 v8, 0 :: v_dual_mov_b32 v9, 0
	s_and_saveexec_b32 s46, s17
	s_cbranch_execz .LBB157_119
; %bb.118:                              ;   in Loop: Header=BB157_109 Depth=2
	global_load_b32 v9, v[2:3], off offset:512
.LBB157_119:                            ;   in Loop: Header=BB157_109 Depth=2
	;; [unrolled: 13-line block ×7, first 2 shown]
	s_or_b32 exec_lo, exec_lo, s46
	s_and_saveexec_b32 s46, s28
	s_cbranch_execz .LBB157_141
; %bb.140:                              ;   in Loop: Header=BB157_109 Depth=2
	global_load_b32 v18, v[2:3], off offset:1920
.LBB157_141:                            ;   in Loop: Header=BB157_109 Depth=2
	s_or_b32 exec_lo, exec_lo, s46
	s_waitcnt vmcnt(0)
	ds_store_b32 v54, v5
	ds_store_b32 v55, v4 offset:128
	ds_store_b32 v56, v7 offset:256
	;; [unrolled: 1-line block ×15, first 2 shown]
	; wave barrier
	ds_load_2addr_b32 v[34:35], v70 offset1:1
	ds_load_2addr_b32 v[32:33], v70 offset0:2 offset1:3
	ds_load_2addr_b32 v[30:31], v70 offset0:4 offset1:5
	;; [unrolled: 1-line block ×7, first 2 shown]
	s_mov_b32 s59, s53
	v_dual_mov_b32 v4, 0 :: v_dual_mov_b32 v5, 0
	s_lshl_b64 s[46:47], s[58:59], 2
	s_delay_alu instid0(SALU_CYCLE_1)
	v_add_co_u32 v2, vcc_lo, v146, s46
	v_add_co_ci_u32_e32 v3, vcc_lo, s47, v147, vcc_lo
	s_and_saveexec_b32 s46, s13
	s_cbranch_execz .LBB157_143
; %bb.142:                              ;   in Loop: Header=BB157_109 Depth=2
	global_load_b32 v5, v[2:3], off
.LBB157_143:                            ;   in Loop: Header=BB157_109 Depth=2
	s_or_b32 exec_lo, exec_lo, s46
	s_and_saveexec_b32 s46, s14
	s_cbranch_execz .LBB157_145
; %bb.144:                              ;   in Loop: Header=BB157_109 Depth=2
	global_load_b32 v4, v[2:3], off offset:128
.LBB157_145:                            ;   in Loop: Header=BB157_109 Depth=2
	s_or_b32 exec_lo, exec_lo, s46
	v_dual_mov_b32 v6, 0 :: v_dual_mov_b32 v7, 0
	s_and_saveexec_b32 s46, s15
	s_cbranch_execz .LBB157_147
; %bb.146:                              ;   in Loop: Header=BB157_109 Depth=2
	global_load_b32 v7, v[2:3], off offset:256
.LBB157_147:                            ;   in Loop: Header=BB157_109 Depth=2
	s_or_b32 exec_lo, exec_lo, s46
	s_and_saveexec_b32 s46, s16
	s_cbranch_execz .LBB157_149
; %bb.148:                              ;   in Loop: Header=BB157_109 Depth=2
	global_load_b32 v6, v[2:3], off offset:384
.LBB157_149:                            ;   in Loop: Header=BB157_109 Depth=2
	s_or_b32 exec_lo, exec_lo, s46
	v_dual_mov_b32 v8, 0 :: v_dual_mov_b32 v9, 0
	s_and_saveexec_b32 s46, s17
	s_cbranch_execz .LBB157_151
; %bb.150:                              ;   in Loop: Header=BB157_109 Depth=2
	global_load_b32 v9, v[2:3], off offset:512
.LBB157_151:                            ;   in Loop: Header=BB157_109 Depth=2
	;; [unrolled: 13-line block ×7, first 2 shown]
	s_or_b32 exec_lo, exec_lo, s46
	s_and_saveexec_b32 s46, s28
	s_cbranch_execz .LBB157_173
; %bb.172:                              ;   in Loop: Header=BB157_109 Depth=2
	global_load_b32 v18, v[2:3], off offset:1920
.LBB157_173:                            ;   in Loop: Header=BB157_109 Depth=2
	s_or_b32 exec_lo, exec_lo, s46
	s_waitcnt vmcnt(0)
	ds_store_b32 v54, v5 offset:8448
	ds_store_b32 v71, v4 offset:128
	;; [unrolled: 1-line block ×16, first 2 shown]
	v_add_nc_u32_e32 v4, 0x2100, v70
	; wave barrier
	ds_load_2addr_b32 v[14:15], v86 offset0:2 offset1:3
	ds_load_2addr_b32 v[12:13], v86 offset0:4 offset1:5
	;; [unrolled: 1-line block ×6, first 2 shown]
	ds_load_2addr_b32 v[16:17], v4 offset1:1
	ds_load_2addr_b32 v[4:5], v86 offset0:14 offset1:15
	s_and_not1_b32 vcc_lo, exec_lo, s55
	s_cbranch_vccnz .LBB157_175
; %bb.174:                              ;   in Loop: Header=BB157_109 Depth=2
	v_mov_b32_e32 v18, s64
	ds_load_b64 v[18:19], v18
	s_cbranch_execz .LBB157_176
	s_branch .LBB157_179
.LBB157_175:                            ;   in Loop: Header=BB157_109 Depth=2
                                        ; implicit-def: $vgpr18
.LBB157_176:                            ;   in Loop: Header=BB157_109 Depth=2
	s_waitcnt lgkmcnt(0)
	v_mov_b32_e32 v19, 0
	s_and_not1_b32 vcc_lo, exec_lo, s84
	s_cbranch_vccnz .LBB157_178
; %bb.177:                              ;   in Loop: Header=BB157_109 Depth=2
	s_mov_b32 s61, s53
	s_delay_alu instid0(SALU_CYCLE_1) | instskip(NEXT) | instid1(SALU_CYCLE_1)
	s_lshl_b64 s[46:47], s[60:61], 2
	s_add_u32 s46, s87, s46
	s_addc_u32 s47, s88, s47
	global_load_b32 v19, v1, s[46:47]
.LBB157_178:                            ;   in Loop: Header=BB157_109 Depth=2
	v_mov_b32_e32 v18, 1.0
.LBB157_179:                            ;   in Loop: Header=BB157_109 Depth=2
	s_waitcnt lgkmcnt(31)
	v_dual_mul_f32 v177, 0x3fb8aa3b, v163 :: v_dual_mul_f32 v34, v34, v162
	s_waitcnt lgkmcnt(30)
	v_dual_mul_f32 v163, v35, v161 :: v_dual_mul_f32 v164, v32, v160
	;; [unrolled: 2-line block ×3, first 2 shown]
	v_mul_f32_e32 v165, v177, v112
	v_mul_f32_e32 v166, v177, v113
	v_dual_mul_f32 v167, v177, v114 :: v_dual_mul_f32 v28, v28, v156
	v_cndmask_b32_e64 v35, 0, v34, s29
	s_delay_alu instid0(VALU_DEP_4) | instskip(NEXT) | instid1(VALU_DEP_4)
	v_cmp_gt_f32_e64 s46, 0xc2fc0000, v165
	v_cmp_gt_f32_e64 s47, 0xc2fc0000, v166
	s_delay_alu instid0(VALU_DEP_4)
	v_cmp_gt_f32_e64 s48, 0xc2fc0000, v167
	v_cndmask_b32_e64 v34, 0, v164, s31
	v_cndmask_b32_e64 v28, 0, v28, s36
	;; [unrolled: 1-line block ×5, first 2 shown]
	v_cndmask_b32_e64 v169, 1.0, 0x1f800000, s46
	s_delay_alu instid0(VALU_DEP_4) | instskip(NEXT) | instid1(VALU_DEP_4)
	v_dual_mul_f32 v31, v31, v157 :: v_dual_fmac_f32 v166, v177, v112
	v_fmac_f32_e32 v168, v177, v113
	s_delay_alu instid0(VALU_DEP_4) | instskip(SKIP_1) | instid1(VALU_DEP_4)
	v_fmac_f32_e32 v164, v177, v114
	v_cndmask_b32_e64 v170, 1.0, 0x1f800000, s47
	v_cndmask_b32_e64 v31, 0, v31, s35
	v_exp_f32_e32 v166, v166
	v_exp_f32_e32 v168, v168
	v_mul_f32_e32 v167, v177, v116
	v_exp_f32_e32 v172, v164
	v_cndmask_b32_e64 v25, 0, v25, s41
	v_dual_mul_f32 v27, v27, v153 :: v_dual_mul_f32 v30, v30, v158
	v_mul_f32_e32 v24, v24, v152
	v_mul_f32_e32 v26, v26, v154
	;; [unrolled: 1-line block ×3, first 2 shown]
	s_delay_alu instid0(TRANS32_DEP_3) | instskip(NEXT) | instid1(TRANS32_DEP_2)
	v_mul_f32_e32 v164, v166, v169
	v_mul_f32_e32 v166, v168, v170
	v_cndmask_b32_e64 v168, 1.0, 0x1f800000, s48
	v_mul_f32_e32 v32, v177, v111
	v_mul_f32_e32 v170, v177, v118
	v_cndmask_b32_e64 v164, 1.0, v164, s30
	v_cndmask_b32_e64 v30, 0, v30, s34
	v_cndmask_b32_e64 v26, 0, v26, s38
	v_cmp_gt_f32_e32 vcc_lo, 0xc2fc0000, v32
	v_cndmask_b32_e64 v32, 0, v163, s30
	v_mul_f32_e32 v163, v177, v115
	v_cmp_gt_f32_e64 s47, 0xc2fc0000, v170
	v_cndmask_b32_e64 v27, 0, v27, s39
	v_cndmask_b32_e64 v165, 0, 0x42800000, vcc_lo
	v_fma_f32 v179, v164, v35, v32
	v_cmp_gt_f32_e64 s49, 0xc2fc0000, v163
	v_cndmask_b32_e64 v163, 1.0, 0x1f800000, vcc_lo
	v_cmp_gt_f32_e32 vcc_lo, 0xc2fc0000, v167
	v_mul_f32_e32 v167, v172, v168
	v_cndmask_b32_e64 v24, 0, v24, s40
	v_cndmask_b32_e64 v171, 0, 0x42800000, s49
	v_mul_f32_e32 v23, v23, v149
	v_cndmask_b32_e64 v170, 1.0, 0x1f800000, vcc_lo
	v_fmac_f32_e32 v165, v177, v111
	v_cndmask_b32_e64 v169, 0, 0x42800000, vcc_lo
	v_fmac_f32_e32 v171, v177, v115
	s_delay_alu instid0(VALU_DEP_3) | instskip(NEXT) | instid1(VALU_DEP_2)
	v_exp_f32_e32 v165, v165
	v_fmac_f32_e32 v169, v177, v116
	s_delay_alu instid0(VALU_DEP_2) | instskip(SKIP_2) | instid1(VALU_DEP_1)
	v_exp_f32_e32 v168, v171
	s_waitcnt_depctr 0xfff
	v_mul_f32_e32 v163, v165, v163
	v_cndmask_b32_e64 v165, 1.0, v163, s29
	v_cndmask_b32_e64 v163, 1.0, v166, s31
	v_mul_f32_e32 v166, v177, v117
	s_delay_alu instid0(VALU_DEP_1) | instskip(SKIP_3) | instid1(VALU_DEP_4)
	v_cmp_gt_f32_e64 s46, 0xc2fc0000, v166
	v_cndmask_b32_e64 v166, 1.0, v167, s33
	v_cndmask_b32_e64 v167, 1.0, 0x1f800000, s49
	v_mul_f32_e32 v172, v177, v119
	v_cndmask_b32_e64 v171, 0, 0x42800000, s46
	s_delay_alu instid0(VALU_DEP_3) | instskip(SKIP_2) | instid1(VALU_DEP_3)
	v_mul_f32_e32 v167, v168, v167
	v_exp_f32_e32 v168, v169
	v_cndmask_b32_e64 v169, 0, 0x42800000, s47
	v_fmac_f32_e32 v171, v177, v117
	v_cmp_gt_f32_e32 vcc_lo, 0xc2fc0000, v172
	v_cndmask_b32_e64 v167, 1.0, v167, s34
	v_mul_f32_e32 v172, v177, v128
	v_fmac_f32_e32 v169, v177, v118
	v_exp_f32_e32 v171, v171
	s_delay_alu instid0(TRANS32_DEP_2) | instskip(SKIP_1) | instid1(VALU_DEP_3)
	v_mul_f32_e32 v168, v168, v170
	v_cndmask_b32_e64 v170, 1.0, 0x1f800000, s46
	v_exp_f32_e32 v173, v169
	v_cmp_gt_f32_e64 s46, 0xc2fc0000, v172
	v_mul_f32_e32 v172, v177, v137
	v_cndmask_b32_e64 v168, 1.0, v168, s35
	s_delay_alu instid0(TRANS32_DEP_2) | instskip(SKIP_3) | instid1(VALU_DEP_4)
	v_dual_mul_f32 v174, v177, v131 :: v_dual_mul_f32 v169, v171, v170
	v_cndmask_b32_e64 v171, 0, 0x42800000, vcc_lo
	v_cndmask_b32_e64 v170, 1.0, 0x1f800000, s47
	v_cmp_gt_f32_e64 s48, 0xc2fc0000, v172
	v_cmp_gt_f32_e64 s47, 0xc2fc0000, v174
	v_cndmask_b32_e64 v172, 1.0, 0x1f800000, vcc_lo
	v_fmac_f32_e32 v171, v177, v119
	v_mul_f32_e32 v170, v173, v170
	v_cndmask_b32_e64 v173, 0, 0x42800000, s46
	v_cndmask_b32_e64 v174, 0, 0x42800000, s47
	;; [unrolled: 1-line block ×3, first 2 shown]
	v_exp_f32_e32 v171, v171
	v_cndmask_b32_e64 v170, 1.0, v170, s37
	v_fmac_f32_e32 v173, v177, v128
	v_fmac_f32_e32 v174, v177, v131
	v_cndmask_b32_e64 v176, 1.0, 0x1f800000, s47
	v_cndmask_b32_e64 v178, 1.0, 0x1f800000, s48
	;; [unrolled: 1-line block ×3, first 2 shown]
	v_exp_f32_e32 v173, v173
	s_delay_alu instid0(TRANS32_DEP_2) | instskip(SKIP_3) | instid1(VALU_DEP_3)
	v_mul_f32_e32 v171, v171, v172
	v_exp_f32_e32 v172, v174
	v_cndmask_b32_e64 v174, 1.0, 0x1f800000, s46
	v_mul_f32_e32 v33, v33, v159
	v_cndmask_b32_e64 v171, 1.0, v171, s38
	v_fmac_f32_e32 v175, v177, v137
	s_delay_alu instid0(TRANS32_DEP_2) | instid1(VALU_DEP_4)
	v_mul_f32_e32 v173, v173, v174
	v_mul_f32_e32 v174, v177, v139
	s_delay_alu instid0(VALU_DEP_3) | instskip(NEXT) | instid1(TRANS32_DEP_2)
	v_exp_f32_e32 v175, v175
	v_mul_f32_e32 v176, v172, v176
	s_delay_alu instid0(VALU_DEP_2) | instskip(SKIP_2) | instid1(VALU_DEP_4)
	v_cmp_gt_f32_e32 vcc_lo, 0xc2fc0000, v174
	v_cndmask_b32_e64 v172, 1.0, v173, s39
	v_cndmask_b32_e64 v33, 0, v33, s33
	v_cndmask_b32_e64 v173, 1.0, v176, s40
	v_cndmask_b32_e64 v176, 0, 0x42800000, vcc_lo
	s_delay_alu instid0(TRANS32_DEP_1) | instskip(SKIP_1) | instid1(VALU_DEP_3)
	v_dual_mul_f32 v174, v175, v178 :: v_dual_mul_f32 v175, v177, v140
	v_mul_f32_e32 v178, v164, v165
	v_fmac_f32_e32 v176, v177, v139
	s_delay_alu instid0(VALU_DEP_3) | instskip(NEXT) | instid1(VALU_DEP_3)
	v_cmp_gt_f32_e64 s46, 0xc2fc0000, v175
	v_mul_f32_e32 v175, v178, v163
	v_fma_f32 v178, v179, v163, v34
	s_delay_alu instid0(VALU_DEP_4)
	v_exp_f32_e32 v176, v176
	v_cndmask_b32_e64 v179, 1.0, v174, s41
	v_cndmask_b32_e64 v180, 0, 0x42800000, s46
	v_mul_f32_e32 v175, v175, v166
	v_fma_f32 v178, v178, v166, v33
	v_cndmask_b32_e64 v174, 1.0, 0x1f800000, vcc_lo
	v_mul_f32_e32 v29, v29, v155
	s_delay_alu instid0(VALU_DEP_4) | instskip(NEXT) | instid1(VALU_DEP_4)
	v_dual_fmac_f32 v180, v177, v140 :: v_dual_mul_f32 v175, v175, v167
	v_fma_f32 v178, v178, v167, v30
	s_delay_alu instid0(TRANS32_DEP_1) | instid1(VALU_DEP_4)
	v_mul_f32_e32 v176, v176, v174
	v_cndmask_b32_e64 v174, 0, v22, s42
	s_delay_alu instid0(VALU_DEP_4)
	v_exp_f32_e32 v180, v180
	v_mul_f32_e32 v181, v175, v168
	v_fma_f32 v178, v178, v168, v31
	v_mul_f32_e32 v22, v177, v141
	v_cndmask_b32_e64 v182, 1.0, 0x1f800000, s46
	v_cndmask_b32_e64 v175, 1.0, v176, s42
	v_mul_f32_e32 v176, v181, v169
	v_cndmask_b32_e64 v29, 0, v29, s37
	v_fma_f32 v178, v178, v169, v28
	v_cmp_gt_f32_e32 vcc_lo, 0xc2fc0000, v22
	v_mul_f32_e32 v22, v180, v182
	v_mul_f32_e32 v180, v177, v142
	;; [unrolled: 1-line block ×3, first 2 shown]
	v_fma_f32 v178, v178, v170, v29
	v_cndmask_b32_e64 v181, 0, 0x42800000, vcc_lo
	s_delay_alu instid0(VALU_DEP_4) | instskip(NEXT) | instid1(VALU_DEP_4)
	v_cmp_gt_f32_e64 s46, 0xc2fc0000, v180
	v_mul_f32_e32 v180, v176, v171
	s_delay_alu instid0(VALU_DEP_4) | instskip(SKIP_1) | instid1(VALU_DEP_4)
	v_fma_f32 v178, v178, v171, v26
	v_cndmask_b32_e64 v176, 0, v23, s43
	v_cndmask_b32_e64 v23, 0, 0x42800000, s46
	s_delay_alu instid0(VALU_DEP_4) | instskip(NEXT) | instid1(VALU_DEP_4)
	v_mul_f32_e32 v180, v180, v172
	v_fma_f32 v182, v178, v172, v27
	v_cndmask_b32_e64 v178, 1.0, v22, s43
	s_delay_alu instid0(VALU_DEP_3) | instskip(SKIP_2) | instid1(VALU_DEP_3)
	v_mul_f32_e32 v22, v180, v173
	v_fmac_f32_e32 v181, v177, v141
	v_cndmask_b32_e64 v180, 1.0, 0x1f800000, vcc_lo
	v_mul_f32_e32 v22, v22, v179
	s_delay_alu instid0(VALU_DEP_3) | instskip(SKIP_2) | instid1(VALU_DEP_3)
	v_exp_f32_e32 v181, v181
	v_fmac_f32_e32 v23, v177, v142
	v_fma_f32 v177, v182, v173, v24
	v_mul_f32_e32 v22, v22, v175
	s_delay_alu instid0(VALU_DEP_3) | instskip(NEXT) | instid1(VALU_DEP_2)
	v_exp_f32_e32 v23, v23
	v_fma_f32 v182, v177, v179, v25
	v_cndmask_b32_e64 v177, 0, v20, s44
	v_cndmask_b32_e64 v20, 1.0, 0x1f800000, s46
	s_delay_alu instid0(TRANS32_DEP_2) | instskip(SKIP_3) | instid1(VALU_DEP_4)
	v_mul_f32_e32 v180, v181, v180
	v_mul_f32_e32 v21, v21, v143
	v_fma_f32 v182, v182, v175, v174
	v_mul_f32_e32 v22, v22, v178
	v_cndmask_b32_e64 v181, 1.0, v180, s44
	s_delay_alu instid0(TRANS32_DEP_1) | instskip(NEXT) | instid1(VALU_DEP_4)
	v_mul_f32_e32 v20, v23, v20
	v_fma_f32 v23, v182, v178, v176
	v_cndmask_b32_e64 v180, 0, v21, s45
	s_delay_alu instid0(VALU_DEP_3) | instskip(SKIP_1) | instid1(VALU_DEP_4)
	v_cndmask_b32_e64 v182, 1.0, v20, s45
	v_mul_f32_e32 v20, v22, v181
	v_fma_f32 v21, v23, v181, v177
	s_delay_alu instid0(VALU_DEP_2) | instskip(NEXT) | instid1(VALU_DEP_2)
	v_mul_f32_e32 v20, v20, v182
	v_fma_f32 v21, v21, v182, v180
	s_delay_alu instid0(VALU_DEP_2) | instskip(NEXT) | instid1(VALU_DEP_2)
	v_mov_b32_dpp v23, v20 row_shr:1 row_mask:0xf bank_mask:0xf
	v_mov_b32_dpp v22, v21 row_shr:1 row_mask:0xf bank_mask:0xf
	s_and_saveexec_b32 s46, s0
; %bb.180:                              ;   in Loop: Header=BB157_109 Depth=2
	s_delay_alu instid0(VALU_DEP_2) | instskip(NEXT) | instid1(VALU_DEP_1)
	v_mul_f32_e32 v23, v20, v23
	v_dual_fmac_f32 v21, v20, v22 :: v_dual_mov_b32 v20, v23
; %bb.181:                              ;   in Loop: Header=BB157_109 Depth=2
	s_or_b32 exec_lo, exec_lo, s46
	s_delay_alu instid0(VALU_DEP_1) | instskip(NEXT) | instid1(VALU_DEP_2)
	v_mov_b32_dpp v22, v20 row_shr:2 row_mask:0xf bank_mask:0xf
	v_mov_b32_dpp v23, v21 row_shr:2 row_mask:0xf bank_mask:0xf
	s_and_saveexec_b32 s46, s1
; %bb.182:                              ;   in Loop: Header=BB157_109 Depth=2
	s_delay_alu instid0(VALU_DEP_1) | instskip(NEXT) | instid1(VALU_DEP_3)
	v_fmac_f32_e32 v21, v20, v23
	v_mul_f32_e32 v20, v20, v22
; %bb.183:                              ;   in Loop: Header=BB157_109 Depth=2
	s_or_b32 exec_lo, exec_lo, s46
	s_delay_alu instid0(VALU_DEP_1) | instskip(NEXT) | instid1(VALU_DEP_3)
	v_mov_b32_dpp v22, v20 row_shr:4 row_mask:0xf bank_mask:0xf
	v_mov_b32_dpp v23, v21 row_shr:4 row_mask:0xf bank_mask:0xf
	s_and_saveexec_b32 s46, s2
; %bb.184:                              ;   in Loop: Header=BB157_109 Depth=2
	s_delay_alu instid0(VALU_DEP_1) | instskip(NEXT) | instid1(VALU_DEP_3)
	v_fmac_f32_e32 v21, v20, v23
	v_mul_f32_e32 v20, v20, v22
; %bb.185:                              ;   in Loop: Header=BB157_109 Depth=2
	s_or_b32 exec_lo, exec_lo, s46
	s_delay_alu instid0(VALU_DEP_1) | instskip(NEXT) | instid1(VALU_DEP_3)
	v_mov_b32_dpp v22, v20 row_shr:8 row_mask:0xf bank_mask:0xf
	v_mov_b32_dpp v23, v21 row_shr:8 row_mask:0xf bank_mask:0xf
	s_and_saveexec_b32 s46, s3
; %bb.186:                              ;   in Loop: Header=BB157_109 Depth=2
	s_delay_alu instid0(VALU_DEP_1) | instskip(NEXT) | instid1(VALU_DEP_3)
	v_fmac_f32_e32 v21, v20, v23
	v_mul_f32_e32 v20, v20, v22
; %bb.187:                              ;   in Loop: Header=BB157_109 Depth=2
	s_or_b32 exec_lo, exec_lo, s46
	ds_swizzle_b32 v23, v20 offset:swizzle(BROADCAST,32,15)
	ds_swizzle_b32 v22, v21 offset:swizzle(BROADCAST,32,15)
	s_and_saveexec_b32 s46, s4
	s_cbranch_execz .LBB157_189
; %bb.188:                              ;   in Loop: Header=BB157_109 Depth=2
	s_waitcnt lgkmcnt(1)
	v_mul_f32_e32 v23, v20, v23
	s_waitcnt lgkmcnt(0)
	s_delay_alu instid0(VALU_DEP_1)
	v_dual_fmac_f32 v21, v20, v22 :: v_dual_mov_b32 v20, v23
.LBB157_189:                            ;   in Loop: Header=BB157_109 Depth=2
	s_or_b32 exec_lo, exec_lo, s46
	s_and_saveexec_b32 s46, s5
	s_cbranch_execz .LBB157_191
; %bb.190:                              ;   in Loop: Header=BB157_109 Depth=2
	ds_store_b64 v87, v[20:21] offset:16896
.LBB157_191:                            ;   in Loop: Header=BB157_109 Depth=2
	s_or_b32 exec_lo, exec_lo, s46
	s_waitcnt vmcnt(0) lgkmcnt(0)
	s_waitcnt_vscnt null, 0x0
	s_barrier
	buffer_gl0_inv
	s_and_saveexec_b32 s46, s6
	s_cbranch_execz .LBB157_195
; %bb.192:                              ;   in Loop: Header=BB157_109 Depth=2
	ds_load_b64 v[22:23], v88 offset:16896
	s_waitcnt lgkmcnt(0)
	v_mov_b32_dpp v185, v22 row_shr:1 row_mask:0xf bank_mask:0xf
	v_mov_b32_dpp v184, v23 row_shr:1 row_mask:0xf bank_mask:0xf
	v_mov_b32_e32 v183, v22
	s_and_saveexec_b32 s47, s7
; %bb.193:                              ;   in Loop: Header=BB157_109 Depth=2
	s_delay_alu instid0(VALU_DEP_3) | instskip(NEXT) | instid1(VALU_DEP_1)
	v_mul_f32_e32 v183, v22, v185
	v_dual_fmac_f32 v23, v22, v184 :: v_dual_mov_b32 v22, v183
; %bb.194:                              ;   in Loop: Header=BB157_109 Depth=2
	s_or_b32 exec_lo, exec_lo, s47
	v_mov_b32_dpp v183, v183 row_shr:2 row_mask:0xf bank_mask:0xf
	s_delay_alu instid0(VALU_DEP_2) | instskip(NEXT) | instid1(VALU_DEP_2)
	v_mov_b32_dpp v184, v23 row_shr:2 row_mask:0xf bank_mask:0xf
	v_mul_f32_e32 v183, v22, v183
	s_delay_alu instid0(VALU_DEP_2) | instskip(NEXT) | instid1(VALU_DEP_2)
	v_fma_f32 v184, v22, v184, v23
	v_cndmask_b32_e64 v22, v22, v183, s8
	s_delay_alu instid0(VALU_DEP_2)
	v_cndmask_b32_e64 v23, v23, v184, s8
	ds_store_b64 v88, v[22:23] offset:16896
.LBB157_195:                            ;   in Loop: Header=BB157_109 Depth=2
	s_or_b32 exec_lo, exec_lo, s46
	s_waitcnt lgkmcnt(0)
	s_barrier
	buffer_gl0_inv
                                        ; implicit-def: $vgpr23
	s_and_saveexec_b32 s46, s10
	s_cbranch_execz .LBB157_197
; %bb.196:                              ;   in Loop: Header=BB157_109 Depth=2
	ds_load_b64 v[22:23], v87 offset:16888
	s_waitcnt lgkmcnt(0)
	v_mul_f32_e32 v183, v20, v22
	s_delay_alu instid0(VALU_DEP_1)
	v_dual_fmac_f32 v21, v20, v23 :: v_dual_mov_b32 v20, v183
.LBB157_197:                            ;   in Loop: Header=BB157_109 Depth=2
	s_or_b32 exec_lo, exec_lo, s46
	ds_bpermute_b32 v183, v89, v20
	ds_bpermute_b32 v184, v89, v21
	s_and_saveexec_b32 s46, s9
	s_cbranch_execz .LBB157_201
; %bb.198:                              ;   in Loop: Header=BB157_109 Depth=2
	ds_load_b64 v[20:21], v1 offset:16920
	s_and_saveexec_b32 s47, s11
	s_cbranch_execz .LBB157_200
; %bb.199:                              ;   in Loop: Header=BB157_109 Depth=2
	ds_store_b64 v1, v[18:19] offset:16920
.LBB157_200:                            ;   in Loop: Header=BB157_109 Depth=2
	s_or_b32 exec_lo, exec_lo, s47
	s_waitcnt lgkmcnt(0)
	v_fmac_f32_e32 v21, v19, v20
	s_delay_alu instid0(VALU_DEP_1)
	v_dual_mul_f32 v18, v18, v20 :: v_dual_mov_b32 v19, v21
.LBB157_201:                            ;   in Loop: Header=BB157_109 Depth=2
	s_or_b32 exec_lo, exec_lo, s46
	s_waitcnt lgkmcnt(0)
	s_barrier
	buffer_gl0_inv
	ds_load_b32 v20, v1 offset:16924
	s_and_saveexec_b32 s46, s11
	s_cbranch_execz .LBB157_108
; %bb.202:                              ;   in Loop: Header=BB157_109 Depth=2
	v_mov_b32_e32 v21, s64
	s_and_not1_b32 vcc_lo, exec_lo, s62
	ds_store_b64 v21, v[18:19]
	s_cbranch_vccnz .LBB157_108
; %bb.203:                              ;   in Loop: Header=BB157_109 Depth=2
	s_mov_b32 s61, s53
	s_delay_alu instid0(SALU_CYCLE_1) | instskip(NEXT) | instid1(SALU_CYCLE_1)
	s_lshl_b64 s[48:49], s[60:61], 2
	s_add_u32 s48, s87, s48
	s_addc_u32 s49, s88, s49
	global_store_b32 v1, v19, s[48:49]
	s_branch .LBB157_108
.LBB157_204:                            ;   in Loop: Header=BB157_12 Depth=1
	s_waitcnt_vscnt null, 0x0
	s_barrier
	buffer_gl0_inv
	ds_store_2addr_b32 v70, v138, v136 offset1:1
	ds_store_2addr_b32 v70, v135, v134 offset0:2 offset1:3
	ds_store_2addr_b32 v70, v133, v132 offset0:4 offset1:5
	ds_store_2addr_b32 v70, v130, v129 offset0:6 offset1:7
	ds_store_2addr_b32 v70, v127, v126 offset0:8 offset1:9
	ds_store_2addr_b32 v70, v125, v123 offset0:10 offset1:11
	ds_store_2addr_b32 v70, v122, v121 offset0:12 offset1:13
	ds_store_2addr_b32 v70, v120, v124 offset0:14 offset1:15
	; wave barrier
	ds_load_b32 v18, v55 offset:128
	ds_load_b32 v17, v56 offset:256
	;; [unrolled: 1-line block ×15, first 2 shown]
	s_mov_b32 s55, s53
	s_delay_alu instid0(SALU_CYCLE_1) | instskip(NEXT) | instid1(SALU_CYCLE_1)
	s_lshl_b64 s[34:35], s[54:55], 2
	v_add_co_u32 v2, vcc_lo, v0, s34
	v_add_co_ci_u32_e32 v3, vcc_lo, s35, v90, vcc_lo
	s_and_saveexec_b32 s29, s13
	s_cbranch_execnz .LBB157_256
; %bb.205:                              ;   in Loop: Header=BB157_12 Depth=1
	s_or_b32 exec_lo, exec_lo, s29
	s_and_saveexec_b32 s29, s14
	s_cbranch_execnz .LBB157_257
.LBB157_206:                            ;   in Loop: Header=BB157_12 Depth=1
	s_or_b32 exec_lo, exec_lo, s29
	s_and_saveexec_b32 s29, s15
	s_cbranch_execnz .LBB157_258
.LBB157_207:                            ;   in Loop: Header=BB157_12 Depth=1
	s_or_b32 exec_lo, exec_lo, s29
	s_and_saveexec_b32 s29, s16
	s_cbranch_execnz .LBB157_259
.LBB157_208:                            ;   in Loop: Header=BB157_12 Depth=1
	s_or_b32 exec_lo, exec_lo, s29
	s_and_saveexec_b32 s29, s17
	s_cbranch_execnz .LBB157_260
.LBB157_209:                            ;   in Loop: Header=BB157_12 Depth=1
	s_or_b32 exec_lo, exec_lo, s29
	s_and_saveexec_b32 s29, s18
	s_cbranch_execnz .LBB157_261
.LBB157_210:                            ;   in Loop: Header=BB157_12 Depth=1
	s_or_b32 exec_lo, exec_lo, s29
	s_and_saveexec_b32 s29, s19
	s_cbranch_execnz .LBB157_262
.LBB157_211:                            ;   in Loop: Header=BB157_12 Depth=1
	s_or_b32 exec_lo, exec_lo, s29
	s_and_saveexec_b32 s29, s20
	s_cbranch_execnz .LBB157_263
.LBB157_212:                            ;   in Loop: Header=BB157_12 Depth=1
	s_or_b32 exec_lo, exec_lo, s29
	s_and_saveexec_b32 s29, s21
	s_cbranch_execnz .LBB157_264
.LBB157_213:                            ;   in Loop: Header=BB157_12 Depth=1
	s_or_b32 exec_lo, exec_lo, s29
	s_and_saveexec_b32 s29, s22
	s_cbranch_execnz .LBB157_265
.LBB157_214:                            ;   in Loop: Header=BB157_12 Depth=1
	s_or_b32 exec_lo, exec_lo, s29
	s_and_saveexec_b32 s29, s23
	s_cbranch_execnz .LBB157_266
.LBB157_215:                            ;   in Loop: Header=BB157_12 Depth=1
	s_or_b32 exec_lo, exec_lo, s29
	s_and_saveexec_b32 s29, s24
	s_cbranch_execnz .LBB157_267
.LBB157_216:                            ;   in Loop: Header=BB157_12 Depth=1
	s_or_b32 exec_lo, exec_lo, s29
	s_and_saveexec_b32 s29, s25
	s_cbranch_execnz .LBB157_268
.LBB157_217:                            ;   in Loop: Header=BB157_12 Depth=1
	s_or_b32 exec_lo, exec_lo, s29
	s_and_saveexec_b32 s29, s26
	s_cbranch_execnz .LBB157_269
.LBB157_218:                            ;   in Loop: Header=BB157_12 Depth=1
	s_or_b32 exec_lo, exec_lo, s29
	s_and_saveexec_b32 s29, s27
	s_cbranch_execnz .LBB157_270
.LBB157_219:                            ;   in Loop: Header=BB157_12 Depth=1
	s_or_b32 exec_lo, exec_lo, s29
	s_and_saveexec_b32 s29, s28
	s_cbranch_execz .LBB157_221
.LBB157_220:                            ;   in Loop: Header=BB157_12 Depth=1
	s_waitcnt lgkmcnt(0)
	global_store_b32 v[2:3], v4, off offset:1920
.LBB157_221:                            ;   in Loop: Header=BB157_12 Depth=1
	s_or_b32 exec_lo, exec_lo, s29
	s_mov_b32 s52, s53
	s_mov_b32 s54, s53
	;; [unrolled: 1-line block ×15, first 2 shown]
	s_waitcnt lgkmcnt(14)
	v_add_co_u32 v18, vcc_lo, v91, s34
	s_waitcnt lgkmcnt(0)
	v_dual_mov_b32 v2, s52 :: v_dual_mov_b32 v3, s53
	v_add_co_ci_u32_e32 v19, vcc_lo, s35, v92, vcc_lo
	v_dual_mov_b32 v4, s54 :: v_dual_mov_b32 v5, s55
	v_dual_mov_b32 v6, s56 :: v_dual_mov_b32 v7, s57
	v_dual_mov_b32 v8, s58 :: v_dual_mov_b32 v9, s59
	v_dual_mov_b32 v10, s60 :: v_dual_mov_b32 v11, s61
	v_dual_mov_b32 v12, s62 :: v_dual_mov_b32 v13, s63
	v_dual_mov_b32 v14, s64 :: v_dual_mov_b32 v15, s65
	v_dual_mov_b32 v16, s66 :: v_dual_mov_b32 v17, s67
	v_mov_b32_e32 v20, 0
	s_waitcnt_vscnt null, 0x0
	s_barrier
	buffer_gl0_inv
	s_and_saveexec_b32 s29, s13
	s_cbranch_execnz .LBB157_271
; %bb.222:                              ;   in Loop: Header=BB157_12 Depth=1
	s_or_b32 exec_lo, exec_lo, s29
	s_and_saveexec_b32 s29, s14
	s_cbranch_execnz .LBB157_272
.LBB157_223:                            ;   in Loop: Header=BB157_12 Depth=1
	s_or_b32 exec_lo, exec_lo, s29
	s_and_saveexec_b32 s29, s15
	s_cbranch_execnz .LBB157_273
.LBB157_224:                            ;   in Loop: Header=BB157_12 Depth=1
	s_or_b32 exec_lo, exec_lo, s29
	s_and_saveexec_b32 s29, s16
	s_cbranch_execnz .LBB157_274
.LBB157_225:                            ;   in Loop: Header=BB157_12 Depth=1
	s_or_b32 exec_lo, exec_lo, s29
	s_and_saveexec_b32 s29, s17
	s_cbranch_execnz .LBB157_275
.LBB157_226:                            ;   in Loop: Header=BB157_12 Depth=1
	s_or_b32 exec_lo, exec_lo, s29
	s_and_saveexec_b32 s29, s18
	s_cbranch_execnz .LBB157_276
.LBB157_227:                            ;   in Loop: Header=BB157_12 Depth=1
	s_or_b32 exec_lo, exec_lo, s29
	s_and_saveexec_b32 s29, s19
	s_cbranch_execnz .LBB157_277
.LBB157_228:                            ;   in Loop: Header=BB157_12 Depth=1
	s_or_b32 exec_lo, exec_lo, s29
	s_and_saveexec_b32 s29, s20
	s_cbranch_execnz .LBB157_278
.LBB157_229:                            ;   in Loop: Header=BB157_12 Depth=1
	s_or_b32 exec_lo, exec_lo, s29
	s_and_saveexec_b32 s29, s21
	s_cbranch_execnz .LBB157_279
.LBB157_230:                            ;   in Loop: Header=BB157_12 Depth=1
	s_or_b32 exec_lo, exec_lo, s29
	s_and_saveexec_b32 s29, s22
	s_cbranch_execnz .LBB157_280
.LBB157_231:                            ;   in Loop: Header=BB157_12 Depth=1
	s_or_b32 exec_lo, exec_lo, s29
	s_and_saveexec_b32 s29, s23
	s_cbranch_execnz .LBB157_281
.LBB157_232:                            ;   in Loop: Header=BB157_12 Depth=1
	s_or_b32 exec_lo, exec_lo, s29
	s_and_saveexec_b32 s29, s24
	s_cbranch_execnz .LBB157_282
.LBB157_233:                            ;   in Loop: Header=BB157_12 Depth=1
	s_or_b32 exec_lo, exec_lo, s29
	s_and_saveexec_b32 s29, s25
	s_cbranch_execnz .LBB157_283
.LBB157_234:                            ;   in Loop: Header=BB157_12 Depth=1
	s_or_b32 exec_lo, exec_lo, s29
	s_and_saveexec_b32 s29, s26
	s_cbranch_execnz .LBB157_284
.LBB157_235:                            ;   in Loop: Header=BB157_12 Depth=1
	s_or_b32 exec_lo, exec_lo, s29
	s_and_saveexec_b32 s29, s27
	s_cbranch_execnz .LBB157_285
.LBB157_236:                            ;   in Loop: Header=BB157_12 Depth=1
	s_or_b32 exec_lo, exec_lo, s29
	s_and_saveexec_b32 s29, s28
	s_cbranch_execz .LBB157_238
.LBB157_237:                            ;   in Loop: Header=BB157_12 Depth=1
	global_load_b32 v17, v[18:19], off offset:1920
.LBB157_238:                            ;   in Loop: Header=BB157_12 Depth=1
	s_or_b32 exec_lo, exec_lo, s29
	s_waitcnt vmcnt(0)
	ds_store_b32 v54, v20
	ds_store_b32 v55, v3 offset:128
	ds_store_b32 v56, v4 offset:256
	;; [unrolled: 1-line block ×15, first 2 shown]
	; wave barrier
	ds_load_2addr_b32 v[12:13], v70 offset1:1
	ds_load_2addr_b32 v[14:15], v70 offset0:2 offset1:3
	ds_load_2addr_b32 v[16:17], v70 offset0:4 offset1:5
	;; [unrolled: 1-line block ×3, first 2 shown]
	s_waitcnt lgkmcnt(3)
	v_dual_mul_f32 v2, 0xbfb8aa3b, v12 :: v_dual_mul_f32 v19, 0xbfb8aa3b, v13
	s_waitcnt lgkmcnt(2)
	v_dual_mul_f32 v23, 0xbfb8aa3b, v14 :: v_dual_mul_f32 v24, 0xbfb8aa3b, v15
	v_cmp_nlt_f32_e32 vcc_lo, 0x42ce8ed0, v12
	s_delay_alu instid0(VALU_DEP_3) | instskip(SKIP_4) | instid1(VALU_DEP_4)
	v_rndne_f32_e32 v18, v2
	v_fma_f32 v3, 0xbfb8aa3b, v12, -v2
	v_rndne_f32_e32 v20, v19
	v_fma_f32 v21, 0xbfb8aa3b, v13, -v19
	v_fma_f32 v26, 0xbfb8aa3b, v14, -v23
	v_dual_sub_f32 v2, v2, v18 :: v_dual_fmac_f32 v3, 0xb2a5705f, v12
	s_delay_alu instid0(VALU_DEP_4)
	v_sub_f32_e32 v19, v19, v20
	v_cvt_i32_f32_e32 v18, v18
	v_rndne_f32_e32 v27, v24
	s_waitcnt lgkmcnt(1)
	v_dual_mul_f32 v25, 0xbfb8aa3b, v16 :: v_dual_add_f32 v22, v2, v3
	v_cvt_i32_f32_e32 v20, v20
	v_fma_f32 v28, 0xbfb8aa3b, v15, -v24
	v_sub_f32_e32 v24, v24, v27
	v_cvt_i32_f32_e32 v27, v27
	v_exp_f32_e32 v22, v22
	v_cmp_ngt_f32_e64 s29, 0xc2b17218, v14
	v_cmp_ngt_f32_e64 s30, 0xc2b17218, v15
	ds_load_2addr_b32 v[8:9], v70 offset0:8 offset1:9
	ds_load_2addr_b32 v[6:7], v70 offset0:10 offset1:11
	;; [unrolled: 1-line block ×4, first 2 shown]
	s_waitcnt lgkmcnt(0)
	s_barrier
	buffer_gl0_inv
	v_fmac_f32_e32 v26, 0xb2a5705f, v14
	v_ldexp_f32 v18, v22, v18
	v_fmac_f32_e32 v21, 0xb2a5705f, v13
	v_rndne_f32_e32 v22, v25
	v_fmac_f32_e32 v28, 0xb2a5705f, v15
	s_delay_alu instid0(VALU_DEP_3) | instskip(SKIP_2) | instid1(VALU_DEP_3)
	v_dual_cndmask_b32 v18, 0, v18 :: v_dual_add_f32 v19, v19, v21
	v_rndne_f32_e32 v21, v23
	v_cmp_ngt_f32_e32 vcc_lo, 0xc2b17218, v12
	v_exp_f32_e32 v19, v19
	s_delay_alu instid0(VALU_DEP_2)
	v_dual_sub_f32 v23, v23, v21 :: v_dual_cndmask_b32 v18, 0x7f800000, v18
	v_cmp_nlt_f32_e32 vcc_lo, 0x42ce8ed0, v13
	v_cvt_i32_f32_e32 v21, v21
	s_waitcnt_depctr 0xfff
	v_ldexp_f32 v19, v19, v20
	v_add_f32_e32 v20, v23, v26
	v_fma_f32 v26, 0xbfb8aa3b, v16, -v25
	v_sub_f32_e32 v25, v25, v22
	v_dual_add_f32 v18, 1.0, v18 :: v_dual_add_f32 v23, v24, v28
	v_cndmask_b32_e32 v19, 0, v19, vcc_lo
	v_exp_f32_e32 v20, v20
	v_cmp_ngt_f32_e32 vcc_lo, 0xc2b17218, v13
	s_delay_alu instid0(VALU_DEP_3) | instskip(SKIP_3) | instid1(VALU_DEP_3)
	v_div_scale_f32 v24, null, v18, v18, v12
	v_exp_f32_e32 v23, v23
	v_cvt_i32_f32_e32 v22, v22
	v_fmac_f32_e32 v26, 0xb2a5705f, v16
	v_rcp_f32_e32 v28, v24
	s_delay_alu instid0(TRANS32_DEP_3) | instskip(NEXT) | instid1(VALU_DEP_2)
	v_ldexp_f32 v20, v20, v21
	v_add_f32_e32 v25, v25, v26
	s_waitcnt_depctr 0xfff
	v_ldexp_f32 v21, v23, v27
	v_exp_f32_e32 v25, v25
	v_fma_f32 v27, -v24, v28, 1.0
	v_cndmask_b32_e32 v19, 0x7f800000, v19, vcc_lo
	v_cmp_nlt_f32_e32 vcc_lo, 0x42ce8ed0, v14
	s_delay_alu instid0(VALU_DEP_2) | instskip(SKIP_3) | instid1(VALU_DEP_1)
	v_dual_fmac_f32 v28, v27, v28 :: v_dual_add_f32 v19, 1.0, v19
	s_waitcnt_depctr 0xfff
	v_ldexp_f32 v22, v25, v22
	v_div_scale_f32 v29, null, v19, v19, v13
	v_rcp_f32_e32 v23, v29
	s_waitcnt_depctr 0xfff
	v_fma_f32 v27, -v29, v23, 1.0
	v_cndmask_b32_e32 v20, 0, v20, vcc_lo
	v_div_scale_f32 v30, vcc_lo, v12, v18, v12
	s_delay_alu instid0(VALU_DEP_3) | instskip(NEXT) | instid1(VALU_DEP_3)
	v_fmac_f32_e32 v23, v27, v23
	v_cndmask_b32_e64 v20, 0x7f800000, v20, s29
	v_cmp_nlt_f32_e64 s29, 0x42ce8ed0, v15
	s_delay_alu instid0(VALU_DEP_2) | instskip(NEXT) | instid1(VALU_DEP_2)
	v_add_f32_e32 v20, 1.0, v20
	v_cndmask_b32_e64 v21, 0, v21, s29
	v_div_scale_f32 v32, s29, v13, v19, v13
	v_mul_f32_e32 v31, v30, v28
	s_delay_alu instid0(VALU_DEP_4) | instskip(NEXT) | instid1(VALU_DEP_3)
	v_div_scale_f32 v33, null, v20, v20, v14
	v_mul_f32_e32 v34, v32, v23
	v_cndmask_b32_e64 v21, 0x7f800000, v21, s30
	s_delay_alu instid0(VALU_DEP_4) | instskip(NEXT) | instid1(VALU_DEP_4)
	v_fma_f32 v27, -v24, v31, v30
	v_rcp_f32_e32 v26, v33
	s_delay_alu instid0(VALU_DEP_1) | instskip(SKIP_2) | instid1(VALU_DEP_3)
	v_fmac_f32_e32 v31, v27, v28
	v_fma_f32 v27, -v29, v34, v32
	v_add_f32_e32 v21, 1.0, v21
	v_fma_f32 v24, -v24, v31, v30
	s_delay_alu instid0(VALU_DEP_3) | instskip(SKIP_1) | instid1(VALU_DEP_3)
	v_fmac_f32_e32 v34, v27, v23
	v_mul_f32_e32 v30, 0xbfb8aa3b, v17
	v_div_fmas_f32 v24, v24, v28, v31
	s_delay_alu instid0(TRANS32_DEP_1) | instskip(NEXT) | instid1(VALU_DEP_3)
	v_fma_f32 v28, -v33, v26, 1.0
	v_rndne_f32_e32 v25, v30
	v_cmp_nlt_f32_e32 vcc_lo, 0x42ce8ed0, v16
	v_div_scale_f32 v31, s30, v14, v20, v14
	v_div_fixup_f32 v12, v24, v18, v12
	v_div_scale_f32 v18, null, v21, v21, v15
	v_fma_f32 v24, -v29, v34, v32
	s_delay_alu instid0(VALU_DEP_2) | instskip(SKIP_3) | instid1(VALU_DEP_2)
	v_rcp_f32_e32 v29, v18
	v_fmac_f32_e32 v26, v28, v26
	v_fma_f32 v28, 0xbfb8aa3b, v17, -v30
	v_sub_f32_e32 v30, v30, v25
	v_fmac_f32_e32 v28, 0xb2a5705f, v17
	s_delay_alu instid0(VALU_DEP_1) | instskip(SKIP_2) | instid1(VALU_DEP_1)
	v_add_f32_e32 v28, v30, v28
	s_waitcnt_depctr 0xfff
	v_fma_f32 v30, -v18, v29, 1.0
	v_dual_fmac_f32 v29, v30, v29 :: v_dual_cndmask_b32 v22, 0, v22
	s_mov_b32 vcc_lo, s29
	v_mul_f32_e32 v27, v31, v26
	v_div_fmas_f32 v23, v24, v23, v34
	v_cmp_ngt_f32_e32 vcc_lo, 0xc2b17218, v16
	s_delay_alu instid0(VALU_DEP_3) | instskip(NEXT) | instid1(VALU_DEP_3)
	v_fma_f32 v24, -v33, v27, v31
	v_div_fixup_f32 v13, v23, v19, v13
	v_exp_f32_e32 v19, v28
	v_cvt_i32_f32_e32 v23, v25
	v_div_scale_f32 v28, s29, v15, v21, v15
	v_fmac_f32_e32 v27, v24, v26
	v_dual_mul_f32 v24, 0xbfb8aa3b, v10 :: v_dual_mul_f32 v13, v13, v136
	s_delay_alu instid0(VALU_DEP_2)
	v_fma_f32 v31, -v33, v27, v31
	s_waitcnt_depctr 0xfff
	v_ldexp_f32 v19, v19, v23
	v_rndne_f32_e32 v23, v24
	v_fma_f32 v30, 0xbfb8aa3b, v10, -v24
	v_dual_mul_f32 v33, v28, v29 :: v_dual_cndmask_b32 v22, 0x7f800000, v22
	v_cmp_nlt_f32_e32 vcc_lo, 0x42ce8ed0, v17
	s_delay_alu instid0(VALU_DEP_4) | instskip(NEXT) | instid1(VALU_DEP_4)
	v_sub_f32_e32 v24, v24, v23
	v_fmac_f32_e32 v30, 0xb2a5705f, v10
	v_mul_f32_e32 v12, v12, v138
	v_cvt_i32_f32_e32 v23, v23
	v_cndmask_b32_e32 v19, 0, v19, vcc_lo
	v_cmp_ngt_f32_e32 vcc_lo, 0xc2b17218, v17
	v_add_f32_e32 v24, v24, v30
	v_fma_f32 v30, -v18, v33, v28
	s_delay_alu instid0(VALU_DEP_4) | instskip(NEXT) | instid1(VALU_DEP_3)
	v_dual_add_f32 v22, 1.0, v22 :: v_dual_cndmask_b32 v19, 0x7f800000, v19
	v_exp_f32_e32 v24, v24
	s_delay_alu instid0(VALU_DEP_2) | instskip(SKIP_1) | instid1(VALU_DEP_2)
	v_fmac_f32_e32 v33, v30, v29
	s_mov_b32 vcc_lo, s30
	v_div_scale_f32 v25, null, v22, v22, v16
	v_div_fmas_f32 v26, v31, v26, v27
	v_cmp_nlt_f32_e32 vcc_lo, 0x42ce8ed0, v10
	v_add_f32_e32 v19, 1.0, v19
	v_fma_f32 v18, -v18, v33, v28
	v_rcp_f32_e32 v32, v25
	s_delay_alu instid0(TRANS32_DEP_2) | instskip(SKIP_2) | instid1(VALU_DEP_3)
	v_ldexp_f32 v23, v24, v23
	v_div_fixup_f32 v14, v26, v20, v14
	v_div_scale_f32 v31, null, v19, v19, v17
	v_cndmask_b32_e32 v20, 0, v23, vcc_lo
	v_cmp_ngt_f32_e32 vcc_lo, 0xc2b17218, v10
	s_delay_alu instid0(VALU_DEP_3) | instskip(NEXT) | instid1(TRANS32_DEP_2)
	v_rcp_f32_e32 v34, v31
	v_fma_f32 v27, -v25, v32, 1.0
	s_delay_alu instid0(VALU_DEP_3)
	v_cndmask_b32_e32 v20, 0x7f800000, v20, vcc_lo
	s_mov_b32 vcc_lo, s29
	v_div_fmas_f32 v18, v18, v29, v33
	s_waitcnt_depctr 0xfff
	v_fma_f32 v26, -v31, v34, 1.0
	v_div_fixup_f32 v15, v18, v21, v15
	s_delay_alu instid0(VALU_DEP_2) | instskip(SKIP_1) | instid1(VALU_DEP_3)
	v_fmac_f32_e32 v34, v26, v34
	v_div_scale_f32 v26, s29, v17, v19, v17
	v_dual_mul_f32 v15, v15, v134 :: v_dual_add_f32 v20, 1.0, v20
	v_fmac_f32_e32 v32, v27, v32
	v_div_scale_f32 v27, s30, v16, v22, v16
	s_delay_alu instid0(VALU_DEP_1) | instskip(NEXT) | instid1(VALU_DEP_3)
	s_mov_b32 vcc_lo, s30
	v_div_scale_f32 v30, null, v20, v20, v10
	s_delay_alu instid0(VALU_DEP_2) | instskip(NEXT) | instid1(VALU_DEP_2)
	v_mul_f32_e32 v24, v27, v32
	v_rcp_f32_e32 v33, v30
	s_delay_alu instid0(VALU_DEP_1) | instskip(SKIP_3) | instid1(VALU_DEP_2)
	v_fma_f32 v23, -v25, v24, v27
	s_waitcnt_depctr 0xfff
	v_fma_f32 v21, -v30, v33, 1.0
	v_dual_fmac_f32 v24, v23, v32 :: v_dual_mul_f32 v23, 0xbfb8aa3b, v11
	v_fmac_f32_e32 v33, v21, v33
	s_delay_alu instid0(VALU_DEP_2) | instskip(NEXT) | instid1(VALU_DEP_3)
	v_fma_f32 v25, -v25, v24, v27
	v_rndne_f32_e32 v28, v23
	v_fma_f32 v29, 0xbfb8aa3b, v11, -v23
	v_mul_f32_e32 v27, v26, v34
	v_div_scale_f32 v21, s30, v10, v20, v10
	s_delay_alu instid0(VALU_DEP_4) | instskip(NEXT) | instid1(VALU_DEP_4)
	v_sub_f32_e32 v23, v23, v28
	v_fmac_f32_e32 v29, 0xb2a5705f, v11
	v_div_fmas_f32 v24, v25, v32, v24
	v_fma_f32 v25, -v31, v27, v26
	s_mov_b32 vcc_lo, s29
	v_cmp_nlt_f32_e64 s29, 0x42ce8ed0, v9
	v_add_f32_e32 v23, v23, v29
	v_div_fixup_f32 v16, v24, v22, v16
	v_fmac_f32_e32 v27, v25, v34
	v_cvt_i32_f32_e32 v22, v28
	v_mul_f32_e32 v24, 0xbfb8aa3b, v8
	v_exp_f32_e32 v18, v23
	s_delay_alu instid0(VALU_DEP_3) | instskip(NEXT) | instid1(VALU_DEP_2)
	v_fma_f32 v23, -v31, v27, v26
	v_fma_f32 v25, 0xbfb8aa3b, v8, -v24
	s_delay_alu instid0(VALU_DEP_1)
	v_dual_mul_f32 v16, v16, v133 :: v_dual_fmac_f32 v25, 0xb2a5705f, v8
	s_waitcnt_depctr 0xfff
	v_ldexp_f32 v18, v18, v22
	v_div_fmas_f32 v22, v23, v34, v27
	v_mul_f32_e32 v23, v21, v33
	v_cmp_nlt_f32_e32 vcc_lo, 0x42ce8ed0, v11
	s_delay_alu instid0(VALU_DEP_3) | instskip(NEXT) | instid1(VALU_DEP_3)
	v_div_fixup_f32 v17, v22, v19, v17
	v_fma_f32 v19, -v30, v23, v21
	v_rndne_f32_e32 v22, v24
	s_delay_alu instid0(VALU_DEP_3) | instskip(NEXT) | instid1(VALU_DEP_3)
	v_dual_mul_f32 v14, v14, v135 :: v_dual_mul_f32 v17, v17, v132
	v_fmac_f32_e32 v23, v19, v33
	s_delay_alu instid0(VALU_DEP_3) | instskip(SKIP_2) | instid1(VALU_DEP_4)
	v_dual_sub_f32 v19, v24, v22 :: v_dual_mul_f32 v24, 0xbfb8aa3b, v9
	v_cndmask_b32_e32 v18, 0, v18, vcc_lo
	v_cmp_ngt_f32_e32 vcc_lo, 0xc2b17218, v11
	v_fma_f32 v21, -v30, v23, v21
	s_delay_alu instid0(VALU_DEP_4) | instskip(SKIP_3) | instid1(VALU_DEP_4)
	v_add_f32_e32 v19, v19, v25
	v_rndne_f32_e32 v25, v24
	v_fma_f32 v27, 0xbfb8aa3b, v9, -v24
	v_cvt_i32_f32_e32 v22, v22
	v_exp_f32_e32 v19, v19
	s_delay_alu instid0(VALU_DEP_3) | instskip(NEXT) | instid1(VALU_DEP_3)
	v_sub_f32_e32 v24, v24, v25
	v_fmac_f32_e32 v27, 0xb2a5705f, v9
	v_cndmask_b32_e32 v18, 0x7f800000, v18, vcc_lo
	s_mov_b32 vcc_lo, s30
	v_div_fmas_f32 v21, v21, v33, v23
	v_cmp_nlt_f32_e32 vcc_lo, 0x42ce8ed0, v8
	s_waitcnt_depctr 0xfff
	v_ldexp_f32 v19, v19, v22
	v_div_fixup_f32 v10, v21, v20, v10
	s_delay_alu instid0(VALU_DEP_2) | instskip(SKIP_1) | instid1(VALU_DEP_2)
	v_cndmask_b32_e32 v19, 0, v19, vcc_lo
	v_cmp_ngt_f32_e32 vcc_lo, 0xc2b17218, v8
	v_cndmask_b32_e32 v19, 0x7f800000, v19, vcc_lo
	s_delay_alu instid0(VALU_DEP_1) | instskip(NEXT) | instid1(VALU_DEP_1)
	v_dual_mul_f32 v28, 0xbfb8aa3b, v6 :: v_dual_add_f32 v19, 1.0, v19
	v_fma_f32 v31, 0xbfb8aa3b, v6, -v28
	v_rndne_f32_e32 v30, v28
	s_delay_alu instid0(VALU_DEP_2) | instskip(SKIP_1) | instid1(VALU_DEP_3)
	v_fmac_f32_e32 v31, 0xb2a5705f, v6
	v_dual_add_f32 v23, v24, v27 :: v_dual_add_f32 v18, 1.0, v18
	v_sub_f32_e32 v24, v28, v30
	s_delay_alu instid0(VALU_DEP_2) | instskip(NEXT) | instid1(VALU_DEP_2)
	v_exp_f32_e32 v20, v23
	v_div_scale_f32 v26, null, v18, v18, v11
	s_delay_alu instid0(VALU_DEP_2) | instskip(SKIP_1) | instid1(VALU_DEP_3)
	v_add_f32_e32 v22, v24, v31
	v_cvt_i32_f32_e32 v23, v25
	v_rcp_f32_e32 v29, v26
	s_waitcnt_depctr 0xfff
	v_ldexp_f32 v20, v20, v23
	s_delay_alu instid0(VALU_DEP_1) | instskip(SKIP_2) | instid1(VALU_DEP_2)
	v_cndmask_b32_e64 v20, 0, v20, s29
	v_fma_f32 v21, -v26, v29, 1.0
	v_cmp_ngt_f32_e64 s29, 0xc2b17218, v9
	v_fmac_f32_e32 v29, v21, v29
	v_exp_f32_e32 v21, v22
	v_cvt_i32_f32_e32 v22, v30
	v_div_scale_f32 v23, vcc_lo, v11, v18, v11
	v_cndmask_b32_e64 v20, 0x7f800000, v20, s29
	v_cmp_nlt_f32_e64 s29, 0x42ce8ed0, v6
	s_delay_alu instid0(VALU_DEP_3) | instskip(SKIP_4) | instid1(VALU_DEP_3)
	v_mul_f32_e32 v24, v23, v29
	s_waitcnt_depctr 0xfff
	v_ldexp_f32 v21, v21, v22
	v_div_scale_f32 v22, null, v19, v19, v8
	v_fma_f32 v27, -v26, v24, v23
	v_cndmask_b32_e64 v21, 0, v21, s29
	s_delay_alu instid0(VALU_DEP_3) | instskip(SKIP_1) | instid1(VALU_DEP_3)
	v_rcp_f32_e32 v25, v22
	v_cmp_ngt_f32_e64 s29, 0xc2b17218, v6
	v_fmac_f32_e32 v24, v27, v29
	s_delay_alu instid0(VALU_DEP_2) | instskip(NEXT) | instid1(VALU_DEP_2)
	v_cndmask_b32_e64 v21, 0x7f800000, v21, s29
	v_fma_f32 v23, -v26, v24, v23
	s_waitcnt_depctr 0xfff
	v_fma_f32 v27, -v22, v25, 1.0
	v_dual_add_f32 v20, 1.0, v20 :: v_dual_add_f32 v21, 1.0, v21
	v_div_fmas_f32 v23, v23, v29, v24
	v_cmp_nlt_f32_e32 vcc_lo, 0x42ce8ed0, v7
	s_delay_alu instid0(VALU_DEP_4) | instskip(NEXT) | instid1(VALU_DEP_4)
	v_fmac_f32_e32 v25, v27, v25
	v_div_scale_f32 v28, null, v20, v20, v9
	v_div_scale_f32 v31, null, v21, v21, v6
	v_div_fixup_f32 v11, v23, v18, v11
	s_delay_alu instid0(VALU_DEP_3) | instskip(SKIP_1) | instid1(VALU_DEP_3)
	v_rcp_f32_e32 v30, v28
	v_div_scale_f32 v27, s29, v8, v19, v8
	v_rcp_f32_e32 v33, v31
	s_delay_alu instid0(VALU_DEP_2) | instskip(NEXT) | instid1(VALU_DEP_2)
	v_mul_f32_e32 v11, v11, v129
	v_mul_f32_e32 v26, v27, v25
	s_waitcnt_depctr 0xfff
	v_fma_f32 v111, -v28, v30, 1.0
	v_fma_f32 v24, -v22, v26, v27
	v_fma_f32 v112, -v31, v33, 1.0
	s_delay_alu instid0(VALU_DEP_3) | instskip(SKIP_1) | instid1(VALU_DEP_3)
	v_fmac_f32_e32 v30, v111, v30
	v_div_scale_f32 v111, s30, v9, v20, v9
	v_dual_fmac_f32 v33, v112, v33 :: v_dual_mul_f32 v32, 0xbfb8aa3b, v7
	s_delay_alu instid0(VALU_DEP_2) | instskip(NEXT) | instid1(VALU_DEP_2)
	v_dual_fmac_f32 v26, v24, v25 :: v_dual_mul_f32 v29, v111, v30
	v_rndne_f32_e32 v34, v32
	v_fma_f32 v35, 0xbfb8aa3b, v7, -v32
	v_mul_f32_e32 v10, v10, v130
	s_delay_alu instid0(VALU_DEP_4) | instskip(SKIP_1) | instid1(VALU_DEP_4)
	v_fma_f32 v23, -v28, v29, v111
	v_fma_f32 v22, -v22, v26, v27
	v_dual_sub_f32 v32, v32, v34 :: v_dual_fmac_f32 v35, 0xb2a5705f, v7
	v_cvt_i32_f32_e32 v18, v34
	s_delay_alu instid0(VALU_DEP_2) | instskip(SKIP_1) | instid1(VALU_DEP_2)
	v_dual_fmac_f32 v29, v23, v30 :: v_dual_add_f32 v32, v32, v35
	v_div_scale_f32 v35, s31, v6, v21, v6
	v_exp_f32_e32 v32, v32
	s_delay_alu instid0(VALU_DEP_1) | instskip(NEXT) | instid1(VALU_DEP_1)
	v_mul_f32_e32 v24, v35, v33
	v_fma_f32 v23, -v31, v24, v35
	s_waitcnt_depctr 0xfff
	v_ldexp_f32 v18, v32, v18
	v_dual_fmac_f32 v24, v23, v33 :: v_dual_mul_f32 v23, 0xbfb8aa3b, v4
	s_delay_alu instid0(VALU_DEP_2) | instskip(SKIP_1) | instid1(VALU_DEP_2)
	v_cndmask_b32_e32 v18, 0, v18, vcc_lo
	s_mov_b32 vcc_lo, s29
	v_rndne_f32_e32 v27, v23
	v_div_fmas_f32 v22, v22, v25, v26
	v_cmp_ngt_f32_e32 vcc_lo, 0xc2b17218, v7
	v_fma_f32 v25, -v28, v29, v111
	v_fma_f32 v26, -v31, v24, v35
	v_fma_f32 v28, 0xbfb8aa3b, v4, -v23
	v_dual_sub_f32 v23, v23, v27 :: v_dual_cndmask_b32 v18, 0x7f800000, v18
	s_mov_b32 vcc_lo, s30
	v_div_fixup_f32 v8, v22, v19, v8
	v_div_fmas_f32 v25, v25, v30, v29
	s_mov_b32 vcc_lo, s31
	v_fmac_f32_e32 v28, 0xb2a5705f, v4
	v_div_fmas_f32 v24, v26, v33, v24
	v_cvt_i32_f32_e32 v27, v27
	v_div_fixup_f32 v9, v25, v20, v9
	v_cmp_nlt_f32_e32 vcc_lo, 0x42ce8ed0, v4
	s_delay_alu instid0(VALU_DEP_4) | instskip(SKIP_1) | instid1(VALU_DEP_4)
	v_div_fixup_f32 v6, v24, v21, v6
	v_dual_mul_f32 v21, 0xbfb8aa3b, v5 :: v_dual_mul_f32 v24, 0xbfb8aa3b, v2
	v_mul_f32_e32 v9, v9, v126
	s_delay_alu instid0(VALU_DEP_2) | instskip(NEXT) | instid1(VALU_DEP_3)
	v_rndne_f32_e32 v22, v21
	v_fma_f32 v29, 0xbfb8aa3b, v2, -v24
	v_add_f32_e32 v20, v23, v28
	v_fma_f32 v23, 0xbfb8aa3b, v5, -v21
	v_rndne_f32_e32 v28, v24
	v_sub_f32_e32 v21, v21, v22
	v_fmac_f32_e32 v29, 0xb2a5705f, v2
	v_exp_f32_e32 v20, v20
	v_fmac_f32_e32 v23, 0xb2a5705f, v5
	v_cvt_i32_f32_e32 v22, v22
	s_delay_alu instid0(VALU_DEP_2)
	v_add_f32_e32 v21, v21, v23
	v_dual_sub_f32 v23, v24, v28 :: v_dual_add_f32 v18, 1.0, v18
	s_waitcnt_depctr 0xfff
	v_ldexp_f32 v20, v20, v27
	v_exp_f32_e32 v21, v21
	v_add_f32_e32 v23, v23, v29
	v_div_scale_f32 v26, null, v18, v18, v7
	s_delay_alu instid0(VALU_DEP_2) | instskip(NEXT) | instid1(VALU_DEP_1)
	v_exp_f32_e32 v23, v23
	v_rcp_f32_e32 v19, v26
	s_delay_alu instid0(TRANS32_DEP_3) | instskip(SKIP_4) | instid1(VALU_DEP_3)
	v_ldexp_f32 v21, v21, v22
	s_waitcnt_depctr 0xfff
	v_fma_f32 v25, -v26, v19, 1.0
	v_cndmask_b32_e32 v20, 0, v20, vcc_lo
	v_cmp_ngt_f32_e32 vcc_lo, 0xc2b17218, v4
	v_fmac_f32_e32 v19, v25, v19
	v_cvt_i32_f32_e32 v25, v28
	s_delay_alu instid0(VALU_DEP_4) | instskip(SKIP_2) | instid1(VALU_DEP_4)
	v_cndmask_b32_e32 v20, 0x7f800000, v20, vcc_lo
	v_cmp_nlt_f32_e32 vcc_lo, 0x42ce8ed0, v5
	v_mul_f32_e32 v30, 0xbfb8aa3b, v3
	v_ldexp_f32 v23, v23, v25
	v_cndmask_b32_e32 v21, 0, v21, vcc_lo
	s_delay_alu instid0(VALU_DEP_3)
	v_rndne_f32_e32 v24, v30
	v_fma_f32 v27, 0xbfb8aa3b, v3, -v30
	v_mul_f32_e32 v8, v8, v127
	v_mul_f32_e32 v6, v6, v125
	v_cmp_nlt_f32_e32 vcc_lo, 0x42ce8ed0, v2
	v_sub_f32_e32 v29, v30, v24
	v_fmac_f32_e32 v27, 0xb2a5705f, v3
	v_cvt_i32_f32_e32 v24, v24
	s_delay_alu instid0(VALU_DEP_2) | instskip(NEXT) | instid1(VALU_DEP_1)
	v_add_f32_e32 v27, v29, v27
	v_exp_f32_e32 v22, v27
	s_waitcnt_depctr 0xfff
	v_ldexp_f32 v22, v22, v24
	v_cndmask_b32_e32 v23, 0, v23, vcc_lo
	v_cmp_ngt_f32_e32 vcc_lo, 0xc2b17218, v5
	v_cndmask_b32_e32 v21, 0x7f800000, v21, vcc_lo
	v_cmp_ngt_f32_e32 vcc_lo, 0xc2b17218, v2
	s_delay_alu instid0(VALU_DEP_2) | instskip(SKIP_2) | instid1(VALU_DEP_3)
	v_dual_add_f32 v21, 1.0, v21 :: v_dual_add_f32 v20, 1.0, v20
	v_cndmask_b32_e32 v23, 0x7f800000, v23, vcc_lo
	v_cmp_nlt_f32_e32 vcc_lo, 0x42ce8ed0, v3
	v_div_scale_f32 v25, null, v21, v21, v5
	s_delay_alu instid0(VALU_DEP_4) | instskip(SKIP_3) | instid1(VALU_DEP_4)
	v_div_scale_f32 v27, null, v20, v20, v4
	v_cndmask_b32_e32 v22, 0, v22, vcc_lo
	v_cmp_ngt_f32_e32 vcc_lo, 0xc2b17218, v3
	v_add_f32_e32 v23, 1.0, v23
	v_rcp_f32_e32 v24, v27
	v_rcp_f32_e32 v30, v25
	v_cndmask_b32_e32 v22, 0x7f800000, v22, vcc_lo
	s_delay_alu instid0(VALU_DEP_2) | instskip(SKIP_1) | instid1(VALU_DEP_3)
	v_div_scale_f32 v28, null, v23, v23, v2
	v_div_scale_f32 v29, vcc_lo, v7, v18, v7
	v_add_f32_e32 v22, 1.0, v22
	s_delay_alu instid0(VALU_DEP_3) | instskip(NEXT) | instid1(TRANS32_DEP_3)
	v_rcp_f32_e32 v32, v28
	v_fma_f32 v31, -v27, v24, 1.0
	s_delay_alu instid0(VALU_DEP_3) | instskip(NEXT) | instid1(TRANS32_DEP_2)
	v_mul_f32_e32 v33, v29, v19
	v_fma_f32 v35, -v25, v30, 1.0
	v_div_scale_f32 v34, null, v22, v22, v3
	s_delay_alu instid0(VALU_DEP_4) | instskip(SKIP_1) | instid1(VALU_DEP_3)
	v_fmac_f32_e32 v24, v31, v24
	v_div_scale_f32 v31, s29, v4, v20, v4
	v_rcp_f32_e32 v111, v34
	v_fma_f32 v112, -v26, v33, v29
	s_delay_alu instid0(TRANS32_DEP_2) | instskip(NEXT) | instid1(VALU_DEP_2)
	v_fma_f32 v113, -v28, v32, 1.0
	v_dual_mul_f32 v114, v31, v24 :: v_dual_fmac_f32 v33, v112, v19
	s_delay_alu instid0(VALU_DEP_1)
	v_fma_f32 v112, -v27, v114, v31
	s_waitcnt_depctr 0xfff
	v_fma_f32 v115, -v34, v111, 1.0
	v_fmac_f32_e32 v32, v113, v32
	v_div_scale_f32 v113, s31, v2, v23, v2
	v_fma_f32 v26, -v26, v33, v29
	s_delay_alu instid0(VALU_DEP_4) | instskip(NEXT) | instid1(VALU_DEP_3)
	v_fmac_f32_e32 v111, v115, v111
	v_dual_fmac_f32 v30, v35, v30 :: v_dual_mul_f32 v117, v113, v32
	v_div_scale_f32 v35, s30, v5, v21, v5
	s_delay_alu instid0(VALU_DEP_4) | instskip(SKIP_2) | instid1(VALU_DEP_2)
	v_div_fmas_f32 v19, v26, v19, v33
	s_mov_b32 vcc_lo, s29
	v_div_scale_f32 v115, s33, v3, v22, v3
	v_div_fixup_f32 v7, v19, v18, v7
	v_fmac_f32_e32 v114, v112, v24
	v_fma_f32 v112, -v28, v117, v113
	v_mul_f32_e32 v116, v35, v30
	s_delay_alu instid0(VALU_DEP_4) | instskip(NEXT) | instid1(VALU_DEP_4)
	v_mul_f32_e32 v7, v7, v123
	v_fma_f32 v26, -v27, v114, v31
	s_delay_alu instid0(VALU_DEP_4) | instskip(NEXT) | instid1(VALU_DEP_4)
	v_fmac_f32_e32 v117, v112, v32
	v_fma_f32 v29, -v25, v116, v35
	s_delay_alu instid0(VALU_DEP_3) | instskip(SKIP_1) | instid1(VALU_DEP_2)
	v_div_fmas_f32 v24, v26, v24, v114
	s_mov_b32 vcc_lo, s30
	v_fmac_f32_e32 v116, v29, v30
	v_fma_f32 v26, -v28, v117, v113
	s_delay_alu instid0(VALU_DEP_3) | instskip(NEXT) | instid1(VALU_DEP_3)
	v_div_fixup_f32 v4, v24, v20, v4
	v_fma_f32 v25, -v25, v116, v35
	s_delay_alu instid0(VALU_DEP_2) | instskip(NEXT) | instid1(VALU_DEP_2)
	v_mul_f32_e32 v4, v4, v122
	v_div_fmas_f32 v25, v25, v30, v116
	s_mov_b32 vcc_lo, s31
	v_div_fmas_f32 v26, v26, v32, v117
	s_mov_b32 vcc_lo, s33
	s_delay_alu instid0(VALU_DEP_2) | instskip(SKIP_1) | instid1(VALU_DEP_3)
	v_div_fixup_f32 v5, v25, v21, v5
	v_mul_f32_e32 v118, v115, v111
	v_div_fixup_f32 v2, v26, v23, v2
	s_delay_alu instid0(VALU_DEP_3) | instskip(NEXT) | instid1(VALU_DEP_3)
	v_mul_f32_e32 v5, v5, v121
	v_fma_f32 v27, -v34, v118, v115
	s_delay_alu instid0(VALU_DEP_3) | instskip(NEXT) | instid1(VALU_DEP_2)
	v_mul_f32_e32 v2, v2, v120
	v_fmac_f32_e32 v118, v27, v111
	s_delay_alu instid0(VALU_DEP_1) | instskip(NEXT) | instid1(VALU_DEP_1)
	v_fma_f32 v27, -v34, v118, v115
	v_div_fmas_f32 v27, v27, v111, v118
	s_delay_alu instid0(VALU_DEP_1) | instskip(NEXT) | instid1(VALU_DEP_1)
	v_div_fixup_f32 v3, v27, v22, v3
	v_mul_f32_e32 v3, v3, v124
	ds_store_2addr_b32 v70, v12, v13 offset1:1
	ds_store_2addr_b32 v70, v14, v15 offset0:2 offset1:3
	ds_store_2addr_b32 v70, v16, v17 offset0:4 offset1:5
	;; [unrolled: 1-line block ×7, first 2 shown]
	; wave barrier
	ds_load_b32 v18, v55 offset:128
	ds_load_b32 v17, v56 offset:256
	;; [unrolled: 1-line block ×15, first 2 shown]
	v_add_co_u32 v2, vcc_lo, v93, s34
	v_add_co_ci_u32_e32 v3, vcc_lo, s35, v94, vcc_lo
	s_and_saveexec_b32 s29, s13
	s_cbranch_execnz .LBB157_286
; %bb.239:                              ;   in Loop: Header=BB157_12 Depth=1
	s_or_b32 exec_lo, exec_lo, s29
	s_and_saveexec_b32 s13, s14
	s_cbranch_execnz .LBB157_287
.LBB157_240:                            ;   in Loop: Header=BB157_12 Depth=1
	s_or_b32 exec_lo, exec_lo, s13
	s_and_saveexec_b32 s13, s15
	s_cbranch_execnz .LBB157_288
.LBB157_241:                            ;   in Loop: Header=BB157_12 Depth=1
	s_or_b32 exec_lo, exec_lo, s13
	s_and_saveexec_b32 s13, s16
	s_cbranch_execnz .LBB157_289
.LBB157_242:                            ;   in Loop: Header=BB157_12 Depth=1
	s_or_b32 exec_lo, exec_lo, s13
	s_and_saveexec_b32 s13, s17
	s_cbranch_execnz .LBB157_290
.LBB157_243:                            ;   in Loop: Header=BB157_12 Depth=1
	s_or_b32 exec_lo, exec_lo, s13
	s_and_saveexec_b32 s13, s18
	s_cbranch_execnz .LBB157_291
.LBB157_244:                            ;   in Loop: Header=BB157_12 Depth=1
	s_or_b32 exec_lo, exec_lo, s13
	s_and_saveexec_b32 s13, s19
	s_cbranch_execnz .LBB157_292
.LBB157_245:                            ;   in Loop: Header=BB157_12 Depth=1
	s_or_b32 exec_lo, exec_lo, s13
	s_and_saveexec_b32 s13, s20
	s_cbranch_execnz .LBB157_293
.LBB157_246:                            ;   in Loop: Header=BB157_12 Depth=1
	s_or_b32 exec_lo, exec_lo, s13
	s_and_saveexec_b32 s13, s21
	s_cbranch_execnz .LBB157_294
.LBB157_247:                            ;   in Loop: Header=BB157_12 Depth=1
	s_or_b32 exec_lo, exec_lo, s13
	s_and_saveexec_b32 s13, s22
	s_cbranch_execnz .LBB157_295
.LBB157_248:                            ;   in Loop: Header=BB157_12 Depth=1
	s_or_b32 exec_lo, exec_lo, s13
	s_and_saveexec_b32 s13, s23
	s_cbranch_execnz .LBB157_296
.LBB157_249:                            ;   in Loop: Header=BB157_12 Depth=1
	s_or_b32 exec_lo, exec_lo, s13
	s_and_saveexec_b32 s13, s24
	s_cbranch_execnz .LBB157_297
.LBB157_250:                            ;   in Loop: Header=BB157_12 Depth=1
	s_or_b32 exec_lo, exec_lo, s13
	s_and_saveexec_b32 s13, s25
	s_cbranch_execnz .LBB157_298
.LBB157_251:                            ;   in Loop: Header=BB157_12 Depth=1
	s_or_b32 exec_lo, exec_lo, s13
	s_and_saveexec_b32 s13, s26
	s_cbranch_execnz .LBB157_299
.LBB157_252:                            ;   in Loop: Header=BB157_12 Depth=1
	s_or_b32 exec_lo, exec_lo, s13
	s_and_saveexec_b32 s13, s27
	s_cbranch_execnz .LBB157_300
.LBB157_253:                            ;   in Loop: Header=BB157_12 Depth=1
	s_or_b32 exec_lo, exec_lo, s13
	s_and_saveexec_b32 s13, s28
	s_cbranch_execz .LBB157_11
	s_branch .LBB157_301
.LBB157_254:                            ;   in Loop: Header=BB157_12 Depth=1
	global_load_b32 v35, v[18:19], off offset:1664
	s_or_b32 exec_lo, exec_lo, s29
	s_and_saveexec_b32 s29, s27
	s_cbranch_execz .LBB157_72
.LBB157_255:                            ;   in Loop: Header=BB157_12 Depth=1
	global_load_b32 v33, v[18:19], off offset:1792
	s_or_b32 exec_lo, exec_lo, s29
	v_mov_b32_e32 v111, 0
	s_and_saveexec_b32 s29, s28
	s_cbranch_execnz .LBB157_73
	s_branch .LBB157_74
.LBB157_256:                            ;   in Loop: Header=BB157_12 Depth=1
	ds_load_b32 v19, v54
	s_waitcnt lgkmcnt(0)
	global_store_b32 v[2:3], v19, off
	s_or_b32 exec_lo, exec_lo, s29
	s_and_saveexec_b32 s29, s14
	s_cbranch_execz .LBB157_206
.LBB157_257:                            ;   in Loop: Header=BB157_12 Depth=1
	s_waitcnt lgkmcnt(14)
	global_store_b32 v[2:3], v18, off offset:128
	s_or_b32 exec_lo, exec_lo, s29
	s_and_saveexec_b32 s29, s15
	s_cbranch_execz .LBB157_207
.LBB157_258:                            ;   in Loop: Header=BB157_12 Depth=1
	s_waitcnt lgkmcnt(13)
	global_store_b32 v[2:3], v17, off offset:256
	s_or_b32 exec_lo, exec_lo, s29
	s_and_saveexec_b32 s29, s16
	s_cbranch_execz .LBB157_208
.LBB157_259:                            ;   in Loop: Header=BB157_12 Depth=1
	s_waitcnt lgkmcnt(12)
	global_store_b32 v[2:3], v16, off offset:384
	s_or_b32 exec_lo, exec_lo, s29
	s_and_saveexec_b32 s29, s17
	s_cbranch_execz .LBB157_209
.LBB157_260:                            ;   in Loop: Header=BB157_12 Depth=1
	s_waitcnt lgkmcnt(11)
	global_store_b32 v[2:3], v15, off offset:512
	s_or_b32 exec_lo, exec_lo, s29
	s_and_saveexec_b32 s29, s18
	s_cbranch_execz .LBB157_210
.LBB157_261:                            ;   in Loop: Header=BB157_12 Depth=1
	s_waitcnt lgkmcnt(10)
	global_store_b32 v[2:3], v14, off offset:640
	s_or_b32 exec_lo, exec_lo, s29
	s_and_saveexec_b32 s29, s19
	s_cbranch_execz .LBB157_211
.LBB157_262:                            ;   in Loop: Header=BB157_12 Depth=1
	s_waitcnt lgkmcnt(9)
	global_store_b32 v[2:3], v13, off offset:768
	s_or_b32 exec_lo, exec_lo, s29
	s_and_saveexec_b32 s29, s20
	s_cbranch_execz .LBB157_212
.LBB157_263:                            ;   in Loop: Header=BB157_12 Depth=1
	s_waitcnt lgkmcnt(8)
	global_store_b32 v[2:3], v12, off offset:896
	s_or_b32 exec_lo, exec_lo, s29
	s_and_saveexec_b32 s29, s21
	s_cbranch_execz .LBB157_213
.LBB157_264:                            ;   in Loop: Header=BB157_12 Depth=1
	s_waitcnt lgkmcnt(7)
	global_store_b32 v[2:3], v11, off offset:1024
	s_or_b32 exec_lo, exec_lo, s29
	s_and_saveexec_b32 s29, s22
	s_cbranch_execz .LBB157_214
.LBB157_265:                            ;   in Loop: Header=BB157_12 Depth=1
	s_waitcnt lgkmcnt(6)
	global_store_b32 v[2:3], v10, off offset:1152
	s_or_b32 exec_lo, exec_lo, s29
	s_and_saveexec_b32 s29, s23
	s_cbranch_execz .LBB157_215
.LBB157_266:                            ;   in Loop: Header=BB157_12 Depth=1
	s_waitcnt lgkmcnt(5)
	global_store_b32 v[2:3], v9, off offset:1280
	s_or_b32 exec_lo, exec_lo, s29
	s_and_saveexec_b32 s29, s24
	s_cbranch_execz .LBB157_216
.LBB157_267:                            ;   in Loop: Header=BB157_12 Depth=1
	s_waitcnt lgkmcnt(4)
	global_store_b32 v[2:3], v8, off offset:1408
	s_or_b32 exec_lo, exec_lo, s29
	s_and_saveexec_b32 s29, s25
	s_cbranch_execz .LBB157_217
.LBB157_268:                            ;   in Loop: Header=BB157_12 Depth=1
	s_waitcnt lgkmcnt(3)
	global_store_b32 v[2:3], v7, off offset:1536
	s_or_b32 exec_lo, exec_lo, s29
	s_and_saveexec_b32 s29, s26
	s_cbranch_execz .LBB157_218
.LBB157_269:                            ;   in Loop: Header=BB157_12 Depth=1
	s_waitcnt lgkmcnt(2)
	global_store_b32 v[2:3], v6, off offset:1664
	s_or_b32 exec_lo, exec_lo, s29
	s_and_saveexec_b32 s29, s27
	s_cbranch_execz .LBB157_219
.LBB157_270:                            ;   in Loop: Header=BB157_12 Depth=1
	s_waitcnt lgkmcnt(1)
	global_store_b32 v[2:3], v5, off offset:1792
	s_or_b32 exec_lo, exec_lo, s29
	s_and_saveexec_b32 s29, s28
	s_cbranch_execnz .LBB157_220
	s_branch .LBB157_221
.LBB157_271:                            ;   in Loop: Header=BB157_12 Depth=1
	global_load_b32 v20, v[18:19], off
	v_mov_b32_e32 v15, v1
	v_mov_b32_e32 v2, v1
	;; [unrolled: 1-line block ×15, first 2 shown]
	s_delay_alu instid0(VALU_DEP_2)
	v_dual_mov_b32 v16, v14 :: v_dual_mov_b32 v15, v13
	v_mov_b32_e32 v14, v12
	v_mov_b32_e32 v13, v11
	;; [unrolled: 1-line block ×13, first 2 shown]
	s_or_b32 exec_lo, exec_lo, s29
	s_and_saveexec_b32 s29, s14
	s_cbranch_execz .LBB157_223
.LBB157_272:                            ;   in Loop: Header=BB157_12 Depth=1
	global_load_b32 v3, v[18:19], off offset:128
	s_or_b32 exec_lo, exec_lo, s29
	s_and_saveexec_b32 s29, s15
	s_cbranch_execz .LBB157_224
.LBB157_273:                            ;   in Loop: Header=BB157_12 Depth=1
	global_load_b32 v4, v[18:19], off offset:256
	s_or_b32 exec_lo, exec_lo, s29
	s_and_saveexec_b32 s29, s16
	s_cbranch_execz .LBB157_225
.LBB157_274:                            ;   in Loop: Header=BB157_12 Depth=1
	global_load_b32 v5, v[18:19], off offset:384
	s_or_b32 exec_lo, exec_lo, s29
	s_and_saveexec_b32 s29, s17
	s_cbranch_execz .LBB157_226
.LBB157_275:                            ;   in Loop: Header=BB157_12 Depth=1
	global_load_b32 v6, v[18:19], off offset:512
	s_or_b32 exec_lo, exec_lo, s29
	s_and_saveexec_b32 s29, s18
	s_cbranch_execz .LBB157_227
.LBB157_276:                            ;   in Loop: Header=BB157_12 Depth=1
	global_load_b32 v7, v[18:19], off offset:640
	s_or_b32 exec_lo, exec_lo, s29
	s_and_saveexec_b32 s29, s19
	s_cbranch_execz .LBB157_228
.LBB157_277:                            ;   in Loop: Header=BB157_12 Depth=1
	global_load_b32 v8, v[18:19], off offset:768
	s_or_b32 exec_lo, exec_lo, s29
	s_and_saveexec_b32 s29, s20
	s_cbranch_execz .LBB157_229
.LBB157_278:                            ;   in Loop: Header=BB157_12 Depth=1
	global_load_b32 v9, v[18:19], off offset:896
	s_or_b32 exec_lo, exec_lo, s29
	s_and_saveexec_b32 s29, s21
	s_cbranch_execz .LBB157_230
.LBB157_279:                            ;   in Loop: Header=BB157_12 Depth=1
	global_load_b32 v10, v[18:19], off offset:1024
	s_or_b32 exec_lo, exec_lo, s29
	s_and_saveexec_b32 s29, s22
	s_cbranch_execz .LBB157_231
.LBB157_280:                            ;   in Loop: Header=BB157_12 Depth=1
	global_load_b32 v11, v[18:19], off offset:1152
	s_or_b32 exec_lo, exec_lo, s29
	s_and_saveexec_b32 s29, s23
	s_cbranch_execz .LBB157_232
.LBB157_281:                            ;   in Loop: Header=BB157_12 Depth=1
	global_load_b32 v12, v[18:19], off offset:1280
	s_or_b32 exec_lo, exec_lo, s29
	s_and_saveexec_b32 s29, s24
	s_cbranch_execz .LBB157_233
.LBB157_282:                            ;   in Loop: Header=BB157_12 Depth=1
	global_load_b32 v13, v[18:19], off offset:1408
	s_or_b32 exec_lo, exec_lo, s29
	s_and_saveexec_b32 s29, s25
	s_cbranch_execz .LBB157_234
.LBB157_283:                            ;   in Loop: Header=BB157_12 Depth=1
	global_load_b32 v14, v[18:19], off offset:1536
	s_or_b32 exec_lo, exec_lo, s29
	s_and_saveexec_b32 s29, s26
	s_cbranch_execz .LBB157_235
.LBB157_284:                            ;   in Loop: Header=BB157_12 Depth=1
	global_load_b32 v15, v[18:19], off offset:1664
	s_or_b32 exec_lo, exec_lo, s29
	s_and_saveexec_b32 s29, s27
	s_cbranch_execz .LBB157_236
.LBB157_285:                            ;   in Loop: Header=BB157_12 Depth=1
	global_load_b32 v16, v[18:19], off offset:1792
	s_or_b32 exec_lo, exec_lo, s29
	s_and_saveexec_b32 s29, s28
	s_cbranch_execnz .LBB157_237
	s_branch .LBB157_238
.LBB157_286:                            ;   in Loop: Header=BB157_12 Depth=1
	ds_load_b32 v19, v54
	s_waitcnt lgkmcnt(0)
	global_store_b32 v[2:3], v19, off
	s_or_b32 exec_lo, exec_lo, s29
	s_and_saveexec_b32 s13, s14
	s_cbranch_execz .LBB157_240
.LBB157_287:                            ;   in Loop: Header=BB157_12 Depth=1
	s_waitcnt lgkmcnt(14)
	global_store_b32 v[2:3], v18, off offset:128
	s_or_b32 exec_lo, exec_lo, s13
	s_and_saveexec_b32 s13, s15
	s_cbranch_execz .LBB157_241
.LBB157_288:                            ;   in Loop: Header=BB157_12 Depth=1
	s_waitcnt lgkmcnt(13)
	global_store_b32 v[2:3], v17, off offset:256
	s_or_b32 exec_lo, exec_lo, s13
	s_and_saveexec_b32 s13, s16
	s_cbranch_execz .LBB157_242
.LBB157_289:                            ;   in Loop: Header=BB157_12 Depth=1
	s_waitcnt lgkmcnt(12)
	global_store_b32 v[2:3], v16, off offset:384
	s_or_b32 exec_lo, exec_lo, s13
	s_and_saveexec_b32 s13, s17
	s_cbranch_execz .LBB157_243
.LBB157_290:                            ;   in Loop: Header=BB157_12 Depth=1
	s_waitcnt lgkmcnt(11)
	global_store_b32 v[2:3], v15, off offset:512
	s_or_b32 exec_lo, exec_lo, s13
	s_and_saveexec_b32 s13, s18
	s_cbranch_execz .LBB157_244
.LBB157_291:                            ;   in Loop: Header=BB157_12 Depth=1
	s_waitcnt lgkmcnt(10)
	global_store_b32 v[2:3], v14, off offset:640
	s_or_b32 exec_lo, exec_lo, s13
	s_and_saveexec_b32 s13, s19
	s_cbranch_execz .LBB157_245
.LBB157_292:                            ;   in Loop: Header=BB157_12 Depth=1
	s_waitcnt lgkmcnt(9)
	global_store_b32 v[2:3], v13, off offset:768
	s_or_b32 exec_lo, exec_lo, s13
	s_and_saveexec_b32 s13, s20
	s_cbranch_execz .LBB157_246
.LBB157_293:                            ;   in Loop: Header=BB157_12 Depth=1
	s_waitcnt lgkmcnt(8)
	global_store_b32 v[2:3], v12, off offset:896
	s_or_b32 exec_lo, exec_lo, s13
	s_and_saveexec_b32 s13, s21
	s_cbranch_execz .LBB157_247
.LBB157_294:                            ;   in Loop: Header=BB157_12 Depth=1
	s_waitcnt lgkmcnt(7)
	global_store_b32 v[2:3], v11, off offset:1024
	s_or_b32 exec_lo, exec_lo, s13
	s_and_saveexec_b32 s13, s22
	s_cbranch_execz .LBB157_248
.LBB157_295:                            ;   in Loop: Header=BB157_12 Depth=1
	s_waitcnt lgkmcnt(6)
	global_store_b32 v[2:3], v10, off offset:1152
	s_or_b32 exec_lo, exec_lo, s13
	s_and_saveexec_b32 s13, s23
	s_cbranch_execz .LBB157_249
.LBB157_296:                            ;   in Loop: Header=BB157_12 Depth=1
	s_waitcnt lgkmcnt(5)
	global_store_b32 v[2:3], v9, off offset:1280
	s_or_b32 exec_lo, exec_lo, s13
	s_and_saveexec_b32 s13, s24
	s_cbranch_execz .LBB157_250
.LBB157_297:                            ;   in Loop: Header=BB157_12 Depth=1
	s_waitcnt lgkmcnt(4)
	global_store_b32 v[2:3], v8, off offset:1408
	s_or_b32 exec_lo, exec_lo, s13
	s_and_saveexec_b32 s13, s25
	s_cbranch_execz .LBB157_251
.LBB157_298:                            ;   in Loop: Header=BB157_12 Depth=1
	s_waitcnt lgkmcnt(3)
	global_store_b32 v[2:3], v7, off offset:1536
	s_or_b32 exec_lo, exec_lo, s13
	s_and_saveexec_b32 s13, s26
	s_cbranch_execz .LBB157_252
.LBB157_299:                            ;   in Loop: Header=BB157_12 Depth=1
	s_waitcnt lgkmcnt(2)
	global_store_b32 v[2:3], v6, off offset:1664
	s_or_b32 exec_lo, exec_lo, s13
	s_and_saveexec_b32 s13, s27
	s_cbranch_execz .LBB157_253
.LBB157_300:                            ;   in Loop: Header=BB157_12 Depth=1
	s_waitcnt lgkmcnt(1)
	global_store_b32 v[2:3], v5, off offset:1792
	s_or_b32 exec_lo, exec_lo, s13
	s_and_saveexec_b32 s13, s28
	s_cbranch_execz .LBB157_11
.LBB157_301:                            ;   in Loop: Header=BB157_12 Depth=1
	s_waitcnt lgkmcnt(0)
	global_store_b32 v[2:3], v4, off offset:1920
	s_branch .LBB157_11
.LBB157_302:
	s_nop 0
	s_sendmsg sendmsg(MSG_DEALLOC_VGPRS)
	s_endpgm
	.section	.rodata,"a",@progbits
	.p2align	6, 0x0
	.amdhsa_kernel _Z25selective_scan_fwd_kernelI32Selective_Scan_fwd_kernel_traitsILi128ELi16ELi1ELb0ELb1ELb1ELb1ELb0EfffEEv13SSMParamsBase
		.amdhsa_group_segment_fixed_size 0
		.amdhsa_private_segment_fixed_size 0
		.amdhsa_kernarg_size 248
		.amdhsa_user_sgpr_count 14
		.amdhsa_user_sgpr_dispatch_ptr 0
		.amdhsa_user_sgpr_queue_ptr 0
		.amdhsa_user_sgpr_kernarg_segment_ptr 1
		.amdhsa_user_sgpr_dispatch_id 0
		.amdhsa_user_sgpr_private_segment_size 0
		.amdhsa_wavefront_size32 1
		.amdhsa_uses_dynamic_stack 0
		.amdhsa_enable_private_segment 0
		.amdhsa_system_sgpr_workgroup_id_x 1
		.amdhsa_system_sgpr_workgroup_id_y 1
		.amdhsa_system_sgpr_workgroup_id_z 0
		.amdhsa_system_sgpr_workgroup_info 0
		.amdhsa_system_vgpr_workitem_id 0
		.amdhsa_next_free_vgpr 186
		.amdhsa_next_free_sgpr 95
		.amdhsa_reserve_vcc 1
		.amdhsa_float_round_mode_32 0
		.amdhsa_float_round_mode_16_64 0
		.amdhsa_float_denorm_mode_32 3
		.amdhsa_float_denorm_mode_16_64 3
		.amdhsa_dx10_clamp 1
		.amdhsa_ieee_mode 1
		.amdhsa_fp16_overflow 0
		.amdhsa_workgroup_processor_mode 1
		.amdhsa_memory_ordered 1
		.amdhsa_forward_progress 0
		.amdhsa_shared_vgpr_count 0
		.amdhsa_exception_fp_ieee_invalid_op 0
		.amdhsa_exception_fp_denorm_src 0
		.amdhsa_exception_fp_ieee_div_zero 0
		.amdhsa_exception_fp_ieee_overflow 0
		.amdhsa_exception_fp_ieee_underflow 0
		.amdhsa_exception_fp_ieee_inexact 0
		.amdhsa_exception_int_div_zero 0
	.end_amdhsa_kernel
	.section	.text._Z25selective_scan_fwd_kernelI32Selective_Scan_fwd_kernel_traitsILi128ELi16ELi1ELb0ELb1ELb1ELb1ELb0EfffEEv13SSMParamsBase,"axG",@progbits,_Z25selective_scan_fwd_kernelI32Selective_Scan_fwd_kernel_traitsILi128ELi16ELi1ELb0ELb1ELb1ELb1ELb0EfffEEv13SSMParamsBase,comdat
.Lfunc_end157:
	.size	_Z25selective_scan_fwd_kernelI32Selective_Scan_fwd_kernel_traitsILi128ELi16ELi1ELb0ELb1ELb1ELb1ELb0EfffEEv13SSMParamsBase, .Lfunc_end157-_Z25selective_scan_fwd_kernelI32Selective_Scan_fwd_kernel_traitsILi128ELi16ELi1ELb0ELb1ELb1ELb1ELb0EfffEEv13SSMParamsBase
                                        ; -- End function
	.section	.AMDGPU.csdata,"",@progbits
; Kernel info:
; codeLenInByte = 25612
; NumSgprs: 97
; NumVgprs: 186
; ScratchSize: 0
; MemoryBound: 0
; FloatMode: 240
; IeeeMode: 1
; LDSByteSize: 0 bytes/workgroup (compile time only)
; SGPRBlocks: 12
; VGPRBlocks: 23
; NumSGPRsForWavesPerEU: 97
; NumVGPRsForWavesPerEU: 186
; Occupancy: 8
; WaveLimiterHint : 0
; COMPUTE_PGM_RSRC2:SCRATCH_EN: 0
; COMPUTE_PGM_RSRC2:USER_SGPR: 14
; COMPUTE_PGM_RSRC2:TRAP_HANDLER: 0
; COMPUTE_PGM_RSRC2:TGID_X_EN: 1
; COMPUTE_PGM_RSRC2:TGID_Y_EN: 1
; COMPUTE_PGM_RSRC2:TGID_Z_EN: 0
; COMPUTE_PGM_RSRC2:TIDIG_COMP_CNT: 0
	.section	.text._Z25selective_scan_fwd_kernelI32Selective_Scan_fwd_kernel_traitsILi128ELi16ELi1ELb0ELb1ELb1ELb0ELb1EfffEEv13SSMParamsBase,"axG",@progbits,_Z25selective_scan_fwd_kernelI32Selective_Scan_fwd_kernel_traitsILi128ELi16ELi1ELb0ELb1ELb1ELb0ELb1EfffEEv13SSMParamsBase,comdat
	.protected	_Z25selective_scan_fwd_kernelI32Selective_Scan_fwd_kernel_traitsILi128ELi16ELi1ELb0ELb1ELb1ELb0ELb1EfffEEv13SSMParamsBase ; -- Begin function _Z25selective_scan_fwd_kernelI32Selective_Scan_fwd_kernel_traitsILi128ELi16ELi1ELb0ELb1ELb1ELb0ELb1EfffEEv13SSMParamsBase
	.globl	_Z25selective_scan_fwd_kernelI32Selective_Scan_fwd_kernel_traitsILi128ELi16ELi1ELb0ELb1ELb1ELb0ELb1EfffEEv13SSMParamsBase
	.p2align	8
	.type	_Z25selective_scan_fwd_kernelI32Selective_Scan_fwd_kernel_traitsILi128ELi16ELi1ELb0ELb1ELb1ELb0ELb1EfffEEv13SSMParamsBase,@function
_Z25selective_scan_fwd_kernelI32Selective_Scan_fwd_kernel_traitsILi128ELi16ELi1ELb0ELb1ELb1ELb0ELb1EfffEEv13SSMParamsBase: ; @_Z25selective_scan_fwd_kernelI32Selective_Scan_fwd_kernel_traitsILi128ELi16ELi1ELb0ELb1ELb1ELb0ELb1EfffEEv13SSMParamsBase
; %bb.0:
	s_clause 0x2
	s_load_b32 s36, s[0:1], 0x18
	s_load_b128 s[4:7], s[0:1], 0xe0
	s_load_b64 s[10:11], s[0:1], 0xf0
	s_mov_b32 s12, s15
	s_ashr_i32 s15, s14, 31
	s_mov_b32 s66, 0
	s_lshl_b64 s[8:9], s[14:15], 2
	s_waitcnt lgkmcnt(0)
	s_abs_i32 s33, s36
	s_add_u32 s2, s4, s8
	v_cvt_f32_u32_e32 v1, s33
	s_addc_u32 s3, s5, s9
	s_cmp_eq_u64 s[10:11], 0
	s_delay_alu instid0(VALU_DEP_1) | instskip(SKIP_2) | instid1(VALU_DEP_1)
	v_rcp_iflag_f32_e32 v1, v1
	s_waitcnt_depctr 0xfff
	v_mul_f32_e32 v1, 0x4f7ffffe, v1
	v_cvt_u32_f32_e32 v1, v1
	s_delay_alu instid0(VALU_DEP_1)
	v_readfirstlane_b32 s37, v1
	s_cbranch_scc1 .LBB158_2
; %bb.1:
	v_mov_b32_e32 v1, 0
	s_add_u32 s4, s10, s14
	s_addc_u32 s5, s11, s15
	global_load_u8 v1, v1, s[4:5]
	s_waitcnt vmcnt(0)
	v_and_b32_e32 v1, 1, v1
	s_delay_alu instid0(VALU_DEP_1)
	v_cmp_eq_u32_e64 s66, 1, v1
.LBB158_2:
	s_load_b64 s[4:5], s[0:1], 0x20
	s_cmp_eq_u64 s[6:7], 0
	s_cbranch_scc1 .LBB158_4
; %bb.3:
	s_add_u32 s6, s6, s8
	s_addc_u32 s7, s7, s9
	s_load_b32 s14, s[6:7], 0x0
	s_waitcnt lgkmcnt(0)
	s_ashr_i32 s15, s14, 31
.LBB158_4:
	s_waitcnt lgkmcnt(0)
	s_cmp_eq_u64 s[4:5], s[14:15]
	s_cbranch_scc1 .LBB158_238
; %bb.5:
	s_load_b512 s[16:31], s[0:1], 0x88
	s_load_b64 s[34:35], s[2:3], 0x0
	s_mov_b32 s67, 0
	s_mov_b32 s68, 0
	s_waitcnt lgkmcnt(0)
	s_cmp_eq_u64 s[22:23], 0
	s_cbranch_scc1 .LBB158_7
; %bb.6:
	s_ashr_i32 s13, s12, 31
	s_delay_alu instid0(SALU_CYCLE_1) | instskip(NEXT) | instid1(SALU_CYCLE_1)
	s_lshl_b64 s[2:3], s[12:13], 2
	s_add_u32 s2, s22, s2
	s_addc_u32 s3, s23, s3
	s_load_b32 s68, s[2:3], 0x0
.LBB158_7:
	s_cmp_eq_u64 s[28:29], 0
	s_cbranch_scc1 .LBB158_9
; %bb.8:
	s_ashr_i32 s13, s12, 31
	s_delay_alu instid0(SALU_CYCLE_1) | instskip(NEXT) | instid1(SALU_CYCLE_1)
	s_lshl_b64 s[2:3], s[12:13], 2
	s_add_u32 s2, s28, s2
	s_addc_u32 s3, s29, s3
	s_load_b32 s67, s[2:3], 0x0
.LBB158_9:
	s_sub_i32 s69, s35, s34
	s_delay_alu instid0(SALU_CYCLE_1)
	s_cmp_lt_i32 s69, 1
	s_cbranch_scc1 .LBB158_238
; %bb.10:
	s_sub_i32 s2, 0, s33
	s_abs_i32 s5, s12
	s_mul_i32 s4, s2, s37
	s_clause 0x1
	s_load_b64 s[2:3], s[0:1], 0x5c
	s_load_b128 s[56:59], s[0:1], 0x4c
	s_mul_hi_u32 s4, s37, s4
	s_ashr_i32 s7, s36, 31
	s_add_i32 s37, s37, s4
	s_ashr_i32 s4, s12, 31
	s_mul_hi_u32 s6, s5, s37
	s_xor_b32 s7, s4, s7
	s_mul_i32 s8, s6, s33
	s_load_b256 s[48:55], s[0:1], 0x2c
	s_sub_i32 s4, s5, s8
	s_add_i32 s5, s6, 1
	s_sub_i32 s8, s4, s33
	s_cmp_ge_u32 s4, s33
	s_mov_b32 s65, 0
	s_cselect_b32 s5, s5, s6
	s_cselect_b32 s4, s8, s4
	s_add_i32 s6, s5, 1
	s_cmp_ge_u32 s4, s33
	s_load_b128 s[60:63], s[0:1], 0x7c
	s_cselect_b32 s4, s6, s5
	s_waitcnt lgkmcnt(0)
	s_mul_i32 s64, s34, s58
	s_xor_b32 s6, s4, s7
	s_lshl_b64 s[4:5], s[64:65], 2
	s_sub_i32 s6, s6, s7
	s_mul_i32 s64, s59, s12
	s_add_u32 s7, s24, s4
	s_addc_u32 s8, s25, s5
	s_lshl_b64 s[4:5], s[64:65], 2
	s_mul_i32 s64, s34, s2
	s_add_u32 s70, s7, s4
	s_addc_u32 s71, s8, s5
	s_lshl_b64 s[4:5], s[64:65], 2
	;; [unrolled: 4-line block ×3, first 2 shown]
	s_mul_i32 s64, s48, s12
	s_add_u32 s72, s4, s2
	s_addc_u32 s73, s5, s3
	s_load_b64 s[4:5], s[0:1], 0xc8
	s_lshl_b64 s[2:3], s[64:65], 2
	v_dual_mov_b32 v37, 0 :: v_dual_lshlrev_b32 v34, 4, v0
	s_mul_i32 s64, s34, s50
	s_add_u32 s74, s16, s2
	s_addc_u32 s63, s17, s3
	s_lshl_b64 s[2:3], s[64:65], 2
	s_mul_i32 s64, s6, s53
	s_clause 0x2
	s_load_b64 s[16:17], s[0:1], 0x6c
	s_load_b32 s79, s[0:1], 0xc
	s_load_b32 s0, s[0:1], 0x28
	s_add_u32 s7, s18, s2
	v_mbcnt_lo_u32_b32 v35, -1, 0
	v_and_b32_e32 v1, 0x600, v34
	s_addc_u32 s8, s19, s3
	s_lshl_b64 s[2:3], s[64:65], 2
	s_mul_i32 s64, s34, s54
	s_add_u32 s53, s7, s2
	s_addc_u32 s75, s8, s3
	s_lshl_b64 s[2:3], s[64:65], 2
	s_mul_i32 s64, s6, s57
	v_or_b32_e32 v36, v35, v1
	s_add_u32 s7, s20, s2
	s_addc_u32 s6, s21, s3
	s_lshl_b64 s[2:3], s[64:65], 2
	s_mul_i32 s64, s14, s60
	s_add_u32 s57, s7, s2
	s_addc_u32 s76, s6, s3
	s_lshl_b64 s[2:3], s[64:65], 2
	v_or_b32_e32 v38, 32, v36
	v_lshrrev_b32_e32 v2, 5, v1
	v_and_b32_e32 v14, 0x60, v0
	s_mul_i32 s64, s61, s12
	s_waitcnt lgkmcnt(0)
	s_add_u32 s4, s4, s2
	s_addc_u32 s5, s5, s3
	s_lshl_b64 s[2:3], s[64:65], 2
	v_or_b32_e32 v39, 64, v36
	s_add_u32 s77, s4, s2
	v_or_b32_e32 v40, 0x60, v36
	v_or_b32_e32 v41, 0x80, v36
	v_or_b32_e32 v42, 0xa0, v36
	v_or_b32_e32 v43, 0xc0, v36
	v_or_b32_e32 v44, 0xe0, v36
	v_or_b32_e32 v45, 0x100, v36
	v_or_b32_e32 v46, 0x120, v36
	v_or_b32_e32 v47, 0x140, v36
	v_or_b32_e32 v48, 0x160, v36
	v_or_b32_e32 v49, 0x180, v36
	v_or_b32_e32 v50, 0x1a0, v36
	v_add_nc_u32_e32 v2, v2, v36
	v_lshrrev_b32_e32 v3, 5, v38
	v_or_b32_e32 v51, 0x1c0, v36
	v_or_b32_e32 v52, 0x1e0, v36
	;; [unrolled: 1-line block ×3, first 2 shown]
	s_addc_u32 s78, s5, s3
	s_add_i32 s2, s69, 0x7ff
	v_lshrrev_b32_e32 v4, 5, v39
	s_lshr_b32 s80, s2, 11
	s_bitcmp1_b32 s0, 0
	v_lshl_add_u32 v53, v2, 2, 0
	v_add_lshl_u32 v2, v3, v36, 2
	v_lshrrev_b32_e32 v3, 5, v40
	v_lshrrev_b32_e32 v5, 5, v41
	;; [unrolled: 1-line block ×13, first 2 shown]
	v_lshlrev_b32_e32 v19, 4, v17
	v_bfe_u32 v17, v17, 1, 27
	s_cselect_b32 s81, -1, 0
	s_cmp_gt_i32 s79, 0
	v_add_lshl_u32 v4, v4, v36, 2
	s_cselect_b32 s82, -1, 0
	s_add_i32 s0, 0, 0x2100
	v_add_nc_u32_e32 v54, 0, v2
	v_add_lshl_u32 v3, v3, v36, 2
	v_add_lshl_u32 v5, v5, v36, 2
	;; [unrolled: 1-line block ×14, first 2 shown]
	v_add_nc_u32_e32 v70, s0, v2
	v_and_b32_e32 v2, 15, v35
	s_and_b32 s1, s69, 0x7ff
	v_add_nc_u32_e32 v71, s0, v4
	v_add_nc_u32_e32 v72, s0, v3
	;; [unrolled: 1-line block ×14, first 2 shown]
	s_cmp_eq_u32 s1, 0
	v_add_nc_u32_e32 v85, s0, v17
	v_cmp_ne_u32_e64 s0, 0, v2
	v_cmp_lt_u32_e64 s1, 1, v2
	v_cmp_lt_u32_e64 s2, 3, v2
	;; [unrolled: 1-line block ×3, first 2 shown]
	v_add_nc_u32_e32 v2, -1, v35
	v_add_nc_u32_e32 v56, 0, v3
	v_lshrrev_b32_e32 v3, 2, v0
	v_add_nc_u32_e32 v57, 0, v5
	v_or_b32_e32 v5, 31, v14
	v_cmp_gt_i32_e32 vcc_lo, 0, v2
	s_mul_i32 s64, s34, s16
	v_and_b32_e32 v3, 24, v3
	s_cselect_b32 s83, -1, 0
	s_lshl_b64 s[14:15], s[64:65], 2
	v_cndmask_b32_e32 v2, v2, v35, vcc_lo
	s_add_i32 s84, s80, -1
	s_mul_i32 s64, s17, s12
	v_cmp_eq_u32_e64 s5, v5, v0
	v_cmp_gt_u32_e64 s6, 4, v0
	v_lshl_add_u32 v87, v0, 3, 0
	v_cmp_gt_u32_e64 s9, 32, v0
	v_cmp_lt_u32_e64 s10, 31, v0
	v_cmp_eq_u32_e64 s11, 0, v0
	s_add_u32 s14, s30, s14
	v_lshlrev_b32_e32 v0, 2, v35
	s_addc_u32 s15, s31, s15
	s_lshl_b64 s[12:13], s[64:65], 2
	v_add_nc_u32_e32 v86, 0, v3
	v_and_b32_e32 v3, 3, v35
	s_add_u32 s12, s14, s12
	v_lshlrev_b32_e32 v88, 2, v2
	s_addc_u32 s13, s15, s13
	v_lshlrev_b32_e32 v2, 2, v1
	v_add_co_u32 v0, s12, s12, v0
	v_add_nc_u32_e32 v55, 0, v4
	v_and_b32_e32 v4, 16, v35
	v_cmp_ne_u32_e64 s7, 0, v3
	v_cmp_lt_u32_e64 s8, 1, v3
	v_add_co_ci_u32_e64 v3, null, s13, 0, s12
	v_add_co_u32 v89, vcc_lo, v0, v2
	v_add_nc_u32_e32 v58, 0, v6
	v_add_nc_u32_e32 v59, 0, v7
	;; [unrolled: 1-line block ×12, first 2 shown]
	v_cmp_ne_u32_e64 s4, 0, v4
	v_cmp_eq_u32_e64 s12, 0, v35
	v_add_co_ci_u32_e32 v90, vcc_lo, 0, v3, vcc_lo
	v_or_b32_e32 v91, 1, v34
	v_or_b32_e32 v92, 2, v34
	;; [unrolled: 1-line block ×15, first 2 shown]
	v_lshlrev_b32_e32 v106, 2, v1
	s_mov_b32 s85, 0x3e9b6dac
	s_add_i32 s86, 0, 0x4220
	s_mov_b32 s87, 0
	s_branch .LBB158_12
.LBB158_11:                             ;   in Loop: Header=BB158_12 Depth=1
	s_or_b32 exec_lo, exec_lo, s13
	s_add_u32 s72, s72, 0x2000
	s_addc_u32 s73, s73, 0
	s_add_u32 s70, s70, 0x2000
	s_addc_u32 s71, s71, 0
	;; [unrolled: 2-line block ×4, first 2 shown]
	s_add_i32 s87, s87, 1
	s_delay_alu instid0(SALU_CYCLE_1)
	s_cmp_eq_u32 s87, s80
	s_cbranch_scc1 .LBB158_238
.LBB158_12:                             ; =>This Loop Header: Depth=1
                                        ;     Child Loop BB158_109 Depth 2
	v_lshlrev_b32_e32 v32, 2, v35
	s_lshl_b32 s50, s87, 11
	s_waitcnt lgkmcnt(0)
	v_mov_b32_e32 v2, 0
	s_sub_i32 s41, s69, s50
	v_add_co_u32 v0, s13, s70, v32
	s_delay_alu instid0(VALU_DEP_1) | instskip(SKIP_1) | instid1(VALU_DEP_3)
	v_add_co_ci_u32_e64 v1, null, s71, 0, s13
	v_cmp_gt_u32_e64 s13, s41, v36
	v_add_co_u32 v0, vcc_lo, v0, v106
	s_delay_alu instid0(VALU_DEP_3)
	v_add_co_ci_u32_e32 v1, vcc_lo, 0, v1, vcc_lo
	s_waitcnt_vscnt null, 0x0
	s_barrier
	buffer_gl0_inv
	s_and_saveexec_b32 s14, s13
	s_cbranch_execz .LBB158_14
; %bb.13:                               ;   in Loop: Header=BB158_12 Depth=1
	global_load_b32 v2, v[0:1], off
.LBB158_14:                             ;   in Loop: Header=BB158_12 Depth=1
	s_or_b32 exec_lo, exec_lo, s14
	v_cmp_gt_u32_e64 s14, s41, v38
	v_dual_mov_b32 v3, 0 :: v_dual_mov_b32 v4, 0
	s_delay_alu instid0(VALU_DEP_2)
	s_and_saveexec_b32 s15, s14
	s_cbranch_execz .LBB158_16
; %bb.15:                               ;   in Loop: Header=BB158_12 Depth=1
	global_load_b32 v4, v[0:1], off offset:128
.LBB158_16:                             ;   in Loop: Header=BB158_12 Depth=1
	s_or_b32 exec_lo, exec_lo, s15
	v_cmp_gt_u32_e64 s15, s41, v39
	s_delay_alu instid0(VALU_DEP_1)
	s_and_saveexec_b32 s16, s15
	s_cbranch_execz .LBB158_18
; %bb.17:                               ;   in Loop: Header=BB158_12 Depth=1
	global_load_b32 v3, v[0:1], off offset:256
.LBB158_18:                             ;   in Loop: Header=BB158_12 Depth=1
	s_or_b32 exec_lo, exec_lo, s16
	v_cmp_gt_u32_e64 s16, s41, v40
	v_dual_mov_b32 v5, 0 :: v_dual_mov_b32 v6, 0
	s_delay_alu instid0(VALU_DEP_2)
	s_and_saveexec_b32 s17, s16
	s_cbranch_execz .LBB158_20
; %bb.19:                               ;   in Loop: Header=BB158_12 Depth=1
	global_load_b32 v6, v[0:1], off offset:384
.LBB158_20:                             ;   in Loop: Header=BB158_12 Depth=1
	s_or_b32 exec_lo, exec_lo, s17
	v_cmp_gt_u32_e64 s17, s41, v41
	s_delay_alu instid0(VALU_DEP_1)
	s_and_saveexec_b32 s18, s17
	s_cbranch_execz .LBB158_22
; %bb.21:                               ;   in Loop: Header=BB158_12 Depth=1
	global_load_b32 v5, v[0:1], off offset:512
.LBB158_22:                             ;   in Loop: Header=BB158_12 Depth=1
	;; [unrolled: 17-line block ×7, first 2 shown]
	s_or_b32 exec_lo, exec_lo, s28
	v_cmp_gt_u32_e64 s28, s41, v52
	v_dual_mov_b32 v18, 0 :: v_dual_mov_b32 v17, 0
	s_delay_alu instid0(VALU_DEP_2)
	s_and_saveexec_b32 s29, s28
	s_cbranch_execz .LBB158_44
; %bb.43:                               ;   in Loop: Header=BB158_12 Depth=1
	global_load_b32 v17, v[0:1], off offset:1920
.LBB158_44:                             ;   in Loop: Header=BB158_12 Depth=1
	s_or_b32 exec_lo, exec_lo, s29
	s_waitcnt vmcnt(0)
	ds_store_b32 v53, v2
	ds_store_b32 v54, v4 offset:128
	ds_store_b32 v55, v3 offset:256
	;; [unrolled: 1-line block ×15, first 2 shown]
	; wave barrier
	ds_load_2addr_b32 v[0:1], v69 offset1:1
	ds_load_2addr_b32 v[2:3], v69 offset0:2 offset1:3
	ds_load_2addr_b32 v[4:5], v69 offset0:4 offset1:5
	;; [unrolled: 1-line block ×7, first 2 shown]
	v_add_co_u32 v16, s29, s72, v32
	s_delay_alu instid0(VALU_DEP_1) | instskip(SKIP_1) | instid1(VALU_DEP_2)
	v_add_co_ci_u32_e64 v17, null, s73, 0, s29
	s_waitcnt lgkmcnt(0)
	v_add_co_u32 v16, vcc_lo, v16, v106
	s_delay_alu instid0(VALU_DEP_2)
	v_add_co_ci_u32_e32 v17, vcc_lo, 0, v17, vcc_lo
	s_barrier
	buffer_gl0_inv
	s_and_saveexec_b32 s29, s13
	s_cbranch_execz .LBB158_46
; %bb.45:                               ;   in Loop: Header=BB158_12 Depth=1
	global_load_b32 v18, v[16:17], off
.LBB158_46:                             ;   in Loop: Header=BB158_12 Depth=1
	s_or_b32 exec_lo, exec_lo, s29
	v_dual_mov_b32 v19, 0 :: v_dual_mov_b32 v20, 0
	s_and_saveexec_b32 s29, s14
	s_cbranch_execz .LBB158_48
; %bb.47:                               ;   in Loop: Header=BB158_12 Depth=1
	global_load_b32 v20, v[16:17], off offset:128
.LBB158_48:                             ;   in Loop: Header=BB158_12 Depth=1
	s_or_b32 exec_lo, exec_lo, s29
	s_and_saveexec_b32 s29, s15
	s_cbranch_execz .LBB158_50
; %bb.49:                               ;   in Loop: Header=BB158_12 Depth=1
	global_load_b32 v19, v[16:17], off offset:256
.LBB158_50:                             ;   in Loop: Header=BB158_12 Depth=1
	s_or_b32 exec_lo, exec_lo, s29
	v_dual_mov_b32 v21, 0 :: v_dual_mov_b32 v22, 0
	s_and_saveexec_b32 s29, s16
	s_cbranch_execz .LBB158_52
; %bb.51:                               ;   in Loop: Header=BB158_12 Depth=1
	global_load_b32 v22, v[16:17], off offset:384
.LBB158_52:                             ;   in Loop: Header=BB158_12 Depth=1
	s_or_b32 exec_lo, exec_lo, s29
	s_and_saveexec_b32 s29, s17
	s_cbranch_execz .LBB158_54
; %bb.53:                               ;   in Loop: Header=BB158_12 Depth=1
	global_load_b32 v21, v[16:17], off offset:512
.LBB158_54:                             ;   in Loop: Header=BB158_12 Depth=1
	;; [unrolled: 13-line block ×6, first 2 shown]
	s_or_b32 exec_lo, exec_lo, s29
	v_mov_b32_e32 v31, 0
	v_mov_b32_e32 v33, 0
	s_and_saveexec_b32 s29, s26
	s_cbranch_execnz .LBB158_220
; %bb.71:                               ;   in Loop: Header=BB158_12 Depth=1
	s_or_b32 exec_lo, exec_lo, s29
	s_and_saveexec_b32 s29, s27
	s_cbranch_execnz .LBB158_221
.LBB158_72:                             ;   in Loop: Header=BB158_12 Depth=1
	s_or_b32 exec_lo, exec_lo, s29
	v_mov_b32_e32 v107, 0
	s_and_saveexec_b32 s29, s28
	s_cbranch_execz .LBB158_74
.LBB158_73:                             ;   in Loop: Header=BB158_12 Depth=1
	global_load_b32 v107, v[16:17], off offset:1920
.LBB158_74:                             ;   in Loop: Header=BB158_12 Depth=1
	s_or_b32 exec_lo, exec_lo, s29
	s_waitcnt vmcnt(0)
	ds_store_b32 v53, v18
	ds_store_b32 v54, v20 offset:128
	ds_store_b32 v55, v19 offset:256
	;; [unrolled: 1-line block ×15, first 2 shown]
	; wave barrier
	ds_load_2addr_b32 v[30:31], v69 offset1:1
	ds_load_2addr_b32 v[28:29], v69 offset0:2 offset1:3
	ds_load_2addr_b32 v[26:27], v69 offset0:4 offset1:5
	;; [unrolled: 1-line block ×7, first 2 shown]
	s_waitcnt lgkmcnt(7)
	v_add_f32_e32 v107, s67, v30
	s_delay_alu instid0(VALU_DEP_1) | instskip(SKIP_1) | instid1(SALU_CYCLE_1)
	v_cmp_ge_f32_e32 vcc_lo, 0x41a00000, v107
	s_and_b32 s29, s81, vcc_lo
	s_and_saveexec_b32 s30, s29
	s_cbranch_execz .LBB158_76
; %bb.75:                               ;   in Loop: Header=BB158_12 Depth=1
	v_mul_f32_e32 v30, 0x3fb8aa3b, v107
	v_cmp_ngt_f32_e32 vcc_lo, 0xc2ce8ed0, v107
	s_delay_alu instid0(VALU_DEP_2) | instskip(SKIP_1) | instid1(VALU_DEP_2)
	v_rndne_f32_e32 v33, v30
	v_fma_f32 v108, 0x3fb8aa3b, v107, -v30
	v_sub_f32_e32 v30, v30, v33
	s_delay_alu instid0(VALU_DEP_2) | instskip(SKIP_1) | instid1(VALU_DEP_2)
	v_fmac_f32_e32 v108, 0x32a5705f, v107
	v_cvt_i32_f32_e32 v33, v33
	v_add_f32_e32 v30, v30, v108
	s_delay_alu instid0(VALU_DEP_1) | instskip(SKIP_2) | instid1(VALU_DEP_1)
	v_exp_f32_e32 v30, v30
	s_waitcnt_depctr 0xfff
	v_ldexp_f32 v30, v30, v33
	v_cndmask_b32_e32 v30, 0, v30, vcc_lo
	v_cmp_nlt_f32_e32 vcc_lo, 0x42b17218, v107
	s_delay_alu instid0(VALU_DEP_2) | instskip(NEXT) | instid1(VALU_DEP_1)
	v_cndmask_b32_e32 v30, 0x7f800000, v30, vcc_lo
	v_add_f32_e32 v33, 1.0, v30
	s_delay_alu instid0(VALU_DEP_1) | instskip(NEXT) | instid1(VALU_DEP_1)
	v_cvt_f64_f32_e32 v[107:108], v33
	v_frexp_exp_i32_f64_e32 v107, v[107:108]
	v_frexp_mant_f32_e32 v108, v33
	s_delay_alu instid0(VALU_DEP_1) | instskip(SKIP_1) | instid1(VALU_DEP_1)
	v_cmp_gt_f32_e32 vcc_lo, 0x3f2aaaab, v108
	v_add_f32_e32 v108, -1.0, v33
	v_sub_f32_e32 v110, v108, v33
	v_sub_f32_e32 v108, v30, v108
	s_delay_alu instid0(VALU_DEP_2) | instskip(NEXT) | instid1(VALU_DEP_1)
	v_add_f32_e32 v110, 1.0, v110
	v_add_f32_e32 v108, v108, v110
	v_subrev_co_ci_u32_e32 v107, vcc_lo, 0, v107, vcc_lo
	s_delay_alu instid0(VALU_DEP_1) | instskip(SKIP_1) | instid1(VALU_DEP_2)
	v_sub_nc_u32_e32 v109, 0, v107
	v_cvt_f32_i32_e32 v107, v107
	v_ldexp_f32 v33, v33, v109
	v_ldexp_f32 v108, v108, v109
	s_delay_alu instid0(VALU_DEP_2) | instskip(NEXT) | instid1(VALU_DEP_1)
	v_add_f32_e32 v111, 1.0, v33
	v_dual_add_f32 v109, -1.0, v33 :: v_dual_add_f32 v110, -1.0, v111
	s_delay_alu instid0(VALU_DEP_1) | instskip(NEXT) | instid1(VALU_DEP_2)
	v_add_f32_e32 v112, 1.0, v109
	v_sub_f32_e32 v110, v33, v110
	s_delay_alu instid0(VALU_DEP_1) | instskip(NEXT) | instid1(VALU_DEP_1)
	v_dual_sub_f32 v33, v33, v112 :: v_dual_add_f32 v110, v108, v110
	v_dual_add_f32 v33, v108, v33 :: v_dual_add_f32 v112, v111, v110
	s_delay_alu instid0(VALU_DEP_1) | instskip(SKIP_2) | instid1(VALU_DEP_4)
	v_add_f32_e32 v113, v109, v33
	v_cmp_eq_f32_e32 vcc_lo, 0x7f800000, v30
	v_cmp_gt_f32_e64 s29, 0x33800000, v30
	v_rcp_f32_e32 v108, v112
	v_sub_f32_e32 v111, v111, v112
	v_sub_f32_e32 v109, v109, v113
	s_delay_alu instid0(VALU_DEP_3) | instskip(NEXT) | instid1(VALU_DEP_1)
	s_or_b32 vcc_lo, s29, vcc_lo
	v_dual_add_f32 v33, v33, v109 :: v_dual_add_f32 v110, v110, v111
	s_waitcnt_depctr 0xfff
	v_mul_f32_e32 v114, v113, v108
	s_delay_alu instid0(VALU_DEP_1) | instskip(NEXT) | instid1(VALU_DEP_1)
	v_mul_f32_e32 v115, v112, v114
	v_fma_f32 v111, v114, v112, -v115
	s_delay_alu instid0(VALU_DEP_1) | instskip(NEXT) | instid1(VALU_DEP_1)
	v_fmac_f32_e32 v111, v114, v110
	v_add_f32_e32 v116, v115, v111
	s_delay_alu instid0(VALU_DEP_1) | instskip(SKIP_1) | instid1(VALU_DEP_2)
	v_sub_f32_e32 v117, v113, v116
	v_sub_f32_e32 v109, v116, v115
	;; [unrolled: 1-line block ×3, first 2 shown]
	s_delay_alu instid0(VALU_DEP_2) | instskip(NEXT) | instid1(VALU_DEP_2)
	v_sub_f32_e32 v109, v109, v111
	v_sub_f32_e32 v113, v113, v116
	s_delay_alu instid0(VALU_DEP_1) | instskip(NEXT) | instid1(VALU_DEP_1)
	v_add_f32_e32 v33, v33, v113
	v_add_f32_e32 v33, v109, v33
	s_delay_alu instid0(VALU_DEP_1) | instskip(NEXT) | instid1(VALU_DEP_1)
	v_add_f32_e32 v109, v117, v33
	v_mul_f32_e32 v111, v108, v109
	s_delay_alu instid0(VALU_DEP_1) | instskip(NEXT) | instid1(VALU_DEP_1)
	v_mul_f32_e32 v113, v112, v111
	v_fma_f32 v112, v111, v112, -v113
	s_delay_alu instid0(VALU_DEP_1) | instskip(SKIP_1) | instid1(VALU_DEP_2)
	v_fmac_f32_e32 v112, v111, v110
	v_sub_f32_e32 v116, v117, v109
	v_add_f32_e32 v110, v113, v112
	s_delay_alu instid0(VALU_DEP_2) | instskip(NEXT) | instid1(VALU_DEP_2)
	v_add_f32_e32 v33, v33, v116
	v_sub_f32_e32 v115, v109, v110
	s_delay_alu instid0(VALU_DEP_1) | instskip(NEXT) | instid1(VALU_DEP_1)
	v_sub_f32_e32 v109, v109, v115
	v_sub_f32_e32 v109, v109, v110
	s_delay_alu instid0(VALU_DEP_1) | instskip(SKIP_2) | instid1(VALU_DEP_1)
	v_add_f32_e32 v33, v33, v109
	v_add_f32_e32 v109, v114, v111
	v_sub_f32_e32 v113, v110, v113
	v_sub_f32_e32 v110, v113, v112
	s_delay_alu instid0(VALU_DEP_1) | instskip(NEXT) | instid1(VALU_DEP_1)
	v_dual_add_f32 v33, v110, v33 :: v_dual_sub_f32 v110, v109, v114
	v_add_f32_e32 v33, v115, v33
	s_delay_alu instid0(VALU_DEP_1) | instskip(NEXT) | instid1(VALU_DEP_1)
	v_dual_sub_f32 v110, v111, v110 :: v_dual_mul_f32 v33, v108, v33
	v_add_f32_e32 v33, v110, v33
	s_delay_alu instid0(VALU_DEP_1) | instskip(NEXT) | instid1(VALU_DEP_1)
	v_add_f32_e32 v108, v109, v33
	v_mul_f32_e32 v110, v108, v108
	s_delay_alu instid0(VALU_DEP_1) | instskip(SKIP_1) | instid1(VALU_DEP_2)
	v_fmaak_f32 v111, s85, v110, 0x3ecc95a3
	v_mul_f32_e32 v112, v108, v110
	v_fmaak_f32 v110, v110, v111, 0x3f2aaada
	v_ldexp_f32 v111, v108, 1
	s_delay_alu instid0(VALU_DEP_2) | instskip(SKIP_1) | instid1(VALU_DEP_2)
	v_mul_f32_e32 v110, v112, v110
	v_sub_f32_e32 v108, v108, v109
	v_dual_mul_f32 v112, 0x3f317218, v107 :: v_dual_add_f32 v109, v111, v110
	s_delay_alu instid0(VALU_DEP_2) | instskip(NEXT) | instid1(VALU_DEP_2)
	v_sub_f32_e32 v33, v33, v108
	v_sub_f32_e32 v108, v109, v111
	s_delay_alu instid0(VALU_DEP_3) | instskip(NEXT) | instid1(VALU_DEP_3)
	v_fma_f32 v111, 0x3f317218, v107, -v112
	v_ldexp_f32 v33, v33, 1
	s_delay_alu instid0(VALU_DEP_2) | instskip(NEXT) | instid1(VALU_DEP_1)
	v_dual_sub_f32 v108, v110, v108 :: v_dual_fmac_f32 v111, 0xb102e308, v107
	v_add_f32_e32 v33, v33, v108
	s_delay_alu instid0(VALU_DEP_1) | instskip(NEXT) | instid1(VALU_DEP_1)
	v_dual_add_f32 v107, v112, v111 :: v_dual_add_f32 v108, v109, v33
	v_sub_f32_e32 v112, v107, v112
	s_delay_alu instid0(VALU_DEP_2) | instskip(NEXT) | instid1(VALU_DEP_2)
	v_dual_add_f32 v110, v107, v108 :: v_dual_sub_f32 v109, v108, v109
	v_sub_f32_e32 v111, v111, v112
	s_delay_alu instid0(VALU_DEP_2) | instskip(NEXT) | instid1(VALU_DEP_1)
	v_sub_f32_e32 v113, v110, v107
	v_sub_f32_e32 v114, v110, v113
	;; [unrolled: 1-line block ×4, first 2 shown]
	s_delay_alu instid0(VALU_DEP_1) | instskip(NEXT) | instid1(VALU_DEP_4)
	v_add_f32_e32 v109, v111, v33
	v_sub_f32_e32 v107, v107, v114
	s_delay_alu instid0(VALU_DEP_1) | instskip(NEXT) | instid1(VALU_DEP_3)
	v_add_f32_e32 v107, v108, v107
	v_sub_f32_e32 v108, v109, v111
	s_delay_alu instid0(VALU_DEP_2) | instskip(NEXT) | instid1(VALU_DEP_2)
	v_add_f32_e32 v107, v109, v107
	v_sub_f32_e32 v109, v109, v108
	s_delay_alu instid0(VALU_DEP_2) | instskip(NEXT) | instid1(VALU_DEP_1)
	v_dual_sub_f32 v33, v33, v108 :: v_dual_add_f32 v112, v110, v107
	v_dual_sub_f32 v108, v112, v110 :: v_dual_sub_f32 v109, v111, v109
	s_delay_alu instid0(VALU_DEP_1) | instskip(NEXT) | instid1(VALU_DEP_2)
	v_sub_f32_e32 v107, v107, v108
	v_add_f32_e32 v33, v33, v109
	s_delay_alu instid0(VALU_DEP_1) | instskip(NEXT) | instid1(VALU_DEP_1)
	v_add_f32_e32 v33, v33, v107
	v_add_f32_e32 v33, v112, v33
	s_delay_alu instid0(VALU_DEP_1)
	v_cndmask_b32_e32 v107, v33, v30, vcc_lo
.LBB158_76:                             ;   in Loop: Header=BB158_12 Depth=1
	s_or_b32 exec_lo, exec_lo, s30
	v_add_f32_e32 v108, s67, v31
	s_delay_alu instid0(VALU_DEP_1) | instskip(SKIP_1) | instid1(SALU_CYCLE_1)
	v_cmp_ge_f32_e32 vcc_lo, 0x41a00000, v108
	s_and_b32 s29, s81, vcc_lo
	s_and_saveexec_b32 s30, s29
	s_cbranch_execz .LBB158_78
; %bb.77:                               ;   in Loop: Header=BB158_12 Depth=1
	v_mul_f32_e32 v30, 0x3fb8aa3b, v108
	v_cmp_ngt_f32_e32 vcc_lo, 0xc2ce8ed0, v108
	s_delay_alu instid0(VALU_DEP_2) | instskip(SKIP_1) | instid1(VALU_DEP_1)
	v_rndne_f32_e32 v31, v30
	v_fma_f32 v33, 0x3fb8aa3b, v108, -v30
	v_dual_sub_f32 v30, v30, v31 :: v_dual_fmac_f32 v33, 0x32a5705f, v108
	v_cvt_i32_f32_e32 v31, v31
	s_delay_alu instid0(VALU_DEP_2) | instskip(NEXT) | instid1(VALU_DEP_1)
	v_add_f32_e32 v30, v30, v33
	v_exp_f32_e32 v30, v30
	s_waitcnt_depctr 0xfff
	v_ldexp_f32 v30, v30, v31
	s_delay_alu instid0(VALU_DEP_1) | instskip(SKIP_1) | instid1(VALU_DEP_2)
	v_cndmask_b32_e32 v30, 0, v30, vcc_lo
	v_cmp_nlt_f32_e32 vcc_lo, 0x42b17218, v108
	v_cndmask_b32_e32 v33, 0x7f800000, v30, vcc_lo
	s_delay_alu instid0(VALU_DEP_1) | instskip(NEXT) | instid1(VALU_DEP_1)
	v_add_f32_e32 v108, 1.0, v33
	v_cvt_f64_f32_e32 v[30:31], v108
	s_delay_alu instid0(VALU_DEP_1) | instskip(SKIP_1) | instid1(VALU_DEP_1)
	v_frexp_exp_i32_f64_e32 v30, v[30:31]
	v_frexp_mant_f32_e32 v31, v108
	v_cmp_gt_f32_e32 vcc_lo, 0x3f2aaaab, v31
	v_add_f32_e32 v31, -1.0, v108
	s_delay_alu instid0(VALU_DEP_1) | instskip(SKIP_1) | instid1(VALU_DEP_2)
	v_dual_sub_f32 v110, v31, v108 :: v_dual_sub_f32 v31, v33, v31
	v_cmp_gt_f32_e64 s29, 0x33800000, v33
	v_add_f32_e32 v110, 1.0, v110
	s_delay_alu instid0(VALU_DEP_1) | instskip(SKIP_2) | instid1(VALU_DEP_2)
	v_add_f32_e32 v31, v31, v110
	v_subrev_co_ci_u32_e32 v30, vcc_lo, 0, v30, vcc_lo
	v_cmp_eq_f32_e32 vcc_lo, 0x7f800000, v33
	v_sub_nc_u32_e32 v109, 0, v30
	v_cvt_f32_i32_e32 v30, v30
	s_or_b32 vcc_lo, s29, vcc_lo
	s_delay_alu instid0(VALU_DEP_2) | instskip(SKIP_1) | instid1(VALU_DEP_2)
	v_ldexp_f32 v108, v108, v109
	v_ldexp_f32 v31, v31, v109
	v_add_f32_e32 v109, -1.0, v108
	s_delay_alu instid0(VALU_DEP_1) | instskip(NEXT) | instid1(VALU_DEP_1)
	v_dual_add_f32 v111, 1.0, v108 :: v_dual_add_f32 v112, 1.0, v109
	v_add_f32_e32 v110, -1.0, v111
	s_delay_alu instid0(VALU_DEP_1) | instskip(NEXT) | instid1(VALU_DEP_3)
	v_sub_f32_e32 v110, v108, v110
	v_sub_f32_e32 v108, v108, v112
	s_delay_alu instid0(VALU_DEP_2) | instskip(NEXT) | instid1(VALU_DEP_2)
	v_add_f32_e32 v110, v31, v110
	v_add_f32_e32 v31, v31, v108
	s_delay_alu instid0(VALU_DEP_1) | instskip(NEXT) | instid1(VALU_DEP_1)
	v_dual_add_f32 v113, v109, v31 :: v_dual_add_f32 v112, v111, v110
	v_sub_f32_e32 v109, v109, v113
	s_delay_alu instid0(VALU_DEP_2) | instskip(SKIP_1) | instid1(VALU_DEP_1)
	v_rcp_f32_e32 v108, v112
	v_sub_f32_e32 v111, v111, v112
	v_dual_add_f32 v31, v31, v109 :: v_dual_add_f32 v110, v110, v111
	s_waitcnt_depctr 0xfff
	v_mul_f32_e32 v114, v113, v108
	s_delay_alu instid0(VALU_DEP_1) | instskip(NEXT) | instid1(VALU_DEP_1)
	v_mul_f32_e32 v115, v112, v114
	v_fma_f32 v111, v114, v112, -v115
	s_delay_alu instid0(VALU_DEP_1) | instskip(NEXT) | instid1(VALU_DEP_1)
	v_fmac_f32_e32 v111, v114, v110
	v_add_f32_e32 v116, v115, v111
	s_delay_alu instid0(VALU_DEP_1) | instskip(SKIP_1) | instid1(VALU_DEP_2)
	v_sub_f32_e32 v117, v113, v116
	v_sub_f32_e32 v109, v116, v115
	;; [unrolled: 1-line block ×3, first 2 shown]
	s_delay_alu instid0(VALU_DEP_2) | instskip(NEXT) | instid1(VALU_DEP_2)
	v_sub_f32_e32 v109, v109, v111
	v_sub_f32_e32 v113, v113, v116
	s_delay_alu instid0(VALU_DEP_1) | instskip(NEXT) | instid1(VALU_DEP_1)
	v_add_f32_e32 v31, v31, v113
	v_add_f32_e32 v31, v109, v31
	s_delay_alu instid0(VALU_DEP_1) | instskip(NEXT) | instid1(VALU_DEP_1)
	v_add_f32_e32 v109, v117, v31
	v_mul_f32_e32 v111, v108, v109
	s_delay_alu instid0(VALU_DEP_1) | instskip(NEXT) | instid1(VALU_DEP_1)
	v_dual_sub_f32 v116, v117, v109 :: v_dual_mul_f32 v113, v112, v111
	v_add_f32_e32 v31, v31, v116
	s_delay_alu instid0(VALU_DEP_2) | instskip(NEXT) | instid1(VALU_DEP_1)
	v_fma_f32 v112, v111, v112, -v113
	v_fmac_f32_e32 v112, v111, v110
	s_delay_alu instid0(VALU_DEP_1) | instskip(NEXT) | instid1(VALU_DEP_1)
	v_add_f32_e32 v110, v113, v112
	v_sub_f32_e32 v115, v109, v110
	s_delay_alu instid0(VALU_DEP_1) | instskip(NEXT) | instid1(VALU_DEP_1)
	v_sub_f32_e32 v109, v109, v115
	v_sub_f32_e32 v109, v109, v110
	s_delay_alu instid0(VALU_DEP_1) | instskip(SKIP_2) | instid1(VALU_DEP_1)
	v_add_f32_e32 v31, v31, v109
	v_add_f32_e32 v109, v114, v111
	v_sub_f32_e32 v113, v110, v113
	v_sub_f32_e32 v110, v113, v112
	s_delay_alu instid0(VALU_DEP_1) | instskip(NEXT) | instid1(VALU_DEP_1)
	v_dual_add_f32 v31, v110, v31 :: v_dual_sub_f32 v110, v109, v114
	v_add_f32_e32 v31, v115, v31
	s_delay_alu instid0(VALU_DEP_1) | instskip(NEXT) | instid1(VALU_DEP_1)
	v_dual_sub_f32 v110, v111, v110 :: v_dual_mul_f32 v31, v108, v31
	v_add_f32_e32 v31, v110, v31
	s_delay_alu instid0(VALU_DEP_1) | instskip(NEXT) | instid1(VALU_DEP_1)
	v_add_f32_e32 v108, v109, v31
	v_mul_f32_e32 v110, v108, v108
	s_delay_alu instid0(VALU_DEP_1) | instskip(SKIP_1) | instid1(VALU_DEP_2)
	v_fmaak_f32 v111, s85, v110, 0x3ecc95a3
	v_mul_f32_e32 v112, v108, v110
	v_fmaak_f32 v110, v110, v111, 0x3f2aaada
	v_ldexp_f32 v111, v108, 1
	v_sub_f32_e32 v108, v108, v109
	s_delay_alu instid0(VALU_DEP_3) | instskip(NEXT) | instid1(VALU_DEP_2)
	v_mul_f32_e32 v110, v112, v110
	v_dual_mul_f32 v112, 0x3f317218, v30 :: v_dual_sub_f32 v31, v31, v108
	s_delay_alu instid0(VALU_DEP_2) | instskip(NEXT) | instid1(VALU_DEP_2)
	v_add_f32_e32 v109, v111, v110
	v_ldexp_f32 v31, v31, 1
	s_delay_alu instid0(VALU_DEP_2) | instskip(NEXT) | instid1(VALU_DEP_4)
	v_sub_f32_e32 v108, v109, v111
	v_fma_f32 v111, 0x3f317218, v30, -v112
	s_delay_alu instid0(VALU_DEP_1) | instskip(NEXT) | instid1(VALU_DEP_1)
	v_dual_sub_f32 v108, v110, v108 :: v_dual_fmac_f32 v111, 0xb102e308, v30
	v_add_f32_e32 v30, v31, v108
	s_delay_alu instid0(VALU_DEP_1) | instskip(NEXT) | instid1(VALU_DEP_1)
	v_add_f32_e32 v108, v109, v30
	v_sub_f32_e32 v109, v108, v109
	s_delay_alu instid0(VALU_DEP_1) | instskip(NEXT) | instid1(VALU_DEP_1)
	v_dual_sub_f32 v30, v30, v109 :: v_dual_add_f32 v31, v112, v111
	v_add_f32_e32 v110, v31, v108
	s_delay_alu instid0(VALU_DEP_1) | instskip(NEXT) | instid1(VALU_DEP_1)
	v_dual_sub_f32 v112, v31, v112 :: v_dual_sub_f32 v113, v110, v31
	v_dual_sub_f32 v111, v111, v112 :: v_dual_sub_f32 v114, v110, v113
	s_delay_alu instid0(VALU_DEP_1) | instskip(NEXT) | instid1(VALU_DEP_2)
	v_dual_sub_f32 v108, v108, v113 :: v_dual_add_f32 v109, v111, v30
	v_sub_f32_e32 v31, v31, v114
	s_delay_alu instid0(VALU_DEP_1) | instskip(NEXT) | instid1(VALU_DEP_3)
	v_add_f32_e32 v31, v108, v31
	v_sub_f32_e32 v108, v109, v111
	s_delay_alu instid0(VALU_DEP_2) | instskip(NEXT) | instid1(VALU_DEP_2)
	v_add_f32_e32 v31, v109, v31
	v_sub_f32_e32 v109, v109, v108
	v_sub_f32_e32 v30, v30, v108
	s_delay_alu instid0(VALU_DEP_2) | instskip(NEXT) | instid1(VALU_DEP_1)
	v_dual_add_f32 v112, v110, v31 :: v_dual_sub_f32 v109, v111, v109
	v_sub_f32_e32 v108, v112, v110
	s_delay_alu instid0(VALU_DEP_1) | instskip(NEXT) | instid1(VALU_DEP_1)
	v_dual_add_f32 v30, v30, v109 :: v_dual_sub_f32 v31, v31, v108
	v_add_f32_e32 v30, v30, v31
	s_delay_alu instid0(VALU_DEP_1) | instskip(NEXT) | instid1(VALU_DEP_1)
	v_add_f32_e32 v30, v112, v30
	v_cndmask_b32_e32 v108, v30, v33, vcc_lo
.LBB158_78:                             ;   in Loop: Header=BB158_12 Depth=1
	s_or_b32 exec_lo, exec_lo, s30
	s_waitcnt lgkmcnt(6)
	v_add_f32_e32 v109, s67, v28
	s_delay_alu instid0(VALU_DEP_1) | instskip(SKIP_1) | instid1(SALU_CYCLE_1)
	v_cmp_ge_f32_e32 vcc_lo, 0x41a00000, v109
	s_and_b32 s29, s81, vcc_lo
	s_and_saveexec_b32 s30, s29
	s_cbranch_execz .LBB158_80
; %bb.79:                               ;   in Loop: Header=BB158_12 Depth=1
	v_mul_f32_e32 v28, 0x3fb8aa3b, v109
	v_cmp_ngt_f32_e32 vcc_lo, 0xc2ce8ed0, v109
	s_delay_alu instid0(VALU_DEP_2) | instskip(SKIP_1) | instid1(VALU_DEP_1)
	v_rndne_f32_e32 v30, v28
	v_fma_f32 v31, 0x3fb8aa3b, v109, -v28
	v_dual_sub_f32 v28, v28, v30 :: v_dual_fmac_f32 v31, 0x32a5705f, v109
	v_cvt_i32_f32_e32 v30, v30
	s_delay_alu instid0(VALU_DEP_2) | instskip(NEXT) | instid1(VALU_DEP_1)
	v_add_f32_e32 v28, v28, v31
	v_exp_f32_e32 v28, v28
	s_waitcnt_depctr 0xfff
	v_ldexp_f32 v28, v28, v30
	s_delay_alu instid0(VALU_DEP_1) | instskip(SKIP_1) | instid1(VALU_DEP_2)
	v_cndmask_b32_e32 v28, 0, v28, vcc_lo
	v_cmp_nlt_f32_e32 vcc_lo, 0x42b17218, v109
	v_cndmask_b32_e32 v28, 0x7f800000, v28, vcc_lo
	s_delay_alu instid0(VALU_DEP_1) | instskip(NEXT) | instid1(VALU_DEP_1)
	v_add_f32_e32 v33, 1.0, v28
	v_cvt_f64_f32_e32 v[30:31], v33
	s_delay_alu instid0(VALU_DEP_1) | instskip(SKIP_1) | instid1(VALU_DEP_1)
	v_frexp_exp_i32_f64_e32 v30, v[30:31]
	v_frexp_mant_f32_e32 v31, v33
	v_cmp_gt_f32_e32 vcc_lo, 0x3f2aaaab, v31
	v_add_f32_e32 v31, -1.0, v33
	s_delay_alu instid0(VALU_DEP_1) | instskip(NEXT) | instid1(VALU_DEP_1)
	v_dual_sub_f32 v110, v31, v33 :: v_dual_sub_f32 v31, v28, v31
	v_add_f32_e32 v110, 1.0, v110
	s_delay_alu instid0(VALU_DEP_1) | instskip(SKIP_1) | instid1(VALU_DEP_1)
	v_add_f32_e32 v31, v31, v110
	v_subrev_co_ci_u32_e32 v30, vcc_lo, 0, v30, vcc_lo
	v_sub_nc_u32_e32 v109, 0, v30
	v_cvt_f32_i32_e32 v30, v30
	s_delay_alu instid0(VALU_DEP_2) | instskip(SKIP_1) | instid1(VALU_DEP_2)
	v_ldexp_f32 v33, v33, v109
	v_ldexp_f32 v31, v31, v109
	v_add_f32_e32 v111, 1.0, v33
	v_add_f32_e32 v109, -1.0, v33
	v_cmp_eq_f32_e32 vcc_lo, 0x7f800000, v28
	v_cmp_gt_f32_e64 s29, 0x33800000, v28
	s_delay_alu instid0(VALU_DEP_3) | instskip(SKIP_1) | instid1(VALU_DEP_3)
	v_add_f32_e32 v112, 1.0, v109
	v_add_f32_e32 v110, -1.0, v111
	s_or_b32 vcc_lo, s29, vcc_lo
	s_delay_alu instid0(VALU_DEP_1) | instskip(NEXT) | instid1(VALU_DEP_1)
	v_sub_f32_e32 v110, v33, v110
	v_dual_sub_f32 v33, v33, v112 :: v_dual_add_f32 v110, v31, v110
	s_delay_alu instid0(VALU_DEP_1) | instskip(NEXT) | instid1(VALU_DEP_1)
	v_add_f32_e32 v31, v31, v33
	v_dual_add_f32 v113, v109, v31 :: v_dual_add_f32 v112, v111, v110
	s_delay_alu instid0(VALU_DEP_1) | instskip(NEXT) | instid1(VALU_DEP_2)
	v_sub_f32_e32 v109, v109, v113
	v_rcp_f32_e32 v33, v112
	v_sub_f32_e32 v111, v111, v112
	s_delay_alu instid0(VALU_DEP_1) | instskip(SKIP_2) | instid1(VALU_DEP_1)
	v_dual_add_f32 v31, v31, v109 :: v_dual_add_f32 v110, v110, v111
	s_waitcnt_depctr 0xfff
	v_mul_f32_e32 v114, v113, v33
	v_mul_f32_e32 v115, v112, v114
	s_delay_alu instid0(VALU_DEP_1) | instskip(NEXT) | instid1(VALU_DEP_1)
	v_fma_f32 v111, v114, v112, -v115
	v_fmac_f32_e32 v111, v114, v110
	s_delay_alu instid0(VALU_DEP_1) | instskip(NEXT) | instid1(VALU_DEP_1)
	v_add_f32_e32 v116, v115, v111
	v_sub_f32_e32 v117, v113, v116
	s_delay_alu instid0(VALU_DEP_1) | instskip(SKIP_1) | instid1(VALU_DEP_2)
	v_sub_f32_e32 v113, v113, v117
	v_sub_f32_e32 v109, v116, v115
	;; [unrolled: 1-line block ×3, first 2 shown]
	s_delay_alu instid0(VALU_DEP_2) | instskip(NEXT) | instid1(VALU_DEP_2)
	v_sub_f32_e32 v109, v109, v111
	v_add_f32_e32 v31, v31, v113
	s_delay_alu instid0(VALU_DEP_1) | instskip(NEXT) | instid1(VALU_DEP_1)
	v_add_f32_e32 v31, v109, v31
	v_add_f32_e32 v109, v117, v31
	s_delay_alu instid0(VALU_DEP_1) | instskip(NEXT) | instid1(VALU_DEP_1)
	v_mul_f32_e32 v111, v33, v109
	v_dual_sub_f32 v116, v117, v109 :: v_dual_mul_f32 v113, v112, v111
	s_delay_alu instid0(VALU_DEP_1) | instskip(NEXT) | instid1(VALU_DEP_2)
	v_add_f32_e32 v31, v31, v116
	v_fma_f32 v112, v111, v112, -v113
	s_delay_alu instid0(VALU_DEP_1) | instskip(NEXT) | instid1(VALU_DEP_1)
	v_fmac_f32_e32 v112, v111, v110
	v_add_f32_e32 v110, v113, v112
	s_delay_alu instid0(VALU_DEP_1) | instskip(SKIP_1) | instid1(VALU_DEP_2)
	v_sub_f32_e32 v115, v109, v110
	v_sub_f32_e32 v113, v110, v113
	v_sub_f32_e32 v109, v109, v115
	s_delay_alu instid0(VALU_DEP_1) | instskip(NEXT) | instid1(VALU_DEP_1)
	v_sub_f32_e32 v109, v109, v110
	v_dual_sub_f32 v110, v113, v112 :: v_dual_add_f32 v31, v31, v109
	v_add_f32_e32 v109, v114, v111
	s_delay_alu instid0(VALU_DEP_1) | instskip(NEXT) | instid1(VALU_DEP_1)
	v_dual_add_f32 v31, v110, v31 :: v_dual_sub_f32 v110, v109, v114
	v_add_f32_e32 v31, v115, v31
	s_delay_alu instid0(VALU_DEP_1) | instskip(NEXT) | instid1(VALU_DEP_1)
	v_dual_sub_f32 v110, v111, v110 :: v_dual_mul_f32 v31, v33, v31
	v_add_f32_e32 v31, v110, v31
	s_delay_alu instid0(VALU_DEP_1) | instskip(NEXT) | instid1(VALU_DEP_1)
	v_add_f32_e32 v33, v109, v31
	v_mul_f32_e32 v110, v33, v33
	s_delay_alu instid0(VALU_DEP_1) | instskip(SKIP_1) | instid1(VALU_DEP_2)
	v_fmaak_f32 v111, s85, v110, 0x3ecc95a3
	v_mul_f32_e32 v112, v33, v110
	v_fmaak_f32 v110, v110, v111, 0x3f2aaada
	v_ldexp_f32 v111, v33, 1
	s_delay_alu instid0(VALU_DEP_2) | instskip(NEXT) | instid1(VALU_DEP_1)
	v_dual_sub_f32 v33, v33, v109 :: v_dual_mul_f32 v110, v112, v110
	v_dual_mul_f32 v112, 0x3f317218, v30 :: v_dual_sub_f32 v31, v31, v33
	s_delay_alu instid0(VALU_DEP_2) | instskip(NEXT) | instid1(VALU_DEP_2)
	v_add_f32_e32 v109, v111, v110
	v_ldexp_f32 v31, v31, 1
	s_delay_alu instid0(VALU_DEP_2) | instskip(NEXT) | instid1(VALU_DEP_4)
	v_sub_f32_e32 v33, v109, v111
	v_fma_f32 v111, 0x3f317218, v30, -v112
	s_delay_alu instid0(VALU_DEP_2) | instskip(NEXT) | instid1(VALU_DEP_1)
	v_sub_f32_e32 v33, v110, v33
	v_dual_fmac_f32 v111, 0xb102e308, v30 :: v_dual_add_f32 v30, v31, v33
	s_delay_alu instid0(VALU_DEP_1) | instskip(NEXT) | instid1(VALU_DEP_1)
	v_add_f32_e32 v31, v112, v111
	v_dual_add_f32 v33, v109, v30 :: v_dual_sub_f32 v112, v31, v112
	s_delay_alu instid0(VALU_DEP_1) | instskip(SKIP_1) | instid1(VALU_DEP_3)
	v_add_f32_e32 v110, v31, v33
	v_sub_f32_e32 v109, v33, v109
	v_sub_f32_e32 v111, v111, v112
	s_delay_alu instid0(VALU_DEP_3) | instskip(NEXT) | instid1(VALU_DEP_3)
	v_sub_f32_e32 v113, v110, v31
	v_sub_f32_e32 v30, v30, v109
	s_delay_alu instid0(VALU_DEP_2) | instskip(SKIP_1) | instid1(VALU_DEP_3)
	v_sub_f32_e32 v114, v110, v113
	v_sub_f32_e32 v33, v33, v113
	v_add_f32_e32 v109, v111, v30
	s_delay_alu instid0(VALU_DEP_3) | instskip(NEXT) | instid1(VALU_DEP_1)
	v_sub_f32_e32 v31, v31, v114
	v_add_f32_e32 v31, v33, v31
	s_delay_alu instid0(VALU_DEP_3) | instskip(NEXT) | instid1(VALU_DEP_2)
	v_sub_f32_e32 v33, v109, v111
	v_add_f32_e32 v31, v109, v31
	s_delay_alu instid0(VALU_DEP_2) | instskip(SKIP_1) | instid1(VALU_DEP_2)
	v_sub_f32_e32 v109, v109, v33
	v_sub_f32_e32 v30, v30, v33
	v_dual_add_f32 v112, v110, v31 :: v_dual_sub_f32 v109, v111, v109
	s_delay_alu instid0(VALU_DEP_1) | instskip(NEXT) | instid1(VALU_DEP_1)
	v_dual_sub_f32 v33, v112, v110 :: v_dual_add_f32 v30, v30, v109
	v_sub_f32_e32 v31, v31, v33
	s_delay_alu instid0(VALU_DEP_1) | instskip(NEXT) | instid1(VALU_DEP_1)
	v_add_f32_e32 v30, v30, v31
	v_add_f32_e32 v30, v112, v30
	s_delay_alu instid0(VALU_DEP_1)
	v_cndmask_b32_e32 v109, v30, v28, vcc_lo
.LBB158_80:                             ;   in Loop: Header=BB158_12 Depth=1
	s_or_b32 exec_lo, exec_lo, s30
	v_add_f32_e32 v110, s67, v29
	s_delay_alu instid0(VALU_DEP_1) | instskip(SKIP_1) | instid1(SALU_CYCLE_1)
	v_cmp_ge_f32_e32 vcc_lo, 0x41a00000, v110
	s_and_b32 s29, s81, vcc_lo
	s_and_saveexec_b32 s30, s29
	s_cbranch_execz .LBB158_82
; %bb.81:                               ;   in Loop: Header=BB158_12 Depth=1
	v_mul_f32_e32 v28, 0x3fb8aa3b, v110
	v_cmp_ngt_f32_e32 vcc_lo, 0xc2ce8ed0, v110
	s_delay_alu instid0(VALU_DEP_2) | instskip(SKIP_1) | instid1(VALU_DEP_2)
	v_rndne_f32_e32 v29, v28
	v_fma_f32 v30, 0x3fb8aa3b, v110, -v28
	v_sub_f32_e32 v28, v28, v29
	s_delay_alu instid0(VALU_DEP_2) | instskip(SKIP_1) | instid1(VALU_DEP_2)
	v_fmac_f32_e32 v30, 0x32a5705f, v110
	v_cvt_i32_f32_e32 v29, v29
	v_add_f32_e32 v28, v28, v30
	s_delay_alu instid0(VALU_DEP_1) | instskip(SKIP_2) | instid1(VALU_DEP_1)
	v_exp_f32_e32 v28, v28
	s_waitcnt_depctr 0xfff
	v_ldexp_f32 v28, v28, v29
	v_cndmask_b32_e32 v28, 0, v28, vcc_lo
	v_cmp_nlt_f32_e32 vcc_lo, 0x42b17218, v110
	s_delay_alu instid0(VALU_DEP_2) | instskip(NEXT) | instid1(VALU_DEP_1)
	v_cndmask_b32_e32 v30, 0x7f800000, v28, vcc_lo
	v_add_f32_e32 v31, 1.0, v30
	s_delay_alu instid0(VALU_DEP_1) | instskip(NEXT) | instid1(VALU_DEP_1)
	v_cvt_f64_f32_e32 v[28:29], v31
	v_frexp_exp_i32_f64_e32 v28, v[28:29]
	v_frexp_mant_f32_e32 v29, v31
	s_delay_alu instid0(VALU_DEP_1) | instskip(SKIP_1) | instid1(VALU_DEP_1)
	v_cmp_gt_f32_e32 vcc_lo, 0x3f2aaaab, v29
	v_add_f32_e32 v29, -1.0, v31
	v_dual_sub_f32 v110, v29, v31 :: v_dual_sub_f32 v29, v30, v29
	s_delay_alu instid0(VALU_DEP_1) | instskip(NEXT) | instid1(VALU_DEP_1)
	v_add_f32_e32 v110, 1.0, v110
	v_add_f32_e32 v29, v29, v110
	v_subrev_co_ci_u32_e32 v28, vcc_lo, 0, v28, vcc_lo
	s_delay_alu instid0(VALU_DEP_1) | instskip(SKIP_1) | instid1(VALU_DEP_2)
	v_sub_nc_u32_e32 v33, 0, v28
	v_cvt_f32_i32_e32 v28, v28
	v_ldexp_f32 v31, v31, v33
	v_ldexp_f32 v29, v29, v33
	s_delay_alu instid0(VALU_DEP_2) | instskip(SKIP_3) | instid1(VALU_DEP_4)
	v_add_f32_e32 v111, 1.0, v31
	v_add_f32_e32 v33, -1.0, v31
	v_cmp_eq_f32_e32 vcc_lo, 0x7f800000, v30
	v_cmp_gt_f32_e64 s29, 0x33800000, v30
	v_add_f32_e32 v110, -1.0, v111
	s_delay_alu instid0(VALU_DEP_4) | instskip(NEXT) | instid1(VALU_DEP_3)
	v_add_f32_e32 v112, 1.0, v33
	s_or_b32 vcc_lo, s29, vcc_lo
	s_delay_alu instid0(VALU_DEP_2) | instskip(NEXT) | instid1(VALU_DEP_1)
	v_sub_f32_e32 v110, v31, v110
	v_dual_sub_f32 v31, v31, v112 :: v_dual_add_f32 v110, v29, v110
	s_delay_alu instid0(VALU_DEP_1) | instskip(NEXT) | instid1(VALU_DEP_1)
	v_add_f32_e32 v29, v29, v31
	v_dual_add_f32 v113, v33, v29 :: v_dual_add_f32 v112, v111, v110
	s_delay_alu instid0(VALU_DEP_1) | instskip(NEXT) | instid1(VALU_DEP_2)
	v_sub_f32_e32 v33, v33, v113
	v_rcp_f32_e32 v31, v112
	v_sub_f32_e32 v111, v111, v112
	s_delay_alu instid0(VALU_DEP_1) | instskip(SKIP_2) | instid1(VALU_DEP_1)
	v_dual_add_f32 v110, v110, v111 :: v_dual_add_f32 v29, v29, v33
	s_waitcnt_depctr 0xfff
	v_mul_f32_e32 v114, v113, v31
	v_mul_f32_e32 v115, v112, v114
	s_delay_alu instid0(VALU_DEP_1) | instskip(NEXT) | instid1(VALU_DEP_1)
	v_fma_f32 v111, v114, v112, -v115
	v_fmac_f32_e32 v111, v114, v110
	s_delay_alu instid0(VALU_DEP_1) | instskip(NEXT) | instid1(VALU_DEP_1)
	v_add_f32_e32 v116, v115, v111
	v_sub_f32_e32 v117, v113, v116
	s_delay_alu instid0(VALU_DEP_1) | instskip(SKIP_1) | instid1(VALU_DEP_2)
	v_sub_f32_e32 v113, v113, v117
	v_sub_f32_e32 v33, v116, v115
	;; [unrolled: 1-line block ×3, first 2 shown]
	s_delay_alu instid0(VALU_DEP_2) | instskip(NEXT) | instid1(VALU_DEP_2)
	v_sub_f32_e32 v33, v33, v111
	v_add_f32_e32 v29, v29, v113
	s_delay_alu instid0(VALU_DEP_1) | instskip(NEXT) | instid1(VALU_DEP_1)
	v_add_f32_e32 v29, v33, v29
	v_add_f32_e32 v33, v117, v29
	s_delay_alu instid0(VALU_DEP_1) | instskip(NEXT) | instid1(VALU_DEP_1)
	v_mul_f32_e32 v111, v31, v33
	v_dual_sub_f32 v116, v117, v33 :: v_dual_mul_f32 v113, v112, v111
	s_delay_alu instid0(VALU_DEP_1) | instskip(NEXT) | instid1(VALU_DEP_2)
	v_add_f32_e32 v29, v29, v116
	v_fma_f32 v112, v111, v112, -v113
	s_delay_alu instid0(VALU_DEP_1) | instskip(NEXT) | instid1(VALU_DEP_1)
	v_fmac_f32_e32 v112, v111, v110
	v_add_f32_e32 v110, v113, v112
	s_delay_alu instid0(VALU_DEP_1) | instskip(NEXT) | instid1(VALU_DEP_1)
	v_sub_f32_e32 v115, v33, v110
	v_sub_f32_e32 v33, v33, v115
	s_delay_alu instid0(VALU_DEP_1) | instskip(NEXT) | instid1(VALU_DEP_1)
	v_sub_f32_e32 v33, v33, v110
	v_add_f32_e32 v29, v29, v33
	v_add_f32_e32 v33, v114, v111
	v_sub_f32_e32 v113, v110, v113
	s_delay_alu instid0(VALU_DEP_1) | instskip(NEXT) | instid1(VALU_DEP_1)
	v_sub_f32_e32 v110, v113, v112
	v_dual_add_f32 v29, v110, v29 :: v_dual_sub_f32 v110, v33, v114
	s_delay_alu instid0(VALU_DEP_1) | instskip(NEXT) | instid1(VALU_DEP_2)
	v_add_f32_e32 v29, v115, v29
	v_sub_f32_e32 v110, v111, v110
	s_delay_alu instid0(VALU_DEP_2) | instskip(NEXT) | instid1(VALU_DEP_1)
	v_mul_f32_e32 v29, v31, v29
	v_add_f32_e32 v29, v110, v29
	s_delay_alu instid0(VALU_DEP_1) | instskip(NEXT) | instid1(VALU_DEP_1)
	v_add_f32_e32 v31, v33, v29
	v_mul_f32_e32 v110, v31, v31
	s_delay_alu instid0(VALU_DEP_1) | instskip(SKIP_1) | instid1(VALU_DEP_2)
	v_fmaak_f32 v111, s85, v110, 0x3ecc95a3
	v_mul_f32_e32 v112, v31, v110
	v_fmaak_f32 v110, v110, v111, 0x3f2aaada
	v_ldexp_f32 v111, v31, 1
	s_delay_alu instid0(VALU_DEP_2) | instskip(NEXT) | instid1(VALU_DEP_1)
	v_dual_sub_f32 v31, v31, v33 :: v_dual_mul_f32 v110, v112, v110
	v_dual_mul_f32 v112, 0x3f317218, v28 :: v_dual_sub_f32 v29, v29, v31
	s_delay_alu instid0(VALU_DEP_2) | instskip(NEXT) | instid1(VALU_DEP_2)
	v_add_f32_e32 v33, v111, v110
	v_ldexp_f32 v29, v29, 1
	s_delay_alu instid0(VALU_DEP_2) | instskip(NEXT) | instid1(VALU_DEP_4)
	v_sub_f32_e32 v31, v33, v111
	v_fma_f32 v111, 0x3f317218, v28, -v112
	s_delay_alu instid0(VALU_DEP_2) | instskip(NEXT) | instid1(VALU_DEP_1)
	v_sub_f32_e32 v31, v110, v31
	v_dual_fmac_f32 v111, 0xb102e308, v28 :: v_dual_add_f32 v28, v29, v31
	s_delay_alu instid0(VALU_DEP_1) | instskip(NEXT) | instid1(VALU_DEP_2)
	v_add_f32_e32 v29, v112, v111
	v_add_f32_e32 v31, v33, v28
	s_delay_alu instid0(VALU_DEP_2) | instskip(NEXT) | instid1(VALU_DEP_2)
	v_sub_f32_e32 v112, v29, v112
	v_dual_add_f32 v110, v29, v31 :: v_dual_sub_f32 v33, v31, v33
	s_delay_alu instid0(VALU_DEP_2) | instskip(NEXT) | instid1(VALU_DEP_2)
	v_sub_f32_e32 v111, v111, v112
	v_sub_f32_e32 v113, v110, v29
	s_delay_alu instid0(VALU_DEP_3) | instskip(NEXT) | instid1(VALU_DEP_2)
	v_sub_f32_e32 v28, v28, v33
	v_sub_f32_e32 v114, v110, v113
	;; [unrolled: 1-line block ×3, first 2 shown]
	s_delay_alu instid0(VALU_DEP_3) | instskip(NEXT) | instid1(VALU_DEP_3)
	v_add_f32_e32 v33, v111, v28
	v_sub_f32_e32 v29, v29, v114
	s_delay_alu instid0(VALU_DEP_1) | instskip(NEXT) | instid1(VALU_DEP_3)
	v_add_f32_e32 v29, v31, v29
	v_sub_f32_e32 v31, v33, v111
	s_delay_alu instid0(VALU_DEP_2) | instskip(NEXT) | instid1(VALU_DEP_2)
	v_add_f32_e32 v29, v33, v29
	v_sub_f32_e32 v33, v33, v31
	v_sub_f32_e32 v28, v28, v31
	s_delay_alu instid0(VALU_DEP_3) | instskip(NEXT) | instid1(VALU_DEP_3)
	v_add_f32_e32 v112, v110, v29
	v_sub_f32_e32 v33, v111, v33
	s_delay_alu instid0(VALU_DEP_2) | instskip(NEXT) | instid1(VALU_DEP_1)
	v_sub_f32_e32 v31, v112, v110
	v_dual_add_f32 v28, v28, v33 :: v_dual_sub_f32 v29, v29, v31
	s_delay_alu instid0(VALU_DEP_1) | instskip(NEXT) | instid1(VALU_DEP_1)
	v_add_f32_e32 v28, v28, v29
	v_add_f32_e32 v28, v112, v28
	s_delay_alu instid0(VALU_DEP_1)
	v_cndmask_b32_e32 v110, v28, v30, vcc_lo
.LBB158_82:                             ;   in Loop: Header=BB158_12 Depth=1
	s_or_b32 exec_lo, exec_lo, s30
	s_waitcnt lgkmcnt(5)
	v_add_f32_e32 v111, s67, v26
	s_delay_alu instid0(VALU_DEP_1) | instskip(SKIP_1) | instid1(SALU_CYCLE_1)
	v_cmp_ge_f32_e32 vcc_lo, 0x41a00000, v111
	s_and_b32 s29, s81, vcc_lo
	s_and_saveexec_b32 s30, s29
	s_cbranch_execz .LBB158_84
; %bb.83:                               ;   in Loop: Header=BB158_12 Depth=1
	v_mul_f32_e32 v26, 0x3fb8aa3b, v111
	v_cmp_ngt_f32_e32 vcc_lo, 0xc2ce8ed0, v111
	s_delay_alu instid0(VALU_DEP_2) | instskip(SKIP_1) | instid1(VALU_DEP_1)
	v_rndne_f32_e32 v28, v26
	v_fma_f32 v29, 0x3fb8aa3b, v111, -v26
	v_dual_sub_f32 v26, v26, v28 :: v_dual_fmac_f32 v29, 0x32a5705f, v111
	v_cvt_i32_f32_e32 v28, v28
	s_delay_alu instid0(VALU_DEP_2) | instskip(NEXT) | instid1(VALU_DEP_1)
	v_add_f32_e32 v26, v26, v29
	v_exp_f32_e32 v26, v26
	s_waitcnt_depctr 0xfff
	v_ldexp_f32 v26, v26, v28
	s_delay_alu instid0(VALU_DEP_1) | instskip(SKIP_1) | instid1(VALU_DEP_2)
	v_cndmask_b32_e32 v26, 0, v26, vcc_lo
	v_cmp_nlt_f32_e32 vcc_lo, 0x42b17218, v111
	v_cndmask_b32_e32 v26, 0x7f800000, v26, vcc_lo
	s_delay_alu instid0(VALU_DEP_1) | instskip(NEXT) | instid1(VALU_DEP_1)
	v_add_f32_e32 v30, 1.0, v26
	v_cvt_f64_f32_e32 v[28:29], v30
	s_delay_alu instid0(VALU_DEP_1) | instskip(SKIP_1) | instid1(VALU_DEP_1)
	v_frexp_exp_i32_f64_e32 v28, v[28:29]
	v_frexp_mant_f32_e32 v29, v30
	v_cmp_gt_f32_e32 vcc_lo, 0x3f2aaaab, v29
	v_add_f32_e32 v29, -1.0, v30
	s_delay_alu instid0(VALU_DEP_1) | instskip(SKIP_1) | instid1(VALU_DEP_2)
	v_sub_f32_e32 v33, v29, v30
	v_sub_f32_e32 v29, v26, v29
	v_add_f32_e32 v33, 1.0, v33
	s_delay_alu instid0(VALU_DEP_1) | instskip(SKIP_3) | instid1(VALU_DEP_2)
	v_add_f32_e32 v29, v29, v33
	v_cmp_gt_f32_e64 s29, 0x33800000, v26
	v_subrev_co_ci_u32_e32 v28, vcc_lo, 0, v28, vcc_lo
	v_cmp_eq_f32_e32 vcc_lo, 0x7f800000, v26
	v_sub_nc_u32_e32 v31, 0, v28
	v_cvt_f32_i32_e32 v28, v28
	s_or_b32 vcc_lo, s29, vcc_lo
	s_delay_alu instid0(VALU_DEP_2) | instskip(SKIP_1) | instid1(VALU_DEP_2)
	v_ldexp_f32 v30, v30, v31
	v_ldexp_f32 v29, v29, v31
	v_add_f32_e32 v31, -1.0, v30
	s_delay_alu instid0(VALU_DEP_1) | instskip(NEXT) | instid1(VALU_DEP_1)
	v_dual_add_f32 v111, 1.0, v30 :: v_dual_add_f32 v112, 1.0, v31
	v_add_f32_e32 v33, -1.0, v111
	s_delay_alu instid0(VALU_DEP_1) | instskip(NEXT) | instid1(VALU_DEP_1)
	v_sub_f32_e32 v33, v30, v33
	v_dual_sub_f32 v30, v30, v112 :: v_dual_add_f32 v33, v29, v33
	s_delay_alu instid0(VALU_DEP_1) | instskip(NEXT) | instid1(VALU_DEP_1)
	v_add_f32_e32 v112, v111, v33
	v_sub_f32_e32 v111, v111, v112
	s_delay_alu instid0(VALU_DEP_1) | instskip(NEXT) | instid1(VALU_DEP_4)
	v_add_f32_e32 v33, v33, v111
	v_add_f32_e32 v29, v29, v30
	v_rcp_f32_e32 v30, v112
	s_delay_alu instid0(VALU_DEP_1) | instskip(SKIP_2) | instid1(VALU_DEP_1)
	v_add_f32_e32 v113, v31, v29
	s_waitcnt_depctr 0xfff
	v_dual_sub_f32 v31, v31, v113 :: v_dual_mul_f32 v114, v113, v30
	v_add_f32_e32 v29, v29, v31
	s_delay_alu instid0(VALU_DEP_2) | instskip(NEXT) | instid1(VALU_DEP_1)
	v_mul_f32_e32 v115, v112, v114
	v_fma_f32 v111, v114, v112, -v115
	s_delay_alu instid0(VALU_DEP_1) | instskip(NEXT) | instid1(VALU_DEP_1)
	v_fmac_f32_e32 v111, v114, v33
	v_add_f32_e32 v116, v115, v111
	s_delay_alu instid0(VALU_DEP_1) | instskip(SKIP_1) | instid1(VALU_DEP_2)
	v_sub_f32_e32 v117, v113, v116
	v_sub_f32_e32 v31, v116, v115
	;; [unrolled: 1-line block ×3, first 2 shown]
	s_delay_alu instid0(VALU_DEP_2) | instskip(NEXT) | instid1(VALU_DEP_2)
	v_sub_f32_e32 v31, v31, v111
	v_sub_f32_e32 v113, v113, v116
	s_delay_alu instid0(VALU_DEP_1) | instskip(NEXT) | instid1(VALU_DEP_1)
	v_add_f32_e32 v29, v29, v113
	v_add_f32_e32 v29, v31, v29
	s_delay_alu instid0(VALU_DEP_1) | instskip(NEXT) | instid1(VALU_DEP_1)
	v_add_f32_e32 v31, v117, v29
	v_mul_f32_e32 v111, v30, v31
	v_sub_f32_e32 v116, v117, v31
	s_delay_alu instid0(VALU_DEP_2) | instskip(NEXT) | instid1(VALU_DEP_2)
	v_mul_f32_e32 v113, v112, v111
	v_add_f32_e32 v29, v29, v116
	s_delay_alu instid0(VALU_DEP_2) | instskip(NEXT) | instid1(VALU_DEP_1)
	v_fma_f32 v112, v111, v112, -v113
	v_fmac_f32_e32 v112, v111, v33
	s_delay_alu instid0(VALU_DEP_1) | instskip(NEXT) | instid1(VALU_DEP_1)
	v_add_f32_e32 v33, v113, v112
	v_sub_f32_e32 v115, v31, v33
	v_sub_f32_e32 v113, v33, v113
	s_delay_alu instid0(VALU_DEP_2) | instskip(NEXT) | instid1(VALU_DEP_1)
	v_sub_f32_e32 v31, v31, v115
	v_sub_f32_e32 v31, v31, v33
	s_delay_alu instid0(VALU_DEP_3) | instskip(NEXT) | instid1(VALU_DEP_2)
	v_sub_f32_e32 v33, v113, v112
	v_add_f32_e32 v29, v29, v31
	v_add_f32_e32 v31, v114, v111
	s_delay_alu instid0(VALU_DEP_2) | instskip(NEXT) | instid1(VALU_DEP_2)
	v_add_f32_e32 v29, v33, v29
	v_sub_f32_e32 v33, v31, v114
	s_delay_alu instid0(VALU_DEP_2) | instskip(NEXT) | instid1(VALU_DEP_2)
	v_add_f32_e32 v29, v115, v29
	v_sub_f32_e32 v33, v111, v33
	s_delay_alu instid0(VALU_DEP_2) | instskip(NEXT) | instid1(VALU_DEP_1)
	v_mul_f32_e32 v29, v30, v29
	v_add_f32_e32 v29, v33, v29
	s_delay_alu instid0(VALU_DEP_1) | instskip(NEXT) | instid1(VALU_DEP_1)
	v_add_f32_e32 v30, v31, v29
	v_mul_f32_e32 v33, v30, v30
	s_delay_alu instid0(VALU_DEP_1) | instskip(NEXT) | instid1(VALU_DEP_1)
	v_fmaak_f32 v111, s85, v33, 0x3ecc95a3
	v_dual_mul_f32 v112, v30, v33 :: v_dual_fmaak_f32 v33, v33, v111, 0x3f2aaada
	v_ldexp_f32 v111, v30, 1
	s_delay_alu instid0(VALU_DEP_2) | instskip(NEXT) | instid1(VALU_DEP_1)
	v_dual_sub_f32 v30, v30, v31 :: v_dual_mul_f32 v33, v112, v33
	v_dual_mul_f32 v112, 0x3f317218, v28 :: v_dual_sub_f32 v29, v29, v30
	s_delay_alu instid0(VALU_DEP_2) | instskip(NEXT) | instid1(VALU_DEP_2)
	v_add_f32_e32 v31, v111, v33
	v_ldexp_f32 v29, v29, 1
	s_delay_alu instid0(VALU_DEP_2) | instskip(NEXT) | instid1(VALU_DEP_4)
	v_sub_f32_e32 v30, v31, v111
	v_fma_f32 v111, 0x3f317218, v28, -v112
	s_delay_alu instid0(VALU_DEP_1) | instskip(NEXT) | instid1(VALU_DEP_1)
	v_dual_sub_f32 v30, v33, v30 :: v_dual_fmac_f32 v111, 0xb102e308, v28
	v_dual_add_f32 v28, v29, v30 :: v_dual_add_f32 v29, v112, v111
	s_delay_alu instid0(VALU_DEP_1) | instskip(NEXT) | instid1(VALU_DEP_2)
	v_add_f32_e32 v30, v31, v28
	v_sub_f32_e32 v112, v29, v112
	s_delay_alu instid0(VALU_DEP_2) | instskip(SKIP_1) | instid1(VALU_DEP_3)
	v_add_f32_e32 v33, v29, v30
	v_sub_f32_e32 v31, v30, v31
	v_sub_f32_e32 v111, v111, v112
	s_delay_alu instid0(VALU_DEP_2) | instskip(NEXT) | instid1(VALU_DEP_1)
	v_dual_sub_f32 v113, v33, v29 :: v_dual_sub_f32 v28, v28, v31
	v_sub_f32_e32 v114, v33, v113
	s_delay_alu instid0(VALU_DEP_2) | instskip(NEXT) | instid1(VALU_DEP_2)
	v_dual_sub_f32 v30, v30, v113 :: v_dual_add_f32 v31, v111, v28
	v_sub_f32_e32 v29, v29, v114
	s_delay_alu instid0(VALU_DEP_1) | instskip(NEXT) | instid1(VALU_DEP_1)
	v_dual_add_f32 v29, v30, v29 :: v_dual_sub_f32 v30, v31, v111
	v_add_f32_e32 v29, v31, v29
	s_delay_alu instid0(VALU_DEP_2) | instskip(SKIP_1) | instid1(VALU_DEP_2)
	v_sub_f32_e32 v31, v31, v30
	v_sub_f32_e32 v28, v28, v30
	v_dual_add_f32 v112, v33, v29 :: v_dual_sub_f32 v31, v111, v31
	s_delay_alu instid0(VALU_DEP_1) | instskip(NEXT) | instid1(VALU_DEP_1)
	v_sub_f32_e32 v30, v112, v33
	v_dual_add_f32 v28, v28, v31 :: v_dual_sub_f32 v29, v29, v30
	s_delay_alu instid0(VALU_DEP_1) | instskip(NEXT) | instid1(VALU_DEP_1)
	v_add_f32_e32 v28, v28, v29
	v_add_f32_e32 v28, v112, v28
	s_delay_alu instid0(VALU_DEP_1)
	v_cndmask_b32_e32 v111, v28, v26, vcc_lo
.LBB158_84:                             ;   in Loop: Header=BB158_12 Depth=1
	s_or_b32 exec_lo, exec_lo, s30
	v_add_f32_e32 v112, s67, v27
	s_delay_alu instid0(VALU_DEP_1) | instskip(SKIP_1) | instid1(SALU_CYCLE_1)
	v_cmp_ge_f32_e32 vcc_lo, 0x41a00000, v112
	s_and_b32 s29, s81, vcc_lo
	s_and_saveexec_b32 s30, s29
	s_cbranch_execz .LBB158_86
; %bb.85:                               ;   in Loop: Header=BB158_12 Depth=1
	v_mul_f32_e32 v26, 0x3fb8aa3b, v112
	v_cmp_ngt_f32_e32 vcc_lo, 0xc2ce8ed0, v112
	s_delay_alu instid0(VALU_DEP_2) | instskip(SKIP_1) | instid1(VALU_DEP_2)
	v_rndne_f32_e32 v27, v26
	v_fma_f32 v28, 0x3fb8aa3b, v112, -v26
	v_sub_f32_e32 v26, v26, v27
	s_delay_alu instid0(VALU_DEP_2) | instskip(SKIP_1) | instid1(VALU_DEP_2)
	v_fmac_f32_e32 v28, 0x32a5705f, v112
	v_cvt_i32_f32_e32 v27, v27
	v_add_f32_e32 v26, v26, v28
	s_delay_alu instid0(VALU_DEP_1) | instskip(SKIP_2) | instid1(VALU_DEP_1)
	v_exp_f32_e32 v26, v26
	s_waitcnt_depctr 0xfff
	v_ldexp_f32 v26, v26, v27
	v_cndmask_b32_e32 v26, 0, v26, vcc_lo
	v_cmp_nlt_f32_e32 vcc_lo, 0x42b17218, v112
	s_delay_alu instid0(VALU_DEP_2) | instskip(NEXT) | instid1(VALU_DEP_1)
	v_cndmask_b32_e32 v28, 0x7f800000, v26, vcc_lo
	v_add_f32_e32 v29, 1.0, v28
	s_delay_alu instid0(VALU_DEP_1) | instskip(NEXT) | instid1(VALU_DEP_1)
	v_cvt_f64_f32_e32 v[26:27], v29
	v_frexp_exp_i32_f64_e32 v26, v[26:27]
	v_frexp_mant_f32_e32 v27, v29
	s_delay_alu instid0(VALU_DEP_1) | instskip(SKIP_1) | instid1(VALU_DEP_1)
	v_cmp_gt_f32_e32 vcc_lo, 0x3f2aaaab, v27
	v_add_f32_e32 v27, -1.0, v29
	v_sub_f32_e32 v31, v27, v29
	s_delay_alu instid0(VALU_DEP_1) | instskip(SKIP_1) | instid1(VALU_DEP_1)
	v_add_f32_e32 v31, 1.0, v31
	v_subrev_co_ci_u32_e32 v26, vcc_lo, 0, v26, vcc_lo
	v_sub_nc_u32_e32 v30, 0, v26
	v_cvt_f32_i32_e32 v26, v26
	s_delay_alu instid0(VALU_DEP_2) | instskip(NEXT) | instid1(VALU_DEP_1)
	v_ldexp_f32 v29, v29, v30
	v_add_f32_e32 v33, 1.0, v29
	v_sub_f32_e32 v27, v28, v27
	v_cmp_eq_f32_e32 vcc_lo, 0x7f800000, v28
	v_cmp_gt_f32_e64 s29, 0x33800000, v28
	s_delay_alu instid0(VALU_DEP_3) | instskip(NEXT) | instid1(VALU_DEP_2)
	v_add_f32_e32 v27, v27, v31
	s_or_b32 vcc_lo, s29, vcc_lo
	s_delay_alu instid0(VALU_DEP_1) | instskip(SKIP_1) | instid1(VALU_DEP_1)
	v_ldexp_f32 v27, v27, v30
	v_add_f32_e32 v30, -1.0, v29
	v_dual_add_f32 v31, -1.0, v33 :: v_dual_add_f32 v112, 1.0, v30
	s_delay_alu instid0(VALU_DEP_1) | instskip(NEXT) | instid1(VALU_DEP_2)
	v_sub_f32_e32 v31, v29, v31
	v_sub_f32_e32 v29, v29, v112
	s_delay_alu instid0(VALU_DEP_2) | instskip(NEXT) | instid1(VALU_DEP_1)
	v_add_f32_e32 v31, v27, v31
	v_dual_add_f32 v27, v27, v29 :: v_dual_add_f32 v112, v33, v31
	s_delay_alu instid0(VALU_DEP_1) | instskip(NEXT) | instid1(VALU_DEP_2)
	v_add_f32_e32 v113, v30, v27
	v_rcp_f32_e32 v29, v112
	s_delay_alu instid0(VALU_DEP_1) | instskip(SKIP_2) | instid1(VALU_DEP_1)
	v_sub_f32_e32 v30, v30, v113
	s_waitcnt_depctr 0xfff
	v_mul_f32_e32 v114, v113, v29
	v_mul_f32_e32 v115, v112, v114
	v_sub_f32_e32 v33, v33, v112
	s_delay_alu instid0(VALU_DEP_1) | instskip(NEXT) | instid1(VALU_DEP_3)
	v_add_f32_e32 v31, v31, v33
	v_fma_f32 v33, v114, v112, -v115
	v_add_f32_e32 v27, v27, v30
	s_delay_alu instid0(VALU_DEP_2) | instskip(NEXT) | instid1(VALU_DEP_1)
	v_fmac_f32_e32 v33, v114, v31
	v_add_f32_e32 v116, v115, v33
	s_delay_alu instid0(VALU_DEP_1) | instskip(NEXT) | instid1(VALU_DEP_1)
	v_dual_sub_f32 v117, v113, v116 :: v_dual_sub_f32 v30, v116, v115
	v_sub_f32_e32 v113, v113, v117
	s_delay_alu instid0(VALU_DEP_1) | instskip(NEXT) | instid1(VALU_DEP_1)
	v_dual_sub_f32 v30, v30, v33 :: v_dual_sub_f32 v113, v113, v116
	v_add_f32_e32 v27, v27, v113
	s_delay_alu instid0(VALU_DEP_1) | instskip(NEXT) | instid1(VALU_DEP_1)
	v_add_f32_e32 v27, v30, v27
	v_add_f32_e32 v30, v117, v27
	s_delay_alu instid0(VALU_DEP_1) | instskip(NEXT) | instid1(VALU_DEP_1)
	v_mul_f32_e32 v33, v29, v30
	v_dual_sub_f32 v116, v117, v30 :: v_dual_mul_f32 v113, v112, v33
	s_delay_alu instid0(VALU_DEP_1) | instskip(NEXT) | instid1(VALU_DEP_2)
	v_add_f32_e32 v27, v27, v116
	v_fma_f32 v112, v33, v112, -v113
	s_delay_alu instid0(VALU_DEP_1) | instskip(NEXT) | instid1(VALU_DEP_1)
	v_fmac_f32_e32 v112, v33, v31
	v_add_f32_e32 v31, v113, v112
	s_delay_alu instid0(VALU_DEP_1) | instskip(NEXT) | instid1(VALU_DEP_1)
	v_sub_f32_e32 v115, v30, v31
	v_dual_sub_f32 v113, v31, v113 :: v_dual_sub_f32 v30, v30, v115
	s_delay_alu instid0(VALU_DEP_1) | instskip(NEXT) | instid1(VALU_DEP_1)
	v_dual_sub_f32 v30, v30, v31 :: v_dual_sub_f32 v31, v113, v112
	v_dual_add_f32 v27, v27, v30 :: v_dual_add_f32 v30, v114, v33
	s_delay_alu instid0(VALU_DEP_1) | instskip(NEXT) | instid1(VALU_DEP_2)
	v_add_f32_e32 v27, v31, v27
	v_sub_f32_e32 v31, v30, v114
	s_delay_alu instid0(VALU_DEP_2) | instskip(NEXT) | instid1(VALU_DEP_2)
	v_add_f32_e32 v27, v115, v27
	v_sub_f32_e32 v31, v33, v31
	s_delay_alu instid0(VALU_DEP_2) | instskip(NEXT) | instid1(VALU_DEP_1)
	v_mul_f32_e32 v27, v29, v27
	v_add_f32_e32 v27, v31, v27
	s_delay_alu instid0(VALU_DEP_1) | instskip(NEXT) | instid1(VALU_DEP_1)
	v_add_f32_e32 v29, v30, v27
	v_mul_f32_e32 v31, v29, v29
	s_delay_alu instid0(VALU_DEP_1) | instskip(NEXT) | instid1(VALU_DEP_1)
	v_fmaak_f32 v33, s85, v31, 0x3ecc95a3
	v_dual_mul_f32 v112, v29, v31 :: v_dual_fmaak_f32 v31, v31, v33, 0x3f2aaada
	v_ldexp_f32 v33, v29, 1
	v_sub_f32_e32 v29, v29, v30
	s_delay_alu instid0(VALU_DEP_3) | instskip(NEXT) | instid1(VALU_DEP_1)
	v_dual_mul_f32 v31, v112, v31 :: v_dual_mul_f32 v112, 0x3f317218, v26
	v_dual_sub_f32 v27, v27, v29 :: v_dual_add_f32 v30, v33, v31
	s_delay_alu instid0(VALU_DEP_1) | instskip(NEXT) | instid1(VALU_DEP_2)
	v_ldexp_f32 v27, v27, 1
	v_sub_f32_e32 v29, v30, v33
	s_delay_alu instid0(VALU_DEP_4) | instskip(NEXT) | instid1(VALU_DEP_2)
	v_fma_f32 v33, 0x3f317218, v26, -v112
	v_sub_f32_e32 v29, v31, v29
	s_delay_alu instid0(VALU_DEP_1) | instskip(NEXT) | instid1(VALU_DEP_1)
	v_dual_fmac_f32 v33, 0xb102e308, v26 :: v_dual_add_f32 v26, v27, v29
	v_add_f32_e32 v27, v112, v33
	s_delay_alu instid0(VALU_DEP_1) | instskip(NEXT) | instid1(VALU_DEP_1)
	v_dual_add_f32 v29, v30, v26 :: v_dual_sub_f32 v112, v27, v112
	v_dual_add_f32 v31, v27, v29 :: v_dual_sub_f32 v30, v29, v30
	s_delay_alu instid0(VALU_DEP_2) | instskip(NEXT) | instid1(VALU_DEP_2)
	v_sub_f32_e32 v33, v33, v112
	v_dual_sub_f32 v113, v31, v27 :: v_dual_sub_f32 v26, v26, v30
	s_delay_alu instid0(VALU_DEP_1) | instskip(SKIP_1) | instid1(VALU_DEP_3)
	v_sub_f32_e32 v114, v31, v113
	v_sub_f32_e32 v29, v29, v113
	v_add_f32_e32 v30, v33, v26
	s_delay_alu instid0(VALU_DEP_3) | instskip(NEXT) | instid1(VALU_DEP_1)
	v_sub_f32_e32 v27, v27, v114
	v_add_f32_e32 v27, v29, v27
	s_delay_alu instid0(VALU_DEP_3) | instskip(NEXT) | instid1(VALU_DEP_2)
	v_sub_f32_e32 v29, v30, v33
	v_add_f32_e32 v27, v30, v27
	s_delay_alu instid0(VALU_DEP_2) | instskip(SKIP_1) | instid1(VALU_DEP_3)
	v_sub_f32_e32 v30, v30, v29
	v_sub_f32_e32 v26, v26, v29
	v_add_f32_e32 v112, v31, v27
	s_delay_alu instid0(VALU_DEP_1) | instskip(NEXT) | instid1(VALU_DEP_1)
	v_dual_sub_f32 v30, v33, v30 :: v_dual_sub_f32 v29, v112, v31
	v_dual_add_f32 v26, v26, v30 :: v_dual_sub_f32 v27, v27, v29
	s_delay_alu instid0(VALU_DEP_1) | instskip(NEXT) | instid1(VALU_DEP_1)
	v_add_f32_e32 v26, v26, v27
	v_add_f32_e32 v26, v112, v26
	s_delay_alu instid0(VALU_DEP_1)
	v_cndmask_b32_e32 v112, v26, v28, vcc_lo
.LBB158_86:                             ;   in Loop: Header=BB158_12 Depth=1
	s_or_b32 exec_lo, exec_lo, s30
	s_waitcnt lgkmcnt(4)
	v_add_f32_e32 v113, s67, v24
	s_delay_alu instid0(VALU_DEP_1) | instskip(SKIP_1) | instid1(SALU_CYCLE_1)
	v_cmp_ge_f32_e32 vcc_lo, 0x41a00000, v113
	s_and_b32 s29, s81, vcc_lo
	s_and_saveexec_b32 s30, s29
	s_cbranch_execz .LBB158_88
; %bb.87:                               ;   in Loop: Header=BB158_12 Depth=1
	v_mul_f32_e32 v24, 0x3fb8aa3b, v113
	v_cmp_ngt_f32_e32 vcc_lo, 0xc2ce8ed0, v113
	s_delay_alu instid0(VALU_DEP_2) | instskip(SKIP_1) | instid1(VALU_DEP_1)
	v_rndne_f32_e32 v26, v24
	v_fma_f32 v27, 0x3fb8aa3b, v113, -v24
	v_dual_sub_f32 v24, v24, v26 :: v_dual_fmac_f32 v27, 0x32a5705f, v113
	v_cvt_i32_f32_e32 v26, v26
	s_delay_alu instid0(VALU_DEP_2) | instskip(NEXT) | instid1(VALU_DEP_1)
	v_add_f32_e32 v24, v24, v27
	v_exp_f32_e32 v24, v24
	s_waitcnt_depctr 0xfff
	v_ldexp_f32 v24, v24, v26
	s_delay_alu instid0(VALU_DEP_1) | instskip(SKIP_1) | instid1(VALU_DEP_2)
	v_cndmask_b32_e32 v24, 0, v24, vcc_lo
	v_cmp_nlt_f32_e32 vcc_lo, 0x42b17218, v113
	v_cndmask_b32_e32 v24, 0x7f800000, v24, vcc_lo
	s_delay_alu instid0(VALU_DEP_1) | instskip(NEXT) | instid1(VALU_DEP_1)
	v_add_f32_e32 v28, 1.0, v24
	v_cvt_f64_f32_e32 v[26:27], v28
	s_delay_alu instid0(VALU_DEP_1) | instskip(SKIP_1) | instid1(VALU_DEP_1)
	v_frexp_exp_i32_f64_e32 v26, v[26:27]
	v_frexp_mant_f32_e32 v27, v28
	v_cmp_gt_f32_e32 vcc_lo, 0x3f2aaaab, v27
	v_add_f32_e32 v27, -1.0, v28
	s_delay_alu instid0(VALU_DEP_1) | instskip(SKIP_1) | instid1(VALU_DEP_1)
	v_dual_sub_f32 v30, v27, v28 :: v_dual_sub_f32 v27, v24, v27
	v_subrev_co_ci_u32_e32 v26, vcc_lo, 0, v26, vcc_lo
	v_sub_nc_u32_e32 v29, 0, v26
	v_cvt_f32_i32_e32 v26, v26
	s_delay_alu instid0(VALU_DEP_2) | instskip(NEXT) | instid1(VALU_DEP_1)
	v_ldexp_f32 v28, v28, v29
	v_dual_add_f32 v30, 1.0, v30 :: v_dual_add_f32 v31, 1.0, v28
	s_delay_alu instid0(VALU_DEP_1) | instskip(NEXT) | instid1(VALU_DEP_1)
	v_add_f32_e32 v27, v27, v30
	v_ldexp_f32 v27, v27, v29
	s_delay_alu instid0(VALU_DEP_3) | instskip(NEXT) | instid1(VALU_DEP_1)
	v_dual_add_f32 v29, -1.0, v28 :: v_dual_add_f32 v30, -1.0, v31
	v_dual_add_f32 v33, 1.0, v29 :: v_dual_sub_f32 v30, v28, v30
	v_cmp_eq_f32_e32 vcc_lo, 0x7f800000, v24
	v_cmp_gt_f32_e64 s29, 0x33800000, v24
	s_delay_alu instid0(VALU_DEP_3) | instskip(NEXT) | instid1(VALU_DEP_4)
	v_add_f32_e32 v30, v27, v30
	v_sub_f32_e32 v28, v28, v33
	s_delay_alu instid0(VALU_DEP_3) | instskip(NEXT) | instid1(VALU_DEP_2)
	s_or_b32 vcc_lo, s29, vcc_lo
	v_add_f32_e32 v33, v31, v30
	s_delay_alu instid0(VALU_DEP_2) | instskip(NEXT) | instid1(VALU_DEP_2)
	v_add_f32_e32 v27, v27, v28
	v_rcp_f32_e32 v28, v33
	s_delay_alu instid0(VALU_DEP_1) | instskip(SKIP_1) | instid1(VALU_DEP_1)
	v_add_f32_e32 v113, v29, v27
	v_sub_f32_e32 v31, v31, v33
	v_dual_sub_f32 v29, v29, v113 :: v_dual_add_f32 v30, v30, v31
	s_waitcnt_depctr 0xfff
	v_dual_mul_f32 v114, v113, v28 :: v_dual_add_f32 v27, v27, v29
	s_delay_alu instid0(VALU_DEP_1) | instskip(NEXT) | instid1(VALU_DEP_1)
	v_mul_f32_e32 v115, v33, v114
	v_fma_f32 v31, v114, v33, -v115
	s_delay_alu instid0(VALU_DEP_1) | instskip(NEXT) | instid1(VALU_DEP_1)
	v_fmac_f32_e32 v31, v114, v30
	v_add_f32_e32 v116, v115, v31
	s_delay_alu instid0(VALU_DEP_1) | instskip(NEXT) | instid1(VALU_DEP_1)
	v_sub_f32_e32 v117, v113, v116
	v_sub_f32_e32 v113, v113, v117
	;; [unrolled: 1-line block ×3, first 2 shown]
	s_delay_alu instid0(VALU_DEP_2) | instskip(NEXT) | instid1(VALU_DEP_2)
	v_sub_f32_e32 v113, v113, v116
	v_sub_f32_e32 v29, v29, v31
	s_delay_alu instid0(VALU_DEP_2) | instskip(NEXT) | instid1(VALU_DEP_1)
	v_add_f32_e32 v27, v27, v113
	v_add_f32_e32 v27, v29, v27
	s_delay_alu instid0(VALU_DEP_1) | instskip(NEXT) | instid1(VALU_DEP_1)
	v_add_f32_e32 v29, v117, v27
	v_mul_f32_e32 v31, v28, v29
	v_sub_f32_e32 v116, v117, v29
	s_delay_alu instid0(VALU_DEP_2) | instskip(NEXT) | instid1(VALU_DEP_2)
	v_mul_f32_e32 v113, v33, v31
	v_add_f32_e32 v27, v27, v116
	s_delay_alu instid0(VALU_DEP_2) | instskip(NEXT) | instid1(VALU_DEP_1)
	v_fma_f32 v33, v31, v33, -v113
	v_fmac_f32_e32 v33, v31, v30
	s_delay_alu instid0(VALU_DEP_1) | instskip(NEXT) | instid1(VALU_DEP_1)
	v_add_f32_e32 v30, v113, v33
	v_sub_f32_e32 v115, v29, v30
	v_sub_f32_e32 v113, v30, v113
	s_delay_alu instid0(VALU_DEP_2) | instskip(NEXT) | instid1(VALU_DEP_1)
	v_sub_f32_e32 v29, v29, v115
	v_sub_f32_e32 v29, v29, v30
	s_delay_alu instid0(VALU_DEP_3) | instskip(NEXT) | instid1(VALU_DEP_2)
	v_sub_f32_e32 v30, v113, v33
	v_add_f32_e32 v27, v27, v29
	v_add_f32_e32 v29, v114, v31
	s_delay_alu instid0(VALU_DEP_1) | instskip(NEXT) | instid1(VALU_DEP_1)
	v_dual_add_f32 v27, v30, v27 :: v_dual_sub_f32 v30, v29, v114
	v_add_f32_e32 v27, v115, v27
	s_delay_alu instid0(VALU_DEP_1) | instskip(NEXT) | instid1(VALU_DEP_1)
	v_dual_sub_f32 v30, v31, v30 :: v_dual_mul_f32 v27, v28, v27
	v_add_f32_e32 v27, v30, v27
	s_delay_alu instid0(VALU_DEP_1) | instskip(NEXT) | instid1(VALU_DEP_1)
	v_add_f32_e32 v28, v29, v27
	v_mul_f32_e32 v30, v28, v28
	s_delay_alu instid0(VALU_DEP_1) | instskip(NEXT) | instid1(VALU_DEP_1)
	v_fmaak_f32 v31, s85, v30, 0x3ecc95a3
	v_dual_mul_f32 v33, v28, v30 :: v_dual_fmaak_f32 v30, v30, v31, 0x3f2aaada
	v_ldexp_f32 v31, v28, 1
	v_sub_f32_e32 v28, v28, v29
	s_delay_alu instid0(VALU_DEP_3) | instskip(SKIP_1) | instid1(VALU_DEP_3)
	v_mul_f32_e32 v30, v33, v30
	v_mul_f32_e32 v33, 0x3f317218, v26
	v_sub_f32_e32 v27, v27, v28
	s_delay_alu instid0(VALU_DEP_3) | instskip(NEXT) | instid1(VALU_DEP_2)
	v_add_f32_e32 v29, v31, v30
	v_ldexp_f32 v27, v27, 1
	s_delay_alu instid0(VALU_DEP_2) | instskip(SKIP_1) | instid1(VALU_DEP_1)
	v_sub_f32_e32 v28, v29, v31
	v_fma_f32 v31, 0x3f317218, v26, -v33
	v_dual_sub_f32 v28, v30, v28 :: v_dual_fmac_f32 v31, 0xb102e308, v26
	s_delay_alu instid0(VALU_DEP_1) | instskip(NEXT) | instid1(VALU_DEP_1)
	v_dual_add_f32 v26, v27, v28 :: v_dual_add_f32 v27, v33, v31
	v_dual_add_f32 v28, v29, v26 :: v_dual_sub_f32 v33, v27, v33
	s_delay_alu instid0(VALU_DEP_1) | instskip(NEXT) | instid1(VALU_DEP_2)
	v_dual_add_f32 v30, v27, v28 :: v_dual_sub_f32 v29, v28, v29
	v_sub_f32_e32 v31, v31, v33
	s_delay_alu instid0(VALU_DEP_2) | instskip(NEXT) | instid1(VALU_DEP_3)
	v_sub_f32_e32 v113, v30, v27
	v_sub_f32_e32 v26, v26, v29
	s_delay_alu instid0(VALU_DEP_2) | instskip(NEXT) | instid1(VALU_DEP_2)
	v_sub_f32_e32 v114, v30, v113
	v_dual_sub_f32 v28, v28, v113 :: v_dual_add_f32 v29, v31, v26
	s_delay_alu instid0(VALU_DEP_2) | instskip(NEXT) | instid1(VALU_DEP_1)
	v_sub_f32_e32 v27, v27, v114
	v_add_f32_e32 v27, v28, v27
	s_delay_alu instid0(VALU_DEP_3) | instskip(NEXT) | instid1(VALU_DEP_2)
	v_sub_f32_e32 v28, v29, v31
	v_add_f32_e32 v27, v29, v27
	s_delay_alu instid0(VALU_DEP_2) | instskip(SKIP_1) | instid1(VALU_DEP_3)
	v_sub_f32_e32 v29, v29, v28
	v_sub_f32_e32 v26, v26, v28
	v_add_f32_e32 v33, v30, v27
	s_delay_alu instid0(VALU_DEP_1) | instskip(NEXT) | instid1(VALU_DEP_1)
	v_dual_sub_f32 v29, v31, v29 :: v_dual_sub_f32 v28, v33, v30
	v_dual_add_f32 v26, v26, v29 :: v_dual_sub_f32 v27, v27, v28
	s_delay_alu instid0(VALU_DEP_1) | instskip(NEXT) | instid1(VALU_DEP_1)
	v_add_f32_e32 v26, v26, v27
	v_add_f32_e32 v26, v33, v26
	s_delay_alu instid0(VALU_DEP_1)
	v_cndmask_b32_e32 v113, v26, v24, vcc_lo
.LBB158_88:                             ;   in Loop: Header=BB158_12 Depth=1
	s_or_b32 exec_lo, exec_lo, s30
	v_add_f32_e32 v114, s67, v25
	s_delay_alu instid0(VALU_DEP_1) | instskip(SKIP_1) | instid1(SALU_CYCLE_1)
	v_cmp_ge_f32_e32 vcc_lo, 0x41a00000, v114
	s_and_b32 s29, s81, vcc_lo
	s_and_saveexec_b32 s30, s29
	s_cbranch_execz .LBB158_90
; %bb.89:                               ;   in Loop: Header=BB158_12 Depth=1
	v_mul_f32_e32 v24, 0x3fb8aa3b, v114
	v_cmp_ngt_f32_e32 vcc_lo, 0xc2ce8ed0, v114
	s_delay_alu instid0(VALU_DEP_2) | instskip(SKIP_1) | instid1(VALU_DEP_2)
	v_rndne_f32_e32 v25, v24
	v_fma_f32 v26, 0x3fb8aa3b, v114, -v24
	v_sub_f32_e32 v24, v24, v25
	s_delay_alu instid0(VALU_DEP_2) | instskip(SKIP_1) | instid1(VALU_DEP_2)
	v_fmac_f32_e32 v26, 0x32a5705f, v114
	v_cvt_i32_f32_e32 v25, v25
	v_add_f32_e32 v24, v24, v26
	s_delay_alu instid0(VALU_DEP_1) | instskip(SKIP_2) | instid1(VALU_DEP_1)
	v_exp_f32_e32 v24, v24
	s_waitcnt_depctr 0xfff
	v_ldexp_f32 v24, v24, v25
	v_cndmask_b32_e32 v24, 0, v24, vcc_lo
	v_cmp_nlt_f32_e32 vcc_lo, 0x42b17218, v114
	s_delay_alu instid0(VALU_DEP_2) | instskip(NEXT) | instid1(VALU_DEP_1)
	v_cndmask_b32_e32 v26, 0x7f800000, v24, vcc_lo
	v_add_f32_e32 v27, 1.0, v26
	s_delay_alu instid0(VALU_DEP_1) | instskip(NEXT) | instid1(VALU_DEP_1)
	v_cvt_f64_f32_e32 v[24:25], v27
	v_frexp_exp_i32_f64_e32 v24, v[24:25]
	v_frexp_mant_f32_e32 v25, v27
	s_delay_alu instid0(VALU_DEP_1) | instskip(SKIP_1) | instid1(VALU_DEP_1)
	v_cmp_gt_f32_e32 vcc_lo, 0x3f2aaaab, v25
	v_add_f32_e32 v25, -1.0, v27
	v_sub_f32_e32 v29, v25, v27
	v_sub_f32_e32 v25, v26, v25
	s_delay_alu instid0(VALU_DEP_2) | instskip(NEXT) | instid1(VALU_DEP_1)
	v_add_f32_e32 v29, 1.0, v29
	v_add_f32_e32 v25, v25, v29
	v_cmp_gt_f32_e64 s29, 0x33800000, v26
	v_subrev_co_ci_u32_e32 v24, vcc_lo, 0, v24, vcc_lo
	v_cmp_eq_f32_e32 vcc_lo, 0x7f800000, v26
	s_delay_alu instid0(VALU_DEP_2) | instskip(SKIP_2) | instid1(VALU_DEP_2)
	v_sub_nc_u32_e32 v28, 0, v24
	v_cvt_f32_i32_e32 v24, v24
	s_or_b32 vcc_lo, s29, vcc_lo
	v_ldexp_f32 v27, v27, v28
	v_ldexp_f32 v25, v25, v28
	s_delay_alu instid0(VALU_DEP_2) | instskip(NEXT) | instid1(VALU_DEP_1)
	v_add_f32_e32 v30, 1.0, v27
	v_dual_add_f32 v28, -1.0, v27 :: v_dual_add_f32 v29, -1.0, v30
	s_delay_alu instid0(VALU_DEP_1) | instskip(NEXT) | instid1(VALU_DEP_2)
	v_add_f32_e32 v31, 1.0, v28
	v_sub_f32_e32 v29, v27, v29
	s_delay_alu instid0(VALU_DEP_2) | instskip(NEXT) | instid1(VALU_DEP_2)
	v_sub_f32_e32 v27, v27, v31
	v_add_f32_e32 v29, v25, v29
	s_delay_alu instid0(VALU_DEP_2) | instskip(NEXT) | instid1(VALU_DEP_2)
	v_add_f32_e32 v25, v25, v27
	v_add_f32_e32 v31, v30, v29
	s_delay_alu instid0(VALU_DEP_1) | instskip(NEXT) | instid1(VALU_DEP_2)
	v_rcp_f32_e32 v27, v31
	v_dual_add_f32 v33, v28, v25 :: v_dual_sub_f32 v30, v30, v31
	s_delay_alu instid0(VALU_DEP_1) | instskip(SKIP_3) | instid1(VALU_DEP_2)
	v_sub_f32_e32 v28, v28, v33
	s_waitcnt_depctr 0xfff
	v_mul_f32_e32 v114, v33, v27
	v_add_f32_e32 v25, v25, v28
	v_mul_f32_e32 v115, v31, v114
	v_add_f32_e32 v29, v29, v30
	s_delay_alu instid0(VALU_DEP_2) | instskip(NEXT) | instid1(VALU_DEP_1)
	v_fma_f32 v30, v114, v31, -v115
	v_fmac_f32_e32 v30, v114, v29
	s_delay_alu instid0(VALU_DEP_1) | instskip(NEXT) | instid1(VALU_DEP_1)
	v_add_f32_e32 v116, v115, v30
	v_dual_sub_f32 v28, v116, v115 :: v_dual_sub_f32 v117, v33, v116
	s_delay_alu instid0(VALU_DEP_1) | instskip(NEXT) | instid1(VALU_DEP_1)
	v_dual_sub_f32 v28, v28, v30 :: v_dual_sub_f32 v33, v33, v117
	v_sub_f32_e32 v33, v33, v116
	s_delay_alu instid0(VALU_DEP_1) | instskip(NEXT) | instid1(VALU_DEP_1)
	v_add_f32_e32 v25, v25, v33
	v_add_f32_e32 v25, v28, v25
	s_delay_alu instid0(VALU_DEP_1) | instskip(NEXT) | instid1(VALU_DEP_1)
	v_add_f32_e32 v28, v117, v25
	v_sub_f32_e32 v116, v117, v28
	v_mul_f32_e32 v30, v27, v28
	s_delay_alu instid0(VALU_DEP_2) | instskip(NEXT) | instid1(VALU_DEP_2)
	v_add_f32_e32 v25, v25, v116
	v_mul_f32_e32 v33, v31, v30
	s_delay_alu instid0(VALU_DEP_1) | instskip(NEXT) | instid1(VALU_DEP_1)
	v_fma_f32 v31, v30, v31, -v33
	v_fmac_f32_e32 v31, v30, v29
	s_delay_alu instid0(VALU_DEP_1) | instskip(NEXT) | instid1(VALU_DEP_1)
	v_add_f32_e32 v29, v33, v31
	v_sub_f32_e32 v115, v28, v29
	s_delay_alu instid0(VALU_DEP_1) | instskip(NEXT) | instid1(VALU_DEP_1)
	v_dual_sub_f32 v33, v29, v33 :: v_dual_sub_f32 v28, v28, v115
	v_dual_sub_f32 v28, v28, v29 :: v_dual_sub_f32 v29, v33, v31
	s_delay_alu instid0(VALU_DEP_1) | instskip(NEXT) | instid1(VALU_DEP_1)
	v_dual_add_f32 v25, v25, v28 :: v_dual_add_f32 v28, v114, v30
	v_add_f32_e32 v25, v29, v25
	s_delay_alu instid0(VALU_DEP_2) | instskip(NEXT) | instid1(VALU_DEP_2)
	v_sub_f32_e32 v29, v28, v114
	v_add_f32_e32 v25, v115, v25
	s_delay_alu instid0(VALU_DEP_2) | instskip(NEXT) | instid1(VALU_DEP_2)
	v_sub_f32_e32 v29, v30, v29
	v_mul_f32_e32 v25, v27, v25
	s_delay_alu instid0(VALU_DEP_1) | instskip(NEXT) | instid1(VALU_DEP_1)
	v_add_f32_e32 v25, v29, v25
	v_add_f32_e32 v27, v28, v25
	s_delay_alu instid0(VALU_DEP_1) | instskip(NEXT) | instid1(VALU_DEP_1)
	v_mul_f32_e32 v29, v27, v27
	v_fmaak_f32 v30, s85, v29, 0x3ecc95a3
	v_mul_f32_e32 v31, v27, v29
	s_delay_alu instid0(VALU_DEP_2) | instskip(SKIP_2) | instid1(VALU_DEP_3)
	v_fmaak_f32 v29, v29, v30, 0x3f2aaada
	v_ldexp_f32 v30, v27, 1
	v_sub_f32_e32 v27, v27, v28
	v_mul_f32_e32 v29, v31, v29
	v_mul_f32_e32 v31, 0x3f317218, v24
	s_delay_alu instid0(VALU_DEP_2) | instskip(NEXT) | instid1(VALU_DEP_1)
	v_dual_sub_f32 v25, v25, v27 :: v_dual_add_f32 v28, v30, v29
	v_ldexp_f32 v25, v25, 1
	s_delay_alu instid0(VALU_DEP_2) | instskip(NEXT) | instid1(VALU_DEP_4)
	v_sub_f32_e32 v27, v28, v30
	v_fma_f32 v30, 0x3f317218, v24, -v31
	s_delay_alu instid0(VALU_DEP_1) | instskip(NEXT) | instid1(VALU_DEP_1)
	v_dual_sub_f32 v27, v29, v27 :: v_dual_fmac_f32 v30, 0xb102e308, v24
	v_dual_add_f32 v24, v25, v27 :: v_dual_add_f32 v25, v31, v30
	s_delay_alu instid0(VALU_DEP_1) | instskip(NEXT) | instid1(VALU_DEP_2)
	v_add_f32_e32 v27, v28, v24
	v_sub_f32_e32 v31, v25, v31
	s_delay_alu instid0(VALU_DEP_2) | instskip(NEXT) | instid1(VALU_DEP_1)
	v_dual_add_f32 v29, v25, v27 :: v_dual_sub_f32 v28, v27, v28
	v_dual_sub_f32 v30, v30, v31 :: v_dual_sub_f32 v33, v29, v25
	s_delay_alu instid0(VALU_DEP_2) | instskip(NEXT) | instid1(VALU_DEP_2)
	v_sub_f32_e32 v24, v24, v28
	v_sub_f32_e32 v114, v29, v33
	s_delay_alu instid0(VALU_DEP_2) | instskip(NEXT) | instid1(VALU_DEP_2)
	v_dual_sub_f32 v27, v27, v33 :: v_dual_add_f32 v28, v30, v24
	v_sub_f32_e32 v25, v25, v114
	s_delay_alu instid0(VALU_DEP_1) | instskip(NEXT) | instid1(VALU_DEP_3)
	v_add_f32_e32 v25, v27, v25
	v_sub_f32_e32 v27, v28, v30
	s_delay_alu instid0(VALU_DEP_2) | instskip(NEXT) | instid1(VALU_DEP_2)
	v_add_f32_e32 v25, v28, v25
	v_sub_f32_e32 v28, v28, v27
	s_delay_alu instid0(VALU_DEP_2) | instskip(NEXT) | instid1(VALU_DEP_1)
	v_dual_sub_f32 v24, v24, v27 :: v_dual_add_f32 v31, v29, v25
	v_dual_sub_f32 v28, v30, v28 :: v_dual_sub_f32 v27, v31, v29
	s_delay_alu instid0(VALU_DEP_1) | instskip(NEXT) | instid1(VALU_DEP_1)
	v_dual_add_f32 v24, v24, v28 :: v_dual_sub_f32 v25, v25, v27
	v_add_f32_e32 v24, v24, v25
	s_delay_alu instid0(VALU_DEP_1) | instskip(NEXT) | instid1(VALU_DEP_1)
	v_add_f32_e32 v24, v31, v24
	v_cndmask_b32_e32 v114, v24, v26, vcc_lo
.LBB158_90:                             ;   in Loop: Header=BB158_12 Depth=1
	s_or_b32 exec_lo, exec_lo, s30
	s_waitcnt lgkmcnt(3)
	v_add_f32_e32 v115, s67, v22
	s_delay_alu instid0(VALU_DEP_1) | instskip(SKIP_1) | instid1(SALU_CYCLE_1)
	v_cmp_ge_f32_e32 vcc_lo, 0x41a00000, v115
	s_and_b32 s29, s81, vcc_lo
	s_and_saveexec_b32 s30, s29
	s_cbranch_execz .LBB158_92
; %bb.91:                               ;   in Loop: Header=BB158_12 Depth=1
	v_mul_f32_e32 v22, 0x3fb8aa3b, v115
	v_cmp_ngt_f32_e32 vcc_lo, 0xc2ce8ed0, v115
	s_delay_alu instid0(VALU_DEP_2) | instskip(SKIP_1) | instid1(VALU_DEP_1)
	v_rndne_f32_e32 v24, v22
	v_fma_f32 v25, 0x3fb8aa3b, v115, -v22
	v_dual_sub_f32 v22, v22, v24 :: v_dual_fmac_f32 v25, 0x32a5705f, v115
	v_cvt_i32_f32_e32 v24, v24
	s_delay_alu instid0(VALU_DEP_2) | instskip(NEXT) | instid1(VALU_DEP_1)
	v_add_f32_e32 v22, v22, v25
	v_exp_f32_e32 v22, v22
	s_waitcnt_depctr 0xfff
	v_ldexp_f32 v22, v22, v24
	s_delay_alu instid0(VALU_DEP_1) | instskip(SKIP_1) | instid1(VALU_DEP_2)
	v_cndmask_b32_e32 v22, 0, v22, vcc_lo
	v_cmp_nlt_f32_e32 vcc_lo, 0x42b17218, v115
	v_cndmask_b32_e32 v22, 0x7f800000, v22, vcc_lo
	s_delay_alu instid0(VALU_DEP_1) | instskip(NEXT) | instid1(VALU_DEP_1)
	v_add_f32_e32 v26, 1.0, v22
	v_cvt_f64_f32_e32 v[24:25], v26
	s_delay_alu instid0(VALU_DEP_1) | instskip(SKIP_1) | instid1(VALU_DEP_1)
	v_frexp_exp_i32_f64_e32 v24, v[24:25]
	v_frexp_mant_f32_e32 v25, v26
	v_cmp_gt_f32_e32 vcc_lo, 0x3f2aaaab, v25
	v_add_f32_e32 v25, -1.0, v26
	s_delay_alu instid0(VALU_DEP_1) | instskip(SKIP_1) | instid1(VALU_DEP_1)
	v_dual_sub_f32 v28, v25, v26 :: v_dual_sub_f32 v25, v22, v25
	v_subrev_co_ci_u32_e32 v24, vcc_lo, 0, v24, vcc_lo
	v_sub_nc_u32_e32 v27, 0, v24
	v_cvt_f32_i32_e32 v24, v24
	s_delay_alu instid0(VALU_DEP_2) | instskip(NEXT) | instid1(VALU_DEP_1)
	v_ldexp_f32 v26, v26, v27
	v_dual_add_f32 v28, 1.0, v28 :: v_dual_add_f32 v29, 1.0, v26
	s_delay_alu instid0(VALU_DEP_1) | instskip(NEXT) | instid1(VALU_DEP_1)
	v_add_f32_e32 v25, v25, v28
	v_ldexp_f32 v25, v25, v27
	s_delay_alu instid0(VALU_DEP_3) | instskip(NEXT) | instid1(VALU_DEP_1)
	v_dual_add_f32 v27, -1.0, v26 :: v_dual_add_f32 v28, -1.0, v29
	v_add_f32_e32 v30, 1.0, v27
	s_delay_alu instid0(VALU_DEP_2) | instskip(NEXT) | instid1(VALU_DEP_2)
	v_sub_f32_e32 v28, v26, v28
	v_sub_f32_e32 v26, v26, v30
	s_delay_alu instid0(VALU_DEP_2) | instskip(NEXT) | instid1(VALU_DEP_2)
	v_add_f32_e32 v28, v25, v28
	v_add_f32_e32 v25, v25, v26
	s_delay_alu instid0(VALU_DEP_1) | instskip(SKIP_2) | instid1(VALU_DEP_3)
	v_add_f32_e32 v31, v27, v25
	v_cmp_eq_f32_e32 vcc_lo, 0x7f800000, v22
	v_cmp_gt_f32_e64 s29, 0x33800000, v22
	v_dual_sub_f32 v27, v27, v31 :: v_dual_add_f32 v30, v29, v28
	s_delay_alu instid0(VALU_DEP_2) | instskip(NEXT) | instid1(VALU_DEP_1)
	s_or_b32 vcc_lo, s29, vcc_lo
	v_add_f32_e32 v25, v25, v27
	s_delay_alu instid0(VALU_DEP_2) | instskip(SKIP_3) | instid1(VALU_DEP_2)
	v_rcp_f32_e32 v26, v30
	s_waitcnt_depctr 0xfff
	v_mul_f32_e32 v33, v31, v26
	v_sub_f32_e32 v29, v29, v30
	v_mul_f32_e32 v115, v30, v33
	s_delay_alu instid0(VALU_DEP_2) | instskip(NEXT) | instid1(VALU_DEP_2)
	v_add_f32_e32 v28, v28, v29
	v_fma_f32 v29, v33, v30, -v115
	s_delay_alu instid0(VALU_DEP_1) | instskip(NEXT) | instid1(VALU_DEP_1)
	v_fmac_f32_e32 v29, v33, v28
	v_add_f32_e32 v116, v115, v29
	s_delay_alu instid0(VALU_DEP_1) | instskip(NEXT) | instid1(VALU_DEP_1)
	v_sub_f32_e32 v117, v31, v116
	v_sub_f32_e32 v31, v31, v117
	s_delay_alu instid0(VALU_DEP_1) | instskip(NEXT) | instid1(VALU_DEP_1)
	v_sub_f32_e32 v31, v31, v116
	v_add_f32_e32 v25, v25, v31
	v_sub_f32_e32 v27, v116, v115
	s_delay_alu instid0(VALU_DEP_1) | instskip(NEXT) | instid1(VALU_DEP_1)
	v_sub_f32_e32 v27, v27, v29
	v_add_f32_e32 v25, v27, v25
	s_delay_alu instid0(VALU_DEP_1) | instskip(NEXT) | instid1(VALU_DEP_1)
	v_add_f32_e32 v27, v117, v25
	v_mul_f32_e32 v29, v26, v27
	s_delay_alu instid0(VALU_DEP_1) | instskip(NEXT) | instid1(VALU_DEP_1)
	v_mul_f32_e32 v31, v30, v29
	v_fma_f32 v30, v29, v30, -v31
	s_delay_alu instid0(VALU_DEP_1) | instskip(NEXT) | instid1(VALU_DEP_1)
	v_fmac_f32_e32 v30, v29, v28
	v_add_f32_e32 v28, v31, v30
	s_delay_alu instid0(VALU_DEP_1) | instskip(NEXT) | instid1(VALU_DEP_1)
	v_dual_sub_f32 v116, v117, v27 :: v_dual_sub_f32 v115, v27, v28
	v_add_f32_e32 v25, v25, v116
	v_sub_f32_e32 v31, v28, v31
	s_delay_alu instid0(VALU_DEP_3) | instskip(NEXT) | instid1(VALU_DEP_1)
	v_sub_f32_e32 v27, v27, v115
	v_sub_f32_e32 v27, v27, v28
	s_delay_alu instid0(VALU_DEP_1) | instskip(SKIP_1) | instid1(VALU_DEP_2)
	v_dual_sub_f32 v28, v31, v30 :: v_dual_add_f32 v25, v25, v27
	v_add_f32_e32 v27, v33, v29
	v_add_f32_e32 v25, v28, v25
	s_delay_alu instid0(VALU_DEP_2) | instskip(NEXT) | instid1(VALU_DEP_1)
	v_sub_f32_e32 v28, v27, v33
	v_dual_add_f32 v25, v115, v25 :: v_dual_sub_f32 v28, v29, v28
	s_delay_alu instid0(VALU_DEP_1) | instskip(NEXT) | instid1(VALU_DEP_1)
	v_mul_f32_e32 v25, v26, v25
	v_add_f32_e32 v25, v28, v25
	s_delay_alu instid0(VALU_DEP_1) | instskip(NEXT) | instid1(VALU_DEP_1)
	v_add_f32_e32 v26, v27, v25
	v_mul_f32_e32 v28, v26, v26
	s_delay_alu instid0(VALU_DEP_1) | instskip(SKIP_1) | instid1(VALU_DEP_2)
	v_fmaak_f32 v29, s85, v28, 0x3ecc95a3
	v_mul_f32_e32 v30, v26, v28
	v_fmaak_f32 v28, v28, v29, 0x3f2aaada
	v_ldexp_f32 v29, v26, 1
	v_sub_f32_e32 v26, v26, v27
	s_delay_alu instid0(VALU_DEP_3) | instskip(SKIP_1) | instid1(VALU_DEP_2)
	v_mul_f32_e32 v28, v30, v28
	v_mul_f32_e32 v30, 0x3f317218, v24
	v_add_f32_e32 v27, v29, v28
	s_delay_alu instid0(VALU_DEP_1) | instskip(NEXT) | instid1(VALU_DEP_3)
	v_dual_sub_f32 v25, v25, v26 :: v_dual_sub_f32 v26, v27, v29
	v_fma_f32 v29, 0x3f317218, v24, -v30
	s_delay_alu instid0(VALU_DEP_2) | instskip(NEXT) | instid1(VALU_DEP_2)
	v_ldexp_f32 v25, v25, 1
	v_dual_sub_f32 v26, v28, v26 :: v_dual_fmac_f32 v29, 0xb102e308, v24
	s_delay_alu instid0(VALU_DEP_1) | instskip(NEXT) | instid1(VALU_DEP_1)
	v_dual_add_f32 v24, v25, v26 :: v_dual_add_f32 v25, v30, v29
	v_add_f32_e32 v26, v27, v24
	s_delay_alu instid0(VALU_DEP_2) | instskip(NEXT) | instid1(VALU_DEP_2)
	v_sub_f32_e32 v30, v25, v30
	v_dual_add_f32 v28, v25, v26 :: v_dual_sub_f32 v27, v26, v27
	s_delay_alu instid0(VALU_DEP_2) | instskip(NEXT) | instid1(VALU_DEP_2)
	v_sub_f32_e32 v29, v29, v30
	v_sub_f32_e32 v31, v28, v25
	s_delay_alu instid0(VALU_DEP_3) | instskip(NEXT) | instid1(VALU_DEP_1)
	v_sub_f32_e32 v24, v24, v27
	v_dual_sub_f32 v26, v26, v31 :: v_dual_add_f32 v27, v29, v24
	v_sub_f32_e32 v33, v28, v31
	s_delay_alu instid0(VALU_DEP_1) | instskip(NEXT) | instid1(VALU_DEP_1)
	v_sub_f32_e32 v25, v25, v33
	v_add_f32_e32 v25, v26, v25
	s_delay_alu instid0(VALU_DEP_4) | instskip(NEXT) | instid1(VALU_DEP_2)
	v_sub_f32_e32 v26, v27, v29
	v_add_f32_e32 v25, v27, v25
	s_delay_alu instid0(VALU_DEP_2) | instskip(SKIP_1) | instid1(VALU_DEP_2)
	v_sub_f32_e32 v27, v27, v26
	v_sub_f32_e32 v24, v24, v26
	v_dual_add_f32 v30, v28, v25 :: v_dual_sub_f32 v27, v29, v27
	s_delay_alu instid0(VALU_DEP_1) | instskip(NEXT) | instid1(VALU_DEP_1)
	v_sub_f32_e32 v26, v30, v28
	v_dual_add_f32 v24, v24, v27 :: v_dual_sub_f32 v25, v25, v26
	s_delay_alu instid0(VALU_DEP_1) | instskip(NEXT) | instid1(VALU_DEP_1)
	v_add_f32_e32 v24, v24, v25
	v_add_f32_e32 v24, v30, v24
	s_delay_alu instid0(VALU_DEP_1)
	v_cndmask_b32_e32 v115, v24, v22, vcc_lo
.LBB158_92:                             ;   in Loop: Header=BB158_12 Depth=1
	s_or_b32 exec_lo, exec_lo, s30
	v_add_f32_e32 v116, s67, v23
	s_delay_alu instid0(VALU_DEP_1) | instskip(SKIP_1) | instid1(SALU_CYCLE_1)
	v_cmp_ge_f32_e32 vcc_lo, 0x41a00000, v116
	s_and_b32 s29, s81, vcc_lo
	s_and_saveexec_b32 s30, s29
	s_cbranch_execz .LBB158_94
; %bb.93:                               ;   in Loop: Header=BB158_12 Depth=1
	v_mul_f32_e32 v22, 0x3fb8aa3b, v116
	v_cmp_ngt_f32_e32 vcc_lo, 0xc2ce8ed0, v116
	s_delay_alu instid0(VALU_DEP_2) | instskip(SKIP_1) | instid1(VALU_DEP_2)
	v_rndne_f32_e32 v23, v22
	v_fma_f32 v24, 0x3fb8aa3b, v116, -v22
	v_sub_f32_e32 v22, v22, v23
	s_delay_alu instid0(VALU_DEP_2) | instskip(SKIP_1) | instid1(VALU_DEP_2)
	v_fmac_f32_e32 v24, 0x32a5705f, v116
	v_cvt_i32_f32_e32 v23, v23
	v_add_f32_e32 v22, v22, v24
	s_delay_alu instid0(VALU_DEP_1) | instskip(SKIP_2) | instid1(VALU_DEP_1)
	v_exp_f32_e32 v22, v22
	s_waitcnt_depctr 0xfff
	v_ldexp_f32 v22, v22, v23
	v_cndmask_b32_e32 v22, 0, v22, vcc_lo
	v_cmp_nlt_f32_e32 vcc_lo, 0x42b17218, v116
	s_delay_alu instid0(VALU_DEP_2) | instskip(NEXT) | instid1(VALU_DEP_1)
	v_cndmask_b32_e32 v24, 0x7f800000, v22, vcc_lo
	v_add_f32_e32 v25, 1.0, v24
	s_delay_alu instid0(VALU_DEP_1) | instskip(NEXT) | instid1(VALU_DEP_1)
	v_cvt_f64_f32_e32 v[22:23], v25
	v_frexp_exp_i32_f64_e32 v22, v[22:23]
	v_frexp_mant_f32_e32 v23, v25
	s_delay_alu instid0(VALU_DEP_1) | instskip(SKIP_1) | instid1(VALU_DEP_1)
	v_cmp_gt_f32_e32 vcc_lo, 0x3f2aaaab, v23
	v_add_f32_e32 v23, -1.0, v25
	v_sub_f32_e32 v27, v23, v25
	v_sub_f32_e32 v23, v24, v23
	s_delay_alu instid0(VALU_DEP_2) | instskip(NEXT) | instid1(VALU_DEP_1)
	v_add_f32_e32 v27, 1.0, v27
	v_add_f32_e32 v23, v23, v27
	v_cmp_gt_f32_e64 s29, 0x33800000, v24
	v_subrev_co_ci_u32_e32 v22, vcc_lo, 0, v22, vcc_lo
	v_cmp_eq_f32_e32 vcc_lo, 0x7f800000, v24
	s_delay_alu instid0(VALU_DEP_2) | instskip(SKIP_2) | instid1(VALU_DEP_2)
	v_sub_nc_u32_e32 v26, 0, v22
	v_cvt_f32_i32_e32 v22, v22
	s_or_b32 vcc_lo, s29, vcc_lo
	v_ldexp_f32 v25, v25, v26
	v_ldexp_f32 v23, v23, v26
	s_delay_alu instid0(VALU_DEP_2) | instskip(NEXT) | instid1(VALU_DEP_1)
	v_add_f32_e32 v28, 1.0, v25
	v_dual_add_f32 v26, -1.0, v25 :: v_dual_add_f32 v27, -1.0, v28
	s_delay_alu instid0(VALU_DEP_1) | instskip(NEXT) | instid1(VALU_DEP_2)
	v_add_f32_e32 v29, 1.0, v26
	v_sub_f32_e32 v27, v25, v27
	s_delay_alu instid0(VALU_DEP_2) | instskip(NEXT) | instid1(VALU_DEP_2)
	v_sub_f32_e32 v25, v25, v29
	v_add_f32_e32 v27, v23, v27
	s_delay_alu instid0(VALU_DEP_2) | instskip(NEXT) | instid1(VALU_DEP_2)
	v_add_f32_e32 v23, v23, v25
	v_add_f32_e32 v29, v28, v27
	s_delay_alu instid0(VALU_DEP_2) | instskip(NEXT) | instid1(VALU_DEP_2)
	v_add_f32_e32 v30, v26, v23
	v_rcp_f32_e32 v25, v29
	v_sub_f32_e32 v28, v28, v29
	s_delay_alu instid0(VALU_DEP_2) | instskip(SKIP_2) | instid1(VALU_DEP_1)
	v_sub_f32_e32 v26, v26, v30
	s_waitcnt_depctr 0xfff
	v_mul_f32_e32 v31, v30, v25
	v_mul_f32_e32 v33, v29, v31
	v_add_f32_e32 v27, v27, v28
	s_delay_alu instid0(VALU_DEP_2) | instskip(NEXT) | instid1(VALU_DEP_1)
	v_fma_f32 v28, v31, v29, -v33
	v_fmac_f32_e32 v28, v31, v27
	s_delay_alu instid0(VALU_DEP_1) | instskip(NEXT) | instid1(VALU_DEP_1)
	v_add_f32_e32 v116, v33, v28
	v_sub_f32_e32 v117, v30, v116
	s_delay_alu instid0(VALU_DEP_1) | instskip(SKIP_1) | instid1(VALU_DEP_2)
	v_dual_sub_f32 v30, v30, v117 :: v_dual_add_f32 v23, v23, v26
	v_sub_f32_e32 v26, v116, v33
	v_sub_f32_e32 v30, v30, v116
	s_delay_alu instid0(VALU_DEP_1) | instskip(NEXT) | instid1(VALU_DEP_1)
	v_dual_sub_f32 v26, v26, v28 :: v_dual_add_f32 v23, v23, v30
	v_add_f32_e32 v23, v26, v23
	s_delay_alu instid0(VALU_DEP_1) | instskip(NEXT) | instid1(VALU_DEP_1)
	v_add_f32_e32 v26, v117, v23
	v_mul_f32_e32 v28, v25, v26
	v_sub_f32_e32 v116, v117, v26
	s_delay_alu instid0(VALU_DEP_2) | instskip(NEXT) | instid1(VALU_DEP_2)
	v_mul_f32_e32 v30, v29, v28
	v_add_f32_e32 v23, v23, v116
	s_delay_alu instid0(VALU_DEP_2) | instskip(NEXT) | instid1(VALU_DEP_1)
	v_fma_f32 v29, v28, v29, -v30
	v_fmac_f32_e32 v29, v28, v27
	s_delay_alu instid0(VALU_DEP_1) | instskip(NEXT) | instid1(VALU_DEP_1)
	v_add_f32_e32 v27, v30, v29
	v_sub_f32_e32 v33, v26, v27
	s_delay_alu instid0(VALU_DEP_1) | instskip(NEXT) | instid1(VALU_DEP_1)
	v_sub_f32_e32 v26, v26, v33
	v_sub_f32_e32 v26, v26, v27
	s_delay_alu instid0(VALU_DEP_1) | instskip(SKIP_2) | instid1(VALU_DEP_1)
	v_add_f32_e32 v23, v23, v26
	v_add_f32_e32 v26, v31, v28
	v_sub_f32_e32 v30, v27, v30
	v_sub_f32_e32 v27, v30, v29
	s_delay_alu instid0(VALU_DEP_1) | instskip(NEXT) | instid1(VALU_DEP_4)
	v_add_f32_e32 v23, v27, v23
	v_sub_f32_e32 v27, v26, v31
	s_delay_alu instid0(VALU_DEP_2) | instskip(NEXT) | instid1(VALU_DEP_2)
	v_add_f32_e32 v23, v33, v23
	v_sub_f32_e32 v27, v28, v27
	s_delay_alu instid0(VALU_DEP_2) | instskip(NEXT) | instid1(VALU_DEP_1)
	v_mul_f32_e32 v23, v25, v23
	v_add_f32_e32 v23, v27, v23
	s_delay_alu instid0(VALU_DEP_1) | instskip(NEXT) | instid1(VALU_DEP_1)
	v_add_f32_e32 v25, v26, v23
	v_mul_f32_e32 v27, v25, v25
	s_delay_alu instid0(VALU_DEP_1) | instskip(SKIP_1) | instid1(VALU_DEP_2)
	v_fmaak_f32 v28, s85, v27, 0x3ecc95a3
	v_mul_f32_e32 v29, v25, v27
	v_fmaak_f32 v27, v27, v28, 0x3f2aaada
	v_ldexp_f32 v28, v25, 1
	s_delay_alu instid0(VALU_DEP_2) | instskip(SKIP_1) | instid1(VALU_DEP_2)
	v_mul_f32_e32 v27, v29, v27
	v_sub_f32_e32 v25, v25, v26
	v_dual_mul_f32 v29, 0x3f317218, v22 :: v_dual_add_f32 v26, v28, v27
	s_delay_alu instid0(VALU_DEP_2) | instskip(NEXT) | instid1(VALU_DEP_2)
	v_sub_f32_e32 v23, v23, v25
	v_sub_f32_e32 v25, v26, v28
	s_delay_alu instid0(VALU_DEP_3) | instskip(NEXT) | instid1(VALU_DEP_3)
	v_fma_f32 v28, 0x3f317218, v22, -v29
	v_ldexp_f32 v23, v23, 1
	s_delay_alu instid0(VALU_DEP_2) | instskip(NEXT) | instid1(VALU_DEP_1)
	v_dual_sub_f32 v25, v27, v25 :: v_dual_fmac_f32 v28, 0xb102e308, v22
	v_dual_add_f32 v22, v23, v25 :: v_dual_add_f32 v23, v29, v28
	s_delay_alu instid0(VALU_DEP_1) | instskip(NEXT) | instid1(VALU_DEP_1)
	v_add_f32_e32 v25, v26, v22
	v_dual_add_f32 v27, v23, v25 :: v_dual_sub_f32 v26, v25, v26
	s_delay_alu instid0(VALU_DEP_1) | instskip(NEXT) | instid1(VALU_DEP_2)
	v_sub_f32_e32 v30, v27, v23
	v_dual_sub_f32 v29, v23, v29 :: v_dual_sub_f32 v22, v22, v26
	s_delay_alu instid0(VALU_DEP_1) | instskip(SKIP_1) | instid1(VALU_DEP_2)
	v_dual_sub_f32 v31, v27, v30 :: v_dual_sub_f32 v28, v28, v29
	v_sub_f32_e32 v25, v25, v30
	v_dual_sub_f32 v23, v23, v31 :: v_dual_add_f32 v26, v28, v22
	s_delay_alu instid0(VALU_DEP_1) | instskip(NEXT) | instid1(VALU_DEP_2)
	v_add_f32_e32 v23, v25, v23
	v_sub_f32_e32 v25, v26, v28
	s_delay_alu instid0(VALU_DEP_2) | instskip(NEXT) | instid1(VALU_DEP_2)
	v_add_f32_e32 v23, v26, v23
	v_sub_f32_e32 v26, v26, v25
	s_delay_alu instid0(VALU_DEP_2) | instskip(NEXT) | instid1(VALU_DEP_1)
	v_dual_sub_f32 v22, v22, v25 :: v_dual_add_f32 v29, v27, v23
	v_dual_sub_f32 v26, v28, v26 :: v_dual_sub_f32 v25, v29, v27
	s_delay_alu instid0(VALU_DEP_1) | instskip(NEXT) | instid1(VALU_DEP_1)
	v_dual_add_f32 v22, v22, v26 :: v_dual_sub_f32 v23, v23, v25
	v_add_f32_e32 v22, v22, v23
	s_delay_alu instid0(VALU_DEP_1) | instskip(NEXT) | instid1(VALU_DEP_1)
	v_add_f32_e32 v22, v29, v22
	v_cndmask_b32_e32 v116, v22, v24, vcc_lo
.LBB158_94:                             ;   in Loop: Header=BB158_12 Depth=1
	s_or_b32 exec_lo, exec_lo, s30
	s_waitcnt lgkmcnt(2)
	v_add_f32_e32 v117, s67, v20
	s_delay_alu instid0(VALU_DEP_1) | instskip(SKIP_1) | instid1(SALU_CYCLE_1)
	v_cmp_ge_f32_e32 vcc_lo, 0x41a00000, v117
	s_and_b32 s29, s81, vcc_lo
	s_and_saveexec_b32 s30, s29
	s_cbranch_execz .LBB158_96
; %bb.95:                               ;   in Loop: Header=BB158_12 Depth=1
	v_mul_f32_e32 v20, 0x3fb8aa3b, v117
	v_cmp_ngt_f32_e32 vcc_lo, 0xc2ce8ed0, v117
	s_delay_alu instid0(VALU_DEP_2) | instskip(SKIP_1) | instid1(VALU_DEP_1)
	v_rndne_f32_e32 v22, v20
	v_fma_f32 v23, 0x3fb8aa3b, v117, -v20
	v_dual_sub_f32 v20, v20, v22 :: v_dual_fmac_f32 v23, 0x32a5705f, v117
	v_cvt_i32_f32_e32 v22, v22
	s_delay_alu instid0(VALU_DEP_2) | instskip(NEXT) | instid1(VALU_DEP_1)
	v_add_f32_e32 v20, v20, v23
	v_exp_f32_e32 v20, v20
	s_waitcnt_depctr 0xfff
	v_ldexp_f32 v20, v20, v22
	s_delay_alu instid0(VALU_DEP_1) | instskip(SKIP_1) | instid1(VALU_DEP_2)
	v_cndmask_b32_e32 v20, 0, v20, vcc_lo
	v_cmp_nlt_f32_e32 vcc_lo, 0x42b17218, v117
	v_cndmask_b32_e32 v20, 0x7f800000, v20, vcc_lo
	s_delay_alu instid0(VALU_DEP_1) | instskip(NEXT) | instid1(VALU_DEP_1)
	v_add_f32_e32 v24, 1.0, v20
	v_cvt_f64_f32_e32 v[22:23], v24
	s_delay_alu instid0(VALU_DEP_1) | instskip(SKIP_1) | instid1(VALU_DEP_1)
	v_frexp_exp_i32_f64_e32 v22, v[22:23]
	v_frexp_mant_f32_e32 v23, v24
	v_cmp_gt_f32_e32 vcc_lo, 0x3f2aaaab, v23
	v_add_f32_e32 v23, -1.0, v24
	s_delay_alu instid0(VALU_DEP_1) | instskip(SKIP_1) | instid1(VALU_DEP_1)
	v_dual_sub_f32 v26, v23, v24 :: v_dual_sub_f32 v23, v20, v23
	v_subrev_co_ci_u32_e32 v22, vcc_lo, 0, v22, vcc_lo
	v_sub_nc_u32_e32 v25, 0, v22
	v_cvt_f32_i32_e32 v22, v22
	s_delay_alu instid0(VALU_DEP_2) | instskip(NEXT) | instid1(VALU_DEP_1)
	v_ldexp_f32 v24, v24, v25
	v_dual_add_f32 v26, 1.0, v26 :: v_dual_add_f32 v27, 1.0, v24
	s_delay_alu instid0(VALU_DEP_1) | instskip(NEXT) | instid1(VALU_DEP_1)
	v_add_f32_e32 v23, v23, v26
	v_ldexp_f32 v23, v23, v25
	s_delay_alu instid0(VALU_DEP_3) | instskip(NEXT) | instid1(VALU_DEP_1)
	v_dual_add_f32 v25, -1.0, v24 :: v_dual_add_f32 v26, -1.0, v27
	v_add_f32_e32 v28, 1.0, v25
	s_delay_alu instid0(VALU_DEP_2) | instskip(NEXT) | instid1(VALU_DEP_2)
	v_sub_f32_e32 v26, v24, v26
	v_sub_f32_e32 v24, v24, v28
	s_delay_alu instid0(VALU_DEP_2) | instskip(NEXT) | instid1(VALU_DEP_2)
	v_add_f32_e32 v26, v23, v26
	v_add_f32_e32 v23, v23, v24
	s_delay_alu instid0(VALU_DEP_1) | instskip(SKIP_2) | instid1(VALU_DEP_3)
	v_dual_add_f32 v29, v25, v23 :: v_dual_add_f32 v28, v27, v26
	v_cmp_eq_f32_e32 vcc_lo, 0x7f800000, v20
	v_cmp_gt_f32_e64 s29, 0x33800000, v20
	v_sub_f32_e32 v25, v25, v29
	s_delay_alu instid0(VALU_DEP_4) | instskip(SKIP_1) | instid1(VALU_DEP_3)
	v_rcp_f32_e32 v24, v28
	v_sub_f32_e32 v27, v27, v28
	s_or_b32 vcc_lo, s29, vcc_lo
	s_delay_alu instid0(VALU_DEP_1) | instskip(SKIP_2) | instid1(VALU_DEP_1)
	v_dual_add_f32 v23, v23, v25 :: v_dual_add_f32 v26, v26, v27
	s_waitcnt_depctr 0xfff
	v_mul_f32_e32 v30, v29, v24
	v_mul_f32_e32 v31, v28, v30
	s_delay_alu instid0(VALU_DEP_1) | instskip(NEXT) | instid1(VALU_DEP_1)
	v_fma_f32 v27, v30, v28, -v31
	v_fmac_f32_e32 v27, v30, v26
	s_delay_alu instid0(VALU_DEP_1) | instskip(NEXT) | instid1(VALU_DEP_1)
	v_add_f32_e32 v33, v31, v27
	v_sub_f32_e32 v117, v29, v33
	s_delay_alu instid0(VALU_DEP_1) | instskip(SKIP_1) | instid1(VALU_DEP_2)
	v_sub_f32_e32 v29, v29, v117
	v_sub_f32_e32 v25, v33, v31
	;; [unrolled: 1-line block ×3, first 2 shown]
	s_delay_alu instid0(VALU_DEP_2) | instskip(NEXT) | instid1(VALU_DEP_2)
	v_sub_f32_e32 v25, v25, v27
	v_add_f32_e32 v23, v23, v29
	s_delay_alu instid0(VALU_DEP_1) | instskip(NEXT) | instid1(VALU_DEP_1)
	v_add_f32_e32 v23, v25, v23
	v_add_f32_e32 v25, v117, v23
	s_delay_alu instid0(VALU_DEP_1) | instskip(SKIP_1) | instid1(VALU_DEP_2)
	v_mul_f32_e32 v27, v24, v25
	v_sub_f32_e32 v33, v117, v25
	v_mul_f32_e32 v29, v28, v27
	s_delay_alu instid0(VALU_DEP_2) | instskip(NEXT) | instid1(VALU_DEP_2)
	v_add_f32_e32 v23, v23, v33
	v_fma_f32 v28, v27, v28, -v29
	s_delay_alu instid0(VALU_DEP_1) | instskip(NEXT) | instid1(VALU_DEP_1)
	v_fmac_f32_e32 v28, v27, v26
	v_add_f32_e32 v26, v29, v28
	s_delay_alu instid0(VALU_DEP_1) | instskip(SKIP_1) | instid1(VALU_DEP_2)
	v_sub_f32_e32 v31, v25, v26
	v_sub_f32_e32 v29, v26, v29
	;; [unrolled: 1-line block ×3, first 2 shown]
	s_delay_alu instid0(VALU_DEP_1) | instskip(NEXT) | instid1(VALU_DEP_1)
	v_sub_f32_e32 v25, v25, v26
	v_dual_sub_f32 v26, v29, v28 :: v_dual_add_f32 v23, v23, v25
	v_add_f32_e32 v25, v30, v27
	s_delay_alu instid0(VALU_DEP_1) | instskip(NEXT) | instid1(VALU_DEP_1)
	v_dual_add_f32 v23, v26, v23 :: v_dual_sub_f32 v26, v25, v30
	v_add_f32_e32 v23, v31, v23
	s_delay_alu instid0(VALU_DEP_1) | instskip(NEXT) | instid1(VALU_DEP_1)
	v_dual_sub_f32 v26, v27, v26 :: v_dual_mul_f32 v23, v24, v23
	v_add_f32_e32 v23, v26, v23
	s_delay_alu instid0(VALU_DEP_1) | instskip(NEXT) | instid1(VALU_DEP_1)
	v_add_f32_e32 v24, v25, v23
	v_mul_f32_e32 v26, v24, v24
	s_delay_alu instid0(VALU_DEP_1) | instskip(SKIP_1) | instid1(VALU_DEP_2)
	v_fmaak_f32 v27, s85, v26, 0x3ecc95a3
	v_mul_f32_e32 v28, v24, v26
	v_fmaak_f32 v26, v26, v27, 0x3f2aaada
	v_ldexp_f32 v27, v24, 1
	v_sub_f32_e32 v24, v24, v25
	s_delay_alu instid0(VALU_DEP_3) | instskip(NEXT) | instid1(VALU_DEP_2)
	v_mul_f32_e32 v26, v28, v26
	v_dual_mul_f32 v28, 0x3f317218, v22 :: v_dual_sub_f32 v23, v23, v24
	s_delay_alu instid0(VALU_DEP_2) | instskip(NEXT) | instid1(VALU_DEP_2)
	v_add_f32_e32 v25, v27, v26
	v_ldexp_f32 v23, v23, 1
	s_delay_alu instid0(VALU_DEP_2) | instskip(NEXT) | instid1(VALU_DEP_4)
	v_sub_f32_e32 v24, v25, v27
	v_fma_f32 v27, 0x3f317218, v22, -v28
	s_delay_alu instid0(VALU_DEP_1) | instskip(NEXT) | instid1(VALU_DEP_1)
	v_dual_sub_f32 v24, v26, v24 :: v_dual_fmac_f32 v27, 0xb102e308, v22
	v_dual_add_f32 v22, v23, v24 :: v_dual_add_f32 v23, v28, v27
	s_delay_alu instid0(VALU_DEP_1) | instskip(NEXT) | instid1(VALU_DEP_2)
	v_add_f32_e32 v24, v25, v22
	v_sub_f32_e32 v28, v23, v28
	s_delay_alu instid0(VALU_DEP_2) | instskip(NEXT) | instid1(VALU_DEP_2)
	v_dual_add_f32 v26, v23, v24 :: v_dual_sub_f32 v25, v24, v25
	v_sub_f32_e32 v27, v27, v28
	s_delay_alu instid0(VALU_DEP_2) | instskip(NEXT) | instid1(VALU_DEP_3)
	v_sub_f32_e32 v29, v26, v23
	v_sub_f32_e32 v22, v22, v25
	s_delay_alu instid0(VALU_DEP_2) | instskip(NEXT) | instid1(VALU_DEP_2)
	v_sub_f32_e32 v30, v26, v29
	v_dual_sub_f32 v24, v24, v29 :: v_dual_add_f32 v25, v27, v22
	s_delay_alu instid0(VALU_DEP_2) | instskip(NEXT) | instid1(VALU_DEP_1)
	v_sub_f32_e32 v23, v23, v30
	v_add_f32_e32 v23, v24, v23
	s_delay_alu instid0(VALU_DEP_3) | instskip(NEXT) | instid1(VALU_DEP_2)
	v_sub_f32_e32 v24, v25, v27
	v_add_f32_e32 v23, v25, v23
	s_delay_alu instid0(VALU_DEP_2) | instskip(SKIP_1) | instid1(VALU_DEP_2)
	v_sub_f32_e32 v25, v25, v24
	v_sub_f32_e32 v22, v22, v24
	v_dual_add_f32 v28, v26, v23 :: v_dual_sub_f32 v25, v27, v25
	s_delay_alu instid0(VALU_DEP_1) | instskip(NEXT) | instid1(VALU_DEP_1)
	v_sub_f32_e32 v24, v28, v26
	v_dual_add_f32 v22, v22, v25 :: v_dual_sub_f32 v23, v23, v24
	s_delay_alu instid0(VALU_DEP_1) | instskip(NEXT) | instid1(VALU_DEP_1)
	v_add_f32_e32 v22, v22, v23
	v_add_f32_e32 v22, v28, v22
	s_delay_alu instid0(VALU_DEP_1)
	v_cndmask_b32_e32 v117, v22, v20, vcc_lo
.LBB158_96:                             ;   in Loop: Header=BB158_12 Depth=1
	s_or_b32 exec_lo, exec_lo, s30
	v_add_f32_e32 v118, s67, v21
	s_delay_alu instid0(VALU_DEP_1) | instskip(SKIP_1) | instid1(SALU_CYCLE_1)
	v_cmp_ge_f32_e32 vcc_lo, 0x41a00000, v118
	s_and_b32 s29, s81, vcc_lo
	s_and_saveexec_b32 s30, s29
	s_cbranch_execz .LBB158_98
; %bb.97:                               ;   in Loop: Header=BB158_12 Depth=1
	v_mul_f32_e32 v20, 0x3fb8aa3b, v118
	v_cmp_ngt_f32_e32 vcc_lo, 0xc2ce8ed0, v118
	s_delay_alu instid0(VALU_DEP_2) | instskip(SKIP_1) | instid1(VALU_DEP_2)
	v_rndne_f32_e32 v21, v20
	v_fma_f32 v22, 0x3fb8aa3b, v118, -v20
	v_sub_f32_e32 v20, v20, v21
	s_delay_alu instid0(VALU_DEP_2) | instskip(SKIP_1) | instid1(VALU_DEP_2)
	v_fmac_f32_e32 v22, 0x32a5705f, v118
	v_cvt_i32_f32_e32 v21, v21
	v_add_f32_e32 v20, v20, v22
	s_delay_alu instid0(VALU_DEP_1) | instskip(SKIP_2) | instid1(VALU_DEP_1)
	v_exp_f32_e32 v20, v20
	s_waitcnt_depctr 0xfff
	v_ldexp_f32 v20, v20, v21
	v_cndmask_b32_e32 v20, 0, v20, vcc_lo
	v_cmp_nlt_f32_e32 vcc_lo, 0x42b17218, v118
	s_delay_alu instid0(VALU_DEP_2) | instskip(NEXT) | instid1(VALU_DEP_1)
	v_cndmask_b32_e32 v22, 0x7f800000, v20, vcc_lo
	v_add_f32_e32 v23, 1.0, v22
	s_delay_alu instid0(VALU_DEP_1) | instskip(NEXT) | instid1(VALU_DEP_1)
	v_cvt_f64_f32_e32 v[20:21], v23
	v_frexp_exp_i32_f64_e32 v20, v[20:21]
	v_frexp_mant_f32_e32 v21, v23
	s_delay_alu instid0(VALU_DEP_1) | instskip(SKIP_1) | instid1(VALU_DEP_1)
	v_cmp_gt_f32_e32 vcc_lo, 0x3f2aaaab, v21
	v_add_f32_e32 v21, -1.0, v23
	v_sub_f32_e32 v25, v21, v23
	v_sub_f32_e32 v21, v22, v21
	s_delay_alu instid0(VALU_DEP_2) | instskip(NEXT) | instid1(VALU_DEP_1)
	v_add_f32_e32 v25, 1.0, v25
	v_add_f32_e32 v21, v21, v25
	v_cmp_gt_f32_e64 s29, 0x33800000, v22
	v_subrev_co_ci_u32_e32 v20, vcc_lo, 0, v20, vcc_lo
	v_cmp_eq_f32_e32 vcc_lo, 0x7f800000, v22
	s_delay_alu instid0(VALU_DEP_2) | instskip(SKIP_2) | instid1(VALU_DEP_2)
	v_sub_nc_u32_e32 v24, 0, v20
	v_cvt_f32_i32_e32 v20, v20
	s_or_b32 vcc_lo, s29, vcc_lo
	v_ldexp_f32 v23, v23, v24
	v_ldexp_f32 v21, v21, v24
	s_delay_alu instid0(VALU_DEP_2) | instskip(NEXT) | instid1(VALU_DEP_1)
	v_add_f32_e32 v26, 1.0, v23
	v_dual_add_f32 v24, -1.0, v23 :: v_dual_add_f32 v25, -1.0, v26
	s_delay_alu instid0(VALU_DEP_1) | instskip(NEXT) | instid1(VALU_DEP_2)
	v_add_f32_e32 v27, 1.0, v24
	v_sub_f32_e32 v25, v23, v25
	s_delay_alu instid0(VALU_DEP_2) | instskip(NEXT) | instid1(VALU_DEP_2)
	v_sub_f32_e32 v23, v23, v27
	v_add_f32_e32 v25, v21, v25
	s_delay_alu instid0(VALU_DEP_2) | instskip(NEXT) | instid1(VALU_DEP_1)
	v_add_f32_e32 v21, v21, v23
	v_add_f32_e32 v28, v24, v21
	s_delay_alu instid0(VALU_DEP_1) | instskip(NEXT) | instid1(VALU_DEP_1)
	v_dual_add_f32 v27, v26, v25 :: v_dual_sub_f32 v24, v24, v28
	v_rcp_f32_e32 v23, v27
	v_sub_f32_e32 v26, v26, v27
	s_delay_alu instid0(VALU_DEP_1) | instskip(SKIP_2) | instid1(VALU_DEP_1)
	v_add_f32_e32 v25, v25, v26
	s_waitcnt_depctr 0xfff
	v_mul_f32_e32 v29, v28, v23
	v_mul_f32_e32 v30, v27, v29
	s_delay_alu instid0(VALU_DEP_1) | instskip(NEXT) | instid1(VALU_DEP_1)
	v_fma_f32 v26, v29, v27, -v30
	v_fmac_f32_e32 v26, v29, v25
	s_delay_alu instid0(VALU_DEP_1) | instskip(NEXT) | instid1(VALU_DEP_1)
	v_add_f32_e32 v31, v30, v26
	v_sub_f32_e32 v33, v28, v31
	s_delay_alu instid0(VALU_DEP_1) | instskip(SKIP_1) | instid1(VALU_DEP_2)
	v_dual_sub_f32 v28, v28, v33 :: v_dual_add_f32 v21, v21, v24
	v_sub_f32_e32 v24, v31, v30
	v_sub_f32_e32 v28, v28, v31
	s_delay_alu instid0(VALU_DEP_1) | instskip(NEXT) | instid1(VALU_DEP_1)
	v_dual_sub_f32 v24, v24, v26 :: v_dual_add_f32 v21, v21, v28
	v_add_f32_e32 v21, v24, v21
	s_delay_alu instid0(VALU_DEP_1) | instskip(NEXT) | instid1(VALU_DEP_1)
	v_add_f32_e32 v24, v33, v21
	v_mul_f32_e32 v26, v23, v24
	s_delay_alu instid0(VALU_DEP_1) | instskip(NEXT) | instid1(VALU_DEP_1)
	v_dual_sub_f32 v31, v33, v24 :: v_dual_mul_f32 v28, v27, v26
	v_fma_f32 v27, v26, v27, -v28
	s_delay_alu instid0(VALU_DEP_1) | instskip(NEXT) | instid1(VALU_DEP_1)
	v_fmac_f32_e32 v27, v26, v25
	v_add_f32_e32 v25, v28, v27
	s_delay_alu instid0(VALU_DEP_1) | instskip(NEXT) | instid1(VALU_DEP_1)
	v_sub_f32_e32 v30, v24, v25
	v_dual_sub_f32 v24, v24, v30 :: v_dual_add_f32 v21, v21, v31
	s_delay_alu instid0(VALU_DEP_1) | instskip(NEXT) | instid1(VALU_DEP_1)
	v_sub_f32_e32 v24, v24, v25
	v_add_f32_e32 v21, v21, v24
	v_add_f32_e32 v24, v29, v26
	v_sub_f32_e32 v28, v25, v28
	s_delay_alu instid0(VALU_DEP_1) | instskip(NEXT) | instid1(VALU_DEP_1)
	v_sub_f32_e32 v25, v28, v27
	v_add_f32_e32 v21, v25, v21
	s_delay_alu instid0(VALU_DEP_4) | instskip(NEXT) | instid1(VALU_DEP_2)
	v_sub_f32_e32 v25, v24, v29
	v_add_f32_e32 v21, v30, v21
	s_delay_alu instid0(VALU_DEP_2) | instskip(NEXT) | instid1(VALU_DEP_2)
	v_sub_f32_e32 v25, v26, v25
	v_mul_f32_e32 v21, v23, v21
	s_delay_alu instid0(VALU_DEP_1) | instskip(NEXT) | instid1(VALU_DEP_1)
	v_add_f32_e32 v21, v25, v21
	v_add_f32_e32 v23, v24, v21
	s_delay_alu instid0(VALU_DEP_1) | instskip(NEXT) | instid1(VALU_DEP_1)
	v_mul_f32_e32 v25, v23, v23
	v_fmaak_f32 v26, s85, v25, 0x3ecc95a3
	v_mul_f32_e32 v27, v23, v25
	s_delay_alu instid0(VALU_DEP_2) | instskip(SKIP_1) | instid1(VALU_DEP_2)
	v_fmaak_f32 v25, v25, v26, 0x3f2aaada
	v_ldexp_f32 v26, v23, 1
	v_mul_f32_e32 v25, v27, v25
	v_sub_f32_e32 v23, v23, v24
	s_delay_alu instid0(VALU_DEP_2) | instskip(NEXT) | instid1(VALU_DEP_2)
	v_dual_mul_f32 v27, 0x3f317218, v20 :: v_dual_add_f32 v24, v26, v25
	v_sub_f32_e32 v21, v21, v23
	s_delay_alu instid0(VALU_DEP_2) | instskip(NEXT) | instid1(VALU_DEP_3)
	v_sub_f32_e32 v23, v24, v26
	v_fma_f32 v26, 0x3f317218, v20, -v27
	s_delay_alu instid0(VALU_DEP_3) | instskip(NEXT) | instid1(VALU_DEP_2)
	v_ldexp_f32 v21, v21, 1
	v_dual_sub_f32 v23, v25, v23 :: v_dual_fmac_f32 v26, 0xb102e308, v20
	s_delay_alu instid0(VALU_DEP_1) | instskip(NEXT) | instid1(VALU_DEP_1)
	v_dual_add_f32 v20, v21, v23 :: v_dual_add_f32 v21, v27, v26
	v_add_f32_e32 v23, v24, v20
	s_delay_alu instid0(VALU_DEP_1) | instskip(NEXT) | instid1(VALU_DEP_1)
	v_dual_add_f32 v25, v21, v23 :: v_dual_sub_f32 v24, v23, v24
	v_sub_f32_e32 v28, v25, v21
	s_delay_alu instid0(VALU_DEP_2) | instskip(NEXT) | instid1(VALU_DEP_1)
	v_dual_sub_f32 v27, v21, v27 :: v_dual_sub_f32 v20, v20, v24
	v_dual_sub_f32 v29, v25, v28 :: v_dual_sub_f32 v26, v26, v27
	v_sub_f32_e32 v23, v23, v28
	s_delay_alu instid0(VALU_DEP_2) | instskip(NEXT) | instid1(VALU_DEP_1)
	v_dual_sub_f32 v21, v21, v29 :: v_dual_add_f32 v24, v26, v20
	v_add_f32_e32 v21, v23, v21
	s_delay_alu instid0(VALU_DEP_2) | instskip(NEXT) | instid1(VALU_DEP_2)
	v_sub_f32_e32 v23, v24, v26
	v_add_f32_e32 v21, v24, v21
	s_delay_alu instid0(VALU_DEP_2) | instskip(NEXT) | instid1(VALU_DEP_2)
	v_sub_f32_e32 v24, v24, v23
	v_dual_sub_f32 v20, v20, v23 :: v_dual_add_f32 v27, v25, v21
	s_delay_alu instid0(VALU_DEP_1) | instskip(NEXT) | instid1(VALU_DEP_1)
	v_dual_sub_f32 v24, v26, v24 :: v_dual_sub_f32 v23, v27, v25
	v_dual_add_f32 v20, v20, v24 :: v_dual_sub_f32 v21, v21, v23
	s_delay_alu instid0(VALU_DEP_1) | instskip(NEXT) | instid1(VALU_DEP_1)
	v_add_f32_e32 v20, v20, v21
	v_add_f32_e32 v20, v27, v20
	s_delay_alu instid0(VALU_DEP_1)
	v_cndmask_b32_e32 v118, v20, v22, vcc_lo
.LBB158_98:                             ;   in Loop: Header=BB158_12 Depth=1
	s_or_b32 exec_lo, exec_lo, s30
	s_waitcnt lgkmcnt(1)
	v_add_f32_e32 v119, s67, v18
	s_delay_alu instid0(VALU_DEP_1) | instskip(SKIP_1) | instid1(SALU_CYCLE_1)
	v_cmp_ge_f32_e32 vcc_lo, 0x41a00000, v119
	s_and_b32 s29, s81, vcc_lo
	s_and_saveexec_b32 s30, s29
	s_cbranch_execz .LBB158_100
; %bb.99:                               ;   in Loop: Header=BB158_12 Depth=1
	v_mul_f32_e32 v18, 0x3fb8aa3b, v119
	v_cmp_ngt_f32_e32 vcc_lo, 0xc2ce8ed0, v119
	s_delay_alu instid0(VALU_DEP_2) | instskip(SKIP_1) | instid1(VALU_DEP_1)
	v_rndne_f32_e32 v20, v18
	v_fma_f32 v21, 0x3fb8aa3b, v119, -v18
	v_dual_sub_f32 v18, v18, v20 :: v_dual_fmac_f32 v21, 0x32a5705f, v119
	v_cvt_i32_f32_e32 v20, v20
	s_delay_alu instid0(VALU_DEP_2) | instskip(NEXT) | instid1(VALU_DEP_1)
	v_add_f32_e32 v18, v18, v21
	v_exp_f32_e32 v18, v18
	s_waitcnt_depctr 0xfff
	v_ldexp_f32 v18, v18, v20
	s_delay_alu instid0(VALU_DEP_1) | instskip(SKIP_1) | instid1(VALU_DEP_2)
	v_cndmask_b32_e32 v18, 0, v18, vcc_lo
	v_cmp_nlt_f32_e32 vcc_lo, 0x42b17218, v119
	v_cndmask_b32_e32 v18, 0x7f800000, v18, vcc_lo
	s_delay_alu instid0(VALU_DEP_1) | instskip(NEXT) | instid1(VALU_DEP_1)
	v_add_f32_e32 v22, 1.0, v18
	v_cvt_f64_f32_e32 v[20:21], v22
	s_delay_alu instid0(VALU_DEP_1) | instskip(SKIP_1) | instid1(VALU_DEP_1)
	v_frexp_exp_i32_f64_e32 v20, v[20:21]
	v_frexp_mant_f32_e32 v21, v22
	v_cmp_gt_f32_e32 vcc_lo, 0x3f2aaaab, v21
	v_add_f32_e32 v21, -1.0, v22
	s_delay_alu instid0(VALU_DEP_1) | instskip(SKIP_1) | instid1(VALU_DEP_1)
	v_dual_sub_f32 v24, v21, v22 :: v_dual_sub_f32 v21, v18, v21
	v_subrev_co_ci_u32_e32 v20, vcc_lo, 0, v20, vcc_lo
	v_sub_nc_u32_e32 v23, 0, v20
	v_cvt_f32_i32_e32 v20, v20
	s_delay_alu instid0(VALU_DEP_2) | instskip(NEXT) | instid1(VALU_DEP_1)
	v_ldexp_f32 v22, v22, v23
	v_dual_add_f32 v24, 1.0, v24 :: v_dual_add_f32 v25, 1.0, v22
	s_delay_alu instid0(VALU_DEP_1) | instskip(NEXT) | instid1(VALU_DEP_1)
	v_add_f32_e32 v21, v21, v24
	v_ldexp_f32 v21, v21, v23
	s_delay_alu instid0(VALU_DEP_3) | instskip(NEXT) | instid1(VALU_DEP_1)
	v_dual_add_f32 v23, -1.0, v22 :: v_dual_add_f32 v24, -1.0, v25
	v_add_f32_e32 v26, 1.0, v23
	s_delay_alu instid0(VALU_DEP_2) | instskip(NEXT) | instid1(VALU_DEP_2)
	v_sub_f32_e32 v24, v22, v24
	v_sub_f32_e32 v22, v22, v26
	s_delay_alu instid0(VALU_DEP_2) | instskip(NEXT) | instid1(VALU_DEP_2)
	v_add_f32_e32 v24, v21, v24
	v_add_f32_e32 v21, v21, v22
	s_delay_alu instid0(VALU_DEP_1) | instskip(SKIP_2) | instid1(VALU_DEP_3)
	v_dual_add_f32 v27, v23, v21 :: v_dual_add_f32 v26, v25, v24
	v_cmp_eq_f32_e32 vcc_lo, 0x7f800000, v18
	v_cmp_gt_f32_e64 s29, 0x33800000, v18
	v_sub_f32_e32 v23, v23, v27
	s_delay_alu instid0(VALU_DEP_4) | instskip(SKIP_1) | instid1(VALU_DEP_3)
	v_rcp_f32_e32 v22, v26
	v_sub_f32_e32 v25, v25, v26
	s_or_b32 vcc_lo, s29, vcc_lo
	s_delay_alu instid0(VALU_DEP_1) | instskip(SKIP_2) | instid1(VALU_DEP_1)
	v_dual_add_f32 v21, v21, v23 :: v_dual_add_f32 v24, v24, v25
	s_waitcnt_depctr 0xfff
	v_mul_f32_e32 v28, v27, v22
	v_mul_f32_e32 v29, v26, v28
	s_delay_alu instid0(VALU_DEP_1) | instskip(NEXT) | instid1(VALU_DEP_1)
	v_fma_f32 v25, v28, v26, -v29
	v_fmac_f32_e32 v25, v28, v24
	s_delay_alu instid0(VALU_DEP_1) | instskip(NEXT) | instid1(VALU_DEP_1)
	v_add_f32_e32 v30, v29, v25
	v_sub_f32_e32 v31, v27, v30
	s_delay_alu instid0(VALU_DEP_1) | instskip(NEXT) | instid1(VALU_DEP_1)
	v_sub_f32_e32 v27, v27, v31
	v_sub_f32_e32 v27, v27, v30
	;; [unrolled: 1-line block ×3, first 2 shown]
	s_delay_alu instid0(VALU_DEP_2) | instskip(NEXT) | instid1(VALU_DEP_2)
	v_add_f32_e32 v21, v21, v27
	v_sub_f32_e32 v23, v23, v25
	s_delay_alu instid0(VALU_DEP_1) | instskip(NEXT) | instid1(VALU_DEP_1)
	v_add_f32_e32 v21, v23, v21
	v_add_f32_e32 v23, v31, v21
	s_delay_alu instid0(VALU_DEP_1) | instskip(NEXT) | instid1(VALU_DEP_1)
	v_mul_f32_e32 v25, v22, v23
	v_dual_sub_f32 v30, v31, v23 :: v_dual_mul_f32 v27, v26, v25
	s_delay_alu instid0(VALU_DEP_1) | instskip(NEXT) | instid1(VALU_DEP_2)
	v_add_f32_e32 v21, v21, v30
	v_fma_f32 v26, v25, v26, -v27
	s_delay_alu instid0(VALU_DEP_1) | instskip(NEXT) | instid1(VALU_DEP_1)
	v_fmac_f32_e32 v26, v25, v24
	v_add_f32_e32 v24, v27, v26
	s_delay_alu instid0(VALU_DEP_1) | instskip(NEXT) | instid1(VALU_DEP_1)
	v_sub_f32_e32 v29, v23, v24
	v_sub_f32_e32 v23, v23, v29
	s_delay_alu instid0(VALU_DEP_1) | instskip(NEXT) | instid1(VALU_DEP_1)
	v_sub_f32_e32 v23, v23, v24
	v_add_f32_e32 v21, v21, v23
	v_add_f32_e32 v23, v28, v25
	v_sub_f32_e32 v27, v24, v27
	s_delay_alu instid0(VALU_DEP_1) | instskip(NEXT) | instid1(VALU_DEP_1)
	v_sub_f32_e32 v24, v27, v26
	v_dual_add_f32 v21, v24, v21 :: v_dual_sub_f32 v24, v23, v28
	s_delay_alu instid0(VALU_DEP_1) | instskip(NEXT) | instid1(VALU_DEP_1)
	v_add_f32_e32 v21, v29, v21
	v_dual_sub_f32 v24, v25, v24 :: v_dual_mul_f32 v21, v22, v21
	s_delay_alu instid0(VALU_DEP_1) | instskip(NEXT) | instid1(VALU_DEP_1)
	v_add_f32_e32 v21, v24, v21
	v_add_f32_e32 v22, v23, v21
	s_delay_alu instid0(VALU_DEP_1) | instskip(NEXT) | instid1(VALU_DEP_1)
	v_mul_f32_e32 v24, v22, v22
	v_fmaak_f32 v25, s85, v24, 0x3ecc95a3
	v_mul_f32_e32 v26, v22, v24
	s_delay_alu instid0(VALU_DEP_2) | instskip(SKIP_2) | instid1(VALU_DEP_3)
	v_fmaak_f32 v24, v24, v25, 0x3f2aaada
	v_ldexp_f32 v25, v22, 1
	v_sub_f32_e32 v22, v22, v23
	v_mul_f32_e32 v24, v26, v24
	v_mul_f32_e32 v26, 0x3f317218, v20
	s_delay_alu instid0(VALU_DEP_2) | instskip(NEXT) | instid1(VALU_DEP_1)
	v_add_f32_e32 v23, v25, v24
	v_dual_sub_f32 v21, v21, v22 :: v_dual_sub_f32 v22, v23, v25
	s_delay_alu instid0(VALU_DEP_3) | instskip(NEXT) | instid1(VALU_DEP_2)
	v_fma_f32 v25, 0x3f317218, v20, -v26
	v_ldexp_f32 v21, v21, 1
	s_delay_alu instid0(VALU_DEP_2) | instskip(NEXT) | instid1(VALU_DEP_1)
	v_dual_sub_f32 v22, v24, v22 :: v_dual_fmac_f32 v25, 0xb102e308, v20
	v_dual_add_f32 v20, v21, v22 :: v_dual_add_f32 v21, v26, v25
	s_delay_alu instid0(VALU_DEP_1) | instskip(NEXT) | instid1(VALU_DEP_1)
	v_add_f32_e32 v22, v23, v20
	v_add_f32_e32 v24, v21, v22
	s_delay_alu instid0(VALU_DEP_1) | instskip(NEXT) | instid1(VALU_DEP_1)
	v_sub_f32_e32 v27, v24, v21
	v_sub_f32_e32 v28, v24, v27
	;; [unrolled: 1-line block ×4, first 2 shown]
	s_delay_alu instid0(VALU_DEP_2) | instskip(SKIP_1) | instid1(VALU_DEP_1)
	v_sub_f32_e32 v20, v20, v23
	v_sub_f32_e32 v26, v21, v26
	;; [unrolled: 1-line block ×3, first 2 shown]
	s_delay_alu instid0(VALU_DEP_1) | instskip(SKIP_1) | instid1(VALU_DEP_1)
	v_add_f32_e32 v23, v25, v20
	v_sub_f32_e32 v21, v21, v28
	v_add_f32_e32 v21, v22, v21
	s_delay_alu instid0(VALU_DEP_3) | instskip(NEXT) | instid1(VALU_DEP_1)
	v_sub_f32_e32 v22, v23, v25
	v_dual_sub_f32 v20, v20, v22 :: v_dual_add_f32 v21, v23, v21
	s_delay_alu instid0(VALU_DEP_1) | instskip(NEXT) | instid1(VALU_DEP_1)
	v_dual_sub_f32 v23, v23, v22 :: v_dual_add_f32 v26, v24, v21
	v_dual_sub_f32 v23, v25, v23 :: v_dual_sub_f32 v22, v26, v24
	s_delay_alu instid0(VALU_DEP_1) | instskip(NEXT) | instid1(VALU_DEP_1)
	v_dual_add_f32 v20, v20, v23 :: v_dual_sub_f32 v21, v21, v22
	v_add_f32_e32 v20, v20, v21
	s_delay_alu instid0(VALU_DEP_1) | instskip(NEXT) | instid1(VALU_DEP_1)
	v_add_f32_e32 v20, v26, v20
	v_cndmask_b32_e32 v119, v20, v18, vcc_lo
.LBB158_100:                            ;   in Loop: Header=BB158_12 Depth=1
	s_or_b32 exec_lo, exec_lo, s30
	v_add_f32_e32 v120, s67, v19
	s_delay_alu instid0(VALU_DEP_1) | instskip(SKIP_1) | instid1(SALU_CYCLE_1)
	v_cmp_ge_f32_e32 vcc_lo, 0x41a00000, v120
	s_and_b32 s29, s81, vcc_lo
	s_and_saveexec_b32 s30, s29
	s_cbranch_execz .LBB158_102
; %bb.101:                              ;   in Loop: Header=BB158_12 Depth=1
	v_mul_f32_e32 v18, 0x3fb8aa3b, v120
	v_cmp_ngt_f32_e32 vcc_lo, 0xc2ce8ed0, v120
	s_delay_alu instid0(VALU_DEP_2) | instskip(SKIP_1) | instid1(VALU_DEP_2)
	v_rndne_f32_e32 v19, v18
	v_fma_f32 v20, 0x3fb8aa3b, v120, -v18
	v_sub_f32_e32 v18, v18, v19
	s_delay_alu instid0(VALU_DEP_2) | instskip(SKIP_1) | instid1(VALU_DEP_2)
	v_fmac_f32_e32 v20, 0x32a5705f, v120
	v_cvt_i32_f32_e32 v19, v19
	v_add_f32_e32 v18, v18, v20
	s_delay_alu instid0(VALU_DEP_1) | instskip(SKIP_2) | instid1(VALU_DEP_1)
	v_exp_f32_e32 v18, v18
	s_waitcnt_depctr 0xfff
	v_ldexp_f32 v18, v18, v19
	v_cndmask_b32_e32 v18, 0, v18, vcc_lo
	v_cmp_nlt_f32_e32 vcc_lo, 0x42b17218, v120
	s_delay_alu instid0(VALU_DEP_2) | instskip(NEXT) | instid1(VALU_DEP_1)
	v_cndmask_b32_e32 v20, 0x7f800000, v18, vcc_lo
	v_add_f32_e32 v21, 1.0, v20
	s_delay_alu instid0(VALU_DEP_1) | instskip(NEXT) | instid1(VALU_DEP_1)
	v_cvt_f64_f32_e32 v[18:19], v21
	v_frexp_exp_i32_f64_e32 v18, v[18:19]
	v_frexp_mant_f32_e32 v19, v21
	s_delay_alu instid0(VALU_DEP_1) | instskip(SKIP_1) | instid1(VALU_DEP_1)
	v_cmp_gt_f32_e32 vcc_lo, 0x3f2aaaab, v19
	v_add_f32_e32 v19, -1.0, v21
	v_sub_f32_e32 v23, v19, v21
	v_sub_f32_e32 v19, v20, v19
	s_delay_alu instid0(VALU_DEP_2) | instskip(NEXT) | instid1(VALU_DEP_1)
	v_add_f32_e32 v23, 1.0, v23
	v_add_f32_e32 v19, v19, v23
	v_cmp_gt_f32_e64 s29, 0x33800000, v20
	v_subrev_co_ci_u32_e32 v18, vcc_lo, 0, v18, vcc_lo
	v_cmp_eq_f32_e32 vcc_lo, 0x7f800000, v20
	s_delay_alu instid0(VALU_DEP_2) | instskip(SKIP_2) | instid1(VALU_DEP_2)
	v_sub_nc_u32_e32 v22, 0, v18
	v_cvt_f32_i32_e32 v18, v18
	s_or_b32 vcc_lo, s29, vcc_lo
	v_ldexp_f32 v21, v21, v22
	v_ldexp_f32 v19, v19, v22
	s_delay_alu instid0(VALU_DEP_2) | instskip(NEXT) | instid1(VALU_DEP_1)
	v_add_f32_e32 v24, 1.0, v21
	v_dual_add_f32 v22, -1.0, v21 :: v_dual_add_f32 v23, -1.0, v24
	s_delay_alu instid0(VALU_DEP_1) | instskip(NEXT) | instid1(VALU_DEP_2)
	v_add_f32_e32 v25, 1.0, v22
	v_sub_f32_e32 v23, v21, v23
	s_delay_alu instid0(VALU_DEP_2) | instskip(NEXT) | instid1(VALU_DEP_2)
	v_sub_f32_e32 v21, v21, v25
	v_add_f32_e32 v23, v19, v23
	s_delay_alu instid0(VALU_DEP_2) | instskip(NEXT) | instid1(VALU_DEP_1)
	v_add_f32_e32 v19, v19, v21
	v_add_f32_e32 v26, v22, v19
	s_delay_alu instid0(VALU_DEP_1) | instskip(NEXT) | instid1(VALU_DEP_1)
	v_dual_add_f32 v25, v24, v23 :: v_dual_sub_f32 v22, v22, v26
	v_rcp_f32_e32 v21, v25
	v_sub_f32_e32 v24, v24, v25
	s_delay_alu instid0(VALU_DEP_1) | instskip(SKIP_2) | instid1(VALU_DEP_1)
	v_add_f32_e32 v23, v23, v24
	s_waitcnt_depctr 0xfff
	v_mul_f32_e32 v27, v26, v21
	v_mul_f32_e32 v28, v25, v27
	s_delay_alu instid0(VALU_DEP_1) | instskip(NEXT) | instid1(VALU_DEP_1)
	v_fma_f32 v24, v27, v25, -v28
	v_fmac_f32_e32 v24, v27, v23
	s_delay_alu instid0(VALU_DEP_1) | instskip(NEXT) | instid1(VALU_DEP_1)
	v_add_f32_e32 v29, v28, v24
	v_sub_f32_e32 v30, v26, v29
	s_delay_alu instid0(VALU_DEP_1) | instskip(SKIP_1) | instid1(VALU_DEP_2)
	v_sub_f32_e32 v26, v26, v30
	v_dual_add_f32 v19, v19, v22 :: v_dual_sub_f32 v22, v29, v28
	v_sub_f32_e32 v26, v26, v29
	s_delay_alu instid0(VALU_DEP_1) | instskip(NEXT) | instid1(VALU_DEP_1)
	v_dual_sub_f32 v22, v22, v24 :: v_dual_add_f32 v19, v19, v26
	v_add_f32_e32 v19, v22, v19
	s_delay_alu instid0(VALU_DEP_1) | instskip(NEXT) | instid1(VALU_DEP_1)
	v_add_f32_e32 v22, v30, v19
	v_mul_f32_e32 v24, v21, v22
	s_delay_alu instid0(VALU_DEP_1) | instskip(NEXT) | instid1(VALU_DEP_1)
	v_dual_sub_f32 v29, v30, v22 :: v_dual_mul_f32 v26, v25, v24
	v_add_f32_e32 v19, v19, v29
	s_delay_alu instid0(VALU_DEP_2) | instskip(NEXT) | instid1(VALU_DEP_1)
	v_fma_f32 v25, v24, v25, -v26
	v_fmac_f32_e32 v25, v24, v23
	s_delay_alu instid0(VALU_DEP_1) | instskip(NEXT) | instid1(VALU_DEP_1)
	v_add_f32_e32 v23, v26, v25
	v_sub_f32_e32 v28, v22, v23
	s_delay_alu instid0(VALU_DEP_1) | instskip(NEXT) | instid1(VALU_DEP_1)
	v_sub_f32_e32 v22, v22, v28
	v_sub_f32_e32 v22, v22, v23
	s_delay_alu instid0(VALU_DEP_1) | instskip(SKIP_2) | instid1(VALU_DEP_1)
	v_add_f32_e32 v19, v19, v22
	v_add_f32_e32 v22, v27, v24
	v_sub_f32_e32 v26, v23, v26
	v_sub_f32_e32 v23, v26, v25
	s_delay_alu instid0(VALU_DEP_1) | instskip(NEXT) | instid1(VALU_DEP_4)
	v_add_f32_e32 v19, v23, v19
	v_sub_f32_e32 v23, v22, v27
	s_delay_alu instid0(VALU_DEP_2) | instskip(NEXT) | instid1(VALU_DEP_2)
	v_add_f32_e32 v19, v28, v19
	v_sub_f32_e32 v23, v24, v23
	s_delay_alu instid0(VALU_DEP_2) | instskip(NEXT) | instid1(VALU_DEP_1)
	v_mul_f32_e32 v19, v21, v19
	v_add_f32_e32 v19, v23, v19
	s_delay_alu instid0(VALU_DEP_1) | instskip(NEXT) | instid1(VALU_DEP_1)
	v_add_f32_e32 v21, v22, v19
	v_mul_f32_e32 v23, v21, v21
	s_delay_alu instid0(VALU_DEP_1) | instskip(SKIP_1) | instid1(VALU_DEP_2)
	v_fmaak_f32 v24, s85, v23, 0x3ecc95a3
	v_mul_f32_e32 v25, v21, v23
	v_fmaak_f32 v23, v23, v24, 0x3f2aaada
	v_ldexp_f32 v24, v21, 1
	s_delay_alu instid0(VALU_DEP_2) | instskip(SKIP_1) | instid1(VALU_DEP_2)
	v_mul_f32_e32 v23, v25, v23
	v_sub_f32_e32 v21, v21, v22
	v_dual_mul_f32 v25, 0x3f317218, v18 :: v_dual_add_f32 v22, v24, v23
	s_delay_alu instid0(VALU_DEP_2) | instskip(NEXT) | instid1(VALU_DEP_2)
	v_sub_f32_e32 v19, v19, v21
	v_sub_f32_e32 v21, v22, v24
	s_delay_alu instid0(VALU_DEP_3) | instskip(NEXT) | instid1(VALU_DEP_3)
	v_fma_f32 v24, 0x3f317218, v18, -v25
	v_ldexp_f32 v19, v19, 1
	s_delay_alu instid0(VALU_DEP_2) | instskip(NEXT) | instid1(VALU_DEP_1)
	v_dual_sub_f32 v21, v23, v21 :: v_dual_fmac_f32 v24, 0xb102e308, v18
	v_dual_add_f32 v18, v19, v21 :: v_dual_add_f32 v19, v25, v24
	s_delay_alu instid0(VALU_DEP_1) | instskip(NEXT) | instid1(VALU_DEP_1)
	v_add_f32_e32 v21, v22, v18
	v_dual_add_f32 v23, v19, v21 :: v_dual_sub_f32 v22, v21, v22
	s_delay_alu instid0(VALU_DEP_1) | instskip(NEXT) | instid1(VALU_DEP_2)
	v_sub_f32_e32 v26, v23, v19
	v_dual_sub_f32 v25, v19, v25 :: v_dual_sub_f32 v18, v18, v22
	s_delay_alu instid0(VALU_DEP_1) | instskip(SKIP_1) | instid1(VALU_DEP_2)
	v_dual_sub_f32 v27, v23, v26 :: v_dual_sub_f32 v24, v24, v25
	v_sub_f32_e32 v21, v21, v26
	v_dual_sub_f32 v19, v19, v27 :: v_dual_add_f32 v22, v24, v18
	s_delay_alu instid0(VALU_DEP_1) | instskip(NEXT) | instid1(VALU_DEP_2)
	v_add_f32_e32 v19, v21, v19
	v_sub_f32_e32 v21, v22, v24
	s_delay_alu instid0(VALU_DEP_2) | instskip(NEXT) | instid1(VALU_DEP_2)
	v_add_f32_e32 v19, v22, v19
	v_sub_f32_e32 v22, v22, v21
	s_delay_alu instid0(VALU_DEP_2) | instskip(NEXT) | instid1(VALU_DEP_1)
	v_dual_sub_f32 v18, v18, v21 :: v_dual_add_f32 v25, v23, v19
	v_dual_sub_f32 v22, v24, v22 :: v_dual_sub_f32 v21, v25, v23
	s_delay_alu instid0(VALU_DEP_1) | instskip(NEXT) | instid1(VALU_DEP_1)
	v_dual_add_f32 v18, v18, v22 :: v_dual_sub_f32 v19, v19, v21
	v_add_f32_e32 v18, v18, v19
	s_delay_alu instid0(VALU_DEP_1) | instskip(NEXT) | instid1(VALU_DEP_1)
	v_add_f32_e32 v18, v25, v18
	v_cndmask_b32_e32 v120, v18, v20, vcc_lo
.LBB158_102:                            ;   in Loop: Header=BB158_12 Depth=1
	s_or_b32 exec_lo, exec_lo, s30
	s_waitcnt lgkmcnt(0)
	v_add_f32_e32 v121, s67, v16
	s_delay_alu instid0(VALU_DEP_1) | instskip(SKIP_1) | instid1(SALU_CYCLE_1)
	v_cmp_ge_f32_e32 vcc_lo, 0x41a00000, v121
	s_and_b32 s29, s81, vcc_lo
	s_and_saveexec_b32 s30, s29
	s_cbranch_execz .LBB158_104
; %bb.103:                              ;   in Loop: Header=BB158_12 Depth=1
	v_mul_f32_e32 v16, 0x3fb8aa3b, v121
	v_cmp_ngt_f32_e32 vcc_lo, 0xc2ce8ed0, v121
	s_delay_alu instid0(VALU_DEP_2) | instskip(SKIP_1) | instid1(VALU_DEP_1)
	v_rndne_f32_e32 v18, v16
	v_fma_f32 v19, 0x3fb8aa3b, v121, -v16
	v_dual_sub_f32 v16, v16, v18 :: v_dual_fmac_f32 v19, 0x32a5705f, v121
	v_cvt_i32_f32_e32 v18, v18
	s_delay_alu instid0(VALU_DEP_2) | instskip(NEXT) | instid1(VALU_DEP_1)
	v_add_f32_e32 v16, v16, v19
	v_exp_f32_e32 v16, v16
	s_waitcnt_depctr 0xfff
	v_ldexp_f32 v16, v16, v18
	s_delay_alu instid0(VALU_DEP_1) | instskip(SKIP_1) | instid1(VALU_DEP_2)
	v_cndmask_b32_e32 v16, 0, v16, vcc_lo
	v_cmp_nlt_f32_e32 vcc_lo, 0x42b17218, v121
	v_cndmask_b32_e32 v16, 0x7f800000, v16, vcc_lo
	s_delay_alu instid0(VALU_DEP_1) | instskip(NEXT) | instid1(VALU_DEP_1)
	v_add_f32_e32 v20, 1.0, v16
	v_cvt_f64_f32_e32 v[18:19], v20
	s_delay_alu instid0(VALU_DEP_1) | instskip(SKIP_1) | instid1(VALU_DEP_1)
	v_frexp_exp_i32_f64_e32 v18, v[18:19]
	v_frexp_mant_f32_e32 v19, v20
	v_cmp_gt_f32_e32 vcc_lo, 0x3f2aaaab, v19
	v_add_f32_e32 v19, -1.0, v20
	s_delay_alu instid0(VALU_DEP_1) | instskip(SKIP_1) | instid1(VALU_DEP_1)
	v_dual_sub_f32 v22, v19, v20 :: v_dual_sub_f32 v19, v16, v19
	v_subrev_co_ci_u32_e32 v18, vcc_lo, 0, v18, vcc_lo
	v_sub_nc_u32_e32 v21, 0, v18
	v_cvt_f32_i32_e32 v18, v18
	s_delay_alu instid0(VALU_DEP_2) | instskip(NEXT) | instid1(VALU_DEP_1)
	v_ldexp_f32 v20, v20, v21
	v_dual_add_f32 v22, 1.0, v22 :: v_dual_add_f32 v23, 1.0, v20
	s_delay_alu instid0(VALU_DEP_1) | instskip(NEXT) | instid1(VALU_DEP_1)
	v_add_f32_e32 v19, v19, v22
	v_ldexp_f32 v19, v19, v21
	s_delay_alu instid0(VALU_DEP_3) | instskip(NEXT) | instid1(VALU_DEP_1)
	v_dual_add_f32 v21, -1.0, v20 :: v_dual_add_f32 v22, -1.0, v23
	v_add_f32_e32 v24, 1.0, v21
	s_delay_alu instid0(VALU_DEP_2) | instskip(NEXT) | instid1(VALU_DEP_2)
	v_sub_f32_e32 v22, v20, v22
	v_sub_f32_e32 v20, v20, v24
	s_delay_alu instid0(VALU_DEP_2) | instskip(NEXT) | instid1(VALU_DEP_2)
	v_add_f32_e32 v22, v19, v22
	v_add_f32_e32 v19, v19, v20
	s_delay_alu instid0(VALU_DEP_1) | instskip(SKIP_2) | instid1(VALU_DEP_3)
	v_dual_add_f32 v25, v21, v19 :: v_dual_add_f32 v24, v23, v22
	v_cmp_eq_f32_e32 vcc_lo, 0x7f800000, v16
	v_cmp_gt_f32_e64 s29, 0x33800000, v16
	v_sub_f32_e32 v21, v21, v25
	s_delay_alu instid0(VALU_DEP_4) | instskip(SKIP_1) | instid1(VALU_DEP_3)
	v_rcp_f32_e32 v20, v24
	v_sub_f32_e32 v23, v23, v24
	s_or_b32 vcc_lo, s29, vcc_lo
	s_delay_alu instid0(VALU_DEP_1) | instskip(SKIP_2) | instid1(VALU_DEP_1)
	v_dual_add_f32 v19, v19, v21 :: v_dual_add_f32 v22, v22, v23
	s_waitcnt_depctr 0xfff
	v_mul_f32_e32 v26, v25, v20
	v_mul_f32_e32 v27, v24, v26
	s_delay_alu instid0(VALU_DEP_1) | instskip(NEXT) | instid1(VALU_DEP_1)
	v_fma_f32 v23, v26, v24, -v27
	v_fmac_f32_e32 v23, v26, v22
	s_delay_alu instid0(VALU_DEP_1) | instskip(NEXT) | instid1(VALU_DEP_1)
	v_add_f32_e32 v28, v27, v23
	v_sub_f32_e32 v29, v25, v28
	s_delay_alu instid0(VALU_DEP_1) | instskip(NEXT) | instid1(VALU_DEP_1)
	v_sub_f32_e32 v25, v25, v29
	v_sub_f32_e32 v25, v25, v28
	;; [unrolled: 1-line block ×3, first 2 shown]
	s_delay_alu instid0(VALU_DEP_2) | instskip(NEXT) | instid1(VALU_DEP_2)
	v_add_f32_e32 v19, v19, v25
	v_sub_f32_e32 v21, v21, v23
	s_delay_alu instid0(VALU_DEP_1) | instskip(NEXT) | instid1(VALU_DEP_1)
	v_add_f32_e32 v19, v21, v19
	v_add_f32_e32 v21, v29, v19
	s_delay_alu instid0(VALU_DEP_1) | instskip(NEXT) | instid1(VALU_DEP_1)
	v_mul_f32_e32 v23, v20, v21
	v_dual_sub_f32 v28, v29, v21 :: v_dual_mul_f32 v25, v24, v23
	s_delay_alu instid0(VALU_DEP_1) | instskip(NEXT) | instid1(VALU_DEP_2)
	v_add_f32_e32 v19, v19, v28
	v_fma_f32 v24, v23, v24, -v25
	s_delay_alu instid0(VALU_DEP_1) | instskip(NEXT) | instid1(VALU_DEP_1)
	v_fmac_f32_e32 v24, v23, v22
	v_add_f32_e32 v22, v25, v24
	s_delay_alu instid0(VALU_DEP_1) | instskip(NEXT) | instid1(VALU_DEP_1)
	v_sub_f32_e32 v27, v21, v22
	v_sub_f32_e32 v21, v21, v27
	s_delay_alu instid0(VALU_DEP_1) | instskip(NEXT) | instid1(VALU_DEP_1)
	v_sub_f32_e32 v21, v21, v22
	v_add_f32_e32 v19, v19, v21
	v_add_f32_e32 v21, v26, v23
	v_sub_f32_e32 v25, v22, v25
	s_delay_alu instid0(VALU_DEP_1) | instskip(NEXT) | instid1(VALU_DEP_1)
	v_sub_f32_e32 v22, v25, v24
	v_dual_add_f32 v19, v22, v19 :: v_dual_sub_f32 v22, v21, v26
	s_delay_alu instid0(VALU_DEP_1) | instskip(NEXT) | instid1(VALU_DEP_1)
	v_add_f32_e32 v19, v27, v19
	v_dual_sub_f32 v22, v23, v22 :: v_dual_mul_f32 v19, v20, v19
	s_delay_alu instid0(VALU_DEP_1) | instskip(NEXT) | instid1(VALU_DEP_1)
	v_add_f32_e32 v19, v22, v19
	v_add_f32_e32 v20, v21, v19
	s_delay_alu instid0(VALU_DEP_1) | instskip(NEXT) | instid1(VALU_DEP_1)
	v_mul_f32_e32 v22, v20, v20
	v_fmaak_f32 v23, s85, v22, 0x3ecc95a3
	v_mul_f32_e32 v24, v20, v22
	s_delay_alu instid0(VALU_DEP_2) | instskip(SKIP_2) | instid1(VALU_DEP_3)
	v_fmaak_f32 v22, v22, v23, 0x3f2aaada
	v_ldexp_f32 v23, v20, 1
	v_sub_f32_e32 v20, v20, v21
	v_mul_f32_e32 v22, v24, v22
	v_mul_f32_e32 v24, 0x3f317218, v18
	s_delay_alu instid0(VALU_DEP_2) | instskip(NEXT) | instid1(VALU_DEP_1)
	v_add_f32_e32 v21, v23, v22
	v_dual_sub_f32 v19, v19, v20 :: v_dual_sub_f32 v20, v21, v23
	s_delay_alu instid0(VALU_DEP_3) | instskip(NEXT) | instid1(VALU_DEP_2)
	v_fma_f32 v23, 0x3f317218, v18, -v24
	v_ldexp_f32 v19, v19, 1
	s_delay_alu instid0(VALU_DEP_2) | instskip(NEXT) | instid1(VALU_DEP_1)
	v_dual_sub_f32 v20, v22, v20 :: v_dual_fmac_f32 v23, 0xb102e308, v18
	v_dual_add_f32 v18, v19, v20 :: v_dual_add_f32 v19, v24, v23
	s_delay_alu instid0(VALU_DEP_1) | instskip(NEXT) | instid1(VALU_DEP_1)
	v_add_f32_e32 v20, v21, v18
	v_add_f32_e32 v22, v19, v20
	s_delay_alu instid0(VALU_DEP_1) | instskip(NEXT) | instid1(VALU_DEP_1)
	v_sub_f32_e32 v25, v22, v19
	v_sub_f32_e32 v26, v22, v25
	;; [unrolled: 1-line block ×4, first 2 shown]
	s_delay_alu instid0(VALU_DEP_2) | instskip(SKIP_1) | instid1(VALU_DEP_1)
	v_sub_f32_e32 v18, v18, v21
	v_sub_f32_e32 v24, v19, v24
	;; [unrolled: 1-line block ×3, first 2 shown]
	s_delay_alu instid0(VALU_DEP_1) | instskip(SKIP_1) | instid1(VALU_DEP_1)
	v_add_f32_e32 v21, v23, v18
	v_sub_f32_e32 v19, v19, v26
	v_add_f32_e32 v19, v20, v19
	s_delay_alu instid0(VALU_DEP_3) | instskip(NEXT) | instid1(VALU_DEP_1)
	v_sub_f32_e32 v20, v21, v23
	v_dual_sub_f32 v18, v18, v20 :: v_dual_add_f32 v19, v21, v19
	s_delay_alu instid0(VALU_DEP_1) | instskip(NEXT) | instid1(VALU_DEP_1)
	v_dual_sub_f32 v21, v21, v20 :: v_dual_add_f32 v24, v22, v19
	v_dual_sub_f32 v21, v23, v21 :: v_dual_sub_f32 v20, v24, v22
	s_delay_alu instid0(VALU_DEP_1) | instskip(NEXT) | instid1(VALU_DEP_1)
	v_dual_add_f32 v18, v18, v21 :: v_dual_sub_f32 v19, v19, v20
	v_add_f32_e32 v18, v18, v19
	s_delay_alu instid0(VALU_DEP_1) | instskip(NEXT) | instid1(VALU_DEP_1)
	v_add_f32_e32 v18, v24, v18
	v_cndmask_b32_e32 v121, v18, v16, vcc_lo
.LBB158_104:                            ;   in Loop: Header=BB158_12 Depth=1
	s_or_b32 exec_lo, exec_lo, s30
	v_add_f32_e32 v138, s67, v17
	s_delay_alu instid0(VALU_DEP_1) | instskip(SKIP_1) | instid1(SALU_CYCLE_1)
	v_cmp_ge_f32_e32 vcc_lo, 0x41a00000, v138
	s_and_b32 s29, s81, vcc_lo
	s_and_saveexec_b32 s30, s29
	s_cbranch_execz .LBB158_106
; %bb.105:                              ;   in Loop: Header=BB158_12 Depth=1
	v_mul_f32_e32 v16, 0x3fb8aa3b, v138
	v_cmp_ngt_f32_e32 vcc_lo, 0xc2ce8ed0, v138
	s_delay_alu instid0(VALU_DEP_2) | instskip(SKIP_1) | instid1(VALU_DEP_2)
	v_rndne_f32_e32 v17, v16
	v_fma_f32 v18, 0x3fb8aa3b, v138, -v16
	v_sub_f32_e32 v16, v16, v17
	s_delay_alu instid0(VALU_DEP_2) | instskip(SKIP_1) | instid1(VALU_DEP_2)
	v_fmac_f32_e32 v18, 0x32a5705f, v138
	v_cvt_i32_f32_e32 v17, v17
	v_add_f32_e32 v16, v16, v18
	s_delay_alu instid0(VALU_DEP_1) | instskip(SKIP_2) | instid1(VALU_DEP_1)
	v_exp_f32_e32 v16, v16
	s_waitcnt_depctr 0xfff
	v_ldexp_f32 v16, v16, v17
	v_cndmask_b32_e32 v16, 0, v16, vcc_lo
	v_cmp_nlt_f32_e32 vcc_lo, 0x42b17218, v138
	s_delay_alu instid0(VALU_DEP_2) | instskip(NEXT) | instid1(VALU_DEP_1)
	v_cndmask_b32_e32 v18, 0x7f800000, v16, vcc_lo
	v_add_f32_e32 v19, 1.0, v18
	s_delay_alu instid0(VALU_DEP_1) | instskip(NEXT) | instid1(VALU_DEP_1)
	v_cvt_f64_f32_e32 v[16:17], v19
	v_frexp_exp_i32_f64_e32 v16, v[16:17]
	v_frexp_mant_f32_e32 v17, v19
	s_delay_alu instid0(VALU_DEP_1) | instskip(SKIP_1) | instid1(VALU_DEP_1)
	v_cmp_gt_f32_e32 vcc_lo, 0x3f2aaaab, v17
	v_add_f32_e32 v17, -1.0, v19
	v_sub_f32_e32 v21, v17, v19
	v_sub_f32_e32 v17, v18, v17
	s_delay_alu instid0(VALU_DEP_2) | instskip(NEXT) | instid1(VALU_DEP_1)
	v_add_f32_e32 v21, 1.0, v21
	v_add_f32_e32 v17, v17, v21
	v_cmp_gt_f32_e64 s29, 0x33800000, v18
	v_subrev_co_ci_u32_e32 v16, vcc_lo, 0, v16, vcc_lo
	v_cmp_eq_f32_e32 vcc_lo, 0x7f800000, v18
	s_delay_alu instid0(VALU_DEP_2) | instskip(SKIP_2) | instid1(VALU_DEP_2)
	v_sub_nc_u32_e32 v20, 0, v16
	v_cvt_f32_i32_e32 v16, v16
	s_or_b32 vcc_lo, s29, vcc_lo
	v_ldexp_f32 v19, v19, v20
	v_ldexp_f32 v17, v17, v20
	s_delay_alu instid0(VALU_DEP_2) | instskip(NEXT) | instid1(VALU_DEP_1)
	v_add_f32_e32 v22, 1.0, v19
	v_dual_add_f32 v20, -1.0, v19 :: v_dual_add_f32 v21, -1.0, v22
	s_delay_alu instid0(VALU_DEP_1) | instskip(NEXT) | instid1(VALU_DEP_2)
	v_add_f32_e32 v23, 1.0, v20
	v_sub_f32_e32 v21, v19, v21
	s_delay_alu instid0(VALU_DEP_2) | instskip(NEXT) | instid1(VALU_DEP_2)
	v_sub_f32_e32 v19, v19, v23
	v_add_f32_e32 v21, v17, v21
	s_delay_alu instid0(VALU_DEP_2) | instskip(NEXT) | instid1(VALU_DEP_1)
	v_add_f32_e32 v17, v17, v19
	v_add_f32_e32 v24, v20, v17
	s_delay_alu instid0(VALU_DEP_1) | instskip(NEXT) | instid1(VALU_DEP_1)
	v_dual_add_f32 v23, v22, v21 :: v_dual_sub_f32 v20, v20, v24
	v_rcp_f32_e32 v19, v23
	v_sub_f32_e32 v22, v22, v23
	s_delay_alu instid0(VALU_DEP_1) | instskip(SKIP_2) | instid1(VALU_DEP_1)
	v_add_f32_e32 v21, v21, v22
	s_waitcnt_depctr 0xfff
	v_mul_f32_e32 v25, v24, v19
	v_mul_f32_e32 v26, v23, v25
	s_delay_alu instid0(VALU_DEP_1) | instskip(NEXT) | instid1(VALU_DEP_1)
	v_fma_f32 v22, v25, v23, -v26
	v_fmac_f32_e32 v22, v25, v21
	s_delay_alu instid0(VALU_DEP_1) | instskip(NEXT) | instid1(VALU_DEP_1)
	v_add_f32_e32 v27, v26, v22
	v_sub_f32_e32 v28, v24, v27
	s_delay_alu instid0(VALU_DEP_1) | instskip(SKIP_1) | instid1(VALU_DEP_2)
	v_sub_f32_e32 v24, v24, v28
	v_dual_add_f32 v17, v17, v20 :: v_dual_sub_f32 v20, v27, v26
	v_sub_f32_e32 v24, v24, v27
	s_delay_alu instid0(VALU_DEP_1) | instskip(NEXT) | instid1(VALU_DEP_1)
	v_dual_sub_f32 v20, v20, v22 :: v_dual_add_f32 v17, v17, v24
	v_add_f32_e32 v17, v20, v17
	s_delay_alu instid0(VALU_DEP_1) | instskip(NEXT) | instid1(VALU_DEP_1)
	v_add_f32_e32 v20, v28, v17
	v_mul_f32_e32 v22, v19, v20
	s_delay_alu instid0(VALU_DEP_1) | instskip(NEXT) | instid1(VALU_DEP_1)
	v_dual_sub_f32 v27, v28, v20 :: v_dual_mul_f32 v24, v23, v22
	v_add_f32_e32 v17, v17, v27
	s_delay_alu instid0(VALU_DEP_2) | instskip(NEXT) | instid1(VALU_DEP_1)
	v_fma_f32 v23, v22, v23, -v24
	v_fmac_f32_e32 v23, v22, v21
	s_delay_alu instid0(VALU_DEP_1) | instskip(NEXT) | instid1(VALU_DEP_1)
	v_add_f32_e32 v21, v24, v23
	v_sub_f32_e32 v26, v20, v21
	s_delay_alu instid0(VALU_DEP_1) | instskip(NEXT) | instid1(VALU_DEP_1)
	v_sub_f32_e32 v20, v20, v26
	v_sub_f32_e32 v20, v20, v21
	s_delay_alu instid0(VALU_DEP_1) | instskip(SKIP_2) | instid1(VALU_DEP_1)
	v_add_f32_e32 v17, v17, v20
	v_add_f32_e32 v20, v25, v22
	v_sub_f32_e32 v24, v21, v24
	v_sub_f32_e32 v21, v24, v23
	s_delay_alu instid0(VALU_DEP_1) | instskip(NEXT) | instid1(VALU_DEP_4)
	v_add_f32_e32 v17, v21, v17
	v_sub_f32_e32 v21, v20, v25
	s_delay_alu instid0(VALU_DEP_2) | instskip(NEXT) | instid1(VALU_DEP_2)
	v_add_f32_e32 v17, v26, v17
	v_sub_f32_e32 v21, v22, v21
	s_delay_alu instid0(VALU_DEP_2) | instskip(NEXT) | instid1(VALU_DEP_1)
	v_mul_f32_e32 v17, v19, v17
	v_add_f32_e32 v17, v21, v17
	s_delay_alu instid0(VALU_DEP_1) | instskip(NEXT) | instid1(VALU_DEP_1)
	v_add_f32_e32 v19, v20, v17
	v_mul_f32_e32 v21, v19, v19
	s_delay_alu instid0(VALU_DEP_1) | instskip(SKIP_1) | instid1(VALU_DEP_2)
	v_fmaak_f32 v22, s85, v21, 0x3ecc95a3
	v_mul_f32_e32 v23, v19, v21
	v_fmaak_f32 v21, v21, v22, 0x3f2aaada
	v_ldexp_f32 v22, v19, 1
	s_delay_alu instid0(VALU_DEP_2) | instskip(SKIP_1) | instid1(VALU_DEP_2)
	v_mul_f32_e32 v21, v23, v21
	v_sub_f32_e32 v19, v19, v20
	v_dual_mul_f32 v23, 0x3f317218, v16 :: v_dual_add_f32 v20, v22, v21
	s_delay_alu instid0(VALU_DEP_2) | instskip(NEXT) | instid1(VALU_DEP_2)
	v_sub_f32_e32 v17, v17, v19
	v_sub_f32_e32 v19, v20, v22
	s_delay_alu instid0(VALU_DEP_3) | instskip(NEXT) | instid1(VALU_DEP_3)
	v_fma_f32 v22, 0x3f317218, v16, -v23
	v_ldexp_f32 v17, v17, 1
	s_delay_alu instid0(VALU_DEP_2) | instskip(NEXT) | instid1(VALU_DEP_1)
	v_dual_sub_f32 v19, v21, v19 :: v_dual_fmac_f32 v22, 0xb102e308, v16
	v_dual_add_f32 v16, v17, v19 :: v_dual_add_f32 v17, v23, v22
	s_delay_alu instid0(VALU_DEP_1) | instskip(NEXT) | instid1(VALU_DEP_1)
	v_add_f32_e32 v19, v20, v16
	v_dual_add_f32 v21, v17, v19 :: v_dual_sub_f32 v20, v19, v20
	s_delay_alu instid0(VALU_DEP_1) | instskip(NEXT) | instid1(VALU_DEP_2)
	v_sub_f32_e32 v24, v21, v17
	v_dual_sub_f32 v23, v17, v23 :: v_dual_sub_f32 v16, v16, v20
	s_delay_alu instid0(VALU_DEP_1) | instskip(SKIP_1) | instid1(VALU_DEP_2)
	v_dual_sub_f32 v25, v21, v24 :: v_dual_sub_f32 v22, v22, v23
	v_sub_f32_e32 v19, v19, v24
	v_dual_sub_f32 v17, v17, v25 :: v_dual_add_f32 v20, v22, v16
	s_delay_alu instid0(VALU_DEP_1) | instskip(NEXT) | instid1(VALU_DEP_2)
	v_add_f32_e32 v17, v19, v17
	v_sub_f32_e32 v19, v20, v22
	s_delay_alu instid0(VALU_DEP_2) | instskip(NEXT) | instid1(VALU_DEP_2)
	v_add_f32_e32 v17, v20, v17
	v_sub_f32_e32 v20, v20, v19
	s_delay_alu instid0(VALU_DEP_2) | instskip(NEXT) | instid1(VALU_DEP_1)
	v_dual_sub_f32 v16, v16, v19 :: v_dual_add_f32 v23, v21, v17
	v_dual_sub_f32 v20, v22, v20 :: v_dual_sub_f32 v19, v23, v21
	s_delay_alu instid0(VALU_DEP_1) | instskip(NEXT) | instid1(VALU_DEP_1)
	v_dual_add_f32 v16, v16, v20 :: v_dual_sub_f32 v17, v17, v19
	v_add_f32_e32 v16, v16, v17
	s_delay_alu instid0(VALU_DEP_1) | instskip(NEXT) | instid1(VALU_DEP_1)
	v_add_f32_e32 v16, v23, v16
	v_cndmask_b32_e32 v138, v16, v18, vcc_lo
.LBB158_106:                            ;   in Loop: Header=BB158_12 Depth=1
	s_or_b32 exec_lo, exec_lo, s30
	v_dual_mul_f32 v122, s68, v14 :: v_dual_mul_f32 v123, s68, v13
	v_dual_mul_f32 v124, s68, v12 :: v_dual_mul_f32 v125, s68, v11
	;; [unrolled: 1-line block ×8, first 2 shown]
	s_and_b32 vcc_lo, exec_lo, s82
	s_barrier
	buffer_gl0_inv
	s_cbranch_vccz .LBB158_204
; %bb.107:                              ;   in Loop: Header=BB158_12 Depth=1
	v_dual_mul_f32 v139, v15, v138 :: v_dual_mul_f32 v144, v14, v121
	v_add_co_u32 v15, s29, s53, v32
	s_delay_alu instid0(VALU_DEP_1) | instskip(SKIP_1) | instid1(VALU_DEP_1)
	v_add_co_ci_u32_e64 v16, null, s75, 0, s29
	v_add_co_u32 v17, s29, s57, v32
	v_add_co_ci_u32_e64 v18, null, s76, 0, s29
	s_delay_alu instid0(VALU_DEP_4) | instskip(NEXT) | instid1(VALU_DEP_4)
	v_add_co_u32 v140, vcc_lo, v15, v106
	v_add_co_ci_u32_e32 v141, vcc_lo, 0, v16, vcc_lo
	s_delay_alu instid0(VALU_DEP_4) | instskip(NEXT) | instid1(VALU_DEP_4)
	v_add_co_u32 v142, vcc_lo, v17, v106
	v_add_co_ci_u32_e32 v143, vcc_lo, 0, v18, vcc_lo
	v_cmp_gt_u32_e32 vcc_lo, s41, v34
	s_cmp_lg_u32 s87, 0
	v_cmp_gt_u32_e64 s31, s41, v92
	s_cselect_b32 s51, -1, 0
	s_cmp_eq_u32 s87, s84
	v_cmp_gt_u32_e64 s33, s41, v93
	s_cselect_b32 s88, -1, 0
	s_or_b32 s29, s83, vcc_lo
	v_cmp_gt_u32_e32 vcc_lo, s41, v91
	v_cmp_gt_u32_e64 s34, s41, v94
	v_cmp_gt_u32_e64 s35, s41, v95
	;; [unrolled: 1-line block ×4, first 2 shown]
	s_or_b32 s30, s83, vcc_lo
	v_cmp_gt_u32_e32 vcc_lo, s41, v96
	v_cmp_gt_u32_e64 s39, s41, v99
	v_cmp_gt_u32_e64 s40, s41, v100
	;; [unrolled: 1-line block ×4, first 2 shown]
	s_or_b32 s36, s83, vcc_lo
	v_cmp_gt_u32_e32 vcc_lo, s41, v101
	v_cmp_gt_u32_e64 s44, s41, v104
	v_cmp_gt_u32_e64 s45, s41, v105
	v_dual_mul_f32 v145, v13, v120 :: v_dual_mul_f32 v146, v12, v119
	v_dual_mul_f32 v147, v11, v118 :: v_dual_mul_f32 v148, v10, v117
	;; [unrolled: 1-line block ×7, first 2 shown]
	s_mov_b32 s64, 0
	s_or_b32 s31, s83, s31
	s_or_b32 s33, s83, s33
	;; [unrolled: 1-line block ×8, first 2 shown]
	s_or_b32 s41, s83, vcc_lo
	s_or_b32 s42, s83, s42
	s_or_b32 s43, s83, s43
	;; [unrolled: 1-line block ×4, first 2 shown]
	s_mov_b32 s54, s64
	s_mov_b32 s58, s64
	;; [unrolled: 1-line block ×5, first 2 shown]
	s_branch .LBB158_109
.LBB158_108:                            ;   in Loop: Header=BB158_109 Depth=2
	s_or_b32 exec_lo, exec_lo, s46
	v_cndmask_b32_e64 v16, v180, v21, s12
	v_cndmask_b32_e64 v17, v179, v20, s12
	s_add_i32 s89, s89, -1
	s_add_i32 s90, s90, 8
	s_add_i32 s60, s60, s62
	v_fma_f32 v16, v16, v160, v33
	v_mul_f32_e32 v17, v17, v160
	s_add_i32 s58, s58, s56
	s_add_i32 s54, s54, s52
	;; [unrolled: 1-line block ×3, first 2 shown]
	v_cndmask_b32_e64 v16, v16, v33, s11
	v_cndmask_b32_e64 v17, v17, v160, s11
	s_cmp_eq_u32 s89, 0
	s_waitcnt lgkmcnt(0)
	s_delay_alu instid0(VALU_DEP_1) | instskip(NEXT) | instid1(VALU_DEP_1)
	v_fmac_f32_e32 v16, v18, v17
	v_fmac_f32_e32 v30, v16, v159
	s_delay_alu instid0(VALU_DEP_1) | instskip(NEXT) | instid1(VALU_DEP_1)
	v_fmac_f32_e32 v32, v30, v161
	v_fmac_f32_e32 v31, v32, v162
	s_delay_alu instid0(VALU_DEP_1) | instskip(NEXT) | instid1(VALU_DEP_1)
	v_dual_fmac_f32 v137, v14, v16 :: v_dual_fmac_f32 v28, v31, v163
	v_dual_fmac_f32 v134, v13, v31 :: v_dual_fmac_f32 v29, v28, v164
	;; [unrolled: 1-line block ×3, first 2 shown]
	s_delay_alu instid0(VALU_DEP_2) | instskip(SKIP_1) | instid1(VALU_DEP_2)
	v_fmac_f32_e32 v26, v29, v165
	v_fmac_f32_e32 v131, v11, v29
	;; [unrolled: 1-line block ×4, first 2 shown]
	s_delay_alu instid0(VALU_DEP_2) | instskip(SKIP_1) | instid1(VALU_DEP_2)
	v_fmac_f32_e32 v24, v27, v167
	v_fmac_f32_e32 v129, v9, v27
	;; [unrolled: 1-line block ×3, first 2 shown]
	s_delay_alu instid0(VALU_DEP_1) | instskip(SKIP_1) | instid1(VALU_DEP_2)
	v_fmac_f32_e32 v22, v25, v169
	v_fmac_f32_e32 v127, v7, v25
	;; [unrolled: 1-line block ×4, first 2 shown]
	s_delay_alu instid0(VALU_DEP_2) | instskip(NEXT) | instid1(VALU_DEP_1)
	v_dual_fmac_f32 v170, v23, v172 :: v_dual_fmac_f32 v125, v5, v23
	v_fmac_f32_e32 v124, v0, v170
	v_fmac_f32_e32 v171, v170, v174
	s_delay_alu instid0(VALU_DEP_1) | instskip(SKIP_1) | instid1(VALU_DEP_2)
	v_dual_fmac_f32 v130, v8, v26 :: v_dual_fmac_f32 v173, v171, v176
	v_dual_fmac_f32 v126, v4, v22 :: v_dual_fmac_f32 v123, v1, v171
	v_fmac_f32_e32 v122, v2, v173
	v_fmac_f32_e32 v175, v173, v177
	s_delay_alu instid0(VALU_DEP_1)
	v_fmac_f32_e32 v133, v3, v175
	s_cbranch_scc1 .LBB158_204
.LBB158_109:                            ;   Parent Loop BB158_12 Depth=1
                                        ; =>  This Inner Loop Header: Depth=2
	s_lshl_b64 s[46:47], s[64:65], 2
	s_mov_b32 s55, s65
	s_add_u32 s46, s74, s46
	s_addc_u32 s47, s63, s47
	v_dual_mov_b32 v2, 0 :: v_dual_mov_b32 v3, 0
	global_load_b32 v159, v37, s[46:47]
	s_lshl_b64 s[46:47], s[54:55], 2
	s_delay_alu instid0(SALU_CYCLE_1)
	v_add_co_u32 v0, vcc_lo, v140, s46
	v_add_co_ci_u32_e32 v1, vcc_lo, s47, v141, vcc_lo
	s_and_saveexec_b32 s46, s13
	s_cbranch_execz .LBB158_111
; %bb.110:                              ;   in Loop: Header=BB158_109 Depth=2
	global_load_b32 v3, v[0:1], off
.LBB158_111:                            ;   in Loop: Header=BB158_109 Depth=2
	s_or_b32 exec_lo, exec_lo, s46
	s_and_saveexec_b32 s46, s14
	s_cbranch_execz .LBB158_113
; %bb.112:                              ;   in Loop: Header=BB158_109 Depth=2
	global_load_b32 v2, v[0:1], off offset:128
.LBB158_113:                            ;   in Loop: Header=BB158_109 Depth=2
	s_or_b32 exec_lo, exec_lo, s46
	v_dual_mov_b32 v4, 0 :: v_dual_mov_b32 v5, 0
	s_and_saveexec_b32 s46, s15
	s_cbranch_execz .LBB158_115
; %bb.114:                              ;   in Loop: Header=BB158_109 Depth=2
	global_load_b32 v5, v[0:1], off offset:256
.LBB158_115:                            ;   in Loop: Header=BB158_109 Depth=2
	s_or_b32 exec_lo, exec_lo, s46
	s_and_saveexec_b32 s46, s16
	s_cbranch_execz .LBB158_117
; %bb.116:                              ;   in Loop: Header=BB158_109 Depth=2
	global_load_b32 v4, v[0:1], off offset:384
.LBB158_117:                            ;   in Loop: Header=BB158_109 Depth=2
	s_or_b32 exec_lo, exec_lo, s46
	v_dual_mov_b32 v6, 0 :: v_dual_mov_b32 v7, 0
	s_and_saveexec_b32 s46, s17
	s_cbranch_execz .LBB158_119
; %bb.118:                              ;   in Loop: Header=BB158_109 Depth=2
	global_load_b32 v7, v[0:1], off offset:512
.LBB158_119:                            ;   in Loop: Header=BB158_109 Depth=2
	;; [unrolled: 13-line block ×7, first 2 shown]
	s_or_b32 exec_lo, exec_lo, s46
	s_and_saveexec_b32 s46, s28
	s_cbranch_execz .LBB158_141
; %bb.140:                              ;   in Loop: Header=BB158_109 Depth=2
	global_load_b32 v16, v[0:1], off offset:1920
.LBB158_141:                            ;   in Loop: Header=BB158_109 Depth=2
	s_or_b32 exec_lo, exec_lo, s46
	s_waitcnt vmcnt(0)
	ds_store_b32 v53, v3
	ds_store_b32 v54, v2 offset:128
	ds_store_b32 v55, v5 offset:256
	;; [unrolled: 1-line block ×15, first 2 shown]
	; wave barrier
	ds_load_2addr_b32 v[32:33], v69 offset1:1
	ds_load_2addr_b32 v[30:31], v69 offset0:2 offset1:3
	ds_load_2addr_b32 v[28:29], v69 offset0:4 offset1:5
	ds_load_2addr_b32 v[26:27], v69 offset0:6 offset1:7
	ds_load_2addr_b32 v[24:25], v69 offset0:8 offset1:9
	ds_load_2addr_b32 v[22:23], v69 offset0:10 offset1:11
	ds_load_2addr_b32 v[20:21], v69 offset0:12 offset1:13
	ds_load_2addr_b32 v[18:19], v69 offset0:14 offset1:15
	s_mov_b32 s59, s65
	v_dual_mov_b32 v2, 0 :: v_dual_mov_b32 v3, 0
	s_lshl_b64 s[46:47], s[58:59], 2
	s_delay_alu instid0(SALU_CYCLE_1)
	v_add_co_u32 v0, vcc_lo, v142, s46
	v_add_co_ci_u32_e32 v1, vcc_lo, s47, v143, vcc_lo
	s_and_saveexec_b32 s46, s13
	s_cbranch_execz .LBB158_143
; %bb.142:                              ;   in Loop: Header=BB158_109 Depth=2
	global_load_b32 v3, v[0:1], off
.LBB158_143:                            ;   in Loop: Header=BB158_109 Depth=2
	s_or_b32 exec_lo, exec_lo, s46
	s_and_saveexec_b32 s46, s14
	s_cbranch_execz .LBB158_145
; %bb.144:                              ;   in Loop: Header=BB158_109 Depth=2
	global_load_b32 v2, v[0:1], off offset:128
.LBB158_145:                            ;   in Loop: Header=BB158_109 Depth=2
	s_or_b32 exec_lo, exec_lo, s46
	v_dual_mov_b32 v4, 0 :: v_dual_mov_b32 v5, 0
	s_and_saveexec_b32 s46, s15
	s_cbranch_execz .LBB158_147
; %bb.146:                              ;   in Loop: Header=BB158_109 Depth=2
	global_load_b32 v5, v[0:1], off offset:256
.LBB158_147:                            ;   in Loop: Header=BB158_109 Depth=2
	s_or_b32 exec_lo, exec_lo, s46
	s_and_saveexec_b32 s46, s16
	s_cbranch_execz .LBB158_149
; %bb.148:                              ;   in Loop: Header=BB158_109 Depth=2
	global_load_b32 v4, v[0:1], off offset:384
.LBB158_149:                            ;   in Loop: Header=BB158_109 Depth=2
	s_or_b32 exec_lo, exec_lo, s46
	v_dual_mov_b32 v6, 0 :: v_dual_mov_b32 v7, 0
	s_and_saveexec_b32 s46, s17
	s_cbranch_execz .LBB158_151
; %bb.150:                              ;   in Loop: Header=BB158_109 Depth=2
	global_load_b32 v7, v[0:1], off offset:512
.LBB158_151:                            ;   in Loop: Header=BB158_109 Depth=2
	;; [unrolled: 13-line block ×7, first 2 shown]
	s_or_b32 exec_lo, exec_lo, s46
	s_and_saveexec_b32 s46, s28
	s_cbranch_execz .LBB158_173
; %bb.172:                              ;   in Loop: Header=BB158_109 Depth=2
	global_load_b32 v16, v[0:1], off offset:1920
.LBB158_173:                            ;   in Loop: Header=BB158_109 Depth=2
	s_or_b32 exec_lo, exec_lo, s46
	s_waitcnt vmcnt(0)
	ds_store_b32 v53, v3 offset:8448
	ds_store_b32 v70, v2 offset:128
	;; [unrolled: 1-line block ×16, first 2 shown]
	v_add_nc_u32_e32 v2, 0x2100, v69
	; wave barrier
	ds_load_2addr_b32 v[12:13], v85 offset0:2 offset1:3
	ds_load_2addr_b32 v[10:11], v85 offset0:4 offset1:5
	;; [unrolled: 1-line block ×6, first 2 shown]
	ds_load_2addr_b32 v[14:15], v2 offset1:1
	ds_load_2addr_b32 v[2:3], v85 offset0:14 offset1:15
	s_and_not1_b32 vcc_lo, exec_lo, s51
	s_cbranch_vccnz .LBB158_175
; %bb.174:                              ;   in Loop: Header=BB158_109 Depth=2
	v_mov_b32_e32 v16, s90
	ds_load_b64 v[16:17], v16
	s_cbranch_execz .LBB158_176
	s_branch .LBB158_179
.LBB158_175:                            ;   in Loop: Header=BB158_109 Depth=2
                                        ; implicit-def: $vgpr16
.LBB158_176:                            ;   in Loop: Header=BB158_109 Depth=2
	s_waitcnt lgkmcnt(0)
	v_mov_b32_e32 v17, 0
	s_and_not1_b32 vcc_lo, exec_lo, s66
	s_cbranch_vccnz .LBB158_178
; %bb.177:                              ;   in Loop: Header=BB158_109 Depth=2
	s_mov_b32 s61, s65
	s_delay_alu instid0(SALU_CYCLE_1) | instskip(NEXT) | instid1(SALU_CYCLE_1)
	s_lshl_b64 s[46:47], s[60:61], 2
	s_add_u32 s46, s77, s46
	s_addc_u32 s47, s78, s47
	global_load_b32 v17, v37, s[46:47]
.LBB158_178:                            ;   in Loop: Header=BB158_109 Depth=2
	v_mov_b32_e32 v16, 1.0
.LBB158_179:                            ;   in Loop: Header=BB158_109 Depth=2
	s_waitcnt lgkmcnt(31)
	v_dual_mul_f32 v173, 0x3fb8aa3b, v159 :: v_dual_mul_f32 v32, v32, v158
	s_waitcnt lgkmcnt(29)
	v_dual_mul_f32 v161, v33, v157 :: v_dual_mul_f32 v28, v28, v154
	s_delay_alu instid0(VALU_DEP_2) | instskip(NEXT) | instid1(VALU_DEP_3)
	v_dual_mul_f32 v162, v30, v156 :: v_dual_mul_f32 v159, v173, v107
	v_cndmask_b32_e64 v33, 0, v32, s29
	v_mul_f32_e32 v32, v173, v110
	s_waitcnt lgkmcnt(26)
	v_dual_mul_f32 v167, v173, v114 :: v_dual_mul_f32 v22, v22, v148
	v_cmp_gt_f32_e32 vcc_lo, 0xc2fc0000, v159
	v_mul_f32_e32 v174, v173, v119
	v_cmp_gt_f32_e64 s48, 0xc2fc0000, v32
	v_cndmask_b32_e64 v28, 0, v28, s34
	s_waitcnt lgkmcnt(24)
	v_dual_mul_f32 v177, v173, v138 :: v_dual_mul_f32 v18, v18, v144
	v_cndmask_b32_e64 v30, 0, 0x42800000, vcc_lo
	v_cndmask_b32_e64 v32, 0, 0x42800000, s48
	v_cndmask_b32_e64 v22, 0, v22, s40
	v_dual_mul_f32 v31, v31, v155 :: v_dual_mul_f32 v26, v26, v152
	s_delay_alu instid0(VALU_DEP_4) | instskip(SKIP_2) | instid1(VALU_DEP_4)
	v_fmac_f32_e32 v30, v173, v107
	v_mul_f32_e32 v27, v27, v151
	v_mul_f32_e32 v23, v23, v147
	v_cndmask_b32_e64 v31, 0, v31, s33
	v_cndmask_b32_e64 v26, 0, v26, s36
	v_exp_f32_e32 v163, v30
	v_cndmask_b32_e64 v30, 0, v161, s30
	v_cndmask_b32_e64 v161, 1.0, 0x1f800000, vcc_lo
	v_mul_f32_e32 v160, v173, v108
	v_cndmask_b32_e64 v27, 0, v27, s37
	v_cndmask_b32_e64 v23, 0, v23, s41
	v_mul_f32_e32 v24, v24, v150
	v_dual_mul_f32 v20, v20, v146 :: v_dual_mul_f32 v19, v19, v139
	v_mul_f32_e32 v21, v21, v145
	s_delay_alu instid0(TRANS32_DEP_1) | instskip(SKIP_2) | instid1(VALU_DEP_2)
	v_mul_f32_e32 v161, v163, v161
	v_cmp_gt_f32_e64 s46, 0xc2fc0000, v160
	v_cndmask_b32_e64 v24, 0, v24, s38
	v_cndmask_b32_e64 v159, 0, 0x42800000, s46
	v_cndmask_b32_e64 v164, 1.0, 0x1f800000, s46
	s_delay_alu instid0(VALU_DEP_2) | instskip(NEXT) | instid1(VALU_DEP_1)
	v_fmac_f32_e32 v159, v173, v108
	v_exp_f32_e32 v159, v159
	s_waitcnt_depctr 0xfff
	v_dual_mul_f32 v160, v173, v109 :: v_dual_mul_f32 v159, v159, v164
	s_delay_alu instid0(VALU_DEP_1) | instskip(NEXT) | instid1(VALU_DEP_2)
	v_cmp_gt_f32_e64 s47, 0xc2fc0000, v160
	v_cndmask_b32_e64 v159, 1.0, v159, s30
	s_delay_alu instid0(VALU_DEP_2) | instskip(SKIP_2) | instid1(VALU_DEP_3)
	v_cndmask_b32_e64 v160, 0, 0x42800000, s47
	v_cndmask_b32_e64 v166, 1.0, 0x1f800000, s47
	v_cmp_gt_f32_e64 s47, 0xc2fc0000, v167
	v_fmac_f32_e32 v160, v173, v109
	s_delay_alu instid0(VALU_DEP_1) | instskip(SKIP_1) | instid1(VALU_DEP_1)
	v_exp_f32_e32 v165, v160
	v_mul_f32_e32 v160, v173, v111
	v_cmp_gt_f32_e32 vcc_lo, 0xc2fc0000, v160
	v_cndmask_b32_e64 v160, 1.0, v161, s29
	s_waitcnt_depctr 0xfff
	v_mul_f32_e32 v161, v165, v166
	v_cndmask_b32_e64 v164, 0, 0x42800000, vcc_lo
	v_cndmask_b32_e64 v165, 1.0, 0x1f800000, s48
	v_mul_f32_e32 v166, v173, v113
	s_delay_alu instid0(VALU_DEP_4) | instskip(NEXT) | instid1(VALU_DEP_4)
	v_cndmask_b32_e64 v161, 1.0, v161, s31
	v_fmac_f32_e32 v164, v173, v111
	s_delay_alu instid0(VALU_DEP_1) | instskip(SKIP_1) | instid1(VALU_DEP_1)
	v_exp_f32_e32 v164, v164
	v_fmac_f32_e32 v32, v173, v110
	v_exp_f32_e32 v163, v32
	v_cndmask_b32_e64 v32, 0, v162, s31
	v_mul_f32_e32 v162, v173, v112
	s_delay_alu instid0(VALU_DEP_1) | instskip(SKIP_4) | instid1(VALU_DEP_3)
	v_cmp_gt_f32_e64 s46, 0xc2fc0000, v162
	s_waitcnt_depctr 0xfff
	v_mul_f32_e32 v163, v163, v165
	v_cndmask_b32_e64 v165, 0, 0x42800000, s46
	v_cndmask_b32_e64 v167, 1.0, 0x1f800000, s46
	v_cndmask_b32_e64 v162, 1.0, v163, s33
	v_cndmask_b32_e64 v163, 1.0, 0x1f800000, vcc_lo
	v_cmp_gt_f32_e32 vcc_lo, 0xc2fc0000, v166
	s_delay_alu instid0(VALU_DEP_2) | instskip(SKIP_1) | instid1(VALU_DEP_2)
	v_mul_f32_e32 v163, v164, v163
	v_cndmask_b32_e64 v166, 0, 0x42800000, vcc_lo
	v_cndmask_b32_e64 v163, 1.0, v163, s34
	s_delay_alu instid0(VALU_DEP_2) | instskip(NEXT) | instid1(VALU_DEP_1)
	v_fmac_f32_e32 v166, v173, v113
	v_exp_f32_e32 v166, v166
	v_fmac_f32_e32 v165, v173, v112
	s_delay_alu instid0(VALU_DEP_1) | instskip(SKIP_4) | instid1(VALU_DEP_2)
	v_exp_f32_e32 v164, v165
	v_cndmask_b32_e64 v165, 0, 0x42800000, s47
	s_waitcnt_depctr 0xfff
	v_dual_fmac_f32 v165, v173, v114 :: v_dual_mul_f32 v164, v164, v167
	v_cndmask_b32_e64 v167, 1.0, 0x1f800000, vcc_lo
	v_exp_f32_e32 v168, v165
	v_mul_f32_e32 v165, v173, v115
	s_delay_alu instid0(VALU_DEP_3) | instskip(NEXT) | instid1(VALU_DEP_3)
	v_cndmask_b32_e64 v164, 1.0, v164, s35
	v_mul_f32_e32 v166, v166, v167
	v_cndmask_b32_e64 v167, 1.0, 0x1f800000, s47
	s_delay_alu instid0(VALU_DEP_4) | instskip(SKIP_1) | instid1(VALU_DEP_4)
	v_cmp_gt_f32_e32 vcc_lo, 0xc2fc0000, v165
	v_mul_f32_e32 v29, v29, v153
	v_cndmask_b32_e64 v165, 1.0, v166, s36
	s_delay_alu instid0(TRANS32_DEP_1) | instid1(VALU_DEP_4)
	v_mul_f32_e32 v166, v168, v167
	v_cndmask_b32_e64 v169, 0, 0x42800000, vcc_lo
	v_mul_f32_e32 v167, v173, v116
	v_cndmask_b32_e64 v171, 1.0, 0x1f800000, vcc_lo
	v_cndmask_b32_e64 v29, 0, v29, s35
	v_cndmask_b32_e64 v166, 1.0, v166, s37
	v_fmac_f32_e32 v169, v173, v115
	v_cmp_gt_f32_e64 s46, 0xc2fc0000, v167
	v_mul_f32_e32 v168, v173, v117
	s_delay_alu instid0(VALU_DEP_3) | instskip(NEXT) | instid1(VALU_DEP_2)
	v_exp_f32_e32 v169, v169
	v_cndmask_b32_e64 v167, 0, 0x42800000, s46
	s_delay_alu instid0(VALU_DEP_2) | instskip(NEXT) | instid1(VALU_DEP_2)
	v_cmp_gt_f32_e64 s47, 0xc2fc0000, v168
	v_fmac_f32_e32 v167, v173, v116
	s_delay_alu instid0(VALU_DEP_2) | instskip(NEXT) | instid1(VALU_DEP_2)
	v_cndmask_b32_e64 v168, 0, 0x42800000, s47
	v_exp_f32_e32 v172, v167
	s_waitcnt_depctr 0xfff
	v_mul_f32_e32 v167, v169, v171
	v_fmac_f32_e32 v168, v173, v117
	v_cndmask_b32_e64 v169, 1.0, 0x1f800000, s46
	v_cndmask_b32_e64 v171, 1.0, 0x1f800000, s47
	s_delay_alu instid0(VALU_DEP_4) | instskip(SKIP_3) | instid1(VALU_DEP_2)
	v_cndmask_b32_e64 v167, 1.0, v167, s38
	v_mul_f32_e32 v170, v173, v118
	v_exp_f32_e32 v168, v168
	v_mul_f32_e32 v169, v172, v169
	v_cmp_gt_f32_e32 vcc_lo, 0xc2fc0000, v170
	v_cndmask_b32_e64 v170, 0, 0x42800000, vcc_lo
	v_cndmask_b32_e64 v172, 1.0, 0x1f800000, vcc_lo
	s_waitcnt_depctr 0xfff
	v_mul_f32_e32 v171, v168, v171
	v_cmp_gt_f32_e32 vcc_lo, 0xc2fc0000, v174
	v_cndmask_b32_e64 v168, 1.0, v169, s39
	v_fmac_f32_e32 v170, v173, v118
	v_fma_f32 v174, v159, v33, v30
	v_cndmask_b32_e64 v169, 1.0, v171, s40
	v_cndmask_b32_e64 v171, 0, 0x42800000, vcc_lo
	s_delay_alu instid0(VALU_DEP_4) | instskip(NEXT) | instid1(VALU_DEP_3)
	v_exp_f32_e32 v170, v170
	v_fma_f32 v174, v174, v161, v32
	s_delay_alu instid0(VALU_DEP_1) | instskip(SKIP_4) | instid1(VALU_DEP_3)
	v_fma_f32 v174, v174, v162, v31
	s_waitcnt_depctr 0xfff
	v_mul_f32_e32 v170, v170, v172
	v_mul_f32_e32 v172, v159, v160
	v_fma_f32 v174, v174, v163, v28
	v_cndmask_b32_e64 v178, 1.0, v170, s41
	s_delay_alu instid0(VALU_DEP_3) | instskip(SKIP_3) | instid1(VALU_DEP_4)
	v_mul_f32_e32 v172, v172, v161
	v_cndmask_b32_e64 v170, 1.0, 0x1f800000, vcc_lo
	v_mul_f32_e32 v175, v173, v120
	v_fma_f32 v174, v174, v164, v29
	v_dual_mul_f32 v172, v172, v162 :: v_dual_mul_f32 v25, v25, v149
	s_delay_alu instid0(VALU_DEP_3) | instskip(NEXT) | instid1(VALU_DEP_3)
	v_cmp_gt_f32_e64 s46, 0xc2fc0000, v175
	v_fma_f32 v174, v174, v165, v26
	s_delay_alu instid0(VALU_DEP_3) | instskip(SKIP_1) | instid1(VALU_DEP_4)
	v_mul_f32_e32 v172, v172, v163
	v_fmac_f32_e32 v171, v173, v119
	v_cndmask_b32_e64 v175, 0, 0x42800000, s46
	s_delay_alu instid0(VALU_DEP_4) | instskip(SKIP_3) | instid1(VALU_DEP_3)
	v_fma_f32 v174, v174, v166, v27
	v_cndmask_b32_e64 v25, 0, v25, s39
	v_mul_f32_e32 v176, v172, v164
	v_exp_f32_e32 v171, v171
	v_fma_f32 v174, v174, v167, v24
	s_waitcnt_depctr 0xfff
	v_mul_f32_e32 v171, v171, v170
	v_cndmask_b32_e64 v170, 0, v20, s42
	v_cndmask_b32_e64 v20, 1.0, 0x1f800000, s46
	v_cmp_gt_f32_e64 s46, 0xc2fc0000, v177
	v_fma_f32 v177, v174, v168, v25
	v_cndmask_b32_e64 v172, 1.0, v171, s42
	v_mul_f32_e32 v171, v176, v165
	v_mul_f32_e32 v176, v173, v121
	s_delay_alu instid0(VALU_DEP_1) | instskip(SKIP_1) | instid1(VALU_DEP_1)
	v_cmp_gt_f32_e32 vcc_lo, 0xc2fc0000, v176
	v_cndmask_b32_e64 v176, 0, 0x42800000, vcc_lo
	v_fmac_f32_e32 v176, v173, v121
	s_delay_alu instid0(VALU_DEP_1) | instskip(SKIP_1) | instid1(VALU_DEP_1)
	v_exp_f32_e32 v176, v176
	v_fmac_f32_e32 v175, v173, v120
	v_exp_f32_e32 v175, v175
	s_waitcnt_depctr 0xfff
	v_mul_f32_e32 v20, v175, v20
	v_mul_f32_e32 v175, v171, v166
	v_cndmask_b32_e64 v171, 0, v21, s43
	s_delay_alu instid0(VALU_DEP_3) | instskip(NEXT) | instid1(VALU_DEP_3)
	v_cndmask_b32_e64 v174, 1.0, v20, s43
	v_mul_f32_e32 v21, v175, v167
	v_cndmask_b32_e64 v175, 0, 0x42800000, s46
	s_delay_alu instid0(VALU_DEP_1) | instskip(SKIP_1) | instid1(VALU_DEP_2)
	v_fmac_f32_e32 v175, v173, v138
	v_cndmask_b32_e64 v173, 1.0, 0x1f800000, vcc_lo
	v_exp_f32_e32 v175, v175
	s_delay_alu instid0(VALU_DEP_1) | instskip(SKIP_3) | instid1(VALU_DEP_4)
	v_mul_f32_e32 v176, v176, v173
	v_cndmask_b32_e64 v173, 0, v18, s44
	v_cndmask_b32_e64 v18, 1.0, 0x1f800000, s46
	v_mul_f32_e32 v21, v21, v168
	v_cndmask_b32_e64 v176, 1.0, v176, s44
	s_waitcnt_depctr 0xfff
	v_mul_f32_e32 v18, v175, v18
	v_mul_f32_e32 v20, v21, v169
	v_fma_f32 v21, v177, v169, v22
	v_cndmask_b32_e64 v175, 0, v19, s45
	s_delay_alu instid0(VALU_DEP_4) | instskip(NEXT) | instid1(VALU_DEP_4)
	v_cndmask_b32_e64 v177, 1.0, v18, s45
	v_mul_f32_e32 v20, v20, v178
	s_delay_alu instid0(VALU_DEP_4) | instskip(NEXT) | instid1(VALU_DEP_2)
	v_fma_f32 v21, v21, v178, v23
	v_mul_f32_e32 v20, v20, v172
	s_delay_alu instid0(VALU_DEP_2) | instskip(NEXT) | instid1(VALU_DEP_2)
	v_fma_f32 v21, v21, v172, v170
	v_mul_f32_e32 v20, v20, v174
	s_delay_alu instid0(VALU_DEP_2) | instskip(NEXT) | instid1(VALU_DEP_2)
	;; [unrolled: 3-line block ×4, first 2 shown]
	v_fma_f32 v19, v19, v177, v175
	v_mov_b32_dpp v21, v18 row_shr:1 row_mask:0xf bank_mask:0xf
	s_delay_alu instid0(VALU_DEP_2)
	v_mov_b32_dpp v20, v19 row_shr:1 row_mask:0xf bank_mask:0xf
	s_and_saveexec_b32 s46, s0
; %bb.180:                              ;   in Loop: Header=BB158_109 Depth=2
	s_delay_alu instid0(VALU_DEP_2) | instskip(NEXT) | instid1(VALU_DEP_1)
	v_mul_f32_e32 v21, v18, v21
	v_dual_fmac_f32 v19, v18, v20 :: v_dual_mov_b32 v18, v21
; %bb.181:                              ;   in Loop: Header=BB158_109 Depth=2
	s_or_b32 exec_lo, exec_lo, s46
	s_delay_alu instid0(VALU_DEP_1) | instskip(NEXT) | instid1(VALU_DEP_2)
	v_mov_b32_dpp v20, v18 row_shr:2 row_mask:0xf bank_mask:0xf
	v_mov_b32_dpp v21, v19 row_shr:2 row_mask:0xf bank_mask:0xf
	s_and_saveexec_b32 s46, s1
; %bb.182:                              ;   in Loop: Header=BB158_109 Depth=2
	s_delay_alu instid0(VALU_DEP_1) | instskip(NEXT) | instid1(VALU_DEP_3)
	v_fmac_f32_e32 v19, v18, v21
	v_mul_f32_e32 v18, v18, v20
; %bb.183:                              ;   in Loop: Header=BB158_109 Depth=2
	s_or_b32 exec_lo, exec_lo, s46
	s_delay_alu instid0(VALU_DEP_1) | instskip(NEXT) | instid1(VALU_DEP_3)
	v_mov_b32_dpp v20, v18 row_shr:4 row_mask:0xf bank_mask:0xf
	v_mov_b32_dpp v21, v19 row_shr:4 row_mask:0xf bank_mask:0xf
	s_and_saveexec_b32 s46, s2
; %bb.184:                              ;   in Loop: Header=BB158_109 Depth=2
	s_delay_alu instid0(VALU_DEP_1) | instskip(NEXT) | instid1(VALU_DEP_3)
	v_fmac_f32_e32 v19, v18, v21
	v_mul_f32_e32 v18, v18, v20
; %bb.185:                              ;   in Loop: Header=BB158_109 Depth=2
	s_or_b32 exec_lo, exec_lo, s46
	s_delay_alu instid0(VALU_DEP_1) | instskip(NEXT) | instid1(VALU_DEP_3)
	v_mov_b32_dpp v20, v18 row_shr:8 row_mask:0xf bank_mask:0xf
	v_mov_b32_dpp v21, v19 row_shr:8 row_mask:0xf bank_mask:0xf
	s_and_saveexec_b32 s46, s3
; %bb.186:                              ;   in Loop: Header=BB158_109 Depth=2
	s_delay_alu instid0(VALU_DEP_1) | instskip(NEXT) | instid1(VALU_DEP_3)
	v_fmac_f32_e32 v19, v18, v21
	v_mul_f32_e32 v18, v18, v20
; %bb.187:                              ;   in Loop: Header=BB158_109 Depth=2
	s_or_b32 exec_lo, exec_lo, s46
	ds_swizzle_b32 v21, v18 offset:swizzle(BROADCAST,32,15)
	ds_swizzle_b32 v20, v19 offset:swizzle(BROADCAST,32,15)
	s_and_saveexec_b32 s46, s4
	s_cbranch_execz .LBB158_189
; %bb.188:                              ;   in Loop: Header=BB158_109 Depth=2
	s_waitcnt lgkmcnt(1)
	v_mul_f32_e32 v21, v18, v21
	s_waitcnt lgkmcnt(0)
	s_delay_alu instid0(VALU_DEP_1)
	v_dual_fmac_f32 v19, v18, v20 :: v_dual_mov_b32 v18, v21
.LBB158_189:                            ;   in Loop: Header=BB158_109 Depth=2
	s_or_b32 exec_lo, exec_lo, s46
	s_and_saveexec_b32 s46, s5
	s_cbranch_execz .LBB158_191
; %bb.190:                              ;   in Loop: Header=BB158_109 Depth=2
	ds_store_b64 v86, v[18:19] offset:16896
.LBB158_191:                            ;   in Loop: Header=BB158_109 Depth=2
	s_or_b32 exec_lo, exec_lo, s46
	s_waitcnt vmcnt(0) lgkmcnt(0)
	s_waitcnt_vscnt null, 0x0
	s_barrier
	buffer_gl0_inv
	s_and_saveexec_b32 s46, s6
	s_cbranch_execz .LBB158_195
; %bb.192:                              ;   in Loop: Header=BB158_109 Depth=2
	ds_load_b64 v[20:21], v87 offset:16896
	s_waitcnt lgkmcnt(0)
	v_mov_b32_dpp v181, v20 row_shr:1 row_mask:0xf bank_mask:0xf
	v_mov_b32_dpp v180, v21 row_shr:1 row_mask:0xf bank_mask:0xf
	v_mov_b32_e32 v179, v20
	s_and_saveexec_b32 s47, s7
; %bb.193:                              ;   in Loop: Header=BB158_109 Depth=2
	s_delay_alu instid0(VALU_DEP_3) | instskip(NEXT) | instid1(VALU_DEP_1)
	v_mul_f32_e32 v179, v20, v181
	v_dual_fmac_f32 v21, v20, v180 :: v_dual_mov_b32 v20, v179
; %bb.194:                              ;   in Loop: Header=BB158_109 Depth=2
	s_or_b32 exec_lo, exec_lo, s47
	v_mov_b32_dpp v179, v179 row_shr:2 row_mask:0xf bank_mask:0xf
	s_delay_alu instid0(VALU_DEP_2) | instskip(NEXT) | instid1(VALU_DEP_2)
	v_mov_b32_dpp v180, v21 row_shr:2 row_mask:0xf bank_mask:0xf
	v_mul_f32_e32 v179, v20, v179
	s_delay_alu instid0(VALU_DEP_2) | instskip(NEXT) | instid1(VALU_DEP_2)
	v_fma_f32 v180, v20, v180, v21
	v_cndmask_b32_e64 v20, v20, v179, s8
	s_delay_alu instid0(VALU_DEP_2)
	v_cndmask_b32_e64 v21, v21, v180, s8
	ds_store_b64 v87, v[20:21] offset:16896
.LBB158_195:                            ;   in Loop: Header=BB158_109 Depth=2
	s_or_b32 exec_lo, exec_lo, s46
	s_waitcnt lgkmcnt(0)
	s_barrier
	buffer_gl0_inv
                                        ; implicit-def: $vgpr21
	s_and_saveexec_b32 s46, s10
	s_cbranch_execz .LBB158_197
; %bb.196:                              ;   in Loop: Header=BB158_109 Depth=2
	ds_load_b64 v[20:21], v86 offset:16888
	s_waitcnt lgkmcnt(0)
	v_mul_f32_e32 v179, v18, v20
	s_delay_alu instid0(VALU_DEP_1)
	v_dual_fmac_f32 v19, v18, v21 :: v_dual_mov_b32 v18, v179
.LBB158_197:                            ;   in Loop: Header=BB158_109 Depth=2
	s_or_b32 exec_lo, exec_lo, s46
	ds_bpermute_b32 v179, v88, v18
	ds_bpermute_b32 v180, v88, v19
	s_and_saveexec_b32 s46, s9
	s_cbranch_execz .LBB158_201
; %bb.198:                              ;   in Loop: Header=BB158_109 Depth=2
	ds_load_b64 v[18:19], v37 offset:16920
	s_and_saveexec_b32 s47, s11
	s_cbranch_execz .LBB158_200
; %bb.199:                              ;   in Loop: Header=BB158_109 Depth=2
	ds_store_b64 v37, v[16:17] offset:16920
.LBB158_200:                            ;   in Loop: Header=BB158_109 Depth=2
	s_or_b32 exec_lo, exec_lo, s47
	s_waitcnt lgkmcnt(0)
	v_fmac_f32_e32 v19, v17, v18
	s_delay_alu instid0(VALU_DEP_1)
	v_dual_mul_f32 v16, v16, v18 :: v_dual_mov_b32 v17, v19
.LBB158_201:                            ;   in Loop: Header=BB158_109 Depth=2
	s_or_b32 exec_lo, exec_lo, s46
	s_waitcnt lgkmcnt(0)
	s_barrier
	buffer_gl0_inv
	ds_load_b32 v18, v37 offset:16924
	s_and_saveexec_b32 s46, s11
	s_cbranch_execz .LBB158_108
; %bb.202:                              ;   in Loop: Header=BB158_109 Depth=2
	v_mov_b32_e32 v19, s90
	s_and_not1_b32 vcc_lo, exec_lo, s88
	ds_store_b64 v19, v[16:17]
	s_cbranch_vccnz .LBB158_108
; %bb.203:                              ;   in Loop: Header=BB158_109 Depth=2
	s_mov_b32 s61, s65
	s_delay_alu instid0(SALU_CYCLE_1) | instskip(NEXT) | instid1(SALU_CYCLE_1)
	s_lshl_b64 s[92:93], s[60:61], 2
	s_add_u32 s92, s77, s92
	s_addc_u32 s93, s78, s93
	global_store_b32 v37, v17, s[92:93]
	s_branch .LBB158_108
.LBB158_204:                            ;   in Loop: Header=BB158_12 Depth=1
	s_waitcnt_vscnt null, 0x0
	s_barrier
	buffer_gl0_inv
	ds_store_2addr_b32 v69, v137, v136 offset1:1
	ds_store_2addr_b32 v69, v135, v134 offset0:2 offset1:3
	ds_store_2addr_b32 v69, v132, v131 offset0:4 offset1:5
	;; [unrolled: 1-line block ×7, first 2 shown]
	; wave barrier
	ds_load_b32 v16, v54 offset:128
	ds_load_b32 v15, v55 offset:256
	;; [unrolled: 1-line block ×15, first 2 shown]
	s_mov_b32 s51, s65
	s_delay_alu instid0(SALU_CYCLE_1) | instskip(NEXT) | instid1(SALU_CYCLE_1)
	s_lshl_b64 s[30:31], s[50:51], 2
	v_add_co_u32 v0, vcc_lo, v89, s30
	v_add_co_ci_u32_e32 v1, vcc_lo, s31, v90, vcc_lo
	s_and_saveexec_b32 s29, s13
	s_cbranch_execnz .LBB158_222
; %bb.205:                              ;   in Loop: Header=BB158_12 Depth=1
	s_or_b32 exec_lo, exec_lo, s29
	s_and_saveexec_b32 s13, s14
	s_cbranch_execnz .LBB158_223
.LBB158_206:                            ;   in Loop: Header=BB158_12 Depth=1
	s_or_b32 exec_lo, exec_lo, s13
	s_and_saveexec_b32 s13, s15
	s_cbranch_execnz .LBB158_224
.LBB158_207:                            ;   in Loop: Header=BB158_12 Depth=1
	s_or_b32 exec_lo, exec_lo, s13
	s_and_saveexec_b32 s13, s16
	s_cbranch_execnz .LBB158_225
.LBB158_208:                            ;   in Loop: Header=BB158_12 Depth=1
	s_or_b32 exec_lo, exec_lo, s13
	s_and_saveexec_b32 s13, s17
	s_cbranch_execnz .LBB158_226
.LBB158_209:                            ;   in Loop: Header=BB158_12 Depth=1
	s_or_b32 exec_lo, exec_lo, s13
	s_and_saveexec_b32 s13, s18
	s_cbranch_execnz .LBB158_227
.LBB158_210:                            ;   in Loop: Header=BB158_12 Depth=1
	s_or_b32 exec_lo, exec_lo, s13
	s_and_saveexec_b32 s13, s19
	s_cbranch_execnz .LBB158_228
.LBB158_211:                            ;   in Loop: Header=BB158_12 Depth=1
	s_or_b32 exec_lo, exec_lo, s13
	s_and_saveexec_b32 s13, s20
	s_cbranch_execnz .LBB158_229
.LBB158_212:                            ;   in Loop: Header=BB158_12 Depth=1
	s_or_b32 exec_lo, exec_lo, s13
	s_and_saveexec_b32 s13, s21
	s_cbranch_execnz .LBB158_230
.LBB158_213:                            ;   in Loop: Header=BB158_12 Depth=1
	s_or_b32 exec_lo, exec_lo, s13
	s_and_saveexec_b32 s13, s22
	s_cbranch_execnz .LBB158_231
.LBB158_214:                            ;   in Loop: Header=BB158_12 Depth=1
	s_or_b32 exec_lo, exec_lo, s13
	s_and_saveexec_b32 s13, s23
	s_cbranch_execnz .LBB158_232
.LBB158_215:                            ;   in Loop: Header=BB158_12 Depth=1
	s_or_b32 exec_lo, exec_lo, s13
	s_and_saveexec_b32 s13, s24
	s_cbranch_execnz .LBB158_233
.LBB158_216:                            ;   in Loop: Header=BB158_12 Depth=1
	s_or_b32 exec_lo, exec_lo, s13
	s_and_saveexec_b32 s13, s25
	s_cbranch_execnz .LBB158_234
.LBB158_217:                            ;   in Loop: Header=BB158_12 Depth=1
	s_or_b32 exec_lo, exec_lo, s13
	s_and_saveexec_b32 s13, s26
	s_cbranch_execnz .LBB158_235
.LBB158_218:                            ;   in Loop: Header=BB158_12 Depth=1
	s_or_b32 exec_lo, exec_lo, s13
	s_and_saveexec_b32 s13, s27
	s_cbranch_execnz .LBB158_236
.LBB158_219:                            ;   in Loop: Header=BB158_12 Depth=1
	s_or_b32 exec_lo, exec_lo, s13
	s_and_saveexec_b32 s13, s28
	s_cbranch_execz .LBB158_11
	s_branch .LBB158_237
.LBB158_220:                            ;   in Loop: Header=BB158_12 Depth=1
	global_load_b32 v33, v[16:17], off offset:1664
	s_or_b32 exec_lo, exec_lo, s29
	s_and_saveexec_b32 s29, s27
	s_cbranch_execz .LBB158_72
.LBB158_221:                            ;   in Loop: Header=BB158_12 Depth=1
	global_load_b32 v31, v[16:17], off offset:1792
	s_or_b32 exec_lo, exec_lo, s29
	v_mov_b32_e32 v107, 0
	s_and_saveexec_b32 s29, s28
	s_cbranch_execnz .LBB158_73
	s_branch .LBB158_74
.LBB158_222:                            ;   in Loop: Header=BB158_12 Depth=1
	ds_load_b32 v17, v53
	s_waitcnt lgkmcnt(0)
	global_store_b32 v[0:1], v17, off
	s_or_b32 exec_lo, exec_lo, s29
	s_and_saveexec_b32 s13, s14
	s_cbranch_execz .LBB158_206
.LBB158_223:                            ;   in Loop: Header=BB158_12 Depth=1
	s_waitcnt lgkmcnt(14)
	global_store_b32 v[0:1], v16, off offset:128
	s_or_b32 exec_lo, exec_lo, s13
	s_and_saveexec_b32 s13, s15
	s_cbranch_execz .LBB158_207
.LBB158_224:                            ;   in Loop: Header=BB158_12 Depth=1
	s_waitcnt lgkmcnt(13)
	global_store_b32 v[0:1], v15, off offset:256
	s_or_b32 exec_lo, exec_lo, s13
	s_and_saveexec_b32 s13, s16
	s_cbranch_execz .LBB158_208
.LBB158_225:                            ;   in Loop: Header=BB158_12 Depth=1
	s_waitcnt lgkmcnt(12)
	global_store_b32 v[0:1], v14, off offset:384
	s_or_b32 exec_lo, exec_lo, s13
	s_and_saveexec_b32 s13, s17
	s_cbranch_execz .LBB158_209
.LBB158_226:                            ;   in Loop: Header=BB158_12 Depth=1
	s_waitcnt lgkmcnt(11)
	global_store_b32 v[0:1], v13, off offset:512
	s_or_b32 exec_lo, exec_lo, s13
	s_and_saveexec_b32 s13, s18
	s_cbranch_execz .LBB158_210
.LBB158_227:                            ;   in Loop: Header=BB158_12 Depth=1
	s_waitcnt lgkmcnt(10)
	global_store_b32 v[0:1], v12, off offset:640
	s_or_b32 exec_lo, exec_lo, s13
	s_and_saveexec_b32 s13, s19
	s_cbranch_execz .LBB158_211
.LBB158_228:                            ;   in Loop: Header=BB158_12 Depth=1
	s_waitcnt lgkmcnt(9)
	global_store_b32 v[0:1], v11, off offset:768
	s_or_b32 exec_lo, exec_lo, s13
	s_and_saveexec_b32 s13, s20
	s_cbranch_execz .LBB158_212
.LBB158_229:                            ;   in Loop: Header=BB158_12 Depth=1
	s_waitcnt lgkmcnt(8)
	global_store_b32 v[0:1], v10, off offset:896
	s_or_b32 exec_lo, exec_lo, s13
	s_and_saveexec_b32 s13, s21
	s_cbranch_execz .LBB158_213
.LBB158_230:                            ;   in Loop: Header=BB158_12 Depth=1
	s_waitcnt lgkmcnt(7)
	global_store_b32 v[0:1], v9, off offset:1024
	s_or_b32 exec_lo, exec_lo, s13
	s_and_saveexec_b32 s13, s22
	s_cbranch_execz .LBB158_214
.LBB158_231:                            ;   in Loop: Header=BB158_12 Depth=1
	s_waitcnt lgkmcnt(6)
	global_store_b32 v[0:1], v8, off offset:1152
	s_or_b32 exec_lo, exec_lo, s13
	s_and_saveexec_b32 s13, s23
	s_cbranch_execz .LBB158_215
.LBB158_232:                            ;   in Loop: Header=BB158_12 Depth=1
	s_waitcnt lgkmcnt(5)
	global_store_b32 v[0:1], v7, off offset:1280
	s_or_b32 exec_lo, exec_lo, s13
	s_and_saveexec_b32 s13, s24
	s_cbranch_execz .LBB158_216
.LBB158_233:                            ;   in Loop: Header=BB158_12 Depth=1
	s_waitcnt lgkmcnt(4)
	global_store_b32 v[0:1], v6, off offset:1408
	s_or_b32 exec_lo, exec_lo, s13
	s_and_saveexec_b32 s13, s25
	s_cbranch_execz .LBB158_217
.LBB158_234:                            ;   in Loop: Header=BB158_12 Depth=1
	s_waitcnt lgkmcnt(3)
	global_store_b32 v[0:1], v5, off offset:1536
	s_or_b32 exec_lo, exec_lo, s13
	s_and_saveexec_b32 s13, s26
	s_cbranch_execz .LBB158_218
.LBB158_235:                            ;   in Loop: Header=BB158_12 Depth=1
	s_waitcnt lgkmcnt(2)
	global_store_b32 v[0:1], v4, off offset:1664
	s_or_b32 exec_lo, exec_lo, s13
	s_and_saveexec_b32 s13, s27
	s_cbranch_execz .LBB158_219
.LBB158_236:                            ;   in Loop: Header=BB158_12 Depth=1
	s_waitcnt lgkmcnt(1)
	global_store_b32 v[0:1], v3, off offset:1792
	s_or_b32 exec_lo, exec_lo, s13
	s_and_saveexec_b32 s13, s28
	s_cbranch_execz .LBB158_11
.LBB158_237:                            ;   in Loop: Header=BB158_12 Depth=1
	s_waitcnt lgkmcnt(0)
	global_store_b32 v[0:1], v2, off offset:1920
	s_branch .LBB158_11
.LBB158_238:
	s_nop 0
	s_sendmsg sendmsg(MSG_DEALLOC_VGPRS)
	s_endpgm
	.section	.rodata,"a",@progbits
	.p2align	6, 0x0
	.amdhsa_kernel _Z25selective_scan_fwd_kernelI32Selective_Scan_fwd_kernel_traitsILi128ELi16ELi1ELb0ELb1ELb1ELb0ELb1EfffEEv13SSMParamsBase
		.amdhsa_group_segment_fixed_size 0
		.amdhsa_private_segment_fixed_size 0
		.amdhsa_kernarg_size 248
		.amdhsa_user_sgpr_count 14
		.amdhsa_user_sgpr_dispatch_ptr 0
		.amdhsa_user_sgpr_queue_ptr 0
		.amdhsa_user_sgpr_kernarg_segment_ptr 1
		.amdhsa_user_sgpr_dispatch_id 0
		.amdhsa_user_sgpr_private_segment_size 0
		.amdhsa_wavefront_size32 1
		.amdhsa_uses_dynamic_stack 0
		.amdhsa_enable_private_segment 0
		.amdhsa_system_sgpr_workgroup_id_x 1
		.amdhsa_system_sgpr_workgroup_id_y 1
		.amdhsa_system_sgpr_workgroup_id_z 0
		.amdhsa_system_sgpr_workgroup_info 0
		.amdhsa_system_vgpr_workitem_id 0
		.amdhsa_next_free_vgpr 182
		.amdhsa_next_free_sgpr 94
		.amdhsa_reserve_vcc 1
		.amdhsa_float_round_mode_32 0
		.amdhsa_float_round_mode_16_64 0
		.amdhsa_float_denorm_mode_32 3
		.amdhsa_float_denorm_mode_16_64 3
		.amdhsa_dx10_clamp 1
		.amdhsa_ieee_mode 1
		.amdhsa_fp16_overflow 0
		.amdhsa_workgroup_processor_mode 1
		.amdhsa_memory_ordered 1
		.amdhsa_forward_progress 0
		.amdhsa_shared_vgpr_count 0
		.amdhsa_exception_fp_ieee_invalid_op 0
		.amdhsa_exception_fp_denorm_src 0
		.amdhsa_exception_fp_ieee_div_zero 0
		.amdhsa_exception_fp_ieee_overflow 0
		.amdhsa_exception_fp_ieee_underflow 0
		.amdhsa_exception_fp_ieee_inexact 0
		.amdhsa_exception_int_div_zero 0
	.end_amdhsa_kernel
	.section	.text._Z25selective_scan_fwd_kernelI32Selective_Scan_fwd_kernel_traitsILi128ELi16ELi1ELb0ELb1ELb1ELb0ELb1EfffEEv13SSMParamsBase,"axG",@progbits,_Z25selective_scan_fwd_kernelI32Selective_Scan_fwd_kernel_traitsILi128ELi16ELi1ELb0ELb1ELb1ELb0ELb1EfffEEv13SSMParamsBase,comdat
.Lfunc_end158:
	.size	_Z25selective_scan_fwd_kernelI32Selective_Scan_fwd_kernel_traitsILi128ELi16ELi1ELb0ELb1ELb1ELb0ELb1EfffEEv13SSMParamsBase, .Lfunc_end158-_Z25selective_scan_fwd_kernelI32Selective_Scan_fwd_kernel_traitsILi128ELi16ELi1ELb0ELb1ELb1ELb0ELb1EfffEEv13SSMParamsBase
                                        ; -- End function
	.section	.AMDGPU.csdata,"",@progbits
; Kernel info:
; codeLenInByte = 20616
; NumSgprs: 96
; NumVgprs: 182
; ScratchSize: 0
; MemoryBound: 0
; FloatMode: 240
; IeeeMode: 1
; LDSByteSize: 0 bytes/workgroup (compile time only)
; SGPRBlocks: 11
; VGPRBlocks: 22
; NumSGPRsForWavesPerEU: 96
; NumVGPRsForWavesPerEU: 182
; Occupancy: 8
; WaveLimiterHint : 1
; COMPUTE_PGM_RSRC2:SCRATCH_EN: 0
; COMPUTE_PGM_RSRC2:USER_SGPR: 14
; COMPUTE_PGM_RSRC2:TRAP_HANDLER: 0
; COMPUTE_PGM_RSRC2:TGID_X_EN: 1
; COMPUTE_PGM_RSRC2:TGID_Y_EN: 1
; COMPUTE_PGM_RSRC2:TGID_Z_EN: 0
; COMPUTE_PGM_RSRC2:TIDIG_COMP_CNT: 0
	.section	.text._Z25selective_scan_fwd_kernelI32Selective_Scan_fwd_kernel_traitsILi128ELi16ELi1ELb0ELb1ELb1ELb0ELb0EfffEEv13SSMParamsBase,"axG",@progbits,_Z25selective_scan_fwd_kernelI32Selective_Scan_fwd_kernel_traitsILi128ELi16ELi1ELb0ELb1ELb1ELb0ELb0EfffEEv13SSMParamsBase,comdat
	.protected	_Z25selective_scan_fwd_kernelI32Selective_Scan_fwd_kernel_traitsILi128ELi16ELi1ELb0ELb1ELb1ELb0ELb0EfffEEv13SSMParamsBase ; -- Begin function _Z25selective_scan_fwd_kernelI32Selective_Scan_fwd_kernel_traitsILi128ELi16ELi1ELb0ELb1ELb1ELb0ELb0EfffEEv13SSMParamsBase
	.globl	_Z25selective_scan_fwd_kernelI32Selective_Scan_fwd_kernel_traitsILi128ELi16ELi1ELb0ELb1ELb1ELb0ELb0EfffEEv13SSMParamsBase
	.p2align	8
	.type	_Z25selective_scan_fwd_kernelI32Selective_Scan_fwd_kernel_traitsILi128ELi16ELi1ELb0ELb1ELb1ELb0ELb0EfffEEv13SSMParamsBase,@function
_Z25selective_scan_fwd_kernelI32Selective_Scan_fwd_kernel_traitsILi128ELi16ELi1ELb0ELb1ELb1ELb0ELb0EfffEEv13SSMParamsBase: ; @_Z25selective_scan_fwd_kernelI32Selective_Scan_fwd_kernel_traitsILi128ELi16ELi1ELb0ELb1ELb1ELb0ELb0EfffEEv13SSMParamsBase
; %bb.0:
	s_clause 0x1
	s_load_b32 s9, s[0:1], 0x18
	s_load_b128 s[4:7], s[0:1], 0xe8
	s_mov_b32 s12, s15
	s_mov_b32 s68, 0
	s_waitcnt lgkmcnt(0)
	s_abs_i32 s8, s9
	s_cmp_eq_u64 s[6:7], 0
	v_cvt_f32_u32_e32 v1, s8
	s_delay_alu instid0(VALU_DEP_1) | instskip(SKIP_2) | instid1(VALU_DEP_1)
	v_rcp_iflag_f32_e32 v1, v1
	s_waitcnt_depctr 0xfff
	v_mul_f32_e32 v1, 0x4f7ffffe, v1
	v_cvt_u32_f32_e32 v1, v1
	s_delay_alu instid0(VALU_DEP_1)
	v_readfirstlane_b32 s10, v1
	s_cbranch_scc1 .LBB159_2
; %bb.1:
	v_mov_b32_e32 v1, 0
	s_ashr_i32 s3, s14, 31
	s_add_u32 s2, s6, s14
	s_addc_u32 s3, s7, s3
	global_load_u8 v1, v1, s[2:3]
	s_waitcnt vmcnt(0)
	v_and_b32_e32 v1, 1, v1
	s_delay_alu instid0(VALU_DEP_1)
	v_cmp_eq_u32_e64 s68, 1, v1
.LBB159_2:
	s_load_b64 s[6:7], s[0:1], 0x20
	s_cmp_eq_u64 s[4:5], 0
	s_cbranch_scc1 .LBB159_4
; %bb.3:
	s_ashr_i32 s15, s14, 31
	s_delay_alu instid0(SALU_CYCLE_1) | instskip(NEXT) | instid1(SALU_CYCLE_1)
	s_lshl_b64 s[2:3], s[14:15], 2
	s_add_u32 s2, s4, s2
	s_addc_u32 s3, s5, s3
	s_load_b32 s2, s[2:3], 0x0
	s_waitcnt lgkmcnt(0)
	s_ashr_i32 s3, s2, 31
	s_delay_alu instid0(SALU_CYCLE_1)
	s_cmp_eq_u64 s[6:7], s[2:3]
	s_cbranch_scc0 .LBB159_5
	s_branch .LBB159_238
.LBB159_4:
	s_mov_b32 s2, s14
	s_delay_alu instid0(SALU_CYCLE_1)
	s_ashr_i32 s3, s2, 31
	s_waitcnt lgkmcnt(0)
	s_cmp_eq_u64 s[6:7], s[2:3]
	s_cbranch_scc1 .LBB159_238
.LBB159_5:
	s_clause 0x1
	s_load_b512 s[16:31], s[0:1], 0x88
	s_load_b64 s[64:65], s[0:1], 0x8
	s_mov_b32 s69, 0
	s_mov_b32 s70, 0
	s_waitcnt lgkmcnt(0)
	s_cmp_eq_u64 s[22:23], 0
	s_cbranch_scc1 .LBB159_7
; %bb.6:
	s_ashr_i32 s13, s12, 31
	s_delay_alu instid0(SALU_CYCLE_1) | instskip(NEXT) | instid1(SALU_CYCLE_1)
	s_lshl_b64 s[4:5], s[12:13], 2
	s_add_u32 s4, s22, s4
	s_addc_u32 s5, s23, s5
	s_load_b32 s70, s[4:5], 0x0
.LBB159_7:
	s_cmp_eq_u64 s[28:29], 0
	s_cbranch_scc1 .LBB159_9
; %bb.8:
	s_ashr_i32 s13, s12, 31
	s_delay_alu instid0(SALU_CYCLE_1) | instskip(NEXT) | instid1(SALU_CYCLE_1)
	s_lshl_b64 s[4:5], s[12:13], 2
	s_add_u32 s4, s28, s4
	s_addc_u32 s5, s29, s5
	s_load_b32 s69, s[4:5], 0x0
.LBB159_9:
	s_cmp_lt_i32 s64, 1
	s_cbranch_scc1 .LBB159_238
; %bb.10:
	s_sub_i32 s3, 0, s8
	s_clause 0x1
	s_load_b64 s[4:5], s[0:1], 0x5c
	s_load_b128 s[56:59], s[0:1], 0x4c
	s_mul_i32 s3, s3, s10
	s_abs_i32 s6, s12
	s_mul_hi_u32 s3, s10, s3
	s_ashr_i32 s9, s9, 31
	s_add_i32 s10, s10, s3
	s_ashr_i32 s3, s12, 31
	s_mul_hi_u32 s7, s6, s10
	s_xor_b32 s3, s3, s9
	s_mul_i32 s10, s7, s8
	s_add_i32 s9, s7, 1
	s_sub_i32 s6, s6, s10
	s_load_b256 s[48:55], s[0:1], 0x2c
	s_sub_i32 s10, s6, s8
	s_cmp_ge_u32 s6, s8
	s_mov_b32 s67, 0
	s_cselect_b32 s7, s9, s7
	s_cselect_b32 s6, s10, s6
	s_add_i32 s9, s7, 1
	s_cmp_ge_u32 s6, s8
	s_waitcnt lgkmcnt(0)
	s_mul_i32 s66, s58, s14
	s_cselect_b32 s6, s9, s7
	s_load_b128 s[60:63], s[0:1], 0x7c
	s_xor_b32 s8, s6, s3
	s_lshl_b64 s[6:7], s[66:67], 2
	s_sub_i32 s3, s8, s3
	s_mul_i32 s66, s59, s12
	s_add_u32 s8, s24, s6
	s_addc_u32 s9, s25, s7
	s_lshl_b64 s[6:7], s[66:67], 2
	s_mul_i32 s66, s4, s14
	s_add_u32 s71, s8, s6
	s_addc_u32 s72, s9, s7
	s_lshl_b64 s[6:7], s[66:67], 2
	;; [unrolled: 4-line block ×3, first 2 shown]
	s_mul_i32 s66, s48, s12
	s_add_u32 s73, s6, s4
	s_addc_u32 s74, s7, s5
	s_load_b64 s[6:7], s[0:1], 0xc8
	s_lshl_b64 s[4:5], s[66:67], 2
	v_dual_mov_b32 v37, 0 :: v_dual_lshlrev_b32 v34, 4, v0
	s_mul_i32 s66, s50, s14
	s_add_u32 s75, s16, s4
	s_waitcnt lgkmcnt(0)
	s_addc_u32 s63, s17, s5
	s_lshl_b64 s[4:5], s[66:67], 2
	s_mul_i32 s66, s3, s53
	s_clause 0x1
	s_load_b64 s[16:17], s[0:1], 0x6c
	s_load_b32 s0, s[0:1], 0x28
	s_add_u32 s8, s18, s4
	v_mbcnt_lo_u32_b32 v35, -1, 0
	v_and_b32_e32 v1, 0x600, v34
	s_addc_u32 s9, s19, s5
	s_lshl_b64 s[4:5], s[66:67], 2
	s_mul_i32 s66, s54, s14
	s_add_u32 s53, s8, s4
	s_addc_u32 s76, s9, s5
	s_lshl_b64 s[4:5], s[66:67], 2
	s_mul_i32 s66, s3, s57
	v_or_b32_e32 v36, v35, v1
	s_add_u32 s8, s20, s4
	s_addc_u32 s3, s21, s5
	s_lshl_b64 s[4:5], s[66:67], 2
	s_mul_i32 s66, s2, s60
	s_add_u32 s57, s8, s4
	s_addc_u32 s77, s3, s5
	s_lshl_b64 s[2:3], s[66:67], 2
	v_or_b32_e32 v38, 32, v36
	v_lshrrev_b32_e32 v2, 5, v1
	v_and_b32_e32 v14, 0x60, v0
	s_mul_i32 s66, s61, s12
	s_add_u32 s4, s6, s2
	s_addc_u32 s5, s7, s3
	s_lshl_b64 s[2:3], s[66:67], 2
	v_or_b32_e32 v39, 64, v36
	s_add_u32 s78, s4, s2
	v_or_b32_e32 v40, 0x60, v36
	v_or_b32_e32 v41, 0x80, v36
	;; [unrolled: 1-line block ×11, first 2 shown]
	v_add_nc_u32_e32 v2, v2, v36
	v_lshrrev_b32_e32 v3, 5, v38
	v_or_b32_e32 v51, 0x1c0, v36
	v_or_b32_e32 v52, 0x1e0, v36
	;; [unrolled: 1-line block ×3, first 2 shown]
	s_addc_u32 s79, s5, s3
	s_add_i32 s2, s64, 0x7ff
	v_lshrrev_b32_e32 v4, 5, v39
	s_lshr_b32 s80, s2, 11
	s_waitcnt lgkmcnt(0)
	s_bitcmp1_b32 s0, 0
	v_lshl_add_u32 v53, v2, 2, 0
	v_add_lshl_u32 v2, v3, v36, 2
	v_lshrrev_b32_e32 v3, 5, v40
	v_lshrrev_b32_e32 v5, 5, v41
	;; [unrolled: 1-line block ×13, first 2 shown]
	v_lshlrev_b32_e32 v19, 4, v17
	v_bfe_u32 v17, v17, 1, 27
	s_cselect_b32 s81, -1, 0
	s_cmp_gt_i32 s65, 0
	v_add_lshl_u32 v4, v4, v36, 2
	s_cselect_b32 s82, -1, 0
	s_add_i32 s0, 0, 0x2100
	v_add_nc_u32_e32 v54, 0, v2
	v_add_lshl_u32 v3, v3, v36, 2
	v_add_lshl_u32 v5, v5, v36, 2
	;; [unrolled: 1-line block ×14, first 2 shown]
	v_add_nc_u32_e32 v70, s0, v2
	v_and_b32_e32 v2, 15, v35
	s_and_b32 s1, s64, 0x7ff
	v_add_nc_u32_e32 v71, s0, v4
	v_add_nc_u32_e32 v72, s0, v3
	;; [unrolled: 1-line block ×14, first 2 shown]
	s_cmp_eq_u32 s1, 0
	v_add_nc_u32_e32 v85, s0, v17
	v_cmp_ne_u32_e64 s0, 0, v2
	v_cmp_lt_u32_e64 s1, 1, v2
	v_cmp_lt_u32_e64 s2, 3, v2
	v_cmp_lt_u32_e64 s3, 7, v2
	v_add_nc_u32_e32 v2, -1, v35
	v_add_nc_u32_e32 v56, 0, v3
	v_lshrrev_b32_e32 v3, 2, v0
	v_add_nc_u32_e32 v57, 0, v5
	v_or_b32_e32 v5, 31, v14
	v_cmp_gt_i32_e32 vcc_lo, 0, v2
	s_mul_i32 s66, s16, s14
	v_and_b32_e32 v3, 24, v3
	s_cselect_b32 s83, -1, 0
	s_lshl_b64 s[14:15], s[66:67], 2
	v_cndmask_b32_e32 v2, v2, v35, vcc_lo
	s_add_i32 s84, s80, -1
	s_mul_i32 s66, s17, s12
	v_cmp_eq_u32_e64 s5, v5, v0
	v_cmp_gt_u32_e64 s6, 4, v0
	v_lshl_add_u32 v87, v0, 3, 0
	v_cmp_gt_u32_e64 s9, 32, v0
	v_cmp_lt_u32_e64 s10, 31, v0
	v_cmp_eq_u32_e64 s11, 0, v0
	s_add_u32 s14, s30, s14
	v_lshlrev_b32_e32 v0, 2, v35
	s_addc_u32 s15, s31, s15
	s_lshl_b64 s[12:13], s[66:67], 2
	v_add_nc_u32_e32 v86, 0, v3
	v_and_b32_e32 v3, 3, v35
	s_add_u32 s12, s14, s12
	v_lshlrev_b32_e32 v88, 2, v2
	s_addc_u32 s13, s15, s13
	v_lshlrev_b32_e32 v2, 2, v1
	v_add_co_u32 v0, s12, s12, v0
	v_add_nc_u32_e32 v55, 0, v4
	v_and_b32_e32 v4, 16, v35
	v_cmp_ne_u32_e64 s7, 0, v3
	v_cmp_lt_u32_e64 s8, 1, v3
	v_add_co_ci_u32_e64 v3, null, s13, 0, s12
	v_add_co_u32 v89, vcc_lo, v0, v2
	v_add_nc_u32_e32 v58, 0, v6
	v_add_nc_u32_e32 v59, 0, v7
	;; [unrolled: 1-line block ×12, first 2 shown]
	v_cmp_ne_u32_e64 s4, 0, v4
	v_cmp_eq_u32_e64 s12, 0, v35
	v_add_co_ci_u32_e32 v90, vcc_lo, 0, v3, vcc_lo
	v_or_b32_e32 v91, 1, v34
	v_or_b32_e32 v92, 2, v34
	;; [unrolled: 1-line block ×15, first 2 shown]
	v_lshlrev_b32_e32 v106, 2, v1
	s_mov_b32 s85, 0x3e9b6dac
	s_add_i32 s86, 0, 0x4220
	s_mov_b32 s87, 0
	s_branch .LBB159_12
.LBB159_11:                             ;   in Loop: Header=BB159_12 Depth=1
	s_or_b32 exec_lo, exec_lo, s13
	s_add_u32 s73, s73, 0x2000
	s_addc_u32 s74, s74, 0
	s_add_u32 s71, s71, 0x2000
	s_addc_u32 s72, s72, 0
	;; [unrolled: 2-line block ×4, first 2 shown]
	s_add_i32 s87, s87, 1
	s_delay_alu instid0(SALU_CYCLE_1)
	s_cmp_eq_u32 s87, s80
	s_cbranch_scc1 .LBB159_238
.LBB159_12:                             ; =>This Loop Header: Depth=1
                                        ;     Child Loop BB159_109 Depth 2
	v_lshlrev_b32_e32 v32, 2, v35
	s_lshl_b32 s50, s87, 11
	s_waitcnt lgkmcnt(0)
	v_mov_b32_e32 v2, 0
	s_sub_i32 s41, s64, s50
	v_add_co_u32 v0, s13, s71, v32
	s_delay_alu instid0(VALU_DEP_1) | instskip(SKIP_1) | instid1(VALU_DEP_3)
	v_add_co_ci_u32_e64 v1, null, s72, 0, s13
	v_cmp_gt_u32_e64 s13, s41, v36
	v_add_co_u32 v0, vcc_lo, v0, v106
	s_delay_alu instid0(VALU_DEP_3)
	v_add_co_ci_u32_e32 v1, vcc_lo, 0, v1, vcc_lo
	s_waitcnt_vscnt null, 0x0
	s_barrier
	buffer_gl0_inv
	s_and_saveexec_b32 s14, s13
	s_cbranch_execz .LBB159_14
; %bb.13:                               ;   in Loop: Header=BB159_12 Depth=1
	global_load_b32 v2, v[0:1], off
.LBB159_14:                             ;   in Loop: Header=BB159_12 Depth=1
	s_or_b32 exec_lo, exec_lo, s14
	v_cmp_gt_u32_e64 s14, s41, v38
	v_dual_mov_b32 v3, 0 :: v_dual_mov_b32 v4, 0
	s_delay_alu instid0(VALU_DEP_2)
	s_and_saveexec_b32 s15, s14
	s_cbranch_execz .LBB159_16
; %bb.15:                               ;   in Loop: Header=BB159_12 Depth=1
	global_load_b32 v4, v[0:1], off offset:128
.LBB159_16:                             ;   in Loop: Header=BB159_12 Depth=1
	s_or_b32 exec_lo, exec_lo, s15
	v_cmp_gt_u32_e64 s15, s41, v39
	s_delay_alu instid0(VALU_DEP_1)
	s_and_saveexec_b32 s16, s15
	s_cbranch_execz .LBB159_18
; %bb.17:                               ;   in Loop: Header=BB159_12 Depth=1
	global_load_b32 v3, v[0:1], off offset:256
.LBB159_18:                             ;   in Loop: Header=BB159_12 Depth=1
	s_or_b32 exec_lo, exec_lo, s16
	v_cmp_gt_u32_e64 s16, s41, v40
	v_dual_mov_b32 v5, 0 :: v_dual_mov_b32 v6, 0
	s_delay_alu instid0(VALU_DEP_2)
	s_and_saveexec_b32 s17, s16
	s_cbranch_execz .LBB159_20
; %bb.19:                               ;   in Loop: Header=BB159_12 Depth=1
	global_load_b32 v6, v[0:1], off offset:384
.LBB159_20:                             ;   in Loop: Header=BB159_12 Depth=1
	s_or_b32 exec_lo, exec_lo, s17
	v_cmp_gt_u32_e64 s17, s41, v41
	s_delay_alu instid0(VALU_DEP_1)
	s_and_saveexec_b32 s18, s17
	s_cbranch_execz .LBB159_22
; %bb.21:                               ;   in Loop: Header=BB159_12 Depth=1
	global_load_b32 v5, v[0:1], off offset:512
.LBB159_22:                             ;   in Loop: Header=BB159_12 Depth=1
	;; [unrolled: 17-line block ×7, first 2 shown]
	s_or_b32 exec_lo, exec_lo, s28
	v_cmp_gt_u32_e64 s28, s41, v52
	v_dual_mov_b32 v18, 0 :: v_dual_mov_b32 v17, 0
	s_delay_alu instid0(VALU_DEP_2)
	s_and_saveexec_b32 s29, s28
	s_cbranch_execz .LBB159_44
; %bb.43:                               ;   in Loop: Header=BB159_12 Depth=1
	global_load_b32 v17, v[0:1], off offset:1920
.LBB159_44:                             ;   in Loop: Header=BB159_12 Depth=1
	s_or_b32 exec_lo, exec_lo, s29
	s_waitcnt vmcnt(0)
	ds_store_b32 v53, v2
	ds_store_b32 v54, v4 offset:128
	ds_store_b32 v55, v3 offset:256
	;; [unrolled: 1-line block ×15, first 2 shown]
	; wave barrier
	ds_load_2addr_b32 v[0:1], v69 offset1:1
	ds_load_2addr_b32 v[2:3], v69 offset0:2 offset1:3
	ds_load_2addr_b32 v[4:5], v69 offset0:4 offset1:5
	;; [unrolled: 1-line block ×7, first 2 shown]
	v_add_co_u32 v16, s29, s73, v32
	s_delay_alu instid0(VALU_DEP_1) | instskip(SKIP_1) | instid1(VALU_DEP_2)
	v_add_co_ci_u32_e64 v17, null, s74, 0, s29
	s_waitcnt lgkmcnt(0)
	v_add_co_u32 v16, vcc_lo, v16, v106
	s_delay_alu instid0(VALU_DEP_2)
	v_add_co_ci_u32_e32 v17, vcc_lo, 0, v17, vcc_lo
	s_barrier
	buffer_gl0_inv
	s_and_saveexec_b32 s29, s13
	s_cbranch_execz .LBB159_46
; %bb.45:                               ;   in Loop: Header=BB159_12 Depth=1
	global_load_b32 v18, v[16:17], off
.LBB159_46:                             ;   in Loop: Header=BB159_12 Depth=1
	s_or_b32 exec_lo, exec_lo, s29
	v_dual_mov_b32 v19, 0 :: v_dual_mov_b32 v20, 0
	s_and_saveexec_b32 s29, s14
	s_cbranch_execz .LBB159_48
; %bb.47:                               ;   in Loop: Header=BB159_12 Depth=1
	global_load_b32 v20, v[16:17], off offset:128
.LBB159_48:                             ;   in Loop: Header=BB159_12 Depth=1
	s_or_b32 exec_lo, exec_lo, s29
	s_and_saveexec_b32 s29, s15
	s_cbranch_execz .LBB159_50
; %bb.49:                               ;   in Loop: Header=BB159_12 Depth=1
	global_load_b32 v19, v[16:17], off offset:256
.LBB159_50:                             ;   in Loop: Header=BB159_12 Depth=1
	s_or_b32 exec_lo, exec_lo, s29
	v_dual_mov_b32 v21, 0 :: v_dual_mov_b32 v22, 0
	s_and_saveexec_b32 s29, s16
	s_cbranch_execz .LBB159_52
; %bb.51:                               ;   in Loop: Header=BB159_12 Depth=1
	global_load_b32 v22, v[16:17], off offset:384
.LBB159_52:                             ;   in Loop: Header=BB159_12 Depth=1
	s_or_b32 exec_lo, exec_lo, s29
	s_and_saveexec_b32 s29, s17
	s_cbranch_execz .LBB159_54
; %bb.53:                               ;   in Loop: Header=BB159_12 Depth=1
	global_load_b32 v21, v[16:17], off offset:512
.LBB159_54:                             ;   in Loop: Header=BB159_12 Depth=1
	s_or_b32 exec_lo, exec_lo, s29
	v_dual_mov_b32 v23, 0 :: v_dual_mov_b32 v24, 0
	s_and_saveexec_b32 s29, s18
	s_cbranch_execz .LBB159_56
; %bb.55:                               ;   in Loop: Header=BB159_12 Depth=1
	global_load_b32 v24, v[16:17], off offset:640
.LBB159_56:                             ;   in Loop: Header=BB159_12 Depth=1
	s_or_b32 exec_lo, exec_lo, s29
	s_and_saveexec_b32 s29, s19
	s_cbranch_execz .LBB159_58
; %bb.57:                               ;   in Loop: Header=BB159_12 Depth=1
	global_load_b32 v23, v[16:17], off offset:768
.LBB159_58:                             ;   in Loop: Header=BB159_12 Depth=1
	s_or_b32 exec_lo, exec_lo, s29
	v_dual_mov_b32 v25, 0 :: v_dual_mov_b32 v26, 0
	s_and_saveexec_b32 s29, s20
	s_cbranch_execz .LBB159_60
; %bb.59:                               ;   in Loop: Header=BB159_12 Depth=1
	global_load_b32 v26, v[16:17], off offset:896
.LBB159_60:                             ;   in Loop: Header=BB159_12 Depth=1
	s_or_b32 exec_lo, exec_lo, s29
	s_and_saveexec_b32 s29, s21
	s_cbranch_execz .LBB159_62
; %bb.61:                               ;   in Loop: Header=BB159_12 Depth=1
	global_load_b32 v25, v[16:17], off offset:1024
.LBB159_62:                             ;   in Loop: Header=BB159_12 Depth=1
	s_or_b32 exec_lo, exec_lo, s29
	v_dual_mov_b32 v27, 0 :: v_dual_mov_b32 v28, 0
	s_and_saveexec_b32 s29, s22
	s_cbranch_execz .LBB159_64
; %bb.63:                               ;   in Loop: Header=BB159_12 Depth=1
	global_load_b32 v28, v[16:17], off offset:1152
.LBB159_64:                             ;   in Loop: Header=BB159_12 Depth=1
	s_or_b32 exec_lo, exec_lo, s29
	s_and_saveexec_b32 s29, s23
	s_cbranch_execz .LBB159_66
; %bb.65:                               ;   in Loop: Header=BB159_12 Depth=1
	global_load_b32 v27, v[16:17], off offset:1280
.LBB159_66:                             ;   in Loop: Header=BB159_12 Depth=1
	s_or_b32 exec_lo, exec_lo, s29
	v_dual_mov_b32 v29, 0 :: v_dual_mov_b32 v30, 0
	s_and_saveexec_b32 s29, s24
	s_cbranch_execz .LBB159_68
; %bb.67:                               ;   in Loop: Header=BB159_12 Depth=1
	global_load_b32 v30, v[16:17], off offset:1408
.LBB159_68:                             ;   in Loop: Header=BB159_12 Depth=1
	s_or_b32 exec_lo, exec_lo, s29
	s_and_saveexec_b32 s29, s25
	s_cbranch_execz .LBB159_70
; %bb.69:                               ;   in Loop: Header=BB159_12 Depth=1
	global_load_b32 v29, v[16:17], off offset:1536
.LBB159_70:                             ;   in Loop: Header=BB159_12 Depth=1
	s_or_b32 exec_lo, exec_lo, s29
	v_mov_b32_e32 v31, 0
	v_mov_b32_e32 v33, 0
	s_and_saveexec_b32 s29, s26
	s_cbranch_execnz .LBB159_220
; %bb.71:                               ;   in Loop: Header=BB159_12 Depth=1
	s_or_b32 exec_lo, exec_lo, s29
	s_and_saveexec_b32 s29, s27
	s_cbranch_execnz .LBB159_221
.LBB159_72:                             ;   in Loop: Header=BB159_12 Depth=1
	s_or_b32 exec_lo, exec_lo, s29
	v_mov_b32_e32 v107, 0
	s_and_saveexec_b32 s29, s28
	s_cbranch_execz .LBB159_74
.LBB159_73:                             ;   in Loop: Header=BB159_12 Depth=1
	global_load_b32 v107, v[16:17], off offset:1920
.LBB159_74:                             ;   in Loop: Header=BB159_12 Depth=1
	s_or_b32 exec_lo, exec_lo, s29
	s_waitcnt vmcnt(0)
	ds_store_b32 v53, v18
	ds_store_b32 v54, v20 offset:128
	ds_store_b32 v55, v19 offset:256
	;; [unrolled: 1-line block ×15, first 2 shown]
	; wave barrier
	ds_load_2addr_b32 v[30:31], v69 offset1:1
	ds_load_2addr_b32 v[28:29], v69 offset0:2 offset1:3
	ds_load_2addr_b32 v[26:27], v69 offset0:4 offset1:5
	;; [unrolled: 1-line block ×7, first 2 shown]
	s_waitcnt lgkmcnt(7)
	v_add_f32_e32 v107, s69, v30
	s_delay_alu instid0(VALU_DEP_1) | instskip(SKIP_1) | instid1(SALU_CYCLE_1)
	v_cmp_ge_f32_e32 vcc_lo, 0x41a00000, v107
	s_and_b32 s29, s81, vcc_lo
	s_and_saveexec_b32 s30, s29
	s_cbranch_execz .LBB159_76
; %bb.75:                               ;   in Loop: Header=BB159_12 Depth=1
	v_mul_f32_e32 v30, 0x3fb8aa3b, v107
	v_cmp_ngt_f32_e32 vcc_lo, 0xc2ce8ed0, v107
	s_delay_alu instid0(VALU_DEP_2) | instskip(SKIP_1) | instid1(VALU_DEP_2)
	v_rndne_f32_e32 v33, v30
	v_fma_f32 v108, 0x3fb8aa3b, v107, -v30
	v_sub_f32_e32 v30, v30, v33
	s_delay_alu instid0(VALU_DEP_2) | instskip(SKIP_1) | instid1(VALU_DEP_2)
	v_fmac_f32_e32 v108, 0x32a5705f, v107
	v_cvt_i32_f32_e32 v33, v33
	v_add_f32_e32 v30, v30, v108
	s_delay_alu instid0(VALU_DEP_1) | instskip(SKIP_2) | instid1(VALU_DEP_1)
	v_exp_f32_e32 v30, v30
	s_waitcnt_depctr 0xfff
	v_ldexp_f32 v30, v30, v33
	v_cndmask_b32_e32 v30, 0, v30, vcc_lo
	v_cmp_nlt_f32_e32 vcc_lo, 0x42b17218, v107
	s_delay_alu instid0(VALU_DEP_2) | instskip(NEXT) | instid1(VALU_DEP_1)
	v_cndmask_b32_e32 v30, 0x7f800000, v30, vcc_lo
	v_add_f32_e32 v33, 1.0, v30
	s_delay_alu instid0(VALU_DEP_1) | instskip(NEXT) | instid1(VALU_DEP_1)
	v_cvt_f64_f32_e32 v[107:108], v33
	v_frexp_exp_i32_f64_e32 v107, v[107:108]
	v_frexp_mant_f32_e32 v108, v33
	s_delay_alu instid0(VALU_DEP_1) | instskip(SKIP_1) | instid1(VALU_DEP_1)
	v_cmp_gt_f32_e32 vcc_lo, 0x3f2aaaab, v108
	v_add_f32_e32 v108, -1.0, v33
	v_sub_f32_e32 v110, v108, v33
	v_sub_f32_e32 v108, v30, v108
	s_delay_alu instid0(VALU_DEP_2) | instskip(NEXT) | instid1(VALU_DEP_1)
	v_add_f32_e32 v110, 1.0, v110
	v_add_f32_e32 v108, v108, v110
	v_subrev_co_ci_u32_e32 v107, vcc_lo, 0, v107, vcc_lo
	s_delay_alu instid0(VALU_DEP_1) | instskip(SKIP_1) | instid1(VALU_DEP_2)
	v_sub_nc_u32_e32 v109, 0, v107
	v_cvt_f32_i32_e32 v107, v107
	v_ldexp_f32 v33, v33, v109
	v_ldexp_f32 v108, v108, v109
	s_delay_alu instid0(VALU_DEP_2) | instskip(NEXT) | instid1(VALU_DEP_1)
	v_add_f32_e32 v111, 1.0, v33
	v_dual_add_f32 v109, -1.0, v33 :: v_dual_add_f32 v110, -1.0, v111
	s_delay_alu instid0(VALU_DEP_1) | instskip(NEXT) | instid1(VALU_DEP_2)
	v_add_f32_e32 v112, 1.0, v109
	v_sub_f32_e32 v110, v33, v110
	s_delay_alu instid0(VALU_DEP_1) | instskip(NEXT) | instid1(VALU_DEP_1)
	v_dual_sub_f32 v33, v33, v112 :: v_dual_add_f32 v110, v108, v110
	v_dual_add_f32 v33, v108, v33 :: v_dual_add_f32 v112, v111, v110
	s_delay_alu instid0(VALU_DEP_1) | instskip(SKIP_2) | instid1(VALU_DEP_4)
	v_add_f32_e32 v113, v109, v33
	v_cmp_eq_f32_e32 vcc_lo, 0x7f800000, v30
	v_cmp_gt_f32_e64 s29, 0x33800000, v30
	v_rcp_f32_e32 v108, v112
	v_sub_f32_e32 v111, v111, v112
	v_sub_f32_e32 v109, v109, v113
	s_delay_alu instid0(VALU_DEP_3) | instskip(NEXT) | instid1(VALU_DEP_1)
	s_or_b32 vcc_lo, s29, vcc_lo
	v_dual_add_f32 v33, v33, v109 :: v_dual_add_f32 v110, v110, v111
	s_waitcnt_depctr 0xfff
	v_mul_f32_e32 v114, v113, v108
	s_delay_alu instid0(VALU_DEP_1) | instskip(NEXT) | instid1(VALU_DEP_1)
	v_mul_f32_e32 v115, v112, v114
	v_fma_f32 v111, v114, v112, -v115
	s_delay_alu instid0(VALU_DEP_1) | instskip(NEXT) | instid1(VALU_DEP_1)
	v_fmac_f32_e32 v111, v114, v110
	v_add_f32_e32 v116, v115, v111
	s_delay_alu instid0(VALU_DEP_1) | instskip(SKIP_1) | instid1(VALU_DEP_2)
	v_sub_f32_e32 v117, v113, v116
	v_sub_f32_e32 v109, v116, v115
	;; [unrolled: 1-line block ×3, first 2 shown]
	s_delay_alu instid0(VALU_DEP_2) | instskip(NEXT) | instid1(VALU_DEP_2)
	v_sub_f32_e32 v109, v109, v111
	v_sub_f32_e32 v113, v113, v116
	s_delay_alu instid0(VALU_DEP_1) | instskip(NEXT) | instid1(VALU_DEP_1)
	v_add_f32_e32 v33, v33, v113
	v_add_f32_e32 v33, v109, v33
	s_delay_alu instid0(VALU_DEP_1) | instskip(NEXT) | instid1(VALU_DEP_1)
	v_add_f32_e32 v109, v117, v33
	v_mul_f32_e32 v111, v108, v109
	s_delay_alu instid0(VALU_DEP_1) | instskip(NEXT) | instid1(VALU_DEP_1)
	v_mul_f32_e32 v113, v112, v111
	v_fma_f32 v112, v111, v112, -v113
	s_delay_alu instid0(VALU_DEP_1) | instskip(SKIP_1) | instid1(VALU_DEP_2)
	v_fmac_f32_e32 v112, v111, v110
	v_sub_f32_e32 v116, v117, v109
	v_add_f32_e32 v110, v113, v112
	s_delay_alu instid0(VALU_DEP_2) | instskip(NEXT) | instid1(VALU_DEP_2)
	v_add_f32_e32 v33, v33, v116
	v_sub_f32_e32 v115, v109, v110
	s_delay_alu instid0(VALU_DEP_1) | instskip(NEXT) | instid1(VALU_DEP_1)
	v_sub_f32_e32 v109, v109, v115
	v_sub_f32_e32 v109, v109, v110
	s_delay_alu instid0(VALU_DEP_1) | instskip(SKIP_2) | instid1(VALU_DEP_1)
	v_add_f32_e32 v33, v33, v109
	v_add_f32_e32 v109, v114, v111
	v_sub_f32_e32 v113, v110, v113
	v_sub_f32_e32 v110, v113, v112
	s_delay_alu instid0(VALU_DEP_1) | instskip(NEXT) | instid1(VALU_DEP_1)
	v_dual_add_f32 v33, v110, v33 :: v_dual_sub_f32 v110, v109, v114
	v_add_f32_e32 v33, v115, v33
	s_delay_alu instid0(VALU_DEP_1) | instskip(NEXT) | instid1(VALU_DEP_1)
	v_dual_sub_f32 v110, v111, v110 :: v_dual_mul_f32 v33, v108, v33
	v_add_f32_e32 v33, v110, v33
	s_delay_alu instid0(VALU_DEP_1) | instskip(NEXT) | instid1(VALU_DEP_1)
	v_add_f32_e32 v108, v109, v33
	v_mul_f32_e32 v110, v108, v108
	s_delay_alu instid0(VALU_DEP_1) | instskip(SKIP_1) | instid1(VALU_DEP_2)
	v_fmaak_f32 v111, s85, v110, 0x3ecc95a3
	v_mul_f32_e32 v112, v108, v110
	v_fmaak_f32 v110, v110, v111, 0x3f2aaada
	v_ldexp_f32 v111, v108, 1
	s_delay_alu instid0(VALU_DEP_2) | instskip(SKIP_1) | instid1(VALU_DEP_2)
	v_mul_f32_e32 v110, v112, v110
	v_sub_f32_e32 v108, v108, v109
	v_dual_mul_f32 v112, 0x3f317218, v107 :: v_dual_add_f32 v109, v111, v110
	s_delay_alu instid0(VALU_DEP_2) | instskip(NEXT) | instid1(VALU_DEP_2)
	v_sub_f32_e32 v33, v33, v108
	v_sub_f32_e32 v108, v109, v111
	s_delay_alu instid0(VALU_DEP_3) | instskip(NEXT) | instid1(VALU_DEP_3)
	v_fma_f32 v111, 0x3f317218, v107, -v112
	v_ldexp_f32 v33, v33, 1
	s_delay_alu instid0(VALU_DEP_2) | instskip(NEXT) | instid1(VALU_DEP_1)
	v_dual_sub_f32 v108, v110, v108 :: v_dual_fmac_f32 v111, 0xb102e308, v107
	v_add_f32_e32 v33, v33, v108
	s_delay_alu instid0(VALU_DEP_1) | instskip(NEXT) | instid1(VALU_DEP_1)
	v_dual_add_f32 v107, v112, v111 :: v_dual_add_f32 v108, v109, v33
	v_sub_f32_e32 v112, v107, v112
	s_delay_alu instid0(VALU_DEP_2) | instskip(NEXT) | instid1(VALU_DEP_2)
	v_dual_add_f32 v110, v107, v108 :: v_dual_sub_f32 v109, v108, v109
	v_sub_f32_e32 v111, v111, v112
	s_delay_alu instid0(VALU_DEP_2) | instskip(NEXT) | instid1(VALU_DEP_1)
	v_sub_f32_e32 v113, v110, v107
	v_sub_f32_e32 v114, v110, v113
	;; [unrolled: 1-line block ×4, first 2 shown]
	s_delay_alu instid0(VALU_DEP_1) | instskip(NEXT) | instid1(VALU_DEP_4)
	v_add_f32_e32 v109, v111, v33
	v_sub_f32_e32 v107, v107, v114
	s_delay_alu instid0(VALU_DEP_1) | instskip(NEXT) | instid1(VALU_DEP_3)
	v_add_f32_e32 v107, v108, v107
	v_sub_f32_e32 v108, v109, v111
	s_delay_alu instid0(VALU_DEP_2) | instskip(NEXT) | instid1(VALU_DEP_2)
	v_add_f32_e32 v107, v109, v107
	v_sub_f32_e32 v109, v109, v108
	s_delay_alu instid0(VALU_DEP_2) | instskip(NEXT) | instid1(VALU_DEP_1)
	v_dual_sub_f32 v33, v33, v108 :: v_dual_add_f32 v112, v110, v107
	v_dual_sub_f32 v108, v112, v110 :: v_dual_sub_f32 v109, v111, v109
	s_delay_alu instid0(VALU_DEP_1) | instskip(NEXT) | instid1(VALU_DEP_2)
	v_sub_f32_e32 v107, v107, v108
	v_add_f32_e32 v33, v33, v109
	s_delay_alu instid0(VALU_DEP_1) | instskip(NEXT) | instid1(VALU_DEP_1)
	v_add_f32_e32 v33, v33, v107
	v_add_f32_e32 v33, v112, v33
	s_delay_alu instid0(VALU_DEP_1)
	v_cndmask_b32_e32 v107, v33, v30, vcc_lo
.LBB159_76:                             ;   in Loop: Header=BB159_12 Depth=1
	s_or_b32 exec_lo, exec_lo, s30
	v_add_f32_e32 v108, s69, v31
	s_delay_alu instid0(VALU_DEP_1) | instskip(SKIP_1) | instid1(SALU_CYCLE_1)
	v_cmp_ge_f32_e32 vcc_lo, 0x41a00000, v108
	s_and_b32 s29, s81, vcc_lo
	s_and_saveexec_b32 s30, s29
	s_cbranch_execz .LBB159_78
; %bb.77:                               ;   in Loop: Header=BB159_12 Depth=1
	v_mul_f32_e32 v30, 0x3fb8aa3b, v108
	v_cmp_ngt_f32_e32 vcc_lo, 0xc2ce8ed0, v108
	s_delay_alu instid0(VALU_DEP_2) | instskip(SKIP_1) | instid1(VALU_DEP_1)
	v_rndne_f32_e32 v31, v30
	v_fma_f32 v33, 0x3fb8aa3b, v108, -v30
	v_dual_sub_f32 v30, v30, v31 :: v_dual_fmac_f32 v33, 0x32a5705f, v108
	v_cvt_i32_f32_e32 v31, v31
	s_delay_alu instid0(VALU_DEP_2) | instskip(NEXT) | instid1(VALU_DEP_1)
	v_add_f32_e32 v30, v30, v33
	v_exp_f32_e32 v30, v30
	s_waitcnt_depctr 0xfff
	v_ldexp_f32 v30, v30, v31
	s_delay_alu instid0(VALU_DEP_1) | instskip(SKIP_1) | instid1(VALU_DEP_2)
	v_cndmask_b32_e32 v30, 0, v30, vcc_lo
	v_cmp_nlt_f32_e32 vcc_lo, 0x42b17218, v108
	v_cndmask_b32_e32 v33, 0x7f800000, v30, vcc_lo
	s_delay_alu instid0(VALU_DEP_1) | instskip(NEXT) | instid1(VALU_DEP_1)
	v_add_f32_e32 v108, 1.0, v33
	v_cvt_f64_f32_e32 v[30:31], v108
	s_delay_alu instid0(VALU_DEP_1) | instskip(SKIP_1) | instid1(VALU_DEP_1)
	v_frexp_exp_i32_f64_e32 v30, v[30:31]
	v_frexp_mant_f32_e32 v31, v108
	v_cmp_gt_f32_e32 vcc_lo, 0x3f2aaaab, v31
	v_add_f32_e32 v31, -1.0, v108
	s_delay_alu instid0(VALU_DEP_1) | instskip(SKIP_1) | instid1(VALU_DEP_2)
	v_dual_sub_f32 v110, v31, v108 :: v_dual_sub_f32 v31, v33, v31
	v_cmp_gt_f32_e64 s29, 0x33800000, v33
	v_add_f32_e32 v110, 1.0, v110
	s_delay_alu instid0(VALU_DEP_1) | instskip(SKIP_2) | instid1(VALU_DEP_2)
	v_add_f32_e32 v31, v31, v110
	v_subrev_co_ci_u32_e32 v30, vcc_lo, 0, v30, vcc_lo
	v_cmp_eq_f32_e32 vcc_lo, 0x7f800000, v33
	v_sub_nc_u32_e32 v109, 0, v30
	v_cvt_f32_i32_e32 v30, v30
	s_or_b32 vcc_lo, s29, vcc_lo
	s_delay_alu instid0(VALU_DEP_2) | instskip(SKIP_1) | instid1(VALU_DEP_2)
	v_ldexp_f32 v108, v108, v109
	v_ldexp_f32 v31, v31, v109
	v_add_f32_e32 v109, -1.0, v108
	s_delay_alu instid0(VALU_DEP_1) | instskip(NEXT) | instid1(VALU_DEP_1)
	v_dual_add_f32 v111, 1.0, v108 :: v_dual_add_f32 v112, 1.0, v109
	v_add_f32_e32 v110, -1.0, v111
	s_delay_alu instid0(VALU_DEP_1) | instskip(NEXT) | instid1(VALU_DEP_3)
	v_sub_f32_e32 v110, v108, v110
	v_sub_f32_e32 v108, v108, v112
	s_delay_alu instid0(VALU_DEP_2) | instskip(NEXT) | instid1(VALU_DEP_2)
	v_add_f32_e32 v110, v31, v110
	v_add_f32_e32 v31, v31, v108
	s_delay_alu instid0(VALU_DEP_1) | instskip(NEXT) | instid1(VALU_DEP_1)
	v_dual_add_f32 v113, v109, v31 :: v_dual_add_f32 v112, v111, v110
	v_sub_f32_e32 v109, v109, v113
	s_delay_alu instid0(VALU_DEP_2) | instskip(SKIP_1) | instid1(VALU_DEP_1)
	v_rcp_f32_e32 v108, v112
	v_sub_f32_e32 v111, v111, v112
	v_dual_add_f32 v31, v31, v109 :: v_dual_add_f32 v110, v110, v111
	s_waitcnt_depctr 0xfff
	v_mul_f32_e32 v114, v113, v108
	s_delay_alu instid0(VALU_DEP_1) | instskip(NEXT) | instid1(VALU_DEP_1)
	v_mul_f32_e32 v115, v112, v114
	v_fma_f32 v111, v114, v112, -v115
	s_delay_alu instid0(VALU_DEP_1) | instskip(NEXT) | instid1(VALU_DEP_1)
	v_fmac_f32_e32 v111, v114, v110
	v_add_f32_e32 v116, v115, v111
	s_delay_alu instid0(VALU_DEP_1) | instskip(SKIP_1) | instid1(VALU_DEP_2)
	v_sub_f32_e32 v117, v113, v116
	v_sub_f32_e32 v109, v116, v115
	;; [unrolled: 1-line block ×3, first 2 shown]
	s_delay_alu instid0(VALU_DEP_2) | instskip(NEXT) | instid1(VALU_DEP_2)
	v_sub_f32_e32 v109, v109, v111
	v_sub_f32_e32 v113, v113, v116
	s_delay_alu instid0(VALU_DEP_1) | instskip(NEXT) | instid1(VALU_DEP_1)
	v_add_f32_e32 v31, v31, v113
	v_add_f32_e32 v31, v109, v31
	s_delay_alu instid0(VALU_DEP_1) | instskip(NEXT) | instid1(VALU_DEP_1)
	v_add_f32_e32 v109, v117, v31
	v_mul_f32_e32 v111, v108, v109
	s_delay_alu instid0(VALU_DEP_1) | instskip(NEXT) | instid1(VALU_DEP_1)
	v_dual_sub_f32 v116, v117, v109 :: v_dual_mul_f32 v113, v112, v111
	v_add_f32_e32 v31, v31, v116
	s_delay_alu instid0(VALU_DEP_2) | instskip(NEXT) | instid1(VALU_DEP_1)
	v_fma_f32 v112, v111, v112, -v113
	v_fmac_f32_e32 v112, v111, v110
	s_delay_alu instid0(VALU_DEP_1) | instskip(NEXT) | instid1(VALU_DEP_1)
	v_add_f32_e32 v110, v113, v112
	v_sub_f32_e32 v115, v109, v110
	s_delay_alu instid0(VALU_DEP_1) | instskip(NEXT) | instid1(VALU_DEP_1)
	v_sub_f32_e32 v109, v109, v115
	v_sub_f32_e32 v109, v109, v110
	s_delay_alu instid0(VALU_DEP_1) | instskip(SKIP_2) | instid1(VALU_DEP_1)
	v_add_f32_e32 v31, v31, v109
	v_add_f32_e32 v109, v114, v111
	v_sub_f32_e32 v113, v110, v113
	v_sub_f32_e32 v110, v113, v112
	s_delay_alu instid0(VALU_DEP_1) | instskip(NEXT) | instid1(VALU_DEP_1)
	v_dual_add_f32 v31, v110, v31 :: v_dual_sub_f32 v110, v109, v114
	v_add_f32_e32 v31, v115, v31
	s_delay_alu instid0(VALU_DEP_1) | instskip(NEXT) | instid1(VALU_DEP_1)
	v_dual_sub_f32 v110, v111, v110 :: v_dual_mul_f32 v31, v108, v31
	v_add_f32_e32 v31, v110, v31
	s_delay_alu instid0(VALU_DEP_1) | instskip(NEXT) | instid1(VALU_DEP_1)
	v_add_f32_e32 v108, v109, v31
	v_mul_f32_e32 v110, v108, v108
	s_delay_alu instid0(VALU_DEP_1) | instskip(SKIP_1) | instid1(VALU_DEP_2)
	v_fmaak_f32 v111, s85, v110, 0x3ecc95a3
	v_mul_f32_e32 v112, v108, v110
	v_fmaak_f32 v110, v110, v111, 0x3f2aaada
	v_ldexp_f32 v111, v108, 1
	v_sub_f32_e32 v108, v108, v109
	s_delay_alu instid0(VALU_DEP_3) | instskip(NEXT) | instid1(VALU_DEP_2)
	v_mul_f32_e32 v110, v112, v110
	v_dual_mul_f32 v112, 0x3f317218, v30 :: v_dual_sub_f32 v31, v31, v108
	s_delay_alu instid0(VALU_DEP_2) | instskip(NEXT) | instid1(VALU_DEP_2)
	v_add_f32_e32 v109, v111, v110
	v_ldexp_f32 v31, v31, 1
	s_delay_alu instid0(VALU_DEP_2) | instskip(NEXT) | instid1(VALU_DEP_4)
	v_sub_f32_e32 v108, v109, v111
	v_fma_f32 v111, 0x3f317218, v30, -v112
	s_delay_alu instid0(VALU_DEP_1) | instskip(NEXT) | instid1(VALU_DEP_1)
	v_dual_sub_f32 v108, v110, v108 :: v_dual_fmac_f32 v111, 0xb102e308, v30
	v_add_f32_e32 v30, v31, v108
	s_delay_alu instid0(VALU_DEP_1) | instskip(NEXT) | instid1(VALU_DEP_1)
	v_add_f32_e32 v108, v109, v30
	v_sub_f32_e32 v109, v108, v109
	s_delay_alu instid0(VALU_DEP_1) | instskip(NEXT) | instid1(VALU_DEP_1)
	v_dual_sub_f32 v30, v30, v109 :: v_dual_add_f32 v31, v112, v111
	v_add_f32_e32 v110, v31, v108
	s_delay_alu instid0(VALU_DEP_1) | instskip(NEXT) | instid1(VALU_DEP_1)
	v_dual_sub_f32 v112, v31, v112 :: v_dual_sub_f32 v113, v110, v31
	v_dual_sub_f32 v111, v111, v112 :: v_dual_sub_f32 v114, v110, v113
	s_delay_alu instid0(VALU_DEP_1) | instskip(NEXT) | instid1(VALU_DEP_2)
	v_dual_sub_f32 v108, v108, v113 :: v_dual_add_f32 v109, v111, v30
	v_sub_f32_e32 v31, v31, v114
	s_delay_alu instid0(VALU_DEP_1) | instskip(NEXT) | instid1(VALU_DEP_3)
	v_add_f32_e32 v31, v108, v31
	v_sub_f32_e32 v108, v109, v111
	s_delay_alu instid0(VALU_DEP_2) | instskip(NEXT) | instid1(VALU_DEP_2)
	v_add_f32_e32 v31, v109, v31
	v_sub_f32_e32 v109, v109, v108
	v_sub_f32_e32 v30, v30, v108
	s_delay_alu instid0(VALU_DEP_2) | instskip(NEXT) | instid1(VALU_DEP_1)
	v_dual_add_f32 v112, v110, v31 :: v_dual_sub_f32 v109, v111, v109
	v_sub_f32_e32 v108, v112, v110
	s_delay_alu instid0(VALU_DEP_1) | instskip(NEXT) | instid1(VALU_DEP_1)
	v_dual_add_f32 v30, v30, v109 :: v_dual_sub_f32 v31, v31, v108
	v_add_f32_e32 v30, v30, v31
	s_delay_alu instid0(VALU_DEP_1) | instskip(NEXT) | instid1(VALU_DEP_1)
	v_add_f32_e32 v30, v112, v30
	v_cndmask_b32_e32 v108, v30, v33, vcc_lo
.LBB159_78:                             ;   in Loop: Header=BB159_12 Depth=1
	s_or_b32 exec_lo, exec_lo, s30
	s_waitcnt lgkmcnt(6)
	v_add_f32_e32 v109, s69, v28
	s_delay_alu instid0(VALU_DEP_1) | instskip(SKIP_1) | instid1(SALU_CYCLE_1)
	v_cmp_ge_f32_e32 vcc_lo, 0x41a00000, v109
	s_and_b32 s29, s81, vcc_lo
	s_and_saveexec_b32 s30, s29
	s_cbranch_execz .LBB159_80
; %bb.79:                               ;   in Loop: Header=BB159_12 Depth=1
	v_mul_f32_e32 v28, 0x3fb8aa3b, v109
	v_cmp_ngt_f32_e32 vcc_lo, 0xc2ce8ed0, v109
	s_delay_alu instid0(VALU_DEP_2) | instskip(SKIP_1) | instid1(VALU_DEP_1)
	v_rndne_f32_e32 v30, v28
	v_fma_f32 v31, 0x3fb8aa3b, v109, -v28
	v_dual_sub_f32 v28, v28, v30 :: v_dual_fmac_f32 v31, 0x32a5705f, v109
	v_cvt_i32_f32_e32 v30, v30
	s_delay_alu instid0(VALU_DEP_2) | instskip(NEXT) | instid1(VALU_DEP_1)
	v_add_f32_e32 v28, v28, v31
	v_exp_f32_e32 v28, v28
	s_waitcnt_depctr 0xfff
	v_ldexp_f32 v28, v28, v30
	s_delay_alu instid0(VALU_DEP_1) | instskip(SKIP_1) | instid1(VALU_DEP_2)
	v_cndmask_b32_e32 v28, 0, v28, vcc_lo
	v_cmp_nlt_f32_e32 vcc_lo, 0x42b17218, v109
	v_cndmask_b32_e32 v28, 0x7f800000, v28, vcc_lo
	s_delay_alu instid0(VALU_DEP_1) | instskip(NEXT) | instid1(VALU_DEP_1)
	v_add_f32_e32 v33, 1.0, v28
	v_cvt_f64_f32_e32 v[30:31], v33
	s_delay_alu instid0(VALU_DEP_1) | instskip(SKIP_1) | instid1(VALU_DEP_1)
	v_frexp_exp_i32_f64_e32 v30, v[30:31]
	v_frexp_mant_f32_e32 v31, v33
	v_cmp_gt_f32_e32 vcc_lo, 0x3f2aaaab, v31
	v_add_f32_e32 v31, -1.0, v33
	s_delay_alu instid0(VALU_DEP_1) | instskip(NEXT) | instid1(VALU_DEP_1)
	v_dual_sub_f32 v110, v31, v33 :: v_dual_sub_f32 v31, v28, v31
	v_add_f32_e32 v110, 1.0, v110
	s_delay_alu instid0(VALU_DEP_1) | instskip(SKIP_1) | instid1(VALU_DEP_1)
	v_add_f32_e32 v31, v31, v110
	v_subrev_co_ci_u32_e32 v30, vcc_lo, 0, v30, vcc_lo
	v_sub_nc_u32_e32 v109, 0, v30
	v_cvt_f32_i32_e32 v30, v30
	s_delay_alu instid0(VALU_DEP_2) | instskip(SKIP_1) | instid1(VALU_DEP_2)
	v_ldexp_f32 v33, v33, v109
	v_ldexp_f32 v31, v31, v109
	v_add_f32_e32 v111, 1.0, v33
	v_add_f32_e32 v109, -1.0, v33
	v_cmp_eq_f32_e32 vcc_lo, 0x7f800000, v28
	v_cmp_gt_f32_e64 s29, 0x33800000, v28
	s_delay_alu instid0(VALU_DEP_3) | instskip(SKIP_1) | instid1(VALU_DEP_3)
	v_add_f32_e32 v112, 1.0, v109
	v_add_f32_e32 v110, -1.0, v111
	s_or_b32 vcc_lo, s29, vcc_lo
	s_delay_alu instid0(VALU_DEP_1) | instskip(NEXT) | instid1(VALU_DEP_1)
	v_sub_f32_e32 v110, v33, v110
	v_dual_sub_f32 v33, v33, v112 :: v_dual_add_f32 v110, v31, v110
	s_delay_alu instid0(VALU_DEP_1) | instskip(NEXT) | instid1(VALU_DEP_1)
	v_add_f32_e32 v31, v31, v33
	v_dual_add_f32 v113, v109, v31 :: v_dual_add_f32 v112, v111, v110
	s_delay_alu instid0(VALU_DEP_1) | instskip(NEXT) | instid1(VALU_DEP_2)
	v_sub_f32_e32 v109, v109, v113
	v_rcp_f32_e32 v33, v112
	v_sub_f32_e32 v111, v111, v112
	s_delay_alu instid0(VALU_DEP_1) | instskip(SKIP_2) | instid1(VALU_DEP_1)
	v_dual_add_f32 v31, v31, v109 :: v_dual_add_f32 v110, v110, v111
	s_waitcnt_depctr 0xfff
	v_mul_f32_e32 v114, v113, v33
	v_mul_f32_e32 v115, v112, v114
	s_delay_alu instid0(VALU_DEP_1) | instskip(NEXT) | instid1(VALU_DEP_1)
	v_fma_f32 v111, v114, v112, -v115
	v_fmac_f32_e32 v111, v114, v110
	s_delay_alu instid0(VALU_DEP_1) | instskip(NEXT) | instid1(VALU_DEP_1)
	v_add_f32_e32 v116, v115, v111
	v_sub_f32_e32 v117, v113, v116
	s_delay_alu instid0(VALU_DEP_1) | instskip(SKIP_1) | instid1(VALU_DEP_2)
	v_sub_f32_e32 v113, v113, v117
	v_sub_f32_e32 v109, v116, v115
	;; [unrolled: 1-line block ×3, first 2 shown]
	s_delay_alu instid0(VALU_DEP_2) | instskip(NEXT) | instid1(VALU_DEP_2)
	v_sub_f32_e32 v109, v109, v111
	v_add_f32_e32 v31, v31, v113
	s_delay_alu instid0(VALU_DEP_1) | instskip(NEXT) | instid1(VALU_DEP_1)
	v_add_f32_e32 v31, v109, v31
	v_add_f32_e32 v109, v117, v31
	s_delay_alu instid0(VALU_DEP_1) | instskip(NEXT) | instid1(VALU_DEP_1)
	v_mul_f32_e32 v111, v33, v109
	v_dual_sub_f32 v116, v117, v109 :: v_dual_mul_f32 v113, v112, v111
	s_delay_alu instid0(VALU_DEP_1) | instskip(NEXT) | instid1(VALU_DEP_2)
	v_add_f32_e32 v31, v31, v116
	v_fma_f32 v112, v111, v112, -v113
	s_delay_alu instid0(VALU_DEP_1) | instskip(NEXT) | instid1(VALU_DEP_1)
	v_fmac_f32_e32 v112, v111, v110
	v_add_f32_e32 v110, v113, v112
	s_delay_alu instid0(VALU_DEP_1) | instskip(SKIP_1) | instid1(VALU_DEP_2)
	v_sub_f32_e32 v115, v109, v110
	v_sub_f32_e32 v113, v110, v113
	;; [unrolled: 1-line block ×3, first 2 shown]
	s_delay_alu instid0(VALU_DEP_1) | instskip(NEXT) | instid1(VALU_DEP_1)
	v_sub_f32_e32 v109, v109, v110
	v_dual_sub_f32 v110, v113, v112 :: v_dual_add_f32 v31, v31, v109
	v_add_f32_e32 v109, v114, v111
	s_delay_alu instid0(VALU_DEP_1) | instskip(NEXT) | instid1(VALU_DEP_1)
	v_dual_add_f32 v31, v110, v31 :: v_dual_sub_f32 v110, v109, v114
	v_add_f32_e32 v31, v115, v31
	s_delay_alu instid0(VALU_DEP_1) | instskip(NEXT) | instid1(VALU_DEP_1)
	v_dual_sub_f32 v110, v111, v110 :: v_dual_mul_f32 v31, v33, v31
	v_add_f32_e32 v31, v110, v31
	s_delay_alu instid0(VALU_DEP_1) | instskip(NEXT) | instid1(VALU_DEP_1)
	v_add_f32_e32 v33, v109, v31
	v_mul_f32_e32 v110, v33, v33
	s_delay_alu instid0(VALU_DEP_1) | instskip(SKIP_1) | instid1(VALU_DEP_2)
	v_fmaak_f32 v111, s85, v110, 0x3ecc95a3
	v_mul_f32_e32 v112, v33, v110
	v_fmaak_f32 v110, v110, v111, 0x3f2aaada
	v_ldexp_f32 v111, v33, 1
	s_delay_alu instid0(VALU_DEP_2) | instskip(NEXT) | instid1(VALU_DEP_1)
	v_dual_sub_f32 v33, v33, v109 :: v_dual_mul_f32 v110, v112, v110
	v_dual_mul_f32 v112, 0x3f317218, v30 :: v_dual_sub_f32 v31, v31, v33
	s_delay_alu instid0(VALU_DEP_2) | instskip(NEXT) | instid1(VALU_DEP_2)
	v_add_f32_e32 v109, v111, v110
	v_ldexp_f32 v31, v31, 1
	s_delay_alu instid0(VALU_DEP_2) | instskip(NEXT) | instid1(VALU_DEP_4)
	v_sub_f32_e32 v33, v109, v111
	v_fma_f32 v111, 0x3f317218, v30, -v112
	s_delay_alu instid0(VALU_DEP_2) | instskip(NEXT) | instid1(VALU_DEP_1)
	v_sub_f32_e32 v33, v110, v33
	v_dual_fmac_f32 v111, 0xb102e308, v30 :: v_dual_add_f32 v30, v31, v33
	s_delay_alu instid0(VALU_DEP_1) | instskip(NEXT) | instid1(VALU_DEP_1)
	v_add_f32_e32 v31, v112, v111
	v_dual_add_f32 v33, v109, v30 :: v_dual_sub_f32 v112, v31, v112
	s_delay_alu instid0(VALU_DEP_1) | instskip(SKIP_1) | instid1(VALU_DEP_3)
	v_add_f32_e32 v110, v31, v33
	v_sub_f32_e32 v109, v33, v109
	v_sub_f32_e32 v111, v111, v112
	s_delay_alu instid0(VALU_DEP_3) | instskip(NEXT) | instid1(VALU_DEP_3)
	v_sub_f32_e32 v113, v110, v31
	v_sub_f32_e32 v30, v30, v109
	s_delay_alu instid0(VALU_DEP_2) | instskip(SKIP_1) | instid1(VALU_DEP_3)
	v_sub_f32_e32 v114, v110, v113
	v_sub_f32_e32 v33, v33, v113
	v_add_f32_e32 v109, v111, v30
	s_delay_alu instid0(VALU_DEP_3) | instskip(NEXT) | instid1(VALU_DEP_1)
	v_sub_f32_e32 v31, v31, v114
	v_add_f32_e32 v31, v33, v31
	s_delay_alu instid0(VALU_DEP_3) | instskip(NEXT) | instid1(VALU_DEP_2)
	v_sub_f32_e32 v33, v109, v111
	v_add_f32_e32 v31, v109, v31
	s_delay_alu instid0(VALU_DEP_2) | instskip(SKIP_1) | instid1(VALU_DEP_2)
	v_sub_f32_e32 v109, v109, v33
	v_sub_f32_e32 v30, v30, v33
	v_dual_add_f32 v112, v110, v31 :: v_dual_sub_f32 v109, v111, v109
	s_delay_alu instid0(VALU_DEP_1) | instskip(NEXT) | instid1(VALU_DEP_1)
	v_dual_sub_f32 v33, v112, v110 :: v_dual_add_f32 v30, v30, v109
	v_sub_f32_e32 v31, v31, v33
	s_delay_alu instid0(VALU_DEP_1) | instskip(NEXT) | instid1(VALU_DEP_1)
	v_add_f32_e32 v30, v30, v31
	v_add_f32_e32 v30, v112, v30
	s_delay_alu instid0(VALU_DEP_1)
	v_cndmask_b32_e32 v109, v30, v28, vcc_lo
.LBB159_80:                             ;   in Loop: Header=BB159_12 Depth=1
	s_or_b32 exec_lo, exec_lo, s30
	v_add_f32_e32 v110, s69, v29
	s_delay_alu instid0(VALU_DEP_1) | instskip(SKIP_1) | instid1(SALU_CYCLE_1)
	v_cmp_ge_f32_e32 vcc_lo, 0x41a00000, v110
	s_and_b32 s29, s81, vcc_lo
	s_and_saveexec_b32 s30, s29
	s_cbranch_execz .LBB159_82
; %bb.81:                               ;   in Loop: Header=BB159_12 Depth=1
	v_mul_f32_e32 v28, 0x3fb8aa3b, v110
	v_cmp_ngt_f32_e32 vcc_lo, 0xc2ce8ed0, v110
	s_delay_alu instid0(VALU_DEP_2) | instskip(SKIP_1) | instid1(VALU_DEP_2)
	v_rndne_f32_e32 v29, v28
	v_fma_f32 v30, 0x3fb8aa3b, v110, -v28
	v_sub_f32_e32 v28, v28, v29
	s_delay_alu instid0(VALU_DEP_2) | instskip(SKIP_1) | instid1(VALU_DEP_2)
	v_fmac_f32_e32 v30, 0x32a5705f, v110
	v_cvt_i32_f32_e32 v29, v29
	v_add_f32_e32 v28, v28, v30
	s_delay_alu instid0(VALU_DEP_1) | instskip(SKIP_2) | instid1(VALU_DEP_1)
	v_exp_f32_e32 v28, v28
	s_waitcnt_depctr 0xfff
	v_ldexp_f32 v28, v28, v29
	v_cndmask_b32_e32 v28, 0, v28, vcc_lo
	v_cmp_nlt_f32_e32 vcc_lo, 0x42b17218, v110
	s_delay_alu instid0(VALU_DEP_2) | instskip(NEXT) | instid1(VALU_DEP_1)
	v_cndmask_b32_e32 v30, 0x7f800000, v28, vcc_lo
	v_add_f32_e32 v31, 1.0, v30
	s_delay_alu instid0(VALU_DEP_1) | instskip(NEXT) | instid1(VALU_DEP_1)
	v_cvt_f64_f32_e32 v[28:29], v31
	v_frexp_exp_i32_f64_e32 v28, v[28:29]
	v_frexp_mant_f32_e32 v29, v31
	s_delay_alu instid0(VALU_DEP_1) | instskip(SKIP_1) | instid1(VALU_DEP_1)
	v_cmp_gt_f32_e32 vcc_lo, 0x3f2aaaab, v29
	v_add_f32_e32 v29, -1.0, v31
	v_dual_sub_f32 v110, v29, v31 :: v_dual_sub_f32 v29, v30, v29
	s_delay_alu instid0(VALU_DEP_1) | instskip(NEXT) | instid1(VALU_DEP_1)
	v_add_f32_e32 v110, 1.0, v110
	v_add_f32_e32 v29, v29, v110
	v_subrev_co_ci_u32_e32 v28, vcc_lo, 0, v28, vcc_lo
	s_delay_alu instid0(VALU_DEP_1) | instskip(SKIP_1) | instid1(VALU_DEP_2)
	v_sub_nc_u32_e32 v33, 0, v28
	v_cvt_f32_i32_e32 v28, v28
	v_ldexp_f32 v31, v31, v33
	v_ldexp_f32 v29, v29, v33
	s_delay_alu instid0(VALU_DEP_2) | instskip(SKIP_3) | instid1(VALU_DEP_4)
	v_add_f32_e32 v111, 1.0, v31
	v_add_f32_e32 v33, -1.0, v31
	v_cmp_eq_f32_e32 vcc_lo, 0x7f800000, v30
	v_cmp_gt_f32_e64 s29, 0x33800000, v30
	v_add_f32_e32 v110, -1.0, v111
	s_delay_alu instid0(VALU_DEP_4) | instskip(NEXT) | instid1(VALU_DEP_3)
	v_add_f32_e32 v112, 1.0, v33
	s_or_b32 vcc_lo, s29, vcc_lo
	s_delay_alu instid0(VALU_DEP_2) | instskip(NEXT) | instid1(VALU_DEP_1)
	v_sub_f32_e32 v110, v31, v110
	v_dual_sub_f32 v31, v31, v112 :: v_dual_add_f32 v110, v29, v110
	s_delay_alu instid0(VALU_DEP_1) | instskip(NEXT) | instid1(VALU_DEP_1)
	v_add_f32_e32 v29, v29, v31
	v_dual_add_f32 v113, v33, v29 :: v_dual_add_f32 v112, v111, v110
	s_delay_alu instid0(VALU_DEP_1) | instskip(NEXT) | instid1(VALU_DEP_2)
	v_sub_f32_e32 v33, v33, v113
	v_rcp_f32_e32 v31, v112
	v_sub_f32_e32 v111, v111, v112
	s_delay_alu instid0(VALU_DEP_1) | instskip(SKIP_2) | instid1(VALU_DEP_1)
	v_dual_add_f32 v110, v110, v111 :: v_dual_add_f32 v29, v29, v33
	s_waitcnt_depctr 0xfff
	v_mul_f32_e32 v114, v113, v31
	v_mul_f32_e32 v115, v112, v114
	s_delay_alu instid0(VALU_DEP_1) | instskip(NEXT) | instid1(VALU_DEP_1)
	v_fma_f32 v111, v114, v112, -v115
	v_fmac_f32_e32 v111, v114, v110
	s_delay_alu instid0(VALU_DEP_1) | instskip(NEXT) | instid1(VALU_DEP_1)
	v_add_f32_e32 v116, v115, v111
	v_sub_f32_e32 v117, v113, v116
	s_delay_alu instid0(VALU_DEP_1) | instskip(SKIP_1) | instid1(VALU_DEP_2)
	v_sub_f32_e32 v113, v113, v117
	v_sub_f32_e32 v33, v116, v115
	v_sub_f32_e32 v113, v113, v116
	s_delay_alu instid0(VALU_DEP_2) | instskip(NEXT) | instid1(VALU_DEP_2)
	v_sub_f32_e32 v33, v33, v111
	v_add_f32_e32 v29, v29, v113
	s_delay_alu instid0(VALU_DEP_1) | instskip(NEXT) | instid1(VALU_DEP_1)
	v_add_f32_e32 v29, v33, v29
	v_add_f32_e32 v33, v117, v29
	s_delay_alu instid0(VALU_DEP_1) | instskip(NEXT) | instid1(VALU_DEP_1)
	v_mul_f32_e32 v111, v31, v33
	v_dual_sub_f32 v116, v117, v33 :: v_dual_mul_f32 v113, v112, v111
	s_delay_alu instid0(VALU_DEP_1) | instskip(NEXT) | instid1(VALU_DEP_2)
	v_add_f32_e32 v29, v29, v116
	v_fma_f32 v112, v111, v112, -v113
	s_delay_alu instid0(VALU_DEP_1) | instskip(NEXT) | instid1(VALU_DEP_1)
	v_fmac_f32_e32 v112, v111, v110
	v_add_f32_e32 v110, v113, v112
	s_delay_alu instid0(VALU_DEP_1) | instskip(NEXT) | instid1(VALU_DEP_1)
	v_sub_f32_e32 v115, v33, v110
	v_sub_f32_e32 v33, v33, v115
	s_delay_alu instid0(VALU_DEP_1) | instskip(NEXT) | instid1(VALU_DEP_1)
	v_sub_f32_e32 v33, v33, v110
	v_add_f32_e32 v29, v29, v33
	v_add_f32_e32 v33, v114, v111
	v_sub_f32_e32 v113, v110, v113
	s_delay_alu instid0(VALU_DEP_1) | instskip(NEXT) | instid1(VALU_DEP_1)
	v_sub_f32_e32 v110, v113, v112
	v_dual_add_f32 v29, v110, v29 :: v_dual_sub_f32 v110, v33, v114
	s_delay_alu instid0(VALU_DEP_1) | instskip(NEXT) | instid1(VALU_DEP_2)
	v_add_f32_e32 v29, v115, v29
	v_sub_f32_e32 v110, v111, v110
	s_delay_alu instid0(VALU_DEP_2) | instskip(NEXT) | instid1(VALU_DEP_1)
	v_mul_f32_e32 v29, v31, v29
	v_add_f32_e32 v29, v110, v29
	s_delay_alu instid0(VALU_DEP_1) | instskip(NEXT) | instid1(VALU_DEP_1)
	v_add_f32_e32 v31, v33, v29
	v_mul_f32_e32 v110, v31, v31
	s_delay_alu instid0(VALU_DEP_1) | instskip(SKIP_1) | instid1(VALU_DEP_2)
	v_fmaak_f32 v111, s85, v110, 0x3ecc95a3
	v_mul_f32_e32 v112, v31, v110
	v_fmaak_f32 v110, v110, v111, 0x3f2aaada
	v_ldexp_f32 v111, v31, 1
	s_delay_alu instid0(VALU_DEP_2) | instskip(NEXT) | instid1(VALU_DEP_1)
	v_dual_sub_f32 v31, v31, v33 :: v_dual_mul_f32 v110, v112, v110
	v_dual_mul_f32 v112, 0x3f317218, v28 :: v_dual_sub_f32 v29, v29, v31
	s_delay_alu instid0(VALU_DEP_2) | instskip(NEXT) | instid1(VALU_DEP_2)
	v_add_f32_e32 v33, v111, v110
	v_ldexp_f32 v29, v29, 1
	s_delay_alu instid0(VALU_DEP_2) | instskip(NEXT) | instid1(VALU_DEP_4)
	v_sub_f32_e32 v31, v33, v111
	v_fma_f32 v111, 0x3f317218, v28, -v112
	s_delay_alu instid0(VALU_DEP_2) | instskip(NEXT) | instid1(VALU_DEP_1)
	v_sub_f32_e32 v31, v110, v31
	v_dual_fmac_f32 v111, 0xb102e308, v28 :: v_dual_add_f32 v28, v29, v31
	s_delay_alu instid0(VALU_DEP_1) | instskip(NEXT) | instid1(VALU_DEP_2)
	v_add_f32_e32 v29, v112, v111
	v_add_f32_e32 v31, v33, v28
	s_delay_alu instid0(VALU_DEP_2) | instskip(NEXT) | instid1(VALU_DEP_2)
	v_sub_f32_e32 v112, v29, v112
	v_dual_add_f32 v110, v29, v31 :: v_dual_sub_f32 v33, v31, v33
	s_delay_alu instid0(VALU_DEP_2) | instskip(NEXT) | instid1(VALU_DEP_2)
	v_sub_f32_e32 v111, v111, v112
	v_sub_f32_e32 v113, v110, v29
	s_delay_alu instid0(VALU_DEP_3) | instskip(NEXT) | instid1(VALU_DEP_2)
	v_sub_f32_e32 v28, v28, v33
	v_sub_f32_e32 v114, v110, v113
	;; [unrolled: 1-line block ×3, first 2 shown]
	s_delay_alu instid0(VALU_DEP_3) | instskip(NEXT) | instid1(VALU_DEP_3)
	v_add_f32_e32 v33, v111, v28
	v_sub_f32_e32 v29, v29, v114
	s_delay_alu instid0(VALU_DEP_1) | instskip(NEXT) | instid1(VALU_DEP_3)
	v_add_f32_e32 v29, v31, v29
	v_sub_f32_e32 v31, v33, v111
	s_delay_alu instid0(VALU_DEP_2) | instskip(NEXT) | instid1(VALU_DEP_2)
	v_add_f32_e32 v29, v33, v29
	v_sub_f32_e32 v33, v33, v31
	v_sub_f32_e32 v28, v28, v31
	s_delay_alu instid0(VALU_DEP_3) | instskip(NEXT) | instid1(VALU_DEP_3)
	v_add_f32_e32 v112, v110, v29
	v_sub_f32_e32 v33, v111, v33
	s_delay_alu instid0(VALU_DEP_2) | instskip(NEXT) | instid1(VALU_DEP_1)
	v_sub_f32_e32 v31, v112, v110
	v_dual_add_f32 v28, v28, v33 :: v_dual_sub_f32 v29, v29, v31
	s_delay_alu instid0(VALU_DEP_1) | instskip(NEXT) | instid1(VALU_DEP_1)
	v_add_f32_e32 v28, v28, v29
	v_add_f32_e32 v28, v112, v28
	s_delay_alu instid0(VALU_DEP_1)
	v_cndmask_b32_e32 v110, v28, v30, vcc_lo
.LBB159_82:                             ;   in Loop: Header=BB159_12 Depth=1
	s_or_b32 exec_lo, exec_lo, s30
	s_waitcnt lgkmcnt(5)
	v_add_f32_e32 v111, s69, v26
	s_delay_alu instid0(VALU_DEP_1) | instskip(SKIP_1) | instid1(SALU_CYCLE_1)
	v_cmp_ge_f32_e32 vcc_lo, 0x41a00000, v111
	s_and_b32 s29, s81, vcc_lo
	s_and_saveexec_b32 s30, s29
	s_cbranch_execz .LBB159_84
; %bb.83:                               ;   in Loop: Header=BB159_12 Depth=1
	v_mul_f32_e32 v26, 0x3fb8aa3b, v111
	v_cmp_ngt_f32_e32 vcc_lo, 0xc2ce8ed0, v111
	s_delay_alu instid0(VALU_DEP_2) | instskip(SKIP_1) | instid1(VALU_DEP_1)
	v_rndne_f32_e32 v28, v26
	v_fma_f32 v29, 0x3fb8aa3b, v111, -v26
	v_dual_sub_f32 v26, v26, v28 :: v_dual_fmac_f32 v29, 0x32a5705f, v111
	v_cvt_i32_f32_e32 v28, v28
	s_delay_alu instid0(VALU_DEP_2) | instskip(NEXT) | instid1(VALU_DEP_1)
	v_add_f32_e32 v26, v26, v29
	v_exp_f32_e32 v26, v26
	s_waitcnt_depctr 0xfff
	v_ldexp_f32 v26, v26, v28
	s_delay_alu instid0(VALU_DEP_1) | instskip(SKIP_1) | instid1(VALU_DEP_2)
	v_cndmask_b32_e32 v26, 0, v26, vcc_lo
	v_cmp_nlt_f32_e32 vcc_lo, 0x42b17218, v111
	v_cndmask_b32_e32 v26, 0x7f800000, v26, vcc_lo
	s_delay_alu instid0(VALU_DEP_1) | instskip(NEXT) | instid1(VALU_DEP_1)
	v_add_f32_e32 v30, 1.0, v26
	v_cvt_f64_f32_e32 v[28:29], v30
	s_delay_alu instid0(VALU_DEP_1) | instskip(SKIP_1) | instid1(VALU_DEP_1)
	v_frexp_exp_i32_f64_e32 v28, v[28:29]
	v_frexp_mant_f32_e32 v29, v30
	v_cmp_gt_f32_e32 vcc_lo, 0x3f2aaaab, v29
	v_add_f32_e32 v29, -1.0, v30
	s_delay_alu instid0(VALU_DEP_1) | instskip(SKIP_1) | instid1(VALU_DEP_2)
	v_sub_f32_e32 v33, v29, v30
	v_sub_f32_e32 v29, v26, v29
	v_add_f32_e32 v33, 1.0, v33
	s_delay_alu instid0(VALU_DEP_1) | instskip(SKIP_3) | instid1(VALU_DEP_2)
	v_add_f32_e32 v29, v29, v33
	v_cmp_gt_f32_e64 s29, 0x33800000, v26
	v_subrev_co_ci_u32_e32 v28, vcc_lo, 0, v28, vcc_lo
	v_cmp_eq_f32_e32 vcc_lo, 0x7f800000, v26
	v_sub_nc_u32_e32 v31, 0, v28
	v_cvt_f32_i32_e32 v28, v28
	s_or_b32 vcc_lo, s29, vcc_lo
	s_delay_alu instid0(VALU_DEP_2) | instskip(SKIP_1) | instid1(VALU_DEP_2)
	v_ldexp_f32 v30, v30, v31
	v_ldexp_f32 v29, v29, v31
	v_add_f32_e32 v31, -1.0, v30
	s_delay_alu instid0(VALU_DEP_1) | instskip(NEXT) | instid1(VALU_DEP_1)
	v_dual_add_f32 v111, 1.0, v30 :: v_dual_add_f32 v112, 1.0, v31
	v_add_f32_e32 v33, -1.0, v111
	s_delay_alu instid0(VALU_DEP_1) | instskip(NEXT) | instid1(VALU_DEP_1)
	v_sub_f32_e32 v33, v30, v33
	v_dual_sub_f32 v30, v30, v112 :: v_dual_add_f32 v33, v29, v33
	s_delay_alu instid0(VALU_DEP_1) | instskip(NEXT) | instid1(VALU_DEP_1)
	v_add_f32_e32 v112, v111, v33
	v_sub_f32_e32 v111, v111, v112
	s_delay_alu instid0(VALU_DEP_1) | instskip(NEXT) | instid1(VALU_DEP_4)
	v_add_f32_e32 v33, v33, v111
	v_add_f32_e32 v29, v29, v30
	v_rcp_f32_e32 v30, v112
	s_delay_alu instid0(VALU_DEP_1) | instskip(SKIP_2) | instid1(VALU_DEP_1)
	v_add_f32_e32 v113, v31, v29
	s_waitcnt_depctr 0xfff
	v_dual_sub_f32 v31, v31, v113 :: v_dual_mul_f32 v114, v113, v30
	v_add_f32_e32 v29, v29, v31
	s_delay_alu instid0(VALU_DEP_2) | instskip(NEXT) | instid1(VALU_DEP_1)
	v_mul_f32_e32 v115, v112, v114
	v_fma_f32 v111, v114, v112, -v115
	s_delay_alu instid0(VALU_DEP_1) | instskip(NEXT) | instid1(VALU_DEP_1)
	v_fmac_f32_e32 v111, v114, v33
	v_add_f32_e32 v116, v115, v111
	s_delay_alu instid0(VALU_DEP_1) | instskip(SKIP_1) | instid1(VALU_DEP_2)
	v_sub_f32_e32 v117, v113, v116
	v_sub_f32_e32 v31, v116, v115
	;; [unrolled: 1-line block ×3, first 2 shown]
	s_delay_alu instid0(VALU_DEP_2) | instskip(NEXT) | instid1(VALU_DEP_2)
	v_sub_f32_e32 v31, v31, v111
	v_sub_f32_e32 v113, v113, v116
	s_delay_alu instid0(VALU_DEP_1) | instskip(NEXT) | instid1(VALU_DEP_1)
	v_add_f32_e32 v29, v29, v113
	v_add_f32_e32 v29, v31, v29
	s_delay_alu instid0(VALU_DEP_1) | instskip(NEXT) | instid1(VALU_DEP_1)
	v_add_f32_e32 v31, v117, v29
	v_mul_f32_e32 v111, v30, v31
	v_sub_f32_e32 v116, v117, v31
	s_delay_alu instid0(VALU_DEP_2) | instskip(NEXT) | instid1(VALU_DEP_2)
	v_mul_f32_e32 v113, v112, v111
	v_add_f32_e32 v29, v29, v116
	s_delay_alu instid0(VALU_DEP_2) | instskip(NEXT) | instid1(VALU_DEP_1)
	v_fma_f32 v112, v111, v112, -v113
	v_fmac_f32_e32 v112, v111, v33
	s_delay_alu instid0(VALU_DEP_1) | instskip(NEXT) | instid1(VALU_DEP_1)
	v_add_f32_e32 v33, v113, v112
	v_sub_f32_e32 v115, v31, v33
	v_sub_f32_e32 v113, v33, v113
	s_delay_alu instid0(VALU_DEP_2) | instskip(NEXT) | instid1(VALU_DEP_1)
	v_sub_f32_e32 v31, v31, v115
	v_sub_f32_e32 v31, v31, v33
	s_delay_alu instid0(VALU_DEP_3) | instskip(NEXT) | instid1(VALU_DEP_2)
	v_sub_f32_e32 v33, v113, v112
	v_add_f32_e32 v29, v29, v31
	v_add_f32_e32 v31, v114, v111
	s_delay_alu instid0(VALU_DEP_2) | instskip(NEXT) | instid1(VALU_DEP_2)
	v_add_f32_e32 v29, v33, v29
	v_sub_f32_e32 v33, v31, v114
	s_delay_alu instid0(VALU_DEP_2) | instskip(NEXT) | instid1(VALU_DEP_2)
	v_add_f32_e32 v29, v115, v29
	v_sub_f32_e32 v33, v111, v33
	s_delay_alu instid0(VALU_DEP_2) | instskip(NEXT) | instid1(VALU_DEP_1)
	v_mul_f32_e32 v29, v30, v29
	v_add_f32_e32 v29, v33, v29
	s_delay_alu instid0(VALU_DEP_1) | instskip(NEXT) | instid1(VALU_DEP_1)
	v_add_f32_e32 v30, v31, v29
	v_mul_f32_e32 v33, v30, v30
	s_delay_alu instid0(VALU_DEP_1) | instskip(NEXT) | instid1(VALU_DEP_1)
	v_fmaak_f32 v111, s85, v33, 0x3ecc95a3
	v_dual_mul_f32 v112, v30, v33 :: v_dual_fmaak_f32 v33, v33, v111, 0x3f2aaada
	v_ldexp_f32 v111, v30, 1
	s_delay_alu instid0(VALU_DEP_2) | instskip(NEXT) | instid1(VALU_DEP_1)
	v_dual_sub_f32 v30, v30, v31 :: v_dual_mul_f32 v33, v112, v33
	v_dual_mul_f32 v112, 0x3f317218, v28 :: v_dual_sub_f32 v29, v29, v30
	s_delay_alu instid0(VALU_DEP_2) | instskip(NEXT) | instid1(VALU_DEP_2)
	v_add_f32_e32 v31, v111, v33
	v_ldexp_f32 v29, v29, 1
	s_delay_alu instid0(VALU_DEP_2) | instskip(NEXT) | instid1(VALU_DEP_4)
	v_sub_f32_e32 v30, v31, v111
	v_fma_f32 v111, 0x3f317218, v28, -v112
	s_delay_alu instid0(VALU_DEP_1) | instskip(NEXT) | instid1(VALU_DEP_1)
	v_dual_sub_f32 v30, v33, v30 :: v_dual_fmac_f32 v111, 0xb102e308, v28
	v_dual_add_f32 v28, v29, v30 :: v_dual_add_f32 v29, v112, v111
	s_delay_alu instid0(VALU_DEP_1) | instskip(NEXT) | instid1(VALU_DEP_2)
	v_add_f32_e32 v30, v31, v28
	v_sub_f32_e32 v112, v29, v112
	s_delay_alu instid0(VALU_DEP_2) | instskip(SKIP_1) | instid1(VALU_DEP_3)
	v_add_f32_e32 v33, v29, v30
	v_sub_f32_e32 v31, v30, v31
	v_sub_f32_e32 v111, v111, v112
	s_delay_alu instid0(VALU_DEP_2) | instskip(NEXT) | instid1(VALU_DEP_1)
	v_dual_sub_f32 v113, v33, v29 :: v_dual_sub_f32 v28, v28, v31
	v_sub_f32_e32 v114, v33, v113
	s_delay_alu instid0(VALU_DEP_2) | instskip(NEXT) | instid1(VALU_DEP_2)
	v_dual_sub_f32 v30, v30, v113 :: v_dual_add_f32 v31, v111, v28
	v_sub_f32_e32 v29, v29, v114
	s_delay_alu instid0(VALU_DEP_1) | instskip(NEXT) | instid1(VALU_DEP_1)
	v_dual_add_f32 v29, v30, v29 :: v_dual_sub_f32 v30, v31, v111
	v_add_f32_e32 v29, v31, v29
	s_delay_alu instid0(VALU_DEP_2) | instskip(SKIP_1) | instid1(VALU_DEP_2)
	v_sub_f32_e32 v31, v31, v30
	v_sub_f32_e32 v28, v28, v30
	v_dual_add_f32 v112, v33, v29 :: v_dual_sub_f32 v31, v111, v31
	s_delay_alu instid0(VALU_DEP_1) | instskip(NEXT) | instid1(VALU_DEP_1)
	v_sub_f32_e32 v30, v112, v33
	v_dual_add_f32 v28, v28, v31 :: v_dual_sub_f32 v29, v29, v30
	s_delay_alu instid0(VALU_DEP_1) | instskip(NEXT) | instid1(VALU_DEP_1)
	v_add_f32_e32 v28, v28, v29
	v_add_f32_e32 v28, v112, v28
	s_delay_alu instid0(VALU_DEP_1)
	v_cndmask_b32_e32 v111, v28, v26, vcc_lo
.LBB159_84:                             ;   in Loop: Header=BB159_12 Depth=1
	s_or_b32 exec_lo, exec_lo, s30
	v_add_f32_e32 v112, s69, v27
	s_delay_alu instid0(VALU_DEP_1) | instskip(SKIP_1) | instid1(SALU_CYCLE_1)
	v_cmp_ge_f32_e32 vcc_lo, 0x41a00000, v112
	s_and_b32 s29, s81, vcc_lo
	s_and_saveexec_b32 s30, s29
	s_cbranch_execz .LBB159_86
; %bb.85:                               ;   in Loop: Header=BB159_12 Depth=1
	v_mul_f32_e32 v26, 0x3fb8aa3b, v112
	v_cmp_ngt_f32_e32 vcc_lo, 0xc2ce8ed0, v112
	s_delay_alu instid0(VALU_DEP_2) | instskip(SKIP_1) | instid1(VALU_DEP_2)
	v_rndne_f32_e32 v27, v26
	v_fma_f32 v28, 0x3fb8aa3b, v112, -v26
	v_sub_f32_e32 v26, v26, v27
	s_delay_alu instid0(VALU_DEP_2) | instskip(SKIP_1) | instid1(VALU_DEP_2)
	v_fmac_f32_e32 v28, 0x32a5705f, v112
	v_cvt_i32_f32_e32 v27, v27
	v_add_f32_e32 v26, v26, v28
	s_delay_alu instid0(VALU_DEP_1) | instskip(SKIP_2) | instid1(VALU_DEP_1)
	v_exp_f32_e32 v26, v26
	s_waitcnt_depctr 0xfff
	v_ldexp_f32 v26, v26, v27
	v_cndmask_b32_e32 v26, 0, v26, vcc_lo
	v_cmp_nlt_f32_e32 vcc_lo, 0x42b17218, v112
	s_delay_alu instid0(VALU_DEP_2) | instskip(NEXT) | instid1(VALU_DEP_1)
	v_cndmask_b32_e32 v28, 0x7f800000, v26, vcc_lo
	v_add_f32_e32 v29, 1.0, v28
	s_delay_alu instid0(VALU_DEP_1) | instskip(NEXT) | instid1(VALU_DEP_1)
	v_cvt_f64_f32_e32 v[26:27], v29
	v_frexp_exp_i32_f64_e32 v26, v[26:27]
	v_frexp_mant_f32_e32 v27, v29
	s_delay_alu instid0(VALU_DEP_1) | instskip(SKIP_1) | instid1(VALU_DEP_1)
	v_cmp_gt_f32_e32 vcc_lo, 0x3f2aaaab, v27
	v_add_f32_e32 v27, -1.0, v29
	v_sub_f32_e32 v31, v27, v29
	s_delay_alu instid0(VALU_DEP_1) | instskip(SKIP_1) | instid1(VALU_DEP_1)
	v_add_f32_e32 v31, 1.0, v31
	v_subrev_co_ci_u32_e32 v26, vcc_lo, 0, v26, vcc_lo
	v_sub_nc_u32_e32 v30, 0, v26
	v_cvt_f32_i32_e32 v26, v26
	s_delay_alu instid0(VALU_DEP_2) | instskip(NEXT) | instid1(VALU_DEP_1)
	v_ldexp_f32 v29, v29, v30
	v_add_f32_e32 v33, 1.0, v29
	v_sub_f32_e32 v27, v28, v27
	v_cmp_eq_f32_e32 vcc_lo, 0x7f800000, v28
	v_cmp_gt_f32_e64 s29, 0x33800000, v28
	s_delay_alu instid0(VALU_DEP_3) | instskip(NEXT) | instid1(VALU_DEP_2)
	v_add_f32_e32 v27, v27, v31
	s_or_b32 vcc_lo, s29, vcc_lo
	s_delay_alu instid0(VALU_DEP_1) | instskip(SKIP_1) | instid1(VALU_DEP_1)
	v_ldexp_f32 v27, v27, v30
	v_add_f32_e32 v30, -1.0, v29
	v_dual_add_f32 v31, -1.0, v33 :: v_dual_add_f32 v112, 1.0, v30
	s_delay_alu instid0(VALU_DEP_1) | instskip(NEXT) | instid1(VALU_DEP_2)
	v_sub_f32_e32 v31, v29, v31
	v_sub_f32_e32 v29, v29, v112
	s_delay_alu instid0(VALU_DEP_2) | instskip(NEXT) | instid1(VALU_DEP_1)
	v_add_f32_e32 v31, v27, v31
	v_dual_add_f32 v27, v27, v29 :: v_dual_add_f32 v112, v33, v31
	s_delay_alu instid0(VALU_DEP_1) | instskip(NEXT) | instid1(VALU_DEP_2)
	v_add_f32_e32 v113, v30, v27
	v_rcp_f32_e32 v29, v112
	s_delay_alu instid0(VALU_DEP_1) | instskip(SKIP_2) | instid1(VALU_DEP_1)
	v_sub_f32_e32 v30, v30, v113
	s_waitcnt_depctr 0xfff
	v_mul_f32_e32 v114, v113, v29
	v_mul_f32_e32 v115, v112, v114
	v_sub_f32_e32 v33, v33, v112
	s_delay_alu instid0(VALU_DEP_1) | instskip(NEXT) | instid1(VALU_DEP_3)
	v_add_f32_e32 v31, v31, v33
	v_fma_f32 v33, v114, v112, -v115
	v_add_f32_e32 v27, v27, v30
	s_delay_alu instid0(VALU_DEP_2) | instskip(NEXT) | instid1(VALU_DEP_1)
	v_fmac_f32_e32 v33, v114, v31
	v_add_f32_e32 v116, v115, v33
	s_delay_alu instid0(VALU_DEP_1) | instskip(NEXT) | instid1(VALU_DEP_1)
	v_dual_sub_f32 v117, v113, v116 :: v_dual_sub_f32 v30, v116, v115
	v_sub_f32_e32 v113, v113, v117
	s_delay_alu instid0(VALU_DEP_1) | instskip(NEXT) | instid1(VALU_DEP_1)
	v_dual_sub_f32 v30, v30, v33 :: v_dual_sub_f32 v113, v113, v116
	v_add_f32_e32 v27, v27, v113
	s_delay_alu instid0(VALU_DEP_1) | instskip(NEXT) | instid1(VALU_DEP_1)
	v_add_f32_e32 v27, v30, v27
	v_add_f32_e32 v30, v117, v27
	s_delay_alu instid0(VALU_DEP_1) | instskip(NEXT) | instid1(VALU_DEP_1)
	v_mul_f32_e32 v33, v29, v30
	v_dual_sub_f32 v116, v117, v30 :: v_dual_mul_f32 v113, v112, v33
	s_delay_alu instid0(VALU_DEP_1) | instskip(NEXT) | instid1(VALU_DEP_2)
	v_add_f32_e32 v27, v27, v116
	v_fma_f32 v112, v33, v112, -v113
	s_delay_alu instid0(VALU_DEP_1) | instskip(NEXT) | instid1(VALU_DEP_1)
	v_fmac_f32_e32 v112, v33, v31
	v_add_f32_e32 v31, v113, v112
	s_delay_alu instid0(VALU_DEP_1) | instskip(NEXT) | instid1(VALU_DEP_1)
	v_sub_f32_e32 v115, v30, v31
	v_dual_sub_f32 v113, v31, v113 :: v_dual_sub_f32 v30, v30, v115
	s_delay_alu instid0(VALU_DEP_1) | instskip(NEXT) | instid1(VALU_DEP_1)
	v_dual_sub_f32 v30, v30, v31 :: v_dual_sub_f32 v31, v113, v112
	v_dual_add_f32 v27, v27, v30 :: v_dual_add_f32 v30, v114, v33
	s_delay_alu instid0(VALU_DEP_1) | instskip(NEXT) | instid1(VALU_DEP_2)
	v_add_f32_e32 v27, v31, v27
	v_sub_f32_e32 v31, v30, v114
	s_delay_alu instid0(VALU_DEP_2) | instskip(NEXT) | instid1(VALU_DEP_2)
	v_add_f32_e32 v27, v115, v27
	v_sub_f32_e32 v31, v33, v31
	s_delay_alu instid0(VALU_DEP_2) | instskip(NEXT) | instid1(VALU_DEP_1)
	v_mul_f32_e32 v27, v29, v27
	v_add_f32_e32 v27, v31, v27
	s_delay_alu instid0(VALU_DEP_1) | instskip(NEXT) | instid1(VALU_DEP_1)
	v_add_f32_e32 v29, v30, v27
	v_mul_f32_e32 v31, v29, v29
	s_delay_alu instid0(VALU_DEP_1) | instskip(NEXT) | instid1(VALU_DEP_1)
	v_fmaak_f32 v33, s85, v31, 0x3ecc95a3
	v_dual_mul_f32 v112, v29, v31 :: v_dual_fmaak_f32 v31, v31, v33, 0x3f2aaada
	v_ldexp_f32 v33, v29, 1
	v_sub_f32_e32 v29, v29, v30
	s_delay_alu instid0(VALU_DEP_3) | instskip(NEXT) | instid1(VALU_DEP_1)
	v_dual_mul_f32 v31, v112, v31 :: v_dual_mul_f32 v112, 0x3f317218, v26
	v_dual_sub_f32 v27, v27, v29 :: v_dual_add_f32 v30, v33, v31
	s_delay_alu instid0(VALU_DEP_1) | instskip(NEXT) | instid1(VALU_DEP_2)
	v_ldexp_f32 v27, v27, 1
	v_sub_f32_e32 v29, v30, v33
	s_delay_alu instid0(VALU_DEP_4) | instskip(NEXT) | instid1(VALU_DEP_2)
	v_fma_f32 v33, 0x3f317218, v26, -v112
	v_sub_f32_e32 v29, v31, v29
	s_delay_alu instid0(VALU_DEP_1) | instskip(NEXT) | instid1(VALU_DEP_1)
	v_dual_fmac_f32 v33, 0xb102e308, v26 :: v_dual_add_f32 v26, v27, v29
	v_add_f32_e32 v27, v112, v33
	s_delay_alu instid0(VALU_DEP_1) | instskip(NEXT) | instid1(VALU_DEP_1)
	v_dual_add_f32 v29, v30, v26 :: v_dual_sub_f32 v112, v27, v112
	v_dual_add_f32 v31, v27, v29 :: v_dual_sub_f32 v30, v29, v30
	s_delay_alu instid0(VALU_DEP_2) | instskip(NEXT) | instid1(VALU_DEP_2)
	v_sub_f32_e32 v33, v33, v112
	v_dual_sub_f32 v113, v31, v27 :: v_dual_sub_f32 v26, v26, v30
	s_delay_alu instid0(VALU_DEP_1) | instskip(SKIP_1) | instid1(VALU_DEP_3)
	v_sub_f32_e32 v114, v31, v113
	v_sub_f32_e32 v29, v29, v113
	v_add_f32_e32 v30, v33, v26
	s_delay_alu instid0(VALU_DEP_3) | instskip(NEXT) | instid1(VALU_DEP_1)
	v_sub_f32_e32 v27, v27, v114
	v_add_f32_e32 v27, v29, v27
	s_delay_alu instid0(VALU_DEP_3) | instskip(NEXT) | instid1(VALU_DEP_2)
	v_sub_f32_e32 v29, v30, v33
	v_add_f32_e32 v27, v30, v27
	s_delay_alu instid0(VALU_DEP_2) | instskip(SKIP_1) | instid1(VALU_DEP_3)
	v_sub_f32_e32 v30, v30, v29
	v_sub_f32_e32 v26, v26, v29
	v_add_f32_e32 v112, v31, v27
	s_delay_alu instid0(VALU_DEP_1) | instskip(NEXT) | instid1(VALU_DEP_1)
	v_dual_sub_f32 v30, v33, v30 :: v_dual_sub_f32 v29, v112, v31
	v_dual_add_f32 v26, v26, v30 :: v_dual_sub_f32 v27, v27, v29
	s_delay_alu instid0(VALU_DEP_1) | instskip(NEXT) | instid1(VALU_DEP_1)
	v_add_f32_e32 v26, v26, v27
	v_add_f32_e32 v26, v112, v26
	s_delay_alu instid0(VALU_DEP_1)
	v_cndmask_b32_e32 v112, v26, v28, vcc_lo
.LBB159_86:                             ;   in Loop: Header=BB159_12 Depth=1
	s_or_b32 exec_lo, exec_lo, s30
	s_waitcnt lgkmcnt(4)
	v_add_f32_e32 v113, s69, v24
	s_delay_alu instid0(VALU_DEP_1) | instskip(SKIP_1) | instid1(SALU_CYCLE_1)
	v_cmp_ge_f32_e32 vcc_lo, 0x41a00000, v113
	s_and_b32 s29, s81, vcc_lo
	s_and_saveexec_b32 s30, s29
	s_cbranch_execz .LBB159_88
; %bb.87:                               ;   in Loop: Header=BB159_12 Depth=1
	v_mul_f32_e32 v24, 0x3fb8aa3b, v113
	v_cmp_ngt_f32_e32 vcc_lo, 0xc2ce8ed0, v113
	s_delay_alu instid0(VALU_DEP_2) | instskip(SKIP_1) | instid1(VALU_DEP_1)
	v_rndne_f32_e32 v26, v24
	v_fma_f32 v27, 0x3fb8aa3b, v113, -v24
	v_dual_sub_f32 v24, v24, v26 :: v_dual_fmac_f32 v27, 0x32a5705f, v113
	v_cvt_i32_f32_e32 v26, v26
	s_delay_alu instid0(VALU_DEP_2) | instskip(NEXT) | instid1(VALU_DEP_1)
	v_add_f32_e32 v24, v24, v27
	v_exp_f32_e32 v24, v24
	s_waitcnt_depctr 0xfff
	v_ldexp_f32 v24, v24, v26
	s_delay_alu instid0(VALU_DEP_1) | instskip(SKIP_1) | instid1(VALU_DEP_2)
	v_cndmask_b32_e32 v24, 0, v24, vcc_lo
	v_cmp_nlt_f32_e32 vcc_lo, 0x42b17218, v113
	v_cndmask_b32_e32 v24, 0x7f800000, v24, vcc_lo
	s_delay_alu instid0(VALU_DEP_1) | instskip(NEXT) | instid1(VALU_DEP_1)
	v_add_f32_e32 v28, 1.0, v24
	v_cvt_f64_f32_e32 v[26:27], v28
	s_delay_alu instid0(VALU_DEP_1) | instskip(SKIP_1) | instid1(VALU_DEP_1)
	v_frexp_exp_i32_f64_e32 v26, v[26:27]
	v_frexp_mant_f32_e32 v27, v28
	v_cmp_gt_f32_e32 vcc_lo, 0x3f2aaaab, v27
	v_add_f32_e32 v27, -1.0, v28
	s_delay_alu instid0(VALU_DEP_1) | instskip(SKIP_1) | instid1(VALU_DEP_1)
	v_dual_sub_f32 v30, v27, v28 :: v_dual_sub_f32 v27, v24, v27
	v_subrev_co_ci_u32_e32 v26, vcc_lo, 0, v26, vcc_lo
	v_sub_nc_u32_e32 v29, 0, v26
	v_cvt_f32_i32_e32 v26, v26
	s_delay_alu instid0(VALU_DEP_2) | instskip(NEXT) | instid1(VALU_DEP_1)
	v_ldexp_f32 v28, v28, v29
	v_dual_add_f32 v30, 1.0, v30 :: v_dual_add_f32 v31, 1.0, v28
	s_delay_alu instid0(VALU_DEP_1) | instskip(NEXT) | instid1(VALU_DEP_1)
	v_add_f32_e32 v27, v27, v30
	v_ldexp_f32 v27, v27, v29
	s_delay_alu instid0(VALU_DEP_3) | instskip(NEXT) | instid1(VALU_DEP_1)
	v_dual_add_f32 v29, -1.0, v28 :: v_dual_add_f32 v30, -1.0, v31
	v_dual_add_f32 v33, 1.0, v29 :: v_dual_sub_f32 v30, v28, v30
	v_cmp_eq_f32_e32 vcc_lo, 0x7f800000, v24
	v_cmp_gt_f32_e64 s29, 0x33800000, v24
	s_delay_alu instid0(VALU_DEP_3) | instskip(NEXT) | instid1(VALU_DEP_4)
	v_add_f32_e32 v30, v27, v30
	v_sub_f32_e32 v28, v28, v33
	s_delay_alu instid0(VALU_DEP_3) | instskip(NEXT) | instid1(VALU_DEP_2)
	s_or_b32 vcc_lo, s29, vcc_lo
	v_add_f32_e32 v33, v31, v30
	s_delay_alu instid0(VALU_DEP_2) | instskip(NEXT) | instid1(VALU_DEP_2)
	v_add_f32_e32 v27, v27, v28
	v_rcp_f32_e32 v28, v33
	s_delay_alu instid0(VALU_DEP_1) | instskip(SKIP_1) | instid1(VALU_DEP_1)
	v_add_f32_e32 v113, v29, v27
	v_sub_f32_e32 v31, v31, v33
	v_dual_sub_f32 v29, v29, v113 :: v_dual_add_f32 v30, v30, v31
	s_waitcnt_depctr 0xfff
	v_dual_mul_f32 v114, v113, v28 :: v_dual_add_f32 v27, v27, v29
	s_delay_alu instid0(VALU_DEP_1) | instskip(NEXT) | instid1(VALU_DEP_1)
	v_mul_f32_e32 v115, v33, v114
	v_fma_f32 v31, v114, v33, -v115
	s_delay_alu instid0(VALU_DEP_1) | instskip(NEXT) | instid1(VALU_DEP_1)
	v_fmac_f32_e32 v31, v114, v30
	v_add_f32_e32 v116, v115, v31
	s_delay_alu instid0(VALU_DEP_1) | instskip(NEXT) | instid1(VALU_DEP_1)
	v_sub_f32_e32 v117, v113, v116
	v_sub_f32_e32 v113, v113, v117
	;; [unrolled: 1-line block ×3, first 2 shown]
	s_delay_alu instid0(VALU_DEP_2) | instskip(NEXT) | instid1(VALU_DEP_2)
	v_sub_f32_e32 v113, v113, v116
	v_sub_f32_e32 v29, v29, v31
	s_delay_alu instid0(VALU_DEP_2) | instskip(NEXT) | instid1(VALU_DEP_1)
	v_add_f32_e32 v27, v27, v113
	v_add_f32_e32 v27, v29, v27
	s_delay_alu instid0(VALU_DEP_1) | instskip(NEXT) | instid1(VALU_DEP_1)
	v_add_f32_e32 v29, v117, v27
	v_mul_f32_e32 v31, v28, v29
	v_sub_f32_e32 v116, v117, v29
	s_delay_alu instid0(VALU_DEP_2) | instskip(NEXT) | instid1(VALU_DEP_2)
	v_mul_f32_e32 v113, v33, v31
	v_add_f32_e32 v27, v27, v116
	s_delay_alu instid0(VALU_DEP_2) | instskip(NEXT) | instid1(VALU_DEP_1)
	v_fma_f32 v33, v31, v33, -v113
	v_fmac_f32_e32 v33, v31, v30
	s_delay_alu instid0(VALU_DEP_1) | instskip(NEXT) | instid1(VALU_DEP_1)
	v_add_f32_e32 v30, v113, v33
	v_sub_f32_e32 v115, v29, v30
	v_sub_f32_e32 v113, v30, v113
	s_delay_alu instid0(VALU_DEP_2) | instskip(NEXT) | instid1(VALU_DEP_1)
	v_sub_f32_e32 v29, v29, v115
	v_sub_f32_e32 v29, v29, v30
	s_delay_alu instid0(VALU_DEP_3) | instskip(NEXT) | instid1(VALU_DEP_2)
	v_sub_f32_e32 v30, v113, v33
	v_add_f32_e32 v27, v27, v29
	v_add_f32_e32 v29, v114, v31
	s_delay_alu instid0(VALU_DEP_1) | instskip(NEXT) | instid1(VALU_DEP_1)
	v_dual_add_f32 v27, v30, v27 :: v_dual_sub_f32 v30, v29, v114
	v_add_f32_e32 v27, v115, v27
	s_delay_alu instid0(VALU_DEP_1) | instskip(NEXT) | instid1(VALU_DEP_1)
	v_dual_sub_f32 v30, v31, v30 :: v_dual_mul_f32 v27, v28, v27
	v_add_f32_e32 v27, v30, v27
	s_delay_alu instid0(VALU_DEP_1) | instskip(NEXT) | instid1(VALU_DEP_1)
	v_add_f32_e32 v28, v29, v27
	v_mul_f32_e32 v30, v28, v28
	s_delay_alu instid0(VALU_DEP_1) | instskip(NEXT) | instid1(VALU_DEP_1)
	v_fmaak_f32 v31, s85, v30, 0x3ecc95a3
	v_dual_mul_f32 v33, v28, v30 :: v_dual_fmaak_f32 v30, v30, v31, 0x3f2aaada
	v_ldexp_f32 v31, v28, 1
	v_sub_f32_e32 v28, v28, v29
	s_delay_alu instid0(VALU_DEP_3) | instskip(SKIP_1) | instid1(VALU_DEP_3)
	v_mul_f32_e32 v30, v33, v30
	v_mul_f32_e32 v33, 0x3f317218, v26
	v_sub_f32_e32 v27, v27, v28
	s_delay_alu instid0(VALU_DEP_3) | instskip(NEXT) | instid1(VALU_DEP_2)
	v_add_f32_e32 v29, v31, v30
	v_ldexp_f32 v27, v27, 1
	s_delay_alu instid0(VALU_DEP_2) | instskip(SKIP_1) | instid1(VALU_DEP_1)
	v_sub_f32_e32 v28, v29, v31
	v_fma_f32 v31, 0x3f317218, v26, -v33
	v_dual_sub_f32 v28, v30, v28 :: v_dual_fmac_f32 v31, 0xb102e308, v26
	s_delay_alu instid0(VALU_DEP_1) | instskip(NEXT) | instid1(VALU_DEP_1)
	v_dual_add_f32 v26, v27, v28 :: v_dual_add_f32 v27, v33, v31
	v_dual_add_f32 v28, v29, v26 :: v_dual_sub_f32 v33, v27, v33
	s_delay_alu instid0(VALU_DEP_1) | instskip(NEXT) | instid1(VALU_DEP_2)
	v_dual_add_f32 v30, v27, v28 :: v_dual_sub_f32 v29, v28, v29
	v_sub_f32_e32 v31, v31, v33
	s_delay_alu instid0(VALU_DEP_2) | instskip(NEXT) | instid1(VALU_DEP_3)
	v_sub_f32_e32 v113, v30, v27
	v_sub_f32_e32 v26, v26, v29
	s_delay_alu instid0(VALU_DEP_2) | instskip(NEXT) | instid1(VALU_DEP_2)
	v_sub_f32_e32 v114, v30, v113
	v_dual_sub_f32 v28, v28, v113 :: v_dual_add_f32 v29, v31, v26
	s_delay_alu instid0(VALU_DEP_2) | instskip(NEXT) | instid1(VALU_DEP_1)
	v_sub_f32_e32 v27, v27, v114
	v_add_f32_e32 v27, v28, v27
	s_delay_alu instid0(VALU_DEP_3) | instskip(NEXT) | instid1(VALU_DEP_2)
	v_sub_f32_e32 v28, v29, v31
	v_add_f32_e32 v27, v29, v27
	s_delay_alu instid0(VALU_DEP_2) | instskip(SKIP_1) | instid1(VALU_DEP_3)
	v_sub_f32_e32 v29, v29, v28
	v_sub_f32_e32 v26, v26, v28
	v_add_f32_e32 v33, v30, v27
	s_delay_alu instid0(VALU_DEP_1) | instskip(NEXT) | instid1(VALU_DEP_1)
	v_dual_sub_f32 v29, v31, v29 :: v_dual_sub_f32 v28, v33, v30
	v_dual_add_f32 v26, v26, v29 :: v_dual_sub_f32 v27, v27, v28
	s_delay_alu instid0(VALU_DEP_1) | instskip(NEXT) | instid1(VALU_DEP_1)
	v_add_f32_e32 v26, v26, v27
	v_add_f32_e32 v26, v33, v26
	s_delay_alu instid0(VALU_DEP_1)
	v_cndmask_b32_e32 v113, v26, v24, vcc_lo
.LBB159_88:                             ;   in Loop: Header=BB159_12 Depth=1
	s_or_b32 exec_lo, exec_lo, s30
	v_add_f32_e32 v114, s69, v25
	s_delay_alu instid0(VALU_DEP_1) | instskip(SKIP_1) | instid1(SALU_CYCLE_1)
	v_cmp_ge_f32_e32 vcc_lo, 0x41a00000, v114
	s_and_b32 s29, s81, vcc_lo
	s_and_saveexec_b32 s30, s29
	s_cbranch_execz .LBB159_90
; %bb.89:                               ;   in Loop: Header=BB159_12 Depth=1
	v_mul_f32_e32 v24, 0x3fb8aa3b, v114
	v_cmp_ngt_f32_e32 vcc_lo, 0xc2ce8ed0, v114
	s_delay_alu instid0(VALU_DEP_2) | instskip(SKIP_1) | instid1(VALU_DEP_2)
	v_rndne_f32_e32 v25, v24
	v_fma_f32 v26, 0x3fb8aa3b, v114, -v24
	v_sub_f32_e32 v24, v24, v25
	s_delay_alu instid0(VALU_DEP_2) | instskip(SKIP_1) | instid1(VALU_DEP_2)
	v_fmac_f32_e32 v26, 0x32a5705f, v114
	v_cvt_i32_f32_e32 v25, v25
	v_add_f32_e32 v24, v24, v26
	s_delay_alu instid0(VALU_DEP_1) | instskip(SKIP_2) | instid1(VALU_DEP_1)
	v_exp_f32_e32 v24, v24
	s_waitcnt_depctr 0xfff
	v_ldexp_f32 v24, v24, v25
	v_cndmask_b32_e32 v24, 0, v24, vcc_lo
	v_cmp_nlt_f32_e32 vcc_lo, 0x42b17218, v114
	s_delay_alu instid0(VALU_DEP_2) | instskip(NEXT) | instid1(VALU_DEP_1)
	v_cndmask_b32_e32 v26, 0x7f800000, v24, vcc_lo
	v_add_f32_e32 v27, 1.0, v26
	s_delay_alu instid0(VALU_DEP_1) | instskip(NEXT) | instid1(VALU_DEP_1)
	v_cvt_f64_f32_e32 v[24:25], v27
	v_frexp_exp_i32_f64_e32 v24, v[24:25]
	v_frexp_mant_f32_e32 v25, v27
	s_delay_alu instid0(VALU_DEP_1) | instskip(SKIP_1) | instid1(VALU_DEP_1)
	v_cmp_gt_f32_e32 vcc_lo, 0x3f2aaaab, v25
	v_add_f32_e32 v25, -1.0, v27
	v_sub_f32_e32 v29, v25, v27
	v_sub_f32_e32 v25, v26, v25
	s_delay_alu instid0(VALU_DEP_2) | instskip(NEXT) | instid1(VALU_DEP_1)
	v_add_f32_e32 v29, 1.0, v29
	v_add_f32_e32 v25, v25, v29
	v_cmp_gt_f32_e64 s29, 0x33800000, v26
	v_subrev_co_ci_u32_e32 v24, vcc_lo, 0, v24, vcc_lo
	v_cmp_eq_f32_e32 vcc_lo, 0x7f800000, v26
	s_delay_alu instid0(VALU_DEP_2) | instskip(SKIP_2) | instid1(VALU_DEP_2)
	v_sub_nc_u32_e32 v28, 0, v24
	v_cvt_f32_i32_e32 v24, v24
	s_or_b32 vcc_lo, s29, vcc_lo
	v_ldexp_f32 v27, v27, v28
	v_ldexp_f32 v25, v25, v28
	s_delay_alu instid0(VALU_DEP_2) | instskip(NEXT) | instid1(VALU_DEP_1)
	v_add_f32_e32 v30, 1.0, v27
	v_dual_add_f32 v28, -1.0, v27 :: v_dual_add_f32 v29, -1.0, v30
	s_delay_alu instid0(VALU_DEP_1) | instskip(NEXT) | instid1(VALU_DEP_2)
	v_add_f32_e32 v31, 1.0, v28
	v_sub_f32_e32 v29, v27, v29
	s_delay_alu instid0(VALU_DEP_2) | instskip(NEXT) | instid1(VALU_DEP_2)
	v_sub_f32_e32 v27, v27, v31
	v_add_f32_e32 v29, v25, v29
	s_delay_alu instid0(VALU_DEP_2) | instskip(NEXT) | instid1(VALU_DEP_2)
	v_add_f32_e32 v25, v25, v27
	v_add_f32_e32 v31, v30, v29
	s_delay_alu instid0(VALU_DEP_1) | instskip(NEXT) | instid1(VALU_DEP_2)
	v_rcp_f32_e32 v27, v31
	v_dual_add_f32 v33, v28, v25 :: v_dual_sub_f32 v30, v30, v31
	s_delay_alu instid0(VALU_DEP_1) | instskip(SKIP_3) | instid1(VALU_DEP_2)
	v_sub_f32_e32 v28, v28, v33
	s_waitcnt_depctr 0xfff
	v_mul_f32_e32 v114, v33, v27
	v_add_f32_e32 v25, v25, v28
	v_mul_f32_e32 v115, v31, v114
	v_add_f32_e32 v29, v29, v30
	s_delay_alu instid0(VALU_DEP_2) | instskip(NEXT) | instid1(VALU_DEP_1)
	v_fma_f32 v30, v114, v31, -v115
	v_fmac_f32_e32 v30, v114, v29
	s_delay_alu instid0(VALU_DEP_1) | instskip(NEXT) | instid1(VALU_DEP_1)
	v_add_f32_e32 v116, v115, v30
	v_dual_sub_f32 v28, v116, v115 :: v_dual_sub_f32 v117, v33, v116
	s_delay_alu instid0(VALU_DEP_1) | instskip(NEXT) | instid1(VALU_DEP_1)
	v_dual_sub_f32 v28, v28, v30 :: v_dual_sub_f32 v33, v33, v117
	v_sub_f32_e32 v33, v33, v116
	s_delay_alu instid0(VALU_DEP_1) | instskip(NEXT) | instid1(VALU_DEP_1)
	v_add_f32_e32 v25, v25, v33
	v_add_f32_e32 v25, v28, v25
	s_delay_alu instid0(VALU_DEP_1) | instskip(NEXT) | instid1(VALU_DEP_1)
	v_add_f32_e32 v28, v117, v25
	v_sub_f32_e32 v116, v117, v28
	v_mul_f32_e32 v30, v27, v28
	s_delay_alu instid0(VALU_DEP_2) | instskip(NEXT) | instid1(VALU_DEP_2)
	v_add_f32_e32 v25, v25, v116
	v_mul_f32_e32 v33, v31, v30
	s_delay_alu instid0(VALU_DEP_1) | instskip(NEXT) | instid1(VALU_DEP_1)
	v_fma_f32 v31, v30, v31, -v33
	v_fmac_f32_e32 v31, v30, v29
	s_delay_alu instid0(VALU_DEP_1) | instskip(NEXT) | instid1(VALU_DEP_1)
	v_add_f32_e32 v29, v33, v31
	v_sub_f32_e32 v115, v28, v29
	s_delay_alu instid0(VALU_DEP_1) | instskip(NEXT) | instid1(VALU_DEP_1)
	v_dual_sub_f32 v33, v29, v33 :: v_dual_sub_f32 v28, v28, v115
	v_dual_sub_f32 v28, v28, v29 :: v_dual_sub_f32 v29, v33, v31
	s_delay_alu instid0(VALU_DEP_1) | instskip(NEXT) | instid1(VALU_DEP_1)
	v_dual_add_f32 v25, v25, v28 :: v_dual_add_f32 v28, v114, v30
	v_add_f32_e32 v25, v29, v25
	s_delay_alu instid0(VALU_DEP_2) | instskip(NEXT) | instid1(VALU_DEP_2)
	v_sub_f32_e32 v29, v28, v114
	v_add_f32_e32 v25, v115, v25
	s_delay_alu instid0(VALU_DEP_2) | instskip(NEXT) | instid1(VALU_DEP_2)
	v_sub_f32_e32 v29, v30, v29
	v_mul_f32_e32 v25, v27, v25
	s_delay_alu instid0(VALU_DEP_1) | instskip(NEXT) | instid1(VALU_DEP_1)
	v_add_f32_e32 v25, v29, v25
	v_add_f32_e32 v27, v28, v25
	s_delay_alu instid0(VALU_DEP_1) | instskip(NEXT) | instid1(VALU_DEP_1)
	v_mul_f32_e32 v29, v27, v27
	v_fmaak_f32 v30, s85, v29, 0x3ecc95a3
	v_mul_f32_e32 v31, v27, v29
	s_delay_alu instid0(VALU_DEP_2) | instskip(SKIP_2) | instid1(VALU_DEP_3)
	v_fmaak_f32 v29, v29, v30, 0x3f2aaada
	v_ldexp_f32 v30, v27, 1
	v_sub_f32_e32 v27, v27, v28
	v_mul_f32_e32 v29, v31, v29
	v_mul_f32_e32 v31, 0x3f317218, v24
	s_delay_alu instid0(VALU_DEP_2) | instskip(NEXT) | instid1(VALU_DEP_1)
	v_dual_sub_f32 v25, v25, v27 :: v_dual_add_f32 v28, v30, v29
	v_ldexp_f32 v25, v25, 1
	s_delay_alu instid0(VALU_DEP_2) | instskip(NEXT) | instid1(VALU_DEP_4)
	v_sub_f32_e32 v27, v28, v30
	v_fma_f32 v30, 0x3f317218, v24, -v31
	s_delay_alu instid0(VALU_DEP_1) | instskip(NEXT) | instid1(VALU_DEP_1)
	v_dual_sub_f32 v27, v29, v27 :: v_dual_fmac_f32 v30, 0xb102e308, v24
	v_dual_add_f32 v24, v25, v27 :: v_dual_add_f32 v25, v31, v30
	s_delay_alu instid0(VALU_DEP_1) | instskip(NEXT) | instid1(VALU_DEP_2)
	v_add_f32_e32 v27, v28, v24
	v_sub_f32_e32 v31, v25, v31
	s_delay_alu instid0(VALU_DEP_2) | instskip(NEXT) | instid1(VALU_DEP_1)
	v_dual_add_f32 v29, v25, v27 :: v_dual_sub_f32 v28, v27, v28
	v_dual_sub_f32 v30, v30, v31 :: v_dual_sub_f32 v33, v29, v25
	s_delay_alu instid0(VALU_DEP_2) | instskip(NEXT) | instid1(VALU_DEP_2)
	v_sub_f32_e32 v24, v24, v28
	v_sub_f32_e32 v114, v29, v33
	s_delay_alu instid0(VALU_DEP_2) | instskip(NEXT) | instid1(VALU_DEP_2)
	v_dual_sub_f32 v27, v27, v33 :: v_dual_add_f32 v28, v30, v24
	v_sub_f32_e32 v25, v25, v114
	s_delay_alu instid0(VALU_DEP_1) | instskip(NEXT) | instid1(VALU_DEP_3)
	v_add_f32_e32 v25, v27, v25
	v_sub_f32_e32 v27, v28, v30
	s_delay_alu instid0(VALU_DEP_2) | instskip(NEXT) | instid1(VALU_DEP_2)
	v_add_f32_e32 v25, v28, v25
	v_sub_f32_e32 v28, v28, v27
	s_delay_alu instid0(VALU_DEP_2) | instskip(NEXT) | instid1(VALU_DEP_1)
	v_dual_sub_f32 v24, v24, v27 :: v_dual_add_f32 v31, v29, v25
	v_dual_sub_f32 v28, v30, v28 :: v_dual_sub_f32 v27, v31, v29
	s_delay_alu instid0(VALU_DEP_1) | instskip(NEXT) | instid1(VALU_DEP_1)
	v_dual_add_f32 v24, v24, v28 :: v_dual_sub_f32 v25, v25, v27
	v_add_f32_e32 v24, v24, v25
	s_delay_alu instid0(VALU_DEP_1) | instskip(NEXT) | instid1(VALU_DEP_1)
	v_add_f32_e32 v24, v31, v24
	v_cndmask_b32_e32 v114, v24, v26, vcc_lo
.LBB159_90:                             ;   in Loop: Header=BB159_12 Depth=1
	s_or_b32 exec_lo, exec_lo, s30
	s_waitcnt lgkmcnt(3)
	v_add_f32_e32 v115, s69, v22
	s_delay_alu instid0(VALU_DEP_1) | instskip(SKIP_1) | instid1(SALU_CYCLE_1)
	v_cmp_ge_f32_e32 vcc_lo, 0x41a00000, v115
	s_and_b32 s29, s81, vcc_lo
	s_and_saveexec_b32 s30, s29
	s_cbranch_execz .LBB159_92
; %bb.91:                               ;   in Loop: Header=BB159_12 Depth=1
	v_mul_f32_e32 v22, 0x3fb8aa3b, v115
	v_cmp_ngt_f32_e32 vcc_lo, 0xc2ce8ed0, v115
	s_delay_alu instid0(VALU_DEP_2) | instskip(SKIP_1) | instid1(VALU_DEP_1)
	v_rndne_f32_e32 v24, v22
	v_fma_f32 v25, 0x3fb8aa3b, v115, -v22
	v_dual_sub_f32 v22, v22, v24 :: v_dual_fmac_f32 v25, 0x32a5705f, v115
	v_cvt_i32_f32_e32 v24, v24
	s_delay_alu instid0(VALU_DEP_2) | instskip(NEXT) | instid1(VALU_DEP_1)
	v_add_f32_e32 v22, v22, v25
	v_exp_f32_e32 v22, v22
	s_waitcnt_depctr 0xfff
	v_ldexp_f32 v22, v22, v24
	s_delay_alu instid0(VALU_DEP_1) | instskip(SKIP_1) | instid1(VALU_DEP_2)
	v_cndmask_b32_e32 v22, 0, v22, vcc_lo
	v_cmp_nlt_f32_e32 vcc_lo, 0x42b17218, v115
	v_cndmask_b32_e32 v22, 0x7f800000, v22, vcc_lo
	s_delay_alu instid0(VALU_DEP_1) | instskip(NEXT) | instid1(VALU_DEP_1)
	v_add_f32_e32 v26, 1.0, v22
	v_cvt_f64_f32_e32 v[24:25], v26
	s_delay_alu instid0(VALU_DEP_1) | instskip(SKIP_1) | instid1(VALU_DEP_1)
	v_frexp_exp_i32_f64_e32 v24, v[24:25]
	v_frexp_mant_f32_e32 v25, v26
	v_cmp_gt_f32_e32 vcc_lo, 0x3f2aaaab, v25
	v_add_f32_e32 v25, -1.0, v26
	s_delay_alu instid0(VALU_DEP_1) | instskip(SKIP_1) | instid1(VALU_DEP_1)
	v_dual_sub_f32 v28, v25, v26 :: v_dual_sub_f32 v25, v22, v25
	v_subrev_co_ci_u32_e32 v24, vcc_lo, 0, v24, vcc_lo
	v_sub_nc_u32_e32 v27, 0, v24
	v_cvt_f32_i32_e32 v24, v24
	s_delay_alu instid0(VALU_DEP_2) | instskip(NEXT) | instid1(VALU_DEP_1)
	v_ldexp_f32 v26, v26, v27
	v_dual_add_f32 v28, 1.0, v28 :: v_dual_add_f32 v29, 1.0, v26
	s_delay_alu instid0(VALU_DEP_1) | instskip(NEXT) | instid1(VALU_DEP_1)
	v_add_f32_e32 v25, v25, v28
	v_ldexp_f32 v25, v25, v27
	s_delay_alu instid0(VALU_DEP_3) | instskip(NEXT) | instid1(VALU_DEP_1)
	v_dual_add_f32 v27, -1.0, v26 :: v_dual_add_f32 v28, -1.0, v29
	v_add_f32_e32 v30, 1.0, v27
	s_delay_alu instid0(VALU_DEP_2) | instskip(NEXT) | instid1(VALU_DEP_2)
	v_sub_f32_e32 v28, v26, v28
	v_sub_f32_e32 v26, v26, v30
	s_delay_alu instid0(VALU_DEP_2) | instskip(NEXT) | instid1(VALU_DEP_2)
	v_add_f32_e32 v28, v25, v28
	v_add_f32_e32 v25, v25, v26
	s_delay_alu instid0(VALU_DEP_1) | instskip(SKIP_2) | instid1(VALU_DEP_3)
	v_add_f32_e32 v31, v27, v25
	v_cmp_eq_f32_e32 vcc_lo, 0x7f800000, v22
	v_cmp_gt_f32_e64 s29, 0x33800000, v22
	v_dual_sub_f32 v27, v27, v31 :: v_dual_add_f32 v30, v29, v28
	s_delay_alu instid0(VALU_DEP_2) | instskip(NEXT) | instid1(VALU_DEP_1)
	s_or_b32 vcc_lo, s29, vcc_lo
	v_add_f32_e32 v25, v25, v27
	s_delay_alu instid0(VALU_DEP_2) | instskip(SKIP_3) | instid1(VALU_DEP_2)
	v_rcp_f32_e32 v26, v30
	s_waitcnt_depctr 0xfff
	v_mul_f32_e32 v33, v31, v26
	v_sub_f32_e32 v29, v29, v30
	v_mul_f32_e32 v115, v30, v33
	s_delay_alu instid0(VALU_DEP_2) | instskip(NEXT) | instid1(VALU_DEP_2)
	v_add_f32_e32 v28, v28, v29
	v_fma_f32 v29, v33, v30, -v115
	s_delay_alu instid0(VALU_DEP_1) | instskip(NEXT) | instid1(VALU_DEP_1)
	v_fmac_f32_e32 v29, v33, v28
	v_add_f32_e32 v116, v115, v29
	s_delay_alu instid0(VALU_DEP_1) | instskip(NEXT) | instid1(VALU_DEP_1)
	v_sub_f32_e32 v117, v31, v116
	v_sub_f32_e32 v31, v31, v117
	s_delay_alu instid0(VALU_DEP_1) | instskip(NEXT) | instid1(VALU_DEP_1)
	v_sub_f32_e32 v31, v31, v116
	v_add_f32_e32 v25, v25, v31
	v_sub_f32_e32 v27, v116, v115
	s_delay_alu instid0(VALU_DEP_1) | instskip(NEXT) | instid1(VALU_DEP_1)
	v_sub_f32_e32 v27, v27, v29
	v_add_f32_e32 v25, v27, v25
	s_delay_alu instid0(VALU_DEP_1) | instskip(NEXT) | instid1(VALU_DEP_1)
	v_add_f32_e32 v27, v117, v25
	v_mul_f32_e32 v29, v26, v27
	s_delay_alu instid0(VALU_DEP_1) | instskip(NEXT) | instid1(VALU_DEP_1)
	v_mul_f32_e32 v31, v30, v29
	v_fma_f32 v30, v29, v30, -v31
	s_delay_alu instid0(VALU_DEP_1) | instskip(NEXT) | instid1(VALU_DEP_1)
	v_fmac_f32_e32 v30, v29, v28
	v_add_f32_e32 v28, v31, v30
	s_delay_alu instid0(VALU_DEP_1) | instskip(NEXT) | instid1(VALU_DEP_1)
	v_dual_sub_f32 v116, v117, v27 :: v_dual_sub_f32 v115, v27, v28
	v_add_f32_e32 v25, v25, v116
	v_sub_f32_e32 v31, v28, v31
	s_delay_alu instid0(VALU_DEP_3) | instskip(NEXT) | instid1(VALU_DEP_1)
	v_sub_f32_e32 v27, v27, v115
	v_sub_f32_e32 v27, v27, v28
	s_delay_alu instid0(VALU_DEP_1) | instskip(SKIP_1) | instid1(VALU_DEP_2)
	v_dual_sub_f32 v28, v31, v30 :: v_dual_add_f32 v25, v25, v27
	v_add_f32_e32 v27, v33, v29
	v_add_f32_e32 v25, v28, v25
	s_delay_alu instid0(VALU_DEP_2) | instskip(NEXT) | instid1(VALU_DEP_1)
	v_sub_f32_e32 v28, v27, v33
	v_dual_add_f32 v25, v115, v25 :: v_dual_sub_f32 v28, v29, v28
	s_delay_alu instid0(VALU_DEP_1) | instskip(NEXT) | instid1(VALU_DEP_1)
	v_mul_f32_e32 v25, v26, v25
	v_add_f32_e32 v25, v28, v25
	s_delay_alu instid0(VALU_DEP_1) | instskip(NEXT) | instid1(VALU_DEP_1)
	v_add_f32_e32 v26, v27, v25
	v_mul_f32_e32 v28, v26, v26
	s_delay_alu instid0(VALU_DEP_1) | instskip(SKIP_1) | instid1(VALU_DEP_2)
	v_fmaak_f32 v29, s85, v28, 0x3ecc95a3
	v_mul_f32_e32 v30, v26, v28
	v_fmaak_f32 v28, v28, v29, 0x3f2aaada
	v_ldexp_f32 v29, v26, 1
	v_sub_f32_e32 v26, v26, v27
	s_delay_alu instid0(VALU_DEP_3) | instskip(SKIP_1) | instid1(VALU_DEP_2)
	v_mul_f32_e32 v28, v30, v28
	v_mul_f32_e32 v30, 0x3f317218, v24
	v_add_f32_e32 v27, v29, v28
	s_delay_alu instid0(VALU_DEP_1) | instskip(NEXT) | instid1(VALU_DEP_3)
	v_dual_sub_f32 v25, v25, v26 :: v_dual_sub_f32 v26, v27, v29
	v_fma_f32 v29, 0x3f317218, v24, -v30
	s_delay_alu instid0(VALU_DEP_2) | instskip(NEXT) | instid1(VALU_DEP_2)
	v_ldexp_f32 v25, v25, 1
	v_dual_sub_f32 v26, v28, v26 :: v_dual_fmac_f32 v29, 0xb102e308, v24
	s_delay_alu instid0(VALU_DEP_1) | instskip(NEXT) | instid1(VALU_DEP_1)
	v_dual_add_f32 v24, v25, v26 :: v_dual_add_f32 v25, v30, v29
	v_add_f32_e32 v26, v27, v24
	s_delay_alu instid0(VALU_DEP_2) | instskip(NEXT) | instid1(VALU_DEP_2)
	v_sub_f32_e32 v30, v25, v30
	v_dual_add_f32 v28, v25, v26 :: v_dual_sub_f32 v27, v26, v27
	s_delay_alu instid0(VALU_DEP_2) | instskip(NEXT) | instid1(VALU_DEP_2)
	v_sub_f32_e32 v29, v29, v30
	v_sub_f32_e32 v31, v28, v25
	s_delay_alu instid0(VALU_DEP_3) | instskip(NEXT) | instid1(VALU_DEP_1)
	v_sub_f32_e32 v24, v24, v27
	v_dual_sub_f32 v26, v26, v31 :: v_dual_add_f32 v27, v29, v24
	v_sub_f32_e32 v33, v28, v31
	s_delay_alu instid0(VALU_DEP_1) | instskip(NEXT) | instid1(VALU_DEP_1)
	v_sub_f32_e32 v25, v25, v33
	v_add_f32_e32 v25, v26, v25
	s_delay_alu instid0(VALU_DEP_4) | instskip(NEXT) | instid1(VALU_DEP_2)
	v_sub_f32_e32 v26, v27, v29
	v_add_f32_e32 v25, v27, v25
	s_delay_alu instid0(VALU_DEP_2) | instskip(SKIP_1) | instid1(VALU_DEP_2)
	v_sub_f32_e32 v27, v27, v26
	v_sub_f32_e32 v24, v24, v26
	v_dual_add_f32 v30, v28, v25 :: v_dual_sub_f32 v27, v29, v27
	s_delay_alu instid0(VALU_DEP_1) | instskip(NEXT) | instid1(VALU_DEP_1)
	v_sub_f32_e32 v26, v30, v28
	v_dual_add_f32 v24, v24, v27 :: v_dual_sub_f32 v25, v25, v26
	s_delay_alu instid0(VALU_DEP_1) | instskip(NEXT) | instid1(VALU_DEP_1)
	v_add_f32_e32 v24, v24, v25
	v_add_f32_e32 v24, v30, v24
	s_delay_alu instid0(VALU_DEP_1)
	v_cndmask_b32_e32 v115, v24, v22, vcc_lo
.LBB159_92:                             ;   in Loop: Header=BB159_12 Depth=1
	s_or_b32 exec_lo, exec_lo, s30
	v_add_f32_e32 v116, s69, v23
	s_delay_alu instid0(VALU_DEP_1) | instskip(SKIP_1) | instid1(SALU_CYCLE_1)
	v_cmp_ge_f32_e32 vcc_lo, 0x41a00000, v116
	s_and_b32 s29, s81, vcc_lo
	s_and_saveexec_b32 s30, s29
	s_cbranch_execz .LBB159_94
; %bb.93:                               ;   in Loop: Header=BB159_12 Depth=1
	v_mul_f32_e32 v22, 0x3fb8aa3b, v116
	v_cmp_ngt_f32_e32 vcc_lo, 0xc2ce8ed0, v116
	s_delay_alu instid0(VALU_DEP_2) | instskip(SKIP_1) | instid1(VALU_DEP_2)
	v_rndne_f32_e32 v23, v22
	v_fma_f32 v24, 0x3fb8aa3b, v116, -v22
	v_sub_f32_e32 v22, v22, v23
	s_delay_alu instid0(VALU_DEP_2) | instskip(SKIP_1) | instid1(VALU_DEP_2)
	v_fmac_f32_e32 v24, 0x32a5705f, v116
	v_cvt_i32_f32_e32 v23, v23
	v_add_f32_e32 v22, v22, v24
	s_delay_alu instid0(VALU_DEP_1) | instskip(SKIP_2) | instid1(VALU_DEP_1)
	v_exp_f32_e32 v22, v22
	s_waitcnt_depctr 0xfff
	v_ldexp_f32 v22, v22, v23
	v_cndmask_b32_e32 v22, 0, v22, vcc_lo
	v_cmp_nlt_f32_e32 vcc_lo, 0x42b17218, v116
	s_delay_alu instid0(VALU_DEP_2) | instskip(NEXT) | instid1(VALU_DEP_1)
	v_cndmask_b32_e32 v24, 0x7f800000, v22, vcc_lo
	v_add_f32_e32 v25, 1.0, v24
	s_delay_alu instid0(VALU_DEP_1) | instskip(NEXT) | instid1(VALU_DEP_1)
	v_cvt_f64_f32_e32 v[22:23], v25
	v_frexp_exp_i32_f64_e32 v22, v[22:23]
	v_frexp_mant_f32_e32 v23, v25
	s_delay_alu instid0(VALU_DEP_1) | instskip(SKIP_1) | instid1(VALU_DEP_1)
	v_cmp_gt_f32_e32 vcc_lo, 0x3f2aaaab, v23
	v_add_f32_e32 v23, -1.0, v25
	v_sub_f32_e32 v27, v23, v25
	v_sub_f32_e32 v23, v24, v23
	s_delay_alu instid0(VALU_DEP_2) | instskip(NEXT) | instid1(VALU_DEP_1)
	v_add_f32_e32 v27, 1.0, v27
	v_add_f32_e32 v23, v23, v27
	v_cmp_gt_f32_e64 s29, 0x33800000, v24
	v_subrev_co_ci_u32_e32 v22, vcc_lo, 0, v22, vcc_lo
	v_cmp_eq_f32_e32 vcc_lo, 0x7f800000, v24
	s_delay_alu instid0(VALU_DEP_2) | instskip(SKIP_2) | instid1(VALU_DEP_2)
	v_sub_nc_u32_e32 v26, 0, v22
	v_cvt_f32_i32_e32 v22, v22
	s_or_b32 vcc_lo, s29, vcc_lo
	v_ldexp_f32 v25, v25, v26
	v_ldexp_f32 v23, v23, v26
	s_delay_alu instid0(VALU_DEP_2) | instskip(NEXT) | instid1(VALU_DEP_1)
	v_add_f32_e32 v28, 1.0, v25
	v_dual_add_f32 v26, -1.0, v25 :: v_dual_add_f32 v27, -1.0, v28
	s_delay_alu instid0(VALU_DEP_1) | instskip(NEXT) | instid1(VALU_DEP_2)
	v_add_f32_e32 v29, 1.0, v26
	v_sub_f32_e32 v27, v25, v27
	s_delay_alu instid0(VALU_DEP_2) | instskip(NEXT) | instid1(VALU_DEP_2)
	v_sub_f32_e32 v25, v25, v29
	v_add_f32_e32 v27, v23, v27
	s_delay_alu instid0(VALU_DEP_2) | instskip(NEXT) | instid1(VALU_DEP_2)
	v_add_f32_e32 v23, v23, v25
	v_add_f32_e32 v29, v28, v27
	s_delay_alu instid0(VALU_DEP_2) | instskip(NEXT) | instid1(VALU_DEP_2)
	v_add_f32_e32 v30, v26, v23
	v_rcp_f32_e32 v25, v29
	v_sub_f32_e32 v28, v28, v29
	s_delay_alu instid0(VALU_DEP_2) | instskip(SKIP_2) | instid1(VALU_DEP_1)
	v_sub_f32_e32 v26, v26, v30
	s_waitcnt_depctr 0xfff
	v_mul_f32_e32 v31, v30, v25
	v_mul_f32_e32 v33, v29, v31
	v_add_f32_e32 v27, v27, v28
	s_delay_alu instid0(VALU_DEP_2) | instskip(NEXT) | instid1(VALU_DEP_1)
	v_fma_f32 v28, v31, v29, -v33
	v_fmac_f32_e32 v28, v31, v27
	s_delay_alu instid0(VALU_DEP_1) | instskip(NEXT) | instid1(VALU_DEP_1)
	v_add_f32_e32 v116, v33, v28
	v_sub_f32_e32 v117, v30, v116
	s_delay_alu instid0(VALU_DEP_1) | instskip(SKIP_1) | instid1(VALU_DEP_2)
	v_dual_sub_f32 v30, v30, v117 :: v_dual_add_f32 v23, v23, v26
	v_sub_f32_e32 v26, v116, v33
	v_sub_f32_e32 v30, v30, v116
	s_delay_alu instid0(VALU_DEP_1) | instskip(NEXT) | instid1(VALU_DEP_1)
	v_dual_sub_f32 v26, v26, v28 :: v_dual_add_f32 v23, v23, v30
	v_add_f32_e32 v23, v26, v23
	s_delay_alu instid0(VALU_DEP_1) | instskip(NEXT) | instid1(VALU_DEP_1)
	v_add_f32_e32 v26, v117, v23
	v_mul_f32_e32 v28, v25, v26
	v_sub_f32_e32 v116, v117, v26
	s_delay_alu instid0(VALU_DEP_2) | instskip(NEXT) | instid1(VALU_DEP_2)
	v_mul_f32_e32 v30, v29, v28
	v_add_f32_e32 v23, v23, v116
	s_delay_alu instid0(VALU_DEP_2) | instskip(NEXT) | instid1(VALU_DEP_1)
	v_fma_f32 v29, v28, v29, -v30
	v_fmac_f32_e32 v29, v28, v27
	s_delay_alu instid0(VALU_DEP_1) | instskip(NEXT) | instid1(VALU_DEP_1)
	v_add_f32_e32 v27, v30, v29
	v_sub_f32_e32 v33, v26, v27
	s_delay_alu instid0(VALU_DEP_1) | instskip(NEXT) | instid1(VALU_DEP_1)
	v_sub_f32_e32 v26, v26, v33
	v_sub_f32_e32 v26, v26, v27
	s_delay_alu instid0(VALU_DEP_1) | instskip(SKIP_2) | instid1(VALU_DEP_1)
	v_add_f32_e32 v23, v23, v26
	v_add_f32_e32 v26, v31, v28
	v_sub_f32_e32 v30, v27, v30
	v_sub_f32_e32 v27, v30, v29
	s_delay_alu instid0(VALU_DEP_1) | instskip(NEXT) | instid1(VALU_DEP_4)
	v_add_f32_e32 v23, v27, v23
	v_sub_f32_e32 v27, v26, v31
	s_delay_alu instid0(VALU_DEP_2) | instskip(NEXT) | instid1(VALU_DEP_2)
	v_add_f32_e32 v23, v33, v23
	v_sub_f32_e32 v27, v28, v27
	s_delay_alu instid0(VALU_DEP_2) | instskip(NEXT) | instid1(VALU_DEP_1)
	v_mul_f32_e32 v23, v25, v23
	v_add_f32_e32 v23, v27, v23
	s_delay_alu instid0(VALU_DEP_1) | instskip(NEXT) | instid1(VALU_DEP_1)
	v_add_f32_e32 v25, v26, v23
	v_mul_f32_e32 v27, v25, v25
	s_delay_alu instid0(VALU_DEP_1) | instskip(SKIP_1) | instid1(VALU_DEP_2)
	v_fmaak_f32 v28, s85, v27, 0x3ecc95a3
	v_mul_f32_e32 v29, v25, v27
	v_fmaak_f32 v27, v27, v28, 0x3f2aaada
	v_ldexp_f32 v28, v25, 1
	s_delay_alu instid0(VALU_DEP_2) | instskip(SKIP_1) | instid1(VALU_DEP_2)
	v_mul_f32_e32 v27, v29, v27
	v_sub_f32_e32 v25, v25, v26
	v_dual_mul_f32 v29, 0x3f317218, v22 :: v_dual_add_f32 v26, v28, v27
	s_delay_alu instid0(VALU_DEP_2) | instskip(NEXT) | instid1(VALU_DEP_2)
	v_sub_f32_e32 v23, v23, v25
	v_sub_f32_e32 v25, v26, v28
	s_delay_alu instid0(VALU_DEP_3) | instskip(NEXT) | instid1(VALU_DEP_3)
	v_fma_f32 v28, 0x3f317218, v22, -v29
	v_ldexp_f32 v23, v23, 1
	s_delay_alu instid0(VALU_DEP_2) | instskip(NEXT) | instid1(VALU_DEP_1)
	v_dual_sub_f32 v25, v27, v25 :: v_dual_fmac_f32 v28, 0xb102e308, v22
	v_dual_add_f32 v22, v23, v25 :: v_dual_add_f32 v23, v29, v28
	s_delay_alu instid0(VALU_DEP_1) | instskip(NEXT) | instid1(VALU_DEP_1)
	v_add_f32_e32 v25, v26, v22
	v_dual_add_f32 v27, v23, v25 :: v_dual_sub_f32 v26, v25, v26
	s_delay_alu instid0(VALU_DEP_1) | instskip(NEXT) | instid1(VALU_DEP_2)
	v_sub_f32_e32 v30, v27, v23
	v_dual_sub_f32 v29, v23, v29 :: v_dual_sub_f32 v22, v22, v26
	s_delay_alu instid0(VALU_DEP_1) | instskip(SKIP_1) | instid1(VALU_DEP_2)
	v_dual_sub_f32 v31, v27, v30 :: v_dual_sub_f32 v28, v28, v29
	v_sub_f32_e32 v25, v25, v30
	v_dual_sub_f32 v23, v23, v31 :: v_dual_add_f32 v26, v28, v22
	s_delay_alu instid0(VALU_DEP_1) | instskip(NEXT) | instid1(VALU_DEP_2)
	v_add_f32_e32 v23, v25, v23
	v_sub_f32_e32 v25, v26, v28
	s_delay_alu instid0(VALU_DEP_2) | instskip(NEXT) | instid1(VALU_DEP_2)
	v_add_f32_e32 v23, v26, v23
	v_sub_f32_e32 v26, v26, v25
	s_delay_alu instid0(VALU_DEP_2) | instskip(NEXT) | instid1(VALU_DEP_1)
	v_dual_sub_f32 v22, v22, v25 :: v_dual_add_f32 v29, v27, v23
	v_dual_sub_f32 v26, v28, v26 :: v_dual_sub_f32 v25, v29, v27
	s_delay_alu instid0(VALU_DEP_1) | instskip(NEXT) | instid1(VALU_DEP_1)
	v_dual_add_f32 v22, v22, v26 :: v_dual_sub_f32 v23, v23, v25
	v_add_f32_e32 v22, v22, v23
	s_delay_alu instid0(VALU_DEP_1) | instskip(NEXT) | instid1(VALU_DEP_1)
	v_add_f32_e32 v22, v29, v22
	v_cndmask_b32_e32 v116, v22, v24, vcc_lo
.LBB159_94:                             ;   in Loop: Header=BB159_12 Depth=1
	s_or_b32 exec_lo, exec_lo, s30
	s_waitcnt lgkmcnt(2)
	v_add_f32_e32 v117, s69, v20
	s_delay_alu instid0(VALU_DEP_1) | instskip(SKIP_1) | instid1(SALU_CYCLE_1)
	v_cmp_ge_f32_e32 vcc_lo, 0x41a00000, v117
	s_and_b32 s29, s81, vcc_lo
	s_and_saveexec_b32 s30, s29
	s_cbranch_execz .LBB159_96
; %bb.95:                               ;   in Loop: Header=BB159_12 Depth=1
	v_mul_f32_e32 v20, 0x3fb8aa3b, v117
	v_cmp_ngt_f32_e32 vcc_lo, 0xc2ce8ed0, v117
	s_delay_alu instid0(VALU_DEP_2) | instskip(SKIP_1) | instid1(VALU_DEP_1)
	v_rndne_f32_e32 v22, v20
	v_fma_f32 v23, 0x3fb8aa3b, v117, -v20
	v_dual_sub_f32 v20, v20, v22 :: v_dual_fmac_f32 v23, 0x32a5705f, v117
	v_cvt_i32_f32_e32 v22, v22
	s_delay_alu instid0(VALU_DEP_2) | instskip(NEXT) | instid1(VALU_DEP_1)
	v_add_f32_e32 v20, v20, v23
	v_exp_f32_e32 v20, v20
	s_waitcnt_depctr 0xfff
	v_ldexp_f32 v20, v20, v22
	s_delay_alu instid0(VALU_DEP_1) | instskip(SKIP_1) | instid1(VALU_DEP_2)
	v_cndmask_b32_e32 v20, 0, v20, vcc_lo
	v_cmp_nlt_f32_e32 vcc_lo, 0x42b17218, v117
	v_cndmask_b32_e32 v20, 0x7f800000, v20, vcc_lo
	s_delay_alu instid0(VALU_DEP_1) | instskip(NEXT) | instid1(VALU_DEP_1)
	v_add_f32_e32 v24, 1.0, v20
	v_cvt_f64_f32_e32 v[22:23], v24
	s_delay_alu instid0(VALU_DEP_1) | instskip(SKIP_1) | instid1(VALU_DEP_1)
	v_frexp_exp_i32_f64_e32 v22, v[22:23]
	v_frexp_mant_f32_e32 v23, v24
	v_cmp_gt_f32_e32 vcc_lo, 0x3f2aaaab, v23
	v_add_f32_e32 v23, -1.0, v24
	s_delay_alu instid0(VALU_DEP_1) | instskip(SKIP_1) | instid1(VALU_DEP_1)
	v_dual_sub_f32 v26, v23, v24 :: v_dual_sub_f32 v23, v20, v23
	v_subrev_co_ci_u32_e32 v22, vcc_lo, 0, v22, vcc_lo
	v_sub_nc_u32_e32 v25, 0, v22
	v_cvt_f32_i32_e32 v22, v22
	s_delay_alu instid0(VALU_DEP_2) | instskip(NEXT) | instid1(VALU_DEP_1)
	v_ldexp_f32 v24, v24, v25
	v_dual_add_f32 v26, 1.0, v26 :: v_dual_add_f32 v27, 1.0, v24
	s_delay_alu instid0(VALU_DEP_1) | instskip(NEXT) | instid1(VALU_DEP_1)
	v_add_f32_e32 v23, v23, v26
	v_ldexp_f32 v23, v23, v25
	s_delay_alu instid0(VALU_DEP_3) | instskip(NEXT) | instid1(VALU_DEP_1)
	v_dual_add_f32 v25, -1.0, v24 :: v_dual_add_f32 v26, -1.0, v27
	v_add_f32_e32 v28, 1.0, v25
	s_delay_alu instid0(VALU_DEP_2) | instskip(NEXT) | instid1(VALU_DEP_2)
	v_sub_f32_e32 v26, v24, v26
	v_sub_f32_e32 v24, v24, v28
	s_delay_alu instid0(VALU_DEP_2) | instskip(NEXT) | instid1(VALU_DEP_2)
	v_add_f32_e32 v26, v23, v26
	v_add_f32_e32 v23, v23, v24
	s_delay_alu instid0(VALU_DEP_1) | instskip(SKIP_2) | instid1(VALU_DEP_3)
	v_dual_add_f32 v29, v25, v23 :: v_dual_add_f32 v28, v27, v26
	v_cmp_eq_f32_e32 vcc_lo, 0x7f800000, v20
	v_cmp_gt_f32_e64 s29, 0x33800000, v20
	v_sub_f32_e32 v25, v25, v29
	s_delay_alu instid0(VALU_DEP_4) | instskip(SKIP_1) | instid1(VALU_DEP_3)
	v_rcp_f32_e32 v24, v28
	v_sub_f32_e32 v27, v27, v28
	s_or_b32 vcc_lo, s29, vcc_lo
	s_delay_alu instid0(VALU_DEP_1) | instskip(SKIP_2) | instid1(VALU_DEP_1)
	v_dual_add_f32 v23, v23, v25 :: v_dual_add_f32 v26, v26, v27
	s_waitcnt_depctr 0xfff
	v_mul_f32_e32 v30, v29, v24
	v_mul_f32_e32 v31, v28, v30
	s_delay_alu instid0(VALU_DEP_1) | instskip(NEXT) | instid1(VALU_DEP_1)
	v_fma_f32 v27, v30, v28, -v31
	v_fmac_f32_e32 v27, v30, v26
	s_delay_alu instid0(VALU_DEP_1) | instskip(NEXT) | instid1(VALU_DEP_1)
	v_add_f32_e32 v33, v31, v27
	v_sub_f32_e32 v117, v29, v33
	s_delay_alu instid0(VALU_DEP_1) | instskip(SKIP_1) | instid1(VALU_DEP_2)
	v_sub_f32_e32 v29, v29, v117
	v_sub_f32_e32 v25, v33, v31
	;; [unrolled: 1-line block ×3, first 2 shown]
	s_delay_alu instid0(VALU_DEP_2) | instskip(NEXT) | instid1(VALU_DEP_2)
	v_sub_f32_e32 v25, v25, v27
	v_add_f32_e32 v23, v23, v29
	s_delay_alu instid0(VALU_DEP_1) | instskip(NEXT) | instid1(VALU_DEP_1)
	v_add_f32_e32 v23, v25, v23
	v_add_f32_e32 v25, v117, v23
	s_delay_alu instid0(VALU_DEP_1) | instskip(SKIP_1) | instid1(VALU_DEP_2)
	v_mul_f32_e32 v27, v24, v25
	v_sub_f32_e32 v33, v117, v25
	v_mul_f32_e32 v29, v28, v27
	s_delay_alu instid0(VALU_DEP_2) | instskip(NEXT) | instid1(VALU_DEP_2)
	v_add_f32_e32 v23, v23, v33
	v_fma_f32 v28, v27, v28, -v29
	s_delay_alu instid0(VALU_DEP_1) | instskip(NEXT) | instid1(VALU_DEP_1)
	v_fmac_f32_e32 v28, v27, v26
	v_add_f32_e32 v26, v29, v28
	s_delay_alu instid0(VALU_DEP_1) | instskip(SKIP_1) | instid1(VALU_DEP_2)
	v_sub_f32_e32 v31, v25, v26
	v_sub_f32_e32 v29, v26, v29
	v_sub_f32_e32 v25, v25, v31
	s_delay_alu instid0(VALU_DEP_1) | instskip(NEXT) | instid1(VALU_DEP_1)
	v_sub_f32_e32 v25, v25, v26
	v_dual_sub_f32 v26, v29, v28 :: v_dual_add_f32 v23, v23, v25
	v_add_f32_e32 v25, v30, v27
	s_delay_alu instid0(VALU_DEP_1) | instskip(NEXT) | instid1(VALU_DEP_1)
	v_dual_add_f32 v23, v26, v23 :: v_dual_sub_f32 v26, v25, v30
	v_add_f32_e32 v23, v31, v23
	s_delay_alu instid0(VALU_DEP_1) | instskip(NEXT) | instid1(VALU_DEP_1)
	v_dual_sub_f32 v26, v27, v26 :: v_dual_mul_f32 v23, v24, v23
	v_add_f32_e32 v23, v26, v23
	s_delay_alu instid0(VALU_DEP_1) | instskip(NEXT) | instid1(VALU_DEP_1)
	v_add_f32_e32 v24, v25, v23
	v_mul_f32_e32 v26, v24, v24
	s_delay_alu instid0(VALU_DEP_1) | instskip(SKIP_1) | instid1(VALU_DEP_2)
	v_fmaak_f32 v27, s85, v26, 0x3ecc95a3
	v_mul_f32_e32 v28, v24, v26
	v_fmaak_f32 v26, v26, v27, 0x3f2aaada
	v_ldexp_f32 v27, v24, 1
	v_sub_f32_e32 v24, v24, v25
	s_delay_alu instid0(VALU_DEP_3) | instskip(NEXT) | instid1(VALU_DEP_2)
	v_mul_f32_e32 v26, v28, v26
	v_dual_mul_f32 v28, 0x3f317218, v22 :: v_dual_sub_f32 v23, v23, v24
	s_delay_alu instid0(VALU_DEP_2) | instskip(NEXT) | instid1(VALU_DEP_2)
	v_add_f32_e32 v25, v27, v26
	v_ldexp_f32 v23, v23, 1
	s_delay_alu instid0(VALU_DEP_2) | instskip(NEXT) | instid1(VALU_DEP_4)
	v_sub_f32_e32 v24, v25, v27
	v_fma_f32 v27, 0x3f317218, v22, -v28
	s_delay_alu instid0(VALU_DEP_1) | instskip(NEXT) | instid1(VALU_DEP_1)
	v_dual_sub_f32 v24, v26, v24 :: v_dual_fmac_f32 v27, 0xb102e308, v22
	v_dual_add_f32 v22, v23, v24 :: v_dual_add_f32 v23, v28, v27
	s_delay_alu instid0(VALU_DEP_1) | instskip(NEXT) | instid1(VALU_DEP_2)
	v_add_f32_e32 v24, v25, v22
	v_sub_f32_e32 v28, v23, v28
	s_delay_alu instid0(VALU_DEP_2) | instskip(NEXT) | instid1(VALU_DEP_2)
	v_dual_add_f32 v26, v23, v24 :: v_dual_sub_f32 v25, v24, v25
	v_sub_f32_e32 v27, v27, v28
	s_delay_alu instid0(VALU_DEP_2) | instskip(NEXT) | instid1(VALU_DEP_3)
	v_sub_f32_e32 v29, v26, v23
	v_sub_f32_e32 v22, v22, v25
	s_delay_alu instid0(VALU_DEP_2) | instskip(NEXT) | instid1(VALU_DEP_2)
	v_sub_f32_e32 v30, v26, v29
	v_dual_sub_f32 v24, v24, v29 :: v_dual_add_f32 v25, v27, v22
	s_delay_alu instid0(VALU_DEP_2) | instskip(NEXT) | instid1(VALU_DEP_1)
	v_sub_f32_e32 v23, v23, v30
	v_add_f32_e32 v23, v24, v23
	s_delay_alu instid0(VALU_DEP_3) | instskip(NEXT) | instid1(VALU_DEP_2)
	v_sub_f32_e32 v24, v25, v27
	v_add_f32_e32 v23, v25, v23
	s_delay_alu instid0(VALU_DEP_2) | instskip(SKIP_1) | instid1(VALU_DEP_2)
	v_sub_f32_e32 v25, v25, v24
	v_sub_f32_e32 v22, v22, v24
	v_dual_add_f32 v28, v26, v23 :: v_dual_sub_f32 v25, v27, v25
	s_delay_alu instid0(VALU_DEP_1) | instskip(NEXT) | instid1(VALU_DEP_1)
	v_sub_f32_e32 v24, v28, v26
	v_dual_add_f32 v22, v22, v25 :: v_dual_sub_f32 v23, v23, v24
	s_delay_alu instid0(VALU_DEP_1) | instskip(NEXT) | instid1(VALU_DEP_1)
	v_add_f32_e32 v22, v22, v23
	v_add_f32_e32 v22, v28, v22
	s_delay_alu instid0(VALU_DEP_1)
	v_cndmask_b32_e32 v117, v22, v20, vcc_lo
.LBB159_96:                             ;   in Loop: Header=BB159_12 Depth=1
	s_or_b32 exec_lo, exec_lo, s30
	v_add_f32_e32 v118, s69, v21
	s_delay_alu instid0(VALU_DEP_1) | instskip(SKIP_1) | instid1(SALU_CYCLE_1)
	v_cmp_ge_f32_e32 vcc_lo, 0x41a00000, v118
	s_and_b32 s29, s81, vcc_lo
	s_and_saveexec_b32 s30, s29
	s_cbranch_execz .LBB159_98
; %bb.97:                               ;   in Loop: Header=BB159_12 Depth=1
	v_mul_f32_e32 v20, 0x3fb8aa3b, v118
	v_cmp_ngt_f32_e32 vcc_lo, 0xc2ce8ed0, v118
	s_delay_alu instid0(VALU_DEP_2) | instskip(SKIP_1) | instid1(VALU_DEP_2)
	v_rndne_f32_e32 v21, v20
	v_fma_f32 v22, 0x3fb8aa3b, v118, -v20
	v_sub_f32_e32 v20, v20, v21
	s_delay_alu instid0(VALU_DEP_2) | instskip(SKIP_1) | instid1(VALU_DEP_2)
	v_fmac_f32_e32 v22, 0x32a5705f, v118
	v_cvt_i32_f32_e32 v21, v21
	v_add_f32_e32 v20, v20, v22
	s_delay_alu instid0(VALU_DEP_1) | instskip(SKIP_2) | instid1(VALU_DEP_1)
	v_exp_f32_e32 v20, v20
	s_waitcnt_depctr 0xfff
	v_ldexp_f32 v20, v20, v21
	v_cndmask_b32_e32 v20, 0, v20, vcc_lo
	v_cmp_nlt_f32_e32 vcc_lo, 0x42b17218, v118
	s_delay_alu instid0(VALU_DEP_2) | instskip(NEXT) | instid1(VALU_DEP_1)
	v_cndmask_b32_e32 v22, 0x7f800000, v20, vcc_lo
	v_add_f32_e32 v23, 1.0, v22
	s_delay_alu instid0(VALU_DEP_1) | instskip(NEXT) | instid1(VALU_DEP_1)
	v_cvt_f64_f32_e32 v[20:21], v23
	v_frexp_exp_i32_f64_e32 v20, v[20:21]
	v_frexp_mant_f32_e32 v21, v23
	s_delay_alu instid0(VALU_DEP_1) | instskip(SKIP_1) | instid1(VALU_DEP_1)
	v_cmp_gt_f32_e32 vcc_lo, 0x3f2aaaab, v21
	v_add_f32_e32 v21, -1.0, v23
	v_sub_f32_e32 v25, v21, v23
	v_sub_f32_e32 v21, v22, v21
	s_delay_alu instid0(VALU_DEP_2) | instskip(NEXT) | instid1(VALU_DEP_1)
	v_add_f32_e32 v25, 1.0, v25
	v_add_f32_e32 v21, v21, v25
	v_cmp_gt_f32_e64 s29, 0x33800000, v22
	v_subrev_co_ci_u32_e32 v20, vcc_lo, 0, v20, vcc_lo
	v_cmp_eq_f32_e32 vcc_lo, 0x7f800000, v22
	s_delay_alu instid0(VALU_DEP_2) | instskip(SKIP_2) | instid1(VALU_DEP_2)
	v_sub_nc_u32_e32 v24, 0, v20
	v_cvt_f32_i32_e32 v20, v20
	s_or_b32 vcc_lo, s29, vcc_lo
	v_ldexp_f32 v23, v23, v24
	v_ldexp_f32 v21, v21, v24
	s_delay_alu instid0(VALU_DEP_2) | instskip(NEXT) | instid1(VALU_DEP_1)
	v_add_f32_e32 v26, 1.0, v23
	v_dual_add_f32 v24, -1.0, v23 :: v_dual_add_f32 v25, -1.0, v26
	s_delay_alu instid0(VALU_DEP_1) | instskip(NEXT) | instid1(VALU_DEP_2)
	v_add_f32_e32 v27, 1.0, v24
	v_sub_f32_e32 v25, v23, v25
	s_delay_alu instid0(VALU_DEP_2) | instskip(NEXT) | instid1(VALU_DEP_2)
	v_sub_f32_e32 v23, v23, v27
	v_add_f32_e32 v25, v21, v25
	s_delay_alu instid0(VALU_DEP_2) | instskip(NEXT) | instid1(VALU_DEP_1)
	v_add_f32_e32 v21, v21, v23
	v_add_f32_e32 v28, v24, v21
	s_delay_alu instid0(VALU_DEP_1) | instskip(NEXT) | instid1(VALU_DEP_1)
	v_dual_add_f32 v27, v26, v25 :: v_dual_sub_f32 v24, v24, v28
	v_rcp_f32_e32 v23, v27
	v_sub_f32_e32 v26, v26, v27
	s_delay_alu instid0(VALU_DEP_1) | instskip(SKIP_2) | instid1(VALU_DEP_1)
	v_add_f32_e32 v25, v25, v26
	s_waitcnt_depctr 0xfff
	v_mul_f32_e32 v29, v28, v23
	v_mul_f32_e32 v30, v27, v29
	s_delay_alu instid0(VALU_DEP_1) | instskip(NEXT) | instid1(VALU_DEP_1)
	v_fma_f32 v26, v29, v27, -v30
	v_fmac_f32_e32 v26, v29, v25
	s_delay_alu instid0(VALU_DEP_1) | instskip(NEXT) | instid1(VALU_DEP_1)
	v_add_f32_e32 v31, v30, v26
	v_sub_f32_e32 v33, v28, v31
	s_delay_alu instid0(VALU_DEP_1) | instskip(SKIP_1) | instid1(VALU_DEP_2)
	v_dual_sub_f32 v28, v28, v33 :: v_dual_add_f32 v21, v21, v24
	v_sub_f32_e32 v24, v31, v30
	v_sub_f32_e32 v28, v28, v31
	s_delay_alu instid0(VALU_DEP_1) | instskip(NEXT) | instid1(VALU_DEP_1)
	v_dual_sub_f32 v24, v24, v26 :: v_dual_add_f32 v21, v21, v28
	v_add_f32_e32 v21, v24, v21
	s_delay_alu instid0(VALU_DEP_1) | instskip(NEXT) | instid1(VALU_DEP_1)
	v_add_f32_e32 v24, v33, v21
	v_mul_f32_e32 v26, v23, v24
	s_delay_alu instid0(VALU_DEP_1) | instskip(NEXT) | instid1(VALU_DEP_1)
	v_dual_sub_f32 v31, v33, v24 :: v_dual_mul_f32 v28, v27, v26
	v_fma_f32 v27, v26, v27, -v28
	s_delay_alu instid0(VALU_DEP_1) | instskip(NEXT) | instid1(VALU_DEP_1)
	v_fmac_f32_e32 v27, v26, v25
	v_add_f32_e32 v25, v28, v27
	s_delay_alu instid0(VALU_DEP_1) | instskip(NEXT) | instid1(VALU_DEP_1)
	v_sub_f32_e32 v30, v24, v25
	v_dual_sub_f32 v24, v24, v30 :: v_dual_add_f32 v21, v21, v31
	s_delay_alu instid0(VALU_DEP_1) | instskip(NEXT) | instid1(VALU_DEP_1)
	v_sub_f32_e32 v24, v24, v25
	v_add_f32_e32 v21, v21, v24
	v_add_f32_e32 v24, v29, v26
	v_sub_f32_e32 v28, v25, v28
	s_delay_alu instid0(VALU_DEP_1) | instskip(NEXT) | instid1(VALU_DEP_1)
	v_sub_f32_e32 v25, v28, v27
	v_add_f32_e32 v21, v25, v21
	s_delay_alu instid0(VALU_DEP_4) | instskip(NEXT) | instid1(VALU_DEP_2)
	v_sub_f32_e32 v25, v24, v29
	v_add_f32_e32 v21, v30, v21
	s_delay_alu instid0(VALU_DEP_2) | instskip(NEXT) | instid1(VALU_DEP_2)
	v_sub_f32_e32 v25, v26, v25
	v_mul_f32_e32 v21, v23, v21
	s_delay_alu instid0(VALU_DEP_1) | instskip(NEXT) | instid1(VALU_DEP_1)
	v_add_f32_e32 v21, v25, v21
	v_add_f32_e32 v23, v24, v21
	s_delay_alu instid0(VALU_DEP_1) | instskip(NEXT) | instid1(VALU_DEP_1)
	v_mul_f32_e32 v25, v23, v23
	v_fmaak_f32 v26, s85, v25, 0x3ecc95a3
	v_mul_f32_e32 v27, v23, v25
	s_delay_alu instid0(VALU_DEP_2) | instskip(SKIP_1) | instid1(VALU_DEP_2)
	v_fmaak_f32 v25, v25, v26, 0x3f2aaada
	v_ldexp_f32 v26, v23, 1
	v_mul_f32_e32 v25, v27, v25
	v_sub_f32_e32 v23, v23, v24
	s_delay_alu instid0(VALU_DEP_2) | instskip(NEXT) | instid1(VALU_DEP_2)
	v_dual_mul_f32 v27, 0x3f317218, v20 :: v_dual_add_f32 v24, v26, v25
	v_sub_f32_e32 v21, v21, v23
	s_delay_alu instid0(VALU_DEP_2) | instskip(NEXT) | instid1(VALU_DEP_3)
	v_sub_f32_e32 v23, v24, v26
	v_fma_f32 v26, 0x3f317218, v20, -v27
	s_delay_alu instid0(VALU_DEP_3) | instskip(NEXT) | instid1(VALU_DEP_2)
	v_ldexp_f32 v21, v21, 1
	v_dual_sub_f32 v23, v25, v23 :: v_dual_fmac_f32 v26, 0xb102e308, v20
	s_delay_alu instid0(VALU_DEP_1) | instskip(NEXT) | instid1(VALU_DEP_1)
	v_dual_add_f32 v20, v21, v23 :: v_dual_add_f32 v21, v27, v26
	v_add_f32_e32 v23, v24, v20
	s_delay_alu instid0(VALU_DEP_1) | instskip(NEXT) | instid1(VALU_DEP_1)
	v_dual_add_f32 v25, v21, v23 :: v_dual_sub_f32 v24, v23, v24
	v_sub_f32_e32 v28, v25, v21
	s_delay_alu instid0(VALU_DEP_2) | instskip(NEXT) | instid1(VALU_DEP_1)
	v_dual_sub_f32 v27, v21, v27 :: v_dual_sub_f32 v20, v20, v24
	v_dual_sub_f32 v29, v25, v28 :: v_dual_sub_f32 v26, v26, v27
	v_sub_f32_e32 v23, v23, v28
	s_delay_alu instid0(VALU_DEP_2) | instskip(NEXT) | instid1(VALU_DEP_1)
	v_dual_sub_f32 v21, v21, v29 :: v_dual_add_f32 v24, v26, v20
	v_add_f32_e32 v21, v23, v21
	s_delay_alu instid0(VALU_DEP_2) | instskip(NEXT) | instid1(VALU_DEP_2)
	v_sub_f32_e32 v23, v24, v26
	v_add_f32_e32 v21, v24, v21
	s_delay_alu instid0(VALU_DEP_2) | instskip(NEXT) | instid1(VALU_DEP_2)
	v_sub_f32_e32 v24, v24, v23
	v_dual_sub_f32 v20, v20, v23 :: v_dual_add_f32 v27, v25, v21
	s_delay_alu instid0(VALU_DEP_1) | instskip(NEXT) | instid1(VALU_DEP_1)
	v_dual_sub_f32 v24, v26, v24 :: v_dual_sub_f32 v23, v27, v25
	v_dual_add_f32 v20, v20, v24 :: v_dual_sub_f32 v21, v21, v23
	s_delay_alu instid0(VALU_DEP_1) | instskip(NEXT) | instid1(VALU_DEP_1)
	v_add_f32_e32 v20, v20, v21
	v_add_f32_e32 v20, v27, v20
	s_delay_alu instid0(VALU_DEP_1)
	v_cndmask_b32_e32 v118, v20, v22, vcc_lo
.LBB159_98:                             ;   in Loop: Header=BB159_12 Depth=1
	s_or_b32 exec_lo, exec_lo, s30
	s_waitcnt lgkmcnt(1)
	v_add_f32_e32 v119, s69, v18
	s_delay_alu instid0(VALU_DEP_1) | instskip(SKIP_1) | instid1(SALU_CYCLE_1)
	v_cmp_ge_f32_e32 vcc_lo, 0x41a00000, v119
	s_and_b32 s29, s81, vcc_lo
	s_and_saveexec_b32 s30, s29
	s_cbranch_execz .LBB159_100
; %bb.99:                               ;   in Loop: Header=BB159_12 Depth=1
	v_mul_f32_e32 v18, 0x3fb8aa3b, v119
	v_cmp_ngt_f32_e32 vcc_lo, 0xc2ce8ed0, v119
	s_delay_alu instid0(VALU_DEP_2) | instskip(SKIP_1) | instid1(VALU_DEP_1)
	v_rndne_f32_e32 v20, v18
	v_fma_f32 v21, 0x3fb8aa3b, v119, -v18
	v_dual_sub_f32 v18, v18, v20 :: v_dual_fmac_f32 v21, 0x32a5705f, v119
	v_cvt_i32_f32_e32 v20, v20
	s_delay_alu instid0(VALU_DEP_2) | instskip(NEXT) | instid1(VALU_DEP_1)
	v_add_f32_e32 v18, v18, v21
	v_exp_f32_e32 v18, v18
	s_waitcnt_depctr 0xfff
	v_ldexp_f32 v18, v18, v20
	s_delay_alu instid0(VALU_DEP_1) | instskip(SKIP_1) | instid1(VALU_DEP_2)
	v_cndmask_b32_e32 v18, 0, v18, vcc_lo
	v_cmp_nlt_f32_e32 vcc_lo, 0x42b17218, v119
	v_cndmask_b32_e32 v18, 0x7f800000, v18, vcc_lo
	s_delay_alu instid0(VALU_DEP_1) | instskip(NEXT) | instid1(VALU_DEP_1)
	v_add_f32_e32 v22, 1.0, v18
	v_cvt_f64_f32_e32 v[20:21], v22
	s_delay_alu instid0(VALU_DEP_1) | instskip(SKIP_1) | instid1(VALU_DEP_1)
	v_frexp_exp_i32_f64_e32 v20, v[20:21]
	v_frexp_mant_f32_e32 v21, v22
	v_cmp_gt_f32_e32 vcc_lo, 0x3f2aaaab, v21
	v_add_f32_e32 v21, -1.0, v22
	s_delay_alu instid0(VALU_DEP_1) | instskip(SKIP_1) | instid1(VALU_DEP_1)
	v_dual_sub_f32 v24, v21, v22 :: v_dual_sub_f32 v21, v18, v21
	v_subrev_co_ci_u32_e32 v20, vcc_lo, 0, v20, vcc_lo
	v_sub_nc_u32_e32 v23, 0, v20
	v_cvt_f32_i32_e32 v20, v20
	s_delay_alu instid0(VALU_DEP_2) | instskip(NEXT) | instid1(VALU_DEP_1)
	v_ldexp_f32 v22, v22, v23
	v_dual_add_f32 v24, 1.0, v24 :: v_dual_add_f32 v25, 1.0, v22
	s_delay_alu instid0(VALU_DEP_1) | instskip(NEXT) | instid1(VALU_DEP_1)
	v_add_f32_e32 v21, v21, v24
	v_ldexp_f32 v21, v21, v23
	s_delay_alu instid0(VALU_DEP_3) | instskip(NEXT) | instid1(VALU_DEP_1)
	v_dual_add_f32 v23, -1.0, v22 :: v_dual_add_f32 v24, -1.0, v25
	v_add_f32_e32 v26, 1.0, v23
	s_delay_alu instid0(VALU_DEP_2) | instskip(NEXT) | instid1(VALU_DEP_2)
	v_sub_f32_e32 v24, v22, v24
	v_sub_f32_e32 v22, v22, v26
	s_delay_alu instid0(VALU_DEP_2) | instskip(NEXT) | instid1(VALU_DEP_2)
	v_add_f32_e32 v24, v21, v24
	v_add_f32_e32 v21, v21, v22
	s_delay_alu instid0(VALU_DEP_1) | instskip(SKIP_2) | instid1(VALU_DEP_3)
	v_dual_add_f32 v27, v23, v21 :: v_dual_add_f32 v26, v25, v24
	v_cmp_eq_f32_e32 vcc_lo, 0x7f800000, v18
	v_cmp_gt_f32_e64 s29, 0x33800000, v18
	v_sub_f32_e32 v23, v23, v27
	s_delay_alu instid0(VALU_DEP_4) | instskip(SKIP_1) | instid1(VALU_DEP_3)
	v_rcp_f32_e32 v22, v26
	v_sub_f32_e32 v25, v25, v26
	s_or_b32 vcc_lo, s29, vcc_lo
	s_delay_alu instid0(VALU_DEP_1) | instskip(SKIP_2) | instid1(VALU_DEP_1)
	v_dual_add_f32 v21, v21, v23 :: v_dual_add_f32 v24, v24, v25
	s_waitcnt_depctr 0xfff
	v_mul_f32_e32 v28, v27, v22
	v_mul_f32_e32 v29, v26, v28
	s_delay_alu instid0(VALU_DEP_1) | instskip(NEXT) | instid1(VALU_DEP_1)
	v_fma_f32 v25, v28, v26, -v29
	v_fmac_f32_e32 v25, v28, v24
	s_delay_alu instid0(VALU_DEP_1) | instskip(NEXT) | instid1(VALU_DEP_1)
	v_add_f32_e32 v30, v29, v25
	v_sub_f32_e32 v31, v27, v30
	s_delay_alu instid0(VALU_DEP_1) | instskip(NEXT) | instid1(VALU_DEP_1)
	v_sub_f32_e32 v27, v27, v31
	v_sub_f32_e32 v27, v27, v30
	;; [unrolled: 1-line block ×3, first 2 shown]
	s_delay_alu instid0(VALU_DEP_2) | instskip(NEXT) | instid1(VALU_DEP_2)
	v_add_f32_e32 v21, v21, v27
	v_sub_f32_e32 v23, v23, v25
	s_delay_alu instid0(VALU_DEP_1) | instskip(NEXT) | instid1(VALU_DEP_1)
	v_add_f32_e32 v21, v23, v21
	v_add_f32_e32 v23, v31, v21
	s_delay_alu instid0(VALU_DEP_1) | instskip(NEXT) | instid1(VALU_DEP_1)
	v_mul_f32_e32 v25, v22, v23
	v_dual_sub_f32 v30, v31, v23 :: v_dual_mul_f32 v27, v26, v25
	s_delay_alu instid0(VALU_DEP_1) | instskip(NEXT) | instid1(VALU_DEP_2)
	v_add_f32_e32 v21, v21, v30
	v_fma_f32 v26, v25, v26, -v27
	s_delay_alu instid0(VALU_DEP_1) | instskip(NEXT) | instid1(VALU_DEP_1)
	v_fmac_f32_e32 v26, v25, v24
	v_add_f32_e32 v24, v27, v26
	s_delay_alu instid0(VALU_DEP_1) | instskip(NEXT) | instid1(VALU_DEP_1)
	v_sub_f32_e32 v29, v23, v24
	v_sub_f32_e32 v23, v23, v29
	s_delay_alu instid0(VALU_DEP_1) | instskip(NEXT) | instid1(VALU_DEP_1)
	v_sub_f32_e32 v23, v23, v24
	v_add_f32_e32 v21, v21, v23
	v_add_f32_e32 v23, v28, v25
	v_sub_f32_e32 v27, v24, v27
	s_delay_alu instid0(VALU_DEP_1) | instskip(NEXT) | instid1(VALU_DEP_1)
	v_sub_f32_e32 v24, v27, v26
	v_dual_add_f32 v21, v24, v21 :: v_dual_sub_f32 v24, v23, v28
	s_delay_alu instid0(VALU_DEP_1) | instskip(NEXT) | instid1(VALU_DEP_1)
	v_add_f32_e32 v21, v29, v21
	v_dual_sub_f32 v24, v25, v24 :: v_dual_mul_f32 v21, v22, v21
	s_delay_alu instid0(VALU_DEP_1) | instskip(NEXT) | instid1(VALU_DEP_1)
	v_add_f32_e32 v21, v24, v21
	v_add_f32_e32 v22, v23, v21
	s_delay_alu instid0(VALU_DEP_1) | instskip(NEXT) | instid1(VALU_DEP_1)
	v_mul_f32_e32 v24, v22, v22
	v_fmaak_f32 v25, s85, v24, 0x3ecc95a3
	v_mul_f32_e32 v26, v22, v24
	s_delay_alu instid0(VALU_DEP_2) | instskip(SKIP_2) | instid1(VALU_DEP_3)
	v_fmaak_f32 v24, v24, v25, 0x3f2aaada
	v_ldexp_f32 v25, v22, 1
	v_sub_f32_e32 v22, v22, v23
	v_mul_f32_e32 v24, v26, v24
	v_mul_f32_e32 v26, 0x3f317218, v20
	s_delay_alu instid0(VALU_DEP_2) | instskip(NEXT) | instid1(VALU_DEP_1)
	v_add_f32_e32 v23, v25, v24
	v_dual_sub_f32 v21, v21, v22 :: v_dual_sub_f32 v22, v23, v25
	s_delay_alu instid0(VALU_DEP_3) | instskip(NEXT) | instid1(VALU_DEP_2)
	v_fma_f32 v25, 0x3f317218, v20, -v26
	v_ldexp_f32 v21, v21, 1
	s_delay_alu instid0(VALU_DEP_2) | instskip(NEXT) | instid1(VALU_DEP_1)
	v_dual_sub_f32 v22, v24, v22 :: v_dual_fmac_f32 v25, 0xb102e308, v20
	v_dual_add_f32 v20, v21, v22 :: v_dual_add_f32 v21, v26, v25
	s_delay_alu instid0(VALU_DEP_1) | instskip(NEXT) | instid1(VALU_DEP_1)
	v_add_f32_e32 v22, v23, v20
	v_add_f32_e32 v24, v21, v22
	s_delay_alu instid0(VALU_DEP_1) | instskip(NEXT) | instid1(VALU_DEP_1)
	v_sub_f32_e32 v27, v24, v21
	v_sub_f32_e32 v28, v24, v27
	;; [unrolled: 1-line block ×4, first 2 shown]
	s_delay_alu instid0(VALU_DEP_2) | instskip(SKIP_1) | instid1(VALU_DEP_1)
	v_sub_f32_e32 v20, v20, v23
	v_sub_f32_e32 v26, v21, v26
	;; [unrolled: 1-line block ×3, first 2 shown]
	s_delay_alu instid0(VALU_DEP_1) | instskip(SKIP_1) | instid1(VALU_DEP_1)
	v_add_f32_e32 v23, v25, v20
	v_sub_f32_e32 v21, v21, v28
	v_add_f32_e32 v21, v22, v21
	s_delay_alu instid0(VALU_DEP_3) | instskip(NEXT) | instid1(VALU_DEP_1)
	v_sub_f32_e32 v22, v23, v25
	v_dual_sub_f32 v20, v20, v22 :: v_dual_add_f32 v21, v23, v21
	s_delay_alu instid0(VALU_DEP_1) | instskip(NEXT) | instid1(VALU_DEP_1)
	v_dual_sub_f32 v23, v23, v22 :: v_dual_add_f32 v26, v24, v21
	v_dual_sub_f32 v23, v25, v23 :: v_dual_sub_f32 v22, v26, v24
	s_delay_alu instid0(VALU_DEP_1) | instskip(NEXT) | instid1(VALU_DEP_1)
	v_dual_add_f32 v20, v20, v23 :: v_dual_sub_f32 v21, v21, v22
	v_add_f32_e32 v20, v20, v21
	s_delay_alu instid0(VALU_DEP_1) | instskip(NEXT) | instid1(VALU_DEP_1)
	v_add_f32_e32 v20, v26, v20
	v_cndmask_b32_e32 v119, v20, v18, vcc_lo
.LBB159_100:                            ;   in Loop: Header=BB159_12 Depth=1
	s_or_b32 exec_lo, exec_lo, s30
	v_add_f32_e32 v120, s69, v19
	s_delay_alu instid0(VALU_DEP_1) | instskip(SKIP_1) | instid1(SALU_CYCLE_1)
	v_cmp_ge_f32_e32 vcc_lo, 0x41a00000, v120
	s_and_b32 s29, s81, vcc_lo
	s_and_saveexec_b32 s30, s29
	s_cbranch_execz .LBB159_102
; %bb.101:                              ;   in Loop: Header=BB159_12 Depth=1
	v_mul_f32_e32 v18, 0x3fb8aa3b, v120
	v_cmp_ngt_f32_e32 vcc_lo, 0xc2ce8ed0, v120
	s_delay_alu instid0(VALU_DEP_2) | instskip(SKIP_1) | instid1(VALU_DEP_2)
	v_rndne_f32_e32 v19, v18
	v_fma_f32 v20, 0x3fb8aa3b, v120, -v18
	v_sub_f32_e32 v18, v18, v19
	s_delay_alu instid0(VALU_DEP_2) | instskip(SKIP_1) | instid1(VALU_DEP_2)
	v_fmac_f32_e32 v20, 0x32a5705f, v120
	v_cvt_i32_f32_e32 v19, v19
	v_add_f32_e32 v18, v18, v20
	s_delay_alu instid0(VALU_DEP_1) | instskip(SKIP_2) | instid1(VALU_DEP_1)
	v_exp_f32_e32 v18, v18
	s_waitcnt_depctr 0xfff
	v_ldexp_f32 v18, v18, v19
	v_cndmask_b32_e32 v18, 0, v18, vcc_lo
	v_cmp_nlt_f32_e32 vcc_lo, 0x42b17218, v120
	s_delay_alu instid0(VALU_DEP_2) | instskip(NEXT) | instid1(VALU_DEP_1)
	v_cndmask_b32_e32 v20, 0x7f800000, v18, vcc_lo
	v_add_f32_e32 v21, 1.0, v20
	s_delay_alu instid0(VALU_DEP_1) | instskip(NEXT) | instid1(VALU_DEP_1)
	v_cvt_f64_f32_e32 v[18:19], v21
	v_frexp_exp_i32_f64_e32 v18, v[18:19]
	v_frexp_mant_f32_e32 v19, v21
	s_delay_alu instid0(VALU_DEP_1) | instskip(SKIP_1) | instid1(VALU_DEP_1)
	v_cmp_gt_f32_e32 vcc_lo, 0x3f2aaaab, v19
	v_add_f32_e32 v19, -1.0, v21
	v_sub_f32_e32 v23, v19, v21
	v_sub_f32_e32 v19, v20, v19
	s_delay_alu instid0(VALU_DEP_2) | instskip(NEXT) | instid1(VALU_DEP_1)
	v_add_f32_e32 v23, 1.0, v23
	v_add_f32_e32 v19, v19, v23
	v_cmp_gt_f32_e64 s29, 0x33800000, v20
	v_subrev_co_ci_u32_e32 v18, vcc_lo, 0, v18, vcc_lo
	v_cmp_eq_f32_e32 vcc_lo, 0x7f800000, v20
	s_delay_alu instid0(VALU_DEP_2) | instskip(SKIP_2) | instid1(VALU_DEP_2)
	v_sub_nc_u32_e32 v22, 0, v18
	v_cvt_f32_i32_e32 v18, v18
	s_or_b32 vcc_lo, s29, vcc_lo
	v_ldexp_f32 v21, v21, v22
	v_ldexp_f32 v19, v19, v22
	s_delay_alu instid0(VALU_DEP_2) | instskip(NEXT) | instid1(VALU_DEP_1)
	v_add_f32_e32 v24, 1.0, v21
	v_dual_add_f32 v22, -1.0, v21 :: v_dual_add_f32 v23, -1.0, v24
	s_delay_alu instid0(VALU_DEP_1) | instskip(NEXT) | instid1(VALU_DEP_2)
	v_add_f32_e32 v25, 1.0, v22
	v_sub_f32_e32 v23, v21, v23
	s_delay_alu instid0(VALU_DEP_2) | instskip(NEXT) | instid1(VALU_DEP_2)
	v_sub_f32_e32 v21, v21, v25
	v_add_f32_e32 v23, v19, v23
	s_delay_alu instid0(VALU_DEP_2) | instskip(NEXT) | instid1(VALU_DEP_1)
	v_add_f32_e32 v19, v19, v21
	v_add_f32_e32 v26, v22, v19
	s_delay_alu instid0(VALU_DEP_1) | instskip(NEXT) | instid1(VALU_DEP_1)
	v_dual_add_f32 v25, v24, v23 :: v_dual_sub_f32 v22, v22, v26
	v_rcp_f32_e32 v21, v25
	v_sub_f32_e32 v24, v24, v25
	s_delay_alu instid0(VALU_DEP_1) | instskip(SKIP_2) | instid1(VALU_DEP_1)
	v_add_f32_e32 v23, v23, v24
	s_waitcnt_depctr 0xfff
	v_mul_f32_e32 v27, v26, v21
	v_mul_f32_e32 v28, v25, v27
	s_delay_alu instid0(VALU_DEP_1) | instskip(NEXT) | instid1(VALU_DEP_1)
	v_fma_f32 v24, v27, v25, -v28
	v_fmac_f32_e32 v24, v27, v23
	s_delay_alu instid0(VALU_DEP_1) | instskip(NEXT) | instid1(VALU_DEP_1)
	v_add_f32_e32 v29, v28, v24
	v_sub_f32_e32 v30, v26, v29
	s_delay_alu instid0(VALU_DEP_1) | instskip(SKIP_1) | instid1(VALU_DEP_2)
	v_sub_f32_e32 v26, v26, v30
	v_dual_add_f32 v19, v19, v22 :: v_dual_sub_f32 v22, v29, v28
	v_sub_f32_e32 v26, v26, v29
	s_delay_alu instid0(VALU_DEP_1) | instskip(NEXT) | instid1(VALU_DEP_1)
	v_dual_sub_f32 v22, v22, v24 :: v_dual_add_f32 v19, v19, v26
	v_add_f32_e32 v19, v22, v19
	s_delay_alu instid0(VALU_DEP_1) | instskip(NEXT) | instid1(VALU_DEP_1)
	v_add_f32_e32 v22, v30, v19
	v_mul_f32_e32 v24, v21, v22
	s_delay_alu instid0(VALU_DEP_1) | instskip(NEXT) | instid1(VALU_DEP_1)
	v_dual_sub_f32 v29, v30, v22 :: v_dual_mul_f32 v26, v25, v24
	v_add_f32_e32 v19, v19, v29
	s_delay_alu instid0(VALU_DEP_2) | instskip(NEXT) | instid1(VALU_DEP_1)
	v_fma_f32 v25, v24, v25, -v26
	v_fmac_f32_e32 v25, v24, v23
	s_delay_alu instid0(VALU_DEP_1) | instskip(NEXT) | instid1(VALU_DEP_1)
	v_add_f32_e32 v23, v26, v25
	v_sub_f32_e32 v28, v22, v23
	s_delay_alu instid0(VALU_DEP_1) | instskip(NEXT) | instid1(VALU_DEP_1)
	v_sub_f32_e32 v22, v22, v28
	v_sub_f32_e32 v22, v22, v23
	s_delay_alu instid0(VALU_DEP_1) | instskip(SKIP_2) | instid1(VALU_DEP_1)
	v_add_f32_e32 v19, v19, v22
	v_add_f32_e32 v22, v27, v24
	v_sub_f32_e32 v26, v23, v26
	v_sub_f32_e32 v23, v26, v25
	s_delay_alu instid0(VALU_DEP_1) | instskip(NEXT) | instid1(VALU_DEP_4)
	v_add_f32_e32 v19, v23, v19
	v_sub_f32_e32 v23, v22, v27
	s_delay_alu instid0(VALU_DEP_2) | instskip(NEXT) | instid1(VALU_DEP_2)
	v_add_f32_e32 v19, v28, v19
	v_sub_f32_e32 v23, v24, v23
	s_delay_alu instid0(VALU_DEP_2) | instskip(NEXT) | instid1(VALU_DEP_1)
	v_mul_f32_e32 v19, v21, v19
	v_add_f32_e32 v19, v23, v19
	s_delay_alu instid0(VALU_DEP_1) | instskip(NEXT) | instid1(VALU_DEP_1)
	v_add_f32_e32 v21, v22, v19
	v_mul_f32_e32 v23, v21, v21
	s_delay_alu instid0(VALU_DEP_1) | instskip(SKIP_1) | instid1(VALU_DEP_2)
	v_fmaak_f32 v24, s85, v23, 0x3ecc95a3
	v_mul_f32_e32 v25, v21, v23
	v_fmaak_f32 v23, v23, v24, 0x3f2aaada
	v_ldexp_f32 v24, v21, 1
	s_delay_alu instid0(VALU_DEP_2) | instskip(SKIP_1) | instid1(VALU_DEP_2)
	v_mul_f32_e32 v23, v25, v23
	v_sub_f32_e32 v21, v21, v22
	v_dual_mul_f32 v25, 0x3f317218, v18 :: v_dual_add_f32 v22, v24, v23
	s_delay_alu instid0(VALU_DEP_2) | instskip(NEXT) | instid1(VALU_DEP_2)
	v_sub_f32_e32 v19, v19, v21
	v_sub_f32_e32 v21, v22, v24
	s_delay_alu instid0(VALU_DEP_3) | instskip(NEXT) | instid1(VALU_DEP_3)
	v_fma_f32 v24, 0x3f317218, v18, -v25
	v_ldexp_f32 v19, v19, 1
	s_delay_alu instid0(VALU_DEP_2) | instskip(NEXT) | instid1(VALU_DEP_1)
	v_dual_sub_f32 v21, v23, v21 :: v_dual_fmac_f32 v24, 0xb102e308, v18
	v_dual_add_f32 v18, v19, v21 :: v_dual_add_f32 v19, v25, v24
	s_delay_alu instid0(VALU_DEP_1) | instskip(NEXT) | instid1(VALU_DEP_1)
	v_add_f32_e32 v21, v22, v18
	v_dual_add_f32 v23, v19, v21 :: v_dual_sub_f32 v22, v21, v22
	s_delay_alu instid0(VALU_DEP_1) | instskip(NEXT) | instid1(VALU_DEP_2)
	v_sub_f32_e32 v26, v23, v19
	v_dual_sub_f32 v25, v19, v25 :: v_dual_sub_f32 v18, v18, v22
	s_delay_alu instid0(VALU_DEP_1) | instskip(SKIP_1) | instid1(VALU_DEP_2)
	v_dual_sub_f32 v27, v23, v26 :: v_dual_sub_f32 v24, v24, v25
	v_sub_f32_e32 v21, v21, v26
	v_dual_sub_f32 v19, v19, v27 :: v_dual_add_f32 v22, v24, v18
	s_delay_alu instid0(VALU_DEP_1) | instskip(NEXT) | instid1(VALU_DEP_2)
	v_add_f32_e32 v19, v21, v19
	v_sub_f32_e32 v21, v22, v24
	s_delay_alu instid0(VALU_DEP_2) | instskip(NEXT) | instid1(VALU_DEP_2)
	v_add_f32_e32 v19, v22, v19
	v_sub_f32_e32 v22, v22, v21
	s_delay_alu instid0(VALU_DEP_2) | instskip(NEXT) | instid1(VALU_DEP_1)
	v_dual_sub_f32 v18, v18, v21 :: v_dual_add_f32 v25, v23, v19
	v_dual_sub_f32 v22, v24, v22 :: v_dual_sub_f32 v21, v25, v23
	s_delay_alu instid0(VALU_DEP_1) | instskip(NEXT) | instid1(VALU_DEP_1)
	v_dual_add_f32 v18, v18, v22 :: v_dual_sub_f32 v19, v19, v21
	v_add_f32_e32 v18, v18, v19
	s_delay_alu instid0(VALU_DEP_1) | instskip(NEXT) | instid1(VALU_DEP_1)
	v_add_f32_e32 v18, v25, v18
	v_cndmask_b32_e32 v120, v18, v20, vcc_lo
.LBB159_102:                            ;   in Loop: Header=BB159_12 Depth=1
	s_or_b32 exec_lo, exec_lo, s30
	s_waitcnt lgkmcnt(0)
	v_add_f32_e32 v121, s69, v16
	s_delay_alu instid0(VALU_DEP_1) | instskip(SKIP_1) | instid1(SALU_CYCLE_1)
	v_cmp_ge_f32_e32 vcc_lo, 0x41a00000, v121
	s_and_b32 s29, s81, vcc_lo
	s_and_saveexec_b32 s30, s29
	s_cbranch_execz .LBB159_104
; %bb.103:                              ;   in Loop: Header=BB159_12 Depth=1
	v_mul_f32_e32 v16, 0x3fb8aa3b, v121
	v_cmp_ngt_f32_e32 vcc_lo, 0xc2ce8ed0, v121
	s_delay_alu instid0(VALU_DEP_2) | instskip(SKIP_1) | instid1(VALU_DEP_1)
	v_rndne_f32_e32 v18, v16
	v_fma_f32 v19, 0x3fb8aa3b, v121, -v16
	v_dual_sub_f32 v16, v16, v18 :: v_dual_fmac_f32 v19, 0x32a5705f, v121
	v_cvt_i32_f32_e32 v18, v18
	s_delay_alu instid0(VALU_DEP_2) | instskip(NEXT) | instid1(VALU_DEP_1)
	v_add_f32_e32 v16, v16, v19
	v_exp_f32_e32 v16, v16
	s_waitcnt_depctr 0xfff
	v_ldexp_f32 v16, v16, v18
	s_delay_alu instid0(VALU_DEP_1) | instskip(SKIP_1) | instid1(VALU_DEP_2)
	v_cndmask_b32_e32 v16, 0, v16, vcc_lo
	v_cmp_nlt_f32_e32 vcc_lo, 0x42b17218, v121
	v_cndmask_b32_e32 v16, 0x7f800000, v16, vcc_lo
	s_delay_alu instid0(VALU_DEP_1) | instskip(NEXT) | instid1(VALU_DEP_1)
	v_add_f32_e32 v20, 1.0, v16
	v_cvt_f64_f32_e32 v[18:19], v20
	s_delay_alu instid0(VALU_DEP_1) | instskip(SKIP_1) | instid1(VALU_DEP_1)
	v_frexp_exp_i32_f64_e32 v18, v[18:19]
	v_frexp_mant_f32_e32 v19, v20
	v_cmp_gt_f32_e32 vcc_lo, 0x3f2aaaab, v19
	v_add_f32_e32 v19, -1.0, v20
	s_delay_alu instid0(VALU_DEP_1) | instskip(SKIP_1) | instid1(VALU_DEP_1)
	v_dual_sub_f32 v22, v19, v20 :: v_dual_sub_f32 v19, v16, v19
	v_subrev_co_ci_u32_e32 v18, vcc_lo, 0, v18, vcc_lo
	v_sub_nc_u32_e32 v21, 0, v18
	v_cvt_f32_i32_e32 v18, v18
	s_delay_alu instid0(VALU_DEP_2) | instskip(NEXT) | instid1(VALU_DEP_1)
	v_ldexp_f32 v20, v20, v21
	v_dual_add_f32 v22, 1.0, v22 :: v_dual_add_f32 v23, 1.0, v20
	s_delay_alu instid0(VALU_DEP_1) | instskip(NEXT) | instid1(VALU_DEP_1)
	v_add_f32_e32 v19, v19, v22
	v_ldexp_f32 v19, v19, v21
	s_delay_alu instid0(VALU_DEP_3) | instskip(NEXT) | instid1(VALU_DEP_1)
	v_dual_add_f32 v21, -1.0, v20 :: v_dual_add_f32 v22, -1.0, v23
	v_add_f32_e32 v24, 1.0, v21
	s_delay_alu instid0(VALU_DEP_2) | instskip(NEXT) | instid1(VALU_DEP_2)
	v_sub_f32_e32 v22, v20, v22
	v_sub_f32_e32 v20, v20, v24
	s_delay_alu instid0(VALU_DEP_2) | instskip(NEXT) | instid1(VALU_DEP_2)
	v_add_f32_e32 v22, v19, v22
	v_add_f32_e32 v19, v19, v20
	s_delay_alu instid0(VALU_DEP_1) | instskip(SKIP_2) | instid1(VALU_DEP_3)
	v_dual_add_f32 v25, v21, v19 :: v_dual_add_f32 v24, v23, v22
	v_cmp_eq_f32_e32 vcc_lo, 0x7f800000, v16
	v_cmp_gt_f32_e64 s29, 0x33800000, v16
	v_sub_f32_e32 v21, v21, v25
	s_delay_alu instid0(VALU_DEP_4) | instskip(SKIP_1) | instid1(VALU_DEP_3)
	v_rcp_f32_e32 v20, v24
	v_sub_f32_e32 v23, v23, v24
	s_or_b32 vcc_lo, s29, vcc_lo
	s_delay_alu instid0(VALU_DEP_1) | instskip(SKIP_2) | instid1(VALU_DEP_1)
	v_dual_add_f32 v19, v19, v21 :: v_dual_add_f32 v22, v22, v23
	s_waitcnt_depctr 0xfff
	v_mul_f32_e32 v26, v25, v20
	v_mul_f32_e32 v27, v24, v26
	s_delay_alu instid0(VALU_DEP_1) | instskip(NEXT) | instid1(VALU_DEP_1)
	v_fma_f32 v23, v26, v24, -v27
	v_fmac_f32_e32 v23, v26, v22
	s_delay_alu instid0(VALU_DEP_1) | instskip(NEXT) | instid1(VALU_DEP_1)
	v_add_f32_e32 v28, v27, v23
	v_sub_f32_e32 v29, v25, v28
	s_delay_alu instid0(VALU_DEP_1) | instskip(NEXT) | instid1(VALU_DEP_1)
	v_sub_f32_e32 v25, v25, v29
	v_sub_f32_e32 v25, v25, v28
	;; [unrolled: 1-line block ×3, first 2 shown]
	s_delay_alu instid0(VALU_DEP_2) | instskip(NEXT) | instid1(VALU_DEP_2)
	v_add_f32_e32 v19, v19, v25
	v_sub_f32_e32 v21, v21, v23
	s_delay_alu instid0(VALU_DEP_1) | instskip(NEXT) | instid1(VALU_DEP_1)
	v_add_f32_e32 v19, v21, v19
	v_add_f32_e32 v21, v29, v19
	s_delay_alu instid0(VALU_DEP_1) | instskip(NEXT) | instid1(VALU_DEP_1)
	v_mul_f32_e32 v23, v20, v21
	v_dual_sub_f32 v28, v29, v21 :: v_dual_mul_f32 v25, v24, v23
	s_delay_alu instid0(VALU_DEP_1) | instskip(NEXT) | instid1(VALU_DEP_2)
	v_add_f32_e32 v19, v19, v28
	v_fma_f32 v24, v23, v24, -v25
	s_delay_alu instid0(VALU_DEP_1) | instskip(NEXT) | instid1(VALU_DEP_1)
	v_fmac_f32_e32 v24, v23, v22
	v_add_f32_e32 v22, v25, v24
	s_delay_alu instid0(VALU_DEP_1) | instskip(NEXT) | instid1(VALU_DEP_1)
	v_sub_f32_e32 v27, v21, v22
	v_sub_f32_e32 v21, v21, v27
	s_delay_alu instid0(VALU_DEP_1) | instskip(NEXT) | instid1(VALU_DEP_1)
	v_sub_f32_e32 v21, v21, v22
	v_add_f32_e32 v19, v19, v21
	v_add_f32_e32 v21, v26, v23
	v_sub_f32_e32 v25, v22, v25
	s_delay_alu instid0(VALU_DEP_1) | instskip(NEXT) | instid1(VALU_DEP_1)
	v_sub_f32_e32 v22, v25, v24
	v_dual_add_f32 v19, v22, v19 :: v_dual_sub_f32 v22, v21, v26
	s_delay_alu instid0(VALU_DEP_1) | instskip(NEXT) | instid1(VALU_DEP_1)
	v_add_f32_e32 v19, v27, v19
	v_dual_sub_f32 v22, v23, v22 :: v_dual_mul_f32 v19, v20, v19
	s_delay_alu instid0(VALU_DEP_1) | instskip(NEXT) | instid1(VALU_DEP_1)
	v_add_f32_e32 v19, v22, v19
	v_add_f32_e32 v20, v21, v19
	s_delay_alu instid0(VALU_DEP_1) | instskip(NEXT) | instid1(VALU_DEP_1)
	v_mul_f32_e32 v22, v20, v20
	v_fmaak_f32 v23, s85, v22, 0x3ecc95a3
	v_mul_f32_e32 v24, v20, v22
	s_delay_alu instid0(VALU_DEP_2) | instskip(SKIP_2) | instid1(VALU_DEP_3)
	v_fmaak_f32 v22, v22, v23, 0x3f2aaada
	v_ldexp_f32 v23, v20, 1
	v_sub_f32_e32 v20, v20, v21
	v_mul_f32_e32 v22, v24, v22
	v_mul_f32_e32 v24, 0x3f317218, v18
	s_delay_alu instid0(VALU_DEP_2) | instskip(NEXT) | instid1(VALU_DEP_1)
	v_add_f32_e32 v21, v23, v22
	v_dual_sub_f32 v19, v19, v20 :: v_dual_sub_f32 v20, v21, v23
	s_delay_alu instid0(VALU_DEP_3) | instskip(NEXT) | instid1(VALU_DEP_2)
	v_fma_f32 v23, 0x3f317218, v18, -v24
	v_ldexp_f32 v19, v19, 1
	s_delay_alu instid0(VALU_DEP_2) | instskip(NEXT) | instid1(VALU_DEP_1)
	v_dual_sub_f32 v20, v22, v20 :: v_dual_fmac_f32 v23, 0xb102e308, v18
	v_dual_add_f32 v18, v19, v20 :: v_dual_add_f32 v19, v24, v23
	s_delay_alu instid0(VALU_DEP_1) | instskip(NEXT) | instid1(VALU_DEP_1)
	v_add_f32_e32 v20, v21, v18
	v_add_f32_e32 v22, v19, v20
	s_delay_alu instid0(VALU_DEP_1) | instskip(NEXT) | instid1(VALU_DEP_1)
	v_sub_f32_e32 v25, v22, v19
	v_sub_f32_e32 v26, v22, v25
	;; [unrolled: 1-line block ×4, first 2 shown]
	s_delay_alu instid0(VALU_DEP_2) | instskip(SKIP_1) | instid1(VALU_DEP_1)
	v_sub_f32_e32 v18, v18, v21
	v_sub_f32_e32 v24, v19, v24
	;; [unrolled: 1-line block ×3, first 2 shown]
	s_delay_alu instid0(VALU_DEP_1) | instskip(SKIP_1) | instid1(VALU_DEP_1)
	v_add_f32_e32 v21, v23, v18
	v_sub_f32_e32 v19, v19, v26
	v_add_f32_e32 v19, v20, v19
	s_delay_alu instid0(VALU_DEP_3) | instskip(NEXT) | instid1(VALU_DEP_1)
	v_sub_f32_e32 v20, v21, v23
	v_dual_sub_f32 v18, v18, v20 :: v_dual_add_f32 v19, v21, v19
	s_delay_alu instid0(VALU_DEP_1) | instskip(NEXT) | instid1(VALU_DEP_1)
	v_dual_sub_f32 v21, v21, v20 :: v_dual_add_f32 v24, v22, v19
	v_dual_sub_f32 v21, v23, v21 :: v_dual_sub_f32 v20, v24, v22
	s_delay_alu instid0(VALU_DEP_1) | instskip(NEXT) | instid1(VALU_DEP_1)
	v_dual_add_f32 v18, v18, v21 :: v_dual_sub_f32 v19, v19, v20
	v_add_f32_e32 v18, v18, v19
	s_delay_alu instid0(VALU_DEP_1) | instskip(NEXT) | instid1(VALU_DEP_1)
	v_add_f32_e32 v18, v24, v18
	v_cndmask_b32_e32 v121, v18, v16, vcc_lo
.LBB159_104:                            ;   in Loop: Header=BB159_12 Depth=1
	s_or_b32 exec_lo, exec_lo, s30
	v_add_f32_e32 v138, s69, v17
	s_delay_alu instid0(VALU_DEP_1) | instskip(SKIP_1) | instid1(SALU_CYCLE_1)
	v_cmp_ge_f32_e32 vcc_lo, 0x41a00000, v138
	s_and_b32 s29, s81, vcc_lo
	s_and_saveexec_b32 s30, s29
	s_cbranch_execz .LBB159_106
; %bb.105:                              ;   in Loop: Header=BB159_12 Depth=1
	v_mul_f32_e32 v16, 0x3fb8aa3b, v138
	v_cmp_ngt_f32_e32 vcc_lo, 0xc2ce8ed0, v138
	s_delay_alu instid0(VALU_DEP_2) | instskip(SKIP_1) | instid1(VALU_DEP_2)
	v_rndne_f32_e32 v17, v16
	v_fma_f32 v18, 0x3fb8aa3b, v138, -v16
	v_sub_f32_e32 v16, v16, v17
	s_delay_alu instid0(VALU_DEP_2) | instskip(SKIP_1) | instid1(VALU_DEP_2)
	v_fmac_f32_e32 v18, 0x32a5705f, v138
	v_cvt_i32_f32_e32 v17, v17
	v_add_f32_e32 v16, v16, v18
	s_delay_alu instid0(VALU_DEP_1) | instskip(SKIP_2) | instid1(VALU_DEP_1)
	v_exp_f32_e32 v16, v16
	s_waitcnt_depctr 0xfff
	v_ldexp_f32 v16, v16, v17
	v_cndmask_b32_e32 v16, 0, v16, vcc_lo
	v_cmp_nlt_f32_e32 vcc_lo, 0x42b17218, v138
	s_delay_alu instid0(VALU_DEP_2) | instskip(NEXT) | instid1(VALU_DEP_1)
	v_cndmask_b32_e32 v18, 0x7f800000, v16, vcc_lo
	v_add_f32_e32 v19, 1.0, v18
	s_delay_alu instid0(VALU_DEP_1) | instskip(NEXT) | instid1(VALU_DEP_1)
	v_cvt_f64_f32_e32 v[16:17], v19
	v_frexp_exp_i32_f64_e32 v16, v[16:17]
	v_frexp_mant_f32_e32 v17, v19
	s_delay_alu instid0(VALU_DEP_1) | instskip(SKIP_1) | instid1(VALU_DEP_1)
	v_cmp_gt_f32_e32 vcc_lo, 0x3f2aaaab, v17
	v_add_f32_e32 v17, -1.0, v19
	v_sub_f32_e32 v21, v17, v19
	v_sub_f32_e32 v17, v18, v17
	s_delay_alu instid0(VALU_DEP_2) | instskip(NEXT) | instid1(VALU_DEP_1)
	v_add_f32_e32 v21, 1.0, v21
	v_add_f32_e32 v17, v17, v21
	v_cmp_gt_f32_e64 s29, 0x33800000, v18
	v_subrev_co_ci_u32_e32 v16, vcc_lo, 0, v16, vcc_lo
	v_cmp_eq_f32_e32 vcc_lo, 0x7f800000, v18
	s_delay_alu instid0(VALU_DEP_2) | instskip(SKIP_2) | instid1(VALU_DEP_2)
	v_sub_nc_u32_e32 v20, 0, v16
	v_cvt_f32_i32_e32 v16, v16
	s_or_b32 vcc_lo, s29, vcc_lo
	v_ldexp_f32 v19, v19, v20
	v_ldexp_f32 v17, v17, v20
	s_delay_alu instid0(VALU_DEP_2) | instskip(NEXT) | instid1(VALU_DEP_1)
	v_add_f32_e32 v22, 1.0, v19
	v_dual_add_f32 v20, -1.0, v19 :: v_dual_add_f32 v21, -1.0, v22
	s_delay_alu instid0(VALU_DEP_1) | instskip(NEXT) | instid1(VALU_DEP_2)
	v_add_f32_e32 v23, 1.0, v20
	v_sub_f32_e32 v21, v19, v21
	s_delay_alu instid0(VALU_DEP_2) | instskip(NEXT) | instid1(VALU_DEP_2)
	v_sub_f32_e32 v19, v19, v23
	v_add_f32_e32 v21, v17, v21
	s_delay_alu instid0(VALU_DEP_2) | instskip(NEXT) | instid1(VALU_DEP_1)
	v_add_f32_e32 v17, v17, v19
	v_add_f32_e32 v24, v20, v17
	s_delay_alu instid0(VALU_DEP_1) | instskip(NEXT) | instid1(VALU_DEP_1)
	v_dual_add_f32 v23, v22, v21 :: v_dual_sub_f32 v20, v20, v24
	v_rcp_f32_e32 v19, v23
	v_sub_f32_e32 v22, v22, v23
	s_delay_alu instid0(VALU_DEP_1) | instskip(SKIP_2) | instid1(VALU_DEP_1)
	v_add_f32_e32 v21, v21, v22
	s_waitcnt_depctr 0xfff
	v_mul_f32_e32 v25, v24, v19
	v_mul_f32_e32 v26, v23, v25
	s_delay_alu instid0(VALU_DEP_1) | instskip(NEXT) | instid1(VALU_DEP_1)
	v_fma_f32 v22, v25, v23, -v26
	v_fmac_f32_e32 v22, v25, v21
	s_delay_alu instid0(VALU_DEP_1) | instskip(NEXT) | instid1(VALU_DEP_1)
	v_add_f32_e32 v27, v26, v22
	v_sub_f32_e32 v28, v24, v27
	s_delay_alu instid0(VALU_DEP_1) | instskip(SKIP_1) | instid1(VALU_DEP_2)
	v_sub_f32_e32 v24, v24, v28
	v_dual_add_f32 v17, v17, v20 :: v_dual_sub_f32 v20, v27, v26
	v_sub_f32_e32 v24, v24, v27
	s_delay_alu instid0(VALU_DEP_1) | instskip(NEXT) | instid1(VALU_DEP_1)
	v_dual_sub_f32 v20, v20, v22 :: v_dual_add_f32 v17, v17, v24
	v_add_f32_e32 v17, v20, v17
	s_delay_alu instid0(VALU_DEP_1) | instskip(NEXT) | instid1(VALU_DEP_1)
	v_add_f32_e32 v20, v28, v17
	v_mul_f32_e32 v22, v19, v20
	s_delay_alu instid0(VALU_DEP_1) | instskip(NEXT) | instid1(VALU_DEP_1)
	v_dual_sub_f32 v27, v28, v20 :: v_dual_mul_f32 v24, v23, v22
	v_add_f32_e32 v17, v17, v27
	s_delay_alu instid0(VALU_DEP_2) | instskip(NEXT) | instid1(VALU_DEP_1)
	v_fma_f32 v23, v22, v23, -v24
	v_fmac_f32_e32 v23, v22, v21
	s_delay_alu instid0(VALU_DEP_1) | instskip(NEXT) | instid1(VALU_DEP_1)
	v_add_f32_e32 v21, v24, v23
	v_sub_f32_e32 v26, v20, v21
	s_delay_alu instid0(VALU_DEP_1) | instskip(NEXT) | instid1(VALU_DEP_1)
	v_sub_f32_e32 v20, v20, v26
	v_sub_f32_e32 v20, v20, v21
	s_delay_alu instid0(VALU_DEP_1) | instskip(SKIP_2) | instid1(VALU_DEP_1)
	v_add_f32_e32 v17, v17, v20
	v_add_f32_e32 v20, v25, v22
	v_sub_f32_e32 v24, v21, v24
	v_sub_f32_e32 v21, v24, v23
	s_delay_alu instid0(VALU_DEP_1) | instskip(NEXT) | instid1(VALU_DEP_4)
	v_add_f32_e32 v17, v21, v17
	v_sub_f32_e32 v21, v20, v25
	s_delay_alu instid0(VALU_DEP_2) | instskip(NEXT) | instid1(VALU_DEP_2)
	v_add_f32_e32 v17, v26, v17
	v_sub_f32_e32 v21, v22, v21
	s_delay_alu instid0(VALU_DEP_2) | instskip(NEXT) | instid1(VALU_DEP_1)
	v_mul_f32_e32 v17, v19, v17
	v_add_f32_e32 v17, v21, v17
	s_delay_alu instid0(VALU_DEP_1) | instskip(NEXT) | instid1(VALU_DEP_1)
	v_add_f32_e32 v19, v20, v17
	v_mul_f32_e32 v21, v19, v19
	s_delay_alu instid0(VALU_DEP_1) | instskip(SKIP_1) | instid1(VALU_DEP_2)
	v_fmaak_f32 v22, s85, v21, 0x3ecc95a3
	v_mul_f32_e32 v23, v19, v21
	v_fmaak_f32 v21, v21, v22, 0x3f2aaada
	v_ldexp_f32 v22, v19, 1
	s_delay_alu instid0(VALU_DEP_2) | instskip(SKIP_1) | instid1(VALU_DEP_2)
	v_mul_f32_e32 v21, v23, v21
	v_sub_f32_e32 v19, v19, v20
	v_dual_mul_f32 v23, 0x3f317218, v16 :: v_dual_add_f32 v20, v22, v21
	s_delay_alu instid0(VALU_DEP_2) | instskip(NEXT) | instid1(VALU_DEP_2)
	v_sub_f32_e32 v17, v17, v19
	v_sub_f32_e32 v19, v20, v22
	s_delay_alu instid0(VALU_DEP_3) | instskip(NEXT) | instid1(VALU_DEP_3)
	v_fma_f32 v22, 0x3f317218, v16, -v23
	v_ldexp_f32 v17, v17, 1
	s_delay_alu instid0(VALU_DEP_2) | instskip(NEXT) | instid1(VALU_DEP_1)
	v_dual_sub_f32 v19, v21, v19 :: v_dual_fmac_f32 v22, 0xb102e308, v16
	v_dual_add_f32 v16, v17, v19 :: v_dual_add_f32 v17, v23, v22
	s_delay_alu instid0(VALU_DEP_1) | instskip(NEXT) | instid1(VALU_DEP_1)
	v_add_f32_e32 v19, v20, v16
	v_dual_add_f32 v21, v17, v19 :: v_dual_sub_f32 v20, v19, v20
	s_delay_alu instid0(VALU_DEP_1) | instskip(NEXT) | instid1(VALU_DEP_2)
	v_sub_f32_e32 v24, v21, v17
	v_dual_sub_f32 v23, v17, v23 :: v_dual_sub_f32 v16, v16, v20
	s_delay_alu instid0(VALU_DEP_1) | instskip(SKIP_1) | instid1(VALU_DEP_2)
	v_dual_sub_f32 v25, v21, v24 :: v_dual_sub_f32 v22, v22, v23
	v_sub_f32_e32 v19, v19, v24
	v_dual_sub_f32 v17, v17, v25 :: v_dual_add_f32 v20, v22, v16
	s_delay_alu instid0(VALU_DEP_1) | instskip(NEXT) | instid1(VALU_DEP_2)
	v_add_f32_e32 v17, v19, v17
	v_sub_f32_e32 v19, v20, v22
	s_delay_alu instid0(VALU_DEP_2) | instskip(NEXT) | instid1(VALU_DEP_2)
	v_add_f32_e32 v17, v20, v17
	v_sub_f32_e32 v20, v20, v19
	s_delay_alu instid0(VALU_DEP_2) | instskip(NEXT) | instid1(VALU_DEP_1)
	v_dual_sub_f32 v16, v16, v19 :: v_dual_add_f32 v23, v21, v17
	v_dual_sub_f32 v20, v22, v20 :: v_dual_sub_f32 v19, v23, v21
	s_delay_alu instid0(VALU_DEP_1) | instskip(NEXT) | instid1(VALU_DEP_1)
	v_dual_add_f32 v16, v16, v20 :: v_dual_sub_f32 v17, v17, v19
	v_add_f32_e32 v16, v16, v17
	s_delay_alu instid0(VALU_DEP_1) | instskip(NEXT) | instid1(VALU_DEP_1)
	v_add_f32_e32 v16, v23, v16
	v_cndmask_b32_e32 v138, v16, v18, vcc_lo
.LBB159_106:                            ;   in Loop: Header=BB159_12 Depth=1
	s_or_b32 exec_lo, exec_lo, s30
	v_dual_mul_f32 v122, s70, v14 :: v_dual_mul_f32 v123, s70, v13
	v_dual_mul_f32 v124, s70, v12 :: v_dual_mul_f32 v125, s70, v11
	;; [unrolled: 1-line block ×8, first 2 shown]
	s_and_b32 vcc_lo, exec_lo, s82
	s_barrier
	buffer_gl0_inv
	s_cbranch_vccz .LBB159_204
; %bb.107:                              ;   in Loop: Header=BB159_12 Depth=1
	v_dual_mul_f32 v139, v15, v138 :: v_dual_mul_f32 v144, v14, v121
	v_add_co_u32 v15, s29, s53, v32
	s_delay_alu instid0(VALU_DEP_1) | instskip(SKIP_1) | instid1(VALU_DEP_1)
	v_add_co_ci_u32_e64 v16, null, s76, 0, s29
	v_add_co_u32 v17, s29, s57, v32
	v_add_co_ci_u32_e64 v18, null, s77, 0, s29
	s_delay_alu instid0(VALU_DEP_4) | instskip(NEXT) | instid1(VALU_DEP_4)
	v_add_co_u32 v140, vcc_lo, v15, v106
	v_add_co_ci_u32_e32 v141, vcc_lo, 0, v16, vcc_lo
	s_delay_alu instid0(VALU_DEP_4) | instskip(NEXT) | instid1(VALU_DEP_4)
	v_add_co_u32 v142, vcc_lo, v17, v106
	v_add_co_ci_u32_e32 v143, vcc_lo, 0, v18, vcc_lo
	v_cmp_gt_u32_e32 vcc_lo, s41, v34
	s_cmp_lg_u32 s87, 0
	v_cmp_gt_u32_e64 s31, s41, v92
	s_cselect_b32 s51, -1, 0
	s_cmp_eq_u32 s87, s84
	v_cmp_gt_u32_e64 s33, s41, v93
	s_cselect_b32 s88, -1, 0
	s_or_b32 s29, s83, vcc_lo
	v_cmp_gt_u32_e32 vcc_lo, s41, v91
	v_cmp_gt_u32_e64 s34, s41, v94
	v_cmp_gt_u32_e64 s35, s41, v95
	;; [unrolled: 1-line block ×4, first 2 shown]
	s_or_b32 s30, s83, vcc_lo
	v_cmp_gt_u32_e32 vcc_lo, s41, v96
	v_cmp_gt_u32_e64 s39, s41, v99
	v_cmp_gt_u32_e64 s40, s41, v100
	;; [unrolled: 1-line block ×4, first 2 shown]
	s_or_b32 s36, s83, vcc_lo
	v_cmp_gt_u32_e32 vcc_lo, s41, v101
	v_cmp_gt_u32_e64 s44, s41, v104
	v_cmp_gt_u32_e64 s45, s41, v105
	v_dual_mul_f32 v145, v13, v120 :: v_dual_mul_f32 v146, v12, v119
	v_dual_mul_f32 v147, v11, v118 :: v_dual_mul_f32 v148, v10, v117
	;; [unrolled: 1-line block ×7, first 2 shown]
	s_mov_b32 s66, 0
	s_or_b32 s31, s83, s31
	s_or_b32 s33, s83, s33
	;; [unrolled: 1-line block ×8, first 2 shown]
	s_or_b32 s41, s83, vcc_lo
	s_or_b32 s42, s83, s42
	s_or_b32 s43, s83, s43
	s_or_b32 s44, s83, s44
	s_or_b32 s45, s83, s45
	s_mov_b32 s54, s66
	s_mov_b32 s58, s66
	s_mov_b32 s60, s66
	s_mov_b32 s89, s65
	s_mov_b32 s90, s86
	s_branch .LBB159_109
.LBB159_108:                            ;   in Loop: Header=BB159_109 Depth=2
	s_or_b32 exec_lo, exec_lo, s46
	v_cndmask_b32_e64 v16, v180, v21, s12
	v_cndmask_b32_e64 v17, v179, v20, s12
	s_add_i32 s89, s89, -1
	s_add_i32 s90, s90, 8
	s_add_i32 s60, s60, s62
	v_fma_f32 v16, v16, v160, v33
	v_mul_f32_e32 v17, v17, v160
	s_add_i32 s58, s58, s56
	s_add_i32 s54, s54, s52
	;; [unrolled: 1-line block ×3, first 2 shown]
	v_cndmask_b32_e64 v16, v16, v33, s11
	v_cndmask_b32_e64 v17, v17, v160, s11
	s_cmp_eq_u32 s89, 0
	s_waitcnt lgkmcnt(0)
	s_delay_alu instid0(VALU_DEP_1) | instskip(NEXT) | instid1(VALU_DEP_1)
	v_fmac_f32_e32 v16, v18, v17
	v_fmac_f32_e32 v30, v16, v159
	s_delay_alu instid0(VALU_DEP_1) | instskip(NEXT) | instid1(VALU_DEP_1)
	v_fmac_f32_e32 v32, v30, v161
	v_fmac_f32_e32 v31, v32, v162
	s_delay_alu instid0(VALU_DEP_1) | instskip(NEXT) | instid1(VALU_DEP_1)
	v_dual_fmac_f32 v137, v14, v16 :: v_dual_fmac_f32 v28, v31, v163
	v_dual_fmac_f32 v134, v13, v31 :: v_dual_fmac_f32 v29, v28, v164
	;; [unrolled: 1-line block ×3, first 2 shown]
	s_delay_alu instid0(VALU_DEP_2) | instskip(SKIP_1) | instid1(VALU_DEP_2)
	v_fmac_f32_e32 v26, v29, v165
	v_fmac_f32_e32 v131, v11, v29
	;; [unrolled: 1-line block ×4, first 2 shown]
	s_delay_alu instid0(VALU_DEP_2) | instskip(SKIP_1) | instid1(VALU_DEP_2)
	v_fmac_f32_e32 v24, v27, v167
	v_fmac_f32_e32 v129, v9, v27
	;; [unrolled: 1-line block ×3, first 2 shown]
	s_delay_alu instid0(VALU_DEP_1) | instskip(SKIP_1) | instid1(VALU_DEP_2)
	v_fmac_f32_e32 v22, v25, v169
	v_fmac_f32_e32 v127, v7, v25
	;; [unrolled: 1-line block ×4, first 2 shown]
	s_delay_alu instid0(VALU_DEP_2) | instskip(NEXT) | instid1(VALU_DEP_1)
	v_dual_fmac_f32 v170, v23, v172 :: v_dual_fmac_f32 v125, v5, v23
	v_fmac_f32_e32 v124, v0, v170
	v_fmac_f32_e32 v171, v170, v174
	s_delay_alu instid0(VALU_DEP_1) | instskip(SKIP_1) | instid1(VALU_DEP_2)
	v_dual_fmac_f32 v130, v8, v26 :: v_dual_fmac_f32 v173, v171, v176
	v_dual_fmac_f32 v126, v4, v22 :: v_dual_fmac_f32 v123, v1, v171
	v_fmac_f32_e32 v122, v2, v173
	v_fmac_f32_e32 v175, v173, v177
	s_delay_alu instid0(VALU_DEP_1)
	v_fmac_f32_e32 v133, v3, v175
	s_cbranch_scc1 .LBB159_204
.LBB159_109:                            ;   Parent Loop BB159_12 Depth=1
                                        ; =>  This Inner Loop Header: Depth=2
	s_lshl_b64 s[46:47], s[66:67], 2
	s_mov_b32 s55, s67
	s_add_u32 s46, s75, s46
	s_addc_u32 s47, s63, s47
	v_dual_mov_b32 v2, 0 :: v_dual_mov_b32 v3, 0
	global_load_b32 v159, v37, s[46:47]
	s_lshl_b64 s[46:47], s[54:55], 2
	s_delay_alu instid0(SALU_CYCLE_1)
	v_add_co_u32 v0, vcc_lo, v140, s46
	v_add_co_ci_u32_e32 v1, vcc_lo, s47, v141, vcc_lo
	s_and_saveexec_b32 s46, s13
	s_cbranch_execz .LBB159_111
; %bb.110:                              ;   in Loop: Header=BB159_109 Depth=2
	global_load_b32 v3, v[0:1], off
.LBB159_111:                            ;   in Loop: Header=BB159_109 Depth=2
	s_or_b32 exec_lo, exec_lo, s46
	s_and_saveexec_b32 s46, s14
	s_cbranch_execz .LBB159_113
; %bb.112:                              ;   in Loop: Header=BB159_109 Depth=2
	global_load_b32 v2, v[0:1], off offset:128
.LBB159_113:                            ;   in Loop: Header=BB159_109 Depth=2
	s_or_b32 exec_lo, exec_lo, s46
	v_dual_mov_b32 v4, 0 :: v_dual_mov_b32 v5, 0
	s_and_saveexec_b32 s46, s15
	s_cbranch_execz .LBB159_115
; %bb.114:                              ;   in Loop: Header=BB159_109 Depth=2
	global_load_b32 v5, v[0:1], off offset:256
.LBB159_115:                            ;   in Loop: Header=BB159_109 Depth=2
	s_or_b32 exec_lo, exec_lo, s46
	s_and_saveexec_b32 s46, s16
	s_cbranch_execz .LBB159_117
; %bb.116:                              ;   in Loop: Header=BB159_109 Depth=2
	global_load_b32 v4, v[0:1], off offset:384
.LBB159_117:                            ;   in Loop: Header=BB159_109 Depth=2
	s_or_b32 exec_lo, exec_lo, s46
	v_dual_mov_b32 v6, 0 :: v_dual_mov_b32 v7, 0
	s_and_saveexec_b32 s46, s17
	s_cbranch_execz .LBB159_119
; %bb.118:                              ;   in Loop: Header=BB159_109 Depth=2
	global_load_b32 v7, v[0:1], off offset:512
.LBB159_119:                            ;   in Loop: Header=BB159_109 Depth=2
	;; [unrolled: 13-line block ×7, first 2 shown]
	s_or_b32 exec_lo, exec_lo, s46
	s_and_saveexec_b32 s46, s28
	s_cbranch_execz .LBB159_141
; %bb.140:                              ;   in Loop: Header=BB159_109 Depth=2
	global_load_b32 v16, v[0:1], off offset:1920
.LBB159_141:                            ;   in Loop: Header=BB159_109 Depth=2
	s_or_b32 exec_lo, exec_lo, s46
	s_waitcnt vmcnt(0)
	ds_store_b32 v53, v3
	ds_store_b32 v54, v2 offset:128
	ds_store_b32 v55, v5 offset:256
	;; [unrolled: 1-line block ×15, first 2 shown]
	; wave barrier
	ds_load_2addr_b32 v[32:33], v69 offset1:1
	ds_load_2addr_b32 v[30:31], v69 offset0:2 offset1:3
	ds_load_2addr_b32 v[28:29], v69 offset0:4 offset1:5
	ds_load_2addr_b32 v[26:27], v69 offset0:6 offset1:7
	ds_load_2addr_b32 v[24:25], v69 offset0:8 offset1:9
	ds_load_2addr_b32 v[22:23], v69 offset0:10 offset1:11
	ds_load_2addr_b32 v[20:21], v69 offset0:12 offset1:13
	ds_load_2addr_b32 v[18:19], v69 offset0:14 offset1:15
	s_mov_b32 s59, s67
	v_dual_mov_b32 v2, 0 :: v_dual_mov_b32 v3, 0
	s_lshl_b64 s[46:47], s[58:59], 2
	s_delay_alu instid0(SALU_CYCLE_1)
	v_add_co_u32 v0, vcc_lo, v142, s46
	v_add_co_ci_u32_e32 v1, vcc_lo, s47, v143, vcc_lo
	s_and_saveexec_b32 s46, s13
	s_cbranch_execz .LBB159_143
; %bb.142:                              ;   in Loop: Header=BB159_109 Depth=2
	global_load_b32 v3, v[0:1], off
.LBB159_143:                            ;   in Loop: Header=BB159_109 Depth=2
	s_or_b32 exec_lo, exec_lo, s46
	s_and_saveexec_b32 s46, s14
	s_cbranch_execz .LBB159_145
; %bb.144:                              ;   in Loop: Header=BB159_109 Depth=2
	global_load_b32 v2, v[0:1], off offset:128
.LBB159_145:                            ;   in Loop: Header=BB159_109 Depth=2
	s_or_b32 exec_lo, exec_lo, s46
	v_dual_mov_b32 v4, 0 :: v_dual_mov_b32 v5, 0
	s_and_saveexec_b32 s46, s15
	s_cbranch_execz .LBB159_147
; %bb.146:                              ;   in Loop: Header=BB159_109 Depth=2
	global_load_b32 v5, v[0:1], off offset:256
.LBB159_147:                            ;   in Loop: Header=BB159_109 Depth=2
	s_or_b32 exec_lo, exec_lo, s46
	s_and_saveexec_b32 s46, s16
	s_cbranch_execz .LBB159_149
; %bb.148:                              ;   in Loop: Header=BB159_109 Depth=2
	global_load_b32 v4, v[0:1], off offset:384
.LBB159_149:                            ;   in Loop: Header=BB159_109 Depth=2
	s_or_b32 exec_lo, exec_lo, s46
	v_dual_mov_b32 v6, 0 :: v_dual_mov_b32 v7, 0
	s_and_saveexec_b32 s46, s17
	s_cbranch_execz .LBB159_151
; %bb.150:                              ;   in Loop: Header=BB159_109 Depth=2
	global_load_b32 v7, v[0:1], off offset:512
.LBB159_151:                            ;   in Loop: Header=BB159_109 Depth=2
	;; [unrolled: 13-line block ×7, first 2 shown]
	s_or_b32 exec_lo, exec_lo, s46
	s_and_saveexec_b32 s46, s28
	s_cbranch_execz .LBB159_173
; %bb.172:                              ;   in Loop: Header=BB159_109 Depth=2
	global_load_b32 v16, v[0:1], off offset:1920
.LBB159_173:                            ;   in Loop: Header=BB159_109 Depth=2
	s_or_b32 exec_lo, exec_lo, s46
	s_waitcnt vmcnt(0)
	ds_store_b32 v53, v3 offset:8448
	ds_store_b32 v70, v2 offset:128
	ds_store_b32 v71, v5 offset:256
	ds_store_b32 v72, v4 offset:384
	ds_store_b32 v73, v7 offset:512
	ds_store_b32 v74, v6 offset:640
	ds_store_b32 v75, v9 offset:768
	ds_store_b32 v76, v8 offset:896
	ds_store_b32 v77, v11 offset:1024
	ds_store_b32 v78, v10 offset:1152
	ds_store_b32 v79, v13 offset:1280
	ds_store_b32 v80, v12 offset:1408
	ds_store_b32 v81, v15 offset:1536
	ds_store_b32 v82, v14 offset:1664
	ds_store_b32 v83, v17 offset:1792
	ds_store_b32 v84, v16 offset:1920
	v_add_nc_u32_e32 v2, 0x2100, v69
	; wave barrier
	ds_load_2addr_b32 v[12:13], v85 offset0:2 offset1:3
	ds_load_2addr_b32 v[10:11], v85 offset0:4 offset1:5
	;; [unrolled: 1-line block ×6, first 2 shown]
	ds_load_2addr_b32 v[14:15], v2 offset1:1
	ds_load_2addr_b32 v[2:3], v85 offset0:14 offset1:15
	s_and_not1_b32 vcc_lo, exec_lo, s51
	s_cbranch_vccnz .LBB159_175
; %bb.174:                              ;   in Loop: Header=BB159_109 Depth=2
	v_mov_b32_e32 v16, s90
	ds_load_b64 v[16:17], v16
	s_cbranch_execz .LBB159_176
	s_branch .LBB159_179
.LBB159_175:                            ;   in Loop: Header=BB159_109 Depth=2
                                        ; implicit-def: $vgpr16
.LBB159_176:                            ;   in Loop: Header=BB159_109 Depth=2
	s_waitcnt lgkmcnt(0)
	v_mov_b32_e32 v17, 0
	s_and_not1_b32 vcc_lo, exec_lo, s68
	s_cbranch_vccnz .LBB159_178
; %bb.177:                              ;   in Loop: Header=BB159_109 Depth=2
	s_mov_b32 s61, s67
	s_delay_alu instid0(SALU_CYCLE_1) | instskip(NEXT) | instid1(SALU_CYCLE_1)
	s_lshl_b64 s[46:47], s[60:61], 2
	s_add_u32 s46, s78, s46
	s_addc_u32 s47, s79, s47
	global_load_b32 v17, v37, s[46:47]
.LBB159_178:                            ;   in Loop: Header=BB159_109 Depth=2
	v_mov_b32_e32 v16, 1.0
.LBB159_179:                            ;   in Loop: Header=BB159_109 Depth=2
	s_waitcnt lgkmcnt(31)
	v_dual_mul_f32 v173, 0x3fb8aa3b, v159 :: v_dual_mul_f32 v32, v32, v158
	s_waitcnt lgkmcnt(29)
	v_dual_mul_f32 v161, v33, v157 :: v_dual_mul_f32 v28, v28, v154
	s_delay_alu instid0(VALU_DEP_2) | instskip(NEXT) | instid1(VALU_DEP_3)
	v_dual_mul_f32 v162, v30, v156 :: v_dual_mul_f32 v159, v173, v107
	v_cndmask_b32_e64 v33, 0, v32, s29
	v_mul_f32_e32 v32, v173, v110
	s_waitcnt lgkmcnt(26)
	v_dual_mul_f32 v167, v173, v114 :: v_dual_mul_f32 v22, v22, v148
	v_cmp_gt_f32_e32 vcc_lo, 0xc2fc0000, v159
	v_mul_f32_e32 v174, v173, v119
	v_cmp_gt_f32_e64 s48, 0xc2fc0000, v32
	v_cndmask_b32_e64 v28, 0, v28, s34
	s_waitcnt lgkmcnt(24)
	v_dual_mul_f32 v177, v173, v138 :: v_dual_mul_f32 v18, v18, v144
	v_cndmask_b32_e64 v30, 0, 0x42800000, vcc_lo
	v_cndmask_b32_e64 v32, 0, 0x42800000, s48
	v_cndmask_b32_e64 v22, 0, v22, s40
	v_dual_mul_f32 v31, v31, v155 :: v_dual_mul_f32 v26, v26, v152
	s_delay_alu instid0(VALU_DEP_4) | instskip(SKIP_2) | instid1(VALU_DEP_4)
	v_fmac_f32_e32 v30, v173, v107
	v_mul_f32_e32 v27, v27, v151
	v_mul_f32_e32 v23, v23, v147
	v_cndmask_b32_e64 v31, 0, v31, s33
	v_cndmask_b32_e64 v26, 0, v26, s36
	v_exp_f32_e32 v163, v30
	v_cndmask_b32_e64 v30, 0, v161, s30
	v_cndmask_b32_e64 v161, 1.0, 0x1f800000, vcc_lo
	v_mul_f32_e32 v160, v173, v108
	v_cndmask_b32_e64 v27, 0, v27, s37
	v_cndmask_b32_e64 v23, 0, v23, s41
	v_mul_f32_e32 v24, v24, v150
	v_dual_mul_f32 v20, v20, v146 :: v_dual_mul_f32 v19, v19, v139
	v_mul_f32_e32 v21, v21, v145
	s_delay_alu instid0(TRANS32_DEP_1) | instskip(SKIP_2) | instid1(VALU_DEP_2)
	v_mul_f32_e32 v161, v163, v161
	v_cmp_gt_f32_e64 s46, 0xc2fc0000, v160
	v_cndmask_b32_e64 v24, 0, v24, s38
	v_cndmask_b32_e64 v159, 0, 0x42800000, s46
	v_cndmask_b32_e64 v164, 1.0, 0x1f800000, s46
	s_delay_alu instid0(VALU_DEP_2) | instskip(NEXT) | instid1(VALU_DEP_1)
	v_fmac_f32_e32 v159, v173, v108
	v_exp_f32_e32 v159, v159
	s_waitcnt_depctr 0xfff
	v_dual_mul_f32 v160, v173, v109 :: v_dual_mul_f32 v159, v159, v164
	s_delay_alu instid0(VALU_DEP_1) | instskip(NEXT) | instid1(VALU_DEP_2)
	v_cmp_gt_f32_e64 s47, 0xc2fc0000, v160
	v_cndmask_b32_e64 v159, 1.0, v159, s30
	s_delay_alu instid0(VALU_DEP_2) | instskip(SKIP_2) | instid1(VALU_DEP_3)
	v_cndmask_b32_e64 v160, 0, 0x42800000, s47
	v_cndmask_b32_e64 v166, 1.0, 0x1f800000, s47
	v_cmp_gt_f32_e64 s47, 0xc2fc0000, v167
	v_fmac_f32_e32 v160, v173, v109
	s_delay_alu instid0(VALU_DEP_1) | instskip(SKIP_1) | instid1(VALU_DEP_1)
	v_exp_f32_e32 v165, v160
	v_mul_f32_e32 v160, v173, v111
	v_cmp_gt_f32_e32 vcc_lo, 0xc2fc0000, v160
	v_cndmask_b32_e64 v160, 1.0, v161, s29
	s_waitcnt_depctr 0xfff
	v_mul_f32_e32 v161, v165, v166
	v_cndmask_b32_e64 v164, 0, 0x42800000, vcc_lo
	v_cndmask_b32_e64 v165, 1.0, 0x1f800000, s48
	v_mul_f32_e32 v166, v173, v113
	s_delay_alu instid0(VALU_DEP_4) | instskip(NEXT) | instid1(VALU_DEP_4)
	v_cndmask_b32_e64 v161, 1.0, v161, s31
	v_fmac_f32_e32 v164, v173, v111
	s_delay_alu instid0(VALU_DEP_1) | instskip(SKIP_1) | instid1(VALU_DEP_1)
	v_exp_f32_e32 v164, v164
	v_fmac_f32_e32 v32, v173, v110
	v_exp_f32_e32 v163, v32
	v_cndmask_b32_e64 v32, 0, v162, s31
	v_mul_f32_e32 v162, v173, v112
	s_delay_alu instid0(VALU_DEP_1) | instskip(SKIP_4) | instid1(VALU_DEP_3)
	v_cmp_gt_f32_e64 s46, 0xc2fc0000, v162
	s_waitcnt_depctr 0xfff
	v_mul_f32_e32 v163, v163, v165
	v_cndmask_b32_e64 v165, 0, 0x42800000, s46
	v_cndmask_b32_e64 v167, 1.0, 0x1f800000, s46
	v_cndmask_b32_e64 v162, 1.0, v163, s33
	v_cndmask_b32_e64 v163, 1.0, 0x1f800000, vcc_lo
	v_cmp_gt_f32_e32 vcc_lo, 0xc2fc0000, v166
	s_delay_alu instid0(VALU_DEP_2) | instskip(SKIP_1) | instid1(VALU_DEP_2)
	v_mul_f32_e32 v163, v164, v163
	v_cndmask_b32_e64 v166, 0, 0x42800000, vcc_lo
	v_cndmask_b32_e64 v163, 1.0, v163, s34
	s_delay_alu instid0(VALU_DEP_2) | instskip(NEXT) | instid1(VALU_DEP_1)
	v_fmac_f32_e32 v166, v173, v113
	v_exp_f32_e32 v166, v166
	v_fmac_f32_e32 v165, v173, v112
	s_delay_alu instid0(VALU_DEP_1) | instskip(SKIP_4) | instid1(VALU_DEP_2)
	v_exp_f32_e32 v164, v165
	v_cndmask_b32_e64 v165, 0, 0x42800000, s47
	s_waitcnt_depctr 0xfff
	v_dual_fmac_f32 v165, v173, v114 :: v_dual_mul_f32 v164, v164, v167
	v_cndmask_b32_e64 v167, 1.0, 0x1f800000, vcc_lo
	v_exp_f32_e32 v168, v165
	v_mul_f32_e32 v165, v173, v115
	s_delay_alu instid0(VALU_DEP_3) | instskip(NEXT) | instid1(VALU_DEP_3)
	v_cndmask_b32_e64 v164, 1.0, v164, s35
	v_mul_f32_e32 v166, v166, v167
	v_cndmask_b32_e64 v167, 1.0, 0x1f800000, s47
	s_delay_alu instid0(VALU_DEP_4) | instskip(SKIP_1) | instid1(VALU_DEP_4)
	v_cmp_gt_f32_e32 vcc_lo, 0xc2fc0000, v165
	v_mul_f32_e32 v29, v29, v153
	v_cndmask_b32_e64 v165, 1.0, v166, s36
	s_delay_alu instid0(TRANS32_DEP_1) | instid1(VALU_DEP_4)
	v_mul_f32_e32 v166, v168, v167
	v_cndmask_b32_e64 v169, 0, 0x42800000, vcc_lo
	v_mul_f32_e32 v167, v173, v116
	v_cndmask_b32_e64 v171, 1.0, 0x1f800000, vcc_lo
	v_cndmask_b32_e64 v29, 0, v29, s35
	v_cndmask_b32_e64 v166, 1.0, v166, s37
	v_fmac_f32_e32 v169, v173, v115
	v_cmp_gt_f32_e64 s46, 0xc2fc0000, v167
	v_mul_f32_e32 v168, v173, v117
	s_delay_alu instid0(VALU_DEP_3) | instskip(NEXT) | instid1(VALU_DEP_2)
	v_exp_f32_e32 v169, v169
	v_cndmask_b32_e64 v167, 0, 0x42800000, s46
	s_delay_alu instid0(VALU_DEP_2) | instskip(NEXT) | instid1(VALU_DEP_2)
	v_cmp_gt_f32_e64 s47, 0xc2fc0000, v168
	v_fmac_f32_e32 v167, v173, v116
	s_delay_alu instid0(VALU_DEP_2) | instskip(NEXT) | instid1(VALU_DEP_2)
	v_cndmask_b32_e64 v168, 0, 0x42800000, s47
	v_exp_f32_e32 v172, v167
	s_waitcnt_depctr 0xfff
	v_mul_f32_e32 v167, v169, v171
	v_fmac_f32_e32 v168, v173, v117
	v_cndmask_b32_e64 v169, 1.0, 0x1f800000, s46
	v_cndmask_b32_e64 v171, 1.0, 0x1f800000, s47
	s_delay_alu instid0(VALU_DEP_4) | instskip(SKIP_3) | instid1(VALU_DEP_2)
	v_cndmask_b32_e64 v167, 1.0, v167, s38
	v_mul_f32_e32 v170, v173, v118
	v_exp_f32_e32 v168, v168
	v_mul_f32_e32 v169, v172, v169
	v_cmp_gt_f32_e32 vcc_lo, 0xc2fc0000, v170
	v_cndmask_b32_e64 v170, 0, 0x42800000, vcc_lo
	v_cndmask_b32_e64 v172, 1.0, 0x1f800000, vcc_lo
	s_waitcnt_depctr 0xfff
	v_mul_f32_e32 v171, v168, v171
	v_cmp_gt_f32_e32 vcc_lo, 0xc2fc0000, v174
	v_cndmask_b32_e64 v168, 1.0, v169, s39
	v_fmac_f32_e32 v170, v173, v118
	v_fma_f32 v174, v159, v33, v30
	v_cndmask_b32_e64 v169, 1.0, v171, s40
	v_cndmask_b32_e64 v171, 0, 0x42800000, vcc_lo
	s_delay_alu instid0(VALU_DEP_4) | instskip(NEXT) | instid1(VALU_DEP_3)
	v_exp_f32_e32 v170, v170
	v_fma_f32 v174, v174, v161, v32
	s_delay_alu instid0(VALU_DEP_1) | instskip(SKIP_4) | instid1(VALU_DEP_3)
	v_fma_f32 v174, v174, v162, v31
	s_waitcnt_depctr 0xfff
	v_mul_f32_e32 v170, v170, v172
	v_mul_f32_e32 v172, v159, v160
	v_fma_f32 v174, v174, v163, v28
	v_cndmask_b32_e64 v178, 1.0, v170, s41
	s_delay_alu instid0(VALU_DEP_3) | instskip(SKIP_3) | instid1(VALU_DEP_4)
	v_mul_f32_e32 v172, v172, v161
	v_cndmask_b32_e64 v170, 1.0, 0x1f800000, vcc_lo
	v_mul_f32_e32 v175, v173, v120
	v_fma_f32 v174, v174, v164, v29
	v_dual_mul_f32 v172, v172, v162 :: v_dual_mul_f32 v25, v25, v149
	s_delay_alu instid0(VALU_DEP_3) | instskip(NEXT) | instid1(VALU_DEP_3)
	v_cmp_gt_f32_e64 s46, 0xc2fc0000, v175
	v_fma_f32 v174, v174, v165, v26
	s_delay_alu instid0(VALU_DEP_3) | instskip(SKIP_1) | instid1(VALU_DEP_4)
	v_mul_f32_e32 v172, v172, v163
	v_fmac_f32_e32 v171, v173, v119
	v_cndmask_b32_e64 v175, 0, 0x42800000, s46
	s_delay_alu instid0(VALU_DEP_4) | instskip(SKIP_3) | instid1(VALU_DEP_3)
	v_fma_f32 v174, v174, v166, v27
	v_cndmask_b32_e64 v25, 0, v25, s39
	v_mul_f32_e32 v176, v172, v164
	v_exp_f32_e32 v171, v171
	v_fma_f32 v174, v174, v167, v24
	s_waitcnt_depctr 0xfff
	v_mul_f32_e32 v171, v171, v170
	v_cndmask_b32_e64 v170, 0, v20, s42
	v_cndmask_b32_e64 v20, 1.0, 0x1f800000, s46
	v_cmp_gt_f32_e64 s46, 0xc2fc0000, v177
	v_fma_f32 v177, v174, v168, v25
	v_cndmask_b32_e64 v172, 1.0, v171, s42
	v_mul_f32_e32 v171, v176, v165
	v_mul_f32_e32 v176, v173, v121
	s_delay_alu instid0(VALU_DEP_1) | instskip(SKIP_1) | instid1(VALU_DEP_1)
	v_cmp_gt_f32_e32 vcc_lo, 0xc2fc0000, v176
	v_cndmask_b32_e64 v176, 0, 0x42800000, vcc_lo
	v_fmac_f32_e32 v176, v173, v121
	s_delay_alu instid0(VALU_DEP_1) | instskip(SKIP_1) | instid1(VALU_DEP_1)
	v_exp_f32_e32 v176, v176
	v_fmac_f32_e32 v175, v173, v120
	v_exp_f32_e32 v175, v175
	s_waitcnt_depctr 0xfff
	v_mul_f32_e32 v20, v175, v20
	v_mul_f32_e32 v175, v171, v166
	v_cndmask_b32_e64 v171, 0, v21, s43
	s_delay_alu instid0(VALU_DEP_3) | instskip(NEXT) | instid1(VALU_DEP_3)
	v_cndmask_b32_e64 v174, 1.0, v20, s43
	v_mul_f32_e32 v21, v175, v167
	v_cndmask_b32_e64 v175, 0, 0x42800000, s46
	s_delay_alu instid0(VALU_DEP_1) | instskip(SKIP_1) | instid1(VALU_DEP_2)
	v_fmac_f32_e32 v175, v173, v138
	v_cndmask_b32_e64 v173, 1.0, 0x1f800000, vcc_lo
	v_exp_f32_e32 v175, v175
	s_delay_alu instid0(VALU_DEP_1) | instskip(SKIP_3) | instid1(VALU_DEP_4)
	v_mul_f32_e32 v176, v176, v173
	v_cndmask_b32_e64 v173, 0, v18, s44
	v_cndmask_b32_e64 v18, 1.0, 0x1f800000, s46
	v_mul_f32_e32 v21, v21, v168
	v_cndmask_b32_e64 v176, 1.0, v176, s44
	s_waitcnt_depctr 0xfff
	v_mul_f32_e32 v18, v175, v18
	v_mul_f32_e32 v20, v21, v169
	v_fma_f32 v21, v177, v169, v22
	v_cndmask_b32_e64 v175, 0, v19, s45
	s_delay_alu instid0(VALU_DEP_4) | instskip(NEXT) | instid1(VALU_DEP_4)
	v_cndmask_b32_e64 v177, 1.0, v18, s45
	v_mul_f32_e32 v20, v20, v178
	s_delay_alu instid0(VALU_DEP_4) | instskip(NEXT) | instid1(VALU_DEP_2)
	v_fma_f32 v21, v21, v178, v23
	v_mul_f32_e32 v20, v20, v172
	s_delay_alu instid0(VALU_DEP_2) | instskip(NEXT) | instid1(VALU_DEP_2)
	v_fma_f32 v21, v21, v172, v170
	v_mul_f32_e32 v20, v20, v174
	s_delay_alu instid0(VALU_DEP_2) | instskip(NEXT) | instid1(VALU_DEP_2)
	;; [unrolled: 3-line block ×4, first 2 shown]
	v_fma_f32 v19, v19, v177, v175
	v_mov_b32_dpp v21, v18 row_shr:1 row_mask:0xf bank_mask:0xf
	s_delay_alu instid0(VALU_DEP_2)
	v_mov_b32_dpp v20, v19 row_shr:1 row_mask:0xf bank_mask:0xf
	s_and_saveexec_b32 s46, s0
; %bb.180:                              ;   in Loop: Header=BB159_109 Depth=2
	s_delay_alu instid0(VALU_DEP_2) | instskip(NEXT) | instid1(VALU_DEP_1)
	v_mul_f32_e32 v21, v18, v21
	v_dual_fmac_f32 v19, v18, v20 :: v_dual_mov_b32 v18, v21
; %bb.181:                              ;   in Loop: Header=BB159_109 Depth=2
	s_or_b32 exec_lo, exec_lo, s46
	s_delay_alu instid0(VALU_DEP_1) | instskip(NEXT) | instid1(VALU_DEP_2)
	v_mov_b32_dpp v20, v18 row_shr:2 row_mask:0xf bank_mask:0xf
	v_mov_b32_dpp v21, v19 row_shr:2 row_mask:0xf bank_mask:0xf
	s_and_saveexec_b32 s46, s1
; %bb.182:                              ;   in Loop: Header=BB159_109 Depth=2
	s_delay_alu instid0(VALU_DEP_1) | instskip(NEXT) | instid1(VALU_DEP_3)
	v_fmac_f32_e32 v19, v18, v21
	v_mul_f32_e32 v18, v18, v20
; %bb.183:                              ;   in Loop: Header=BB159_109 Depth=2
	s_or_b32 exec_lo, exec_lo, s46
	s_delay_alu instid0(VALU_DEP_1) | instskip(NEXT) | instid1(VALU_DEP_3)
	v_mov_b32_dpp v20, v18 row_shr:4 row_mask:0xf bank_mask:0xf
	v_mov_b32_dpp v21, v19 row_shr:4 row_mask:0xf bank_mask:0xf
	s_and_saveexec_b32 s46, s2
; %bb.184:                              ;   in Loop: Header=BB159_109 Depth=2
	s_delay_alu instid0(VALU_DEP_1) | instskip(NEXT) | instid1(VALU_DEP_3)
	v_fmac_f32_e32 v19, v18, v21
	v_mul_f32_e32 v18, v18, v20
; %bb.185:                              ;   in Loop: Header=BB159_109 Depth=2
	s_or_b32 exec_lo, exec_lo, s46
	s_delay_alu instid0(VALU_DEP_1) | instskip(NEXT) | instid1(VALU_DEP_3)
	v_mov_b32_dpp v20, v18 row_shr:8 row_mask:0xf bank_mask:0xf
	v_mov_b32_dpp v21, v19 row_shr:8 row_mask:0xf bank_mask:0xf
	s_and_saveexec_b32 s46, s3
; %bb.186:                              ;   in Loop: Header=BB159_109 Depth=2
	s_delay_alu instid0(VALU_DEP_1) | instskip(NEXT) | instid1(VALU_DEP_3)
	v_fmac_f32_e32 v19, v18, v21
	v_mul_f32_e32 v18, v18, v20
; %bb.187:                              ;   in Loop: Header=BB159_109 Depth=2
	s_or_b32 exec_lo, exec_lo, s46
	ds_swizzle_b32 v21, v18 offset:swizzle(BROADCAST,32,15)
	ds_swizzle_b32 v20, v19 offset:swizzle(BROADCAST,32,15)
	s_and_saveexec_b32 s46, s4
	s_cbranch_execz .LBB159_189
; %bb.188:                              ;   in Loop: Header=BB159_109 Depth=2
	s_waitcnt lgkmcnt(1)
	v_mul_f32_e32 v21, v18, v21
	s_waitcnt lgkmcnt(0)
	s_delay_alu instid0(VALU_DEP_1)
	v_dual_fmac_f32 v19, v18, v20 :: v_dual_mov_b32 v18, v21
.LBB159_189:                            ;   in Loop: Header=BB159_109 Depth=2
	s_or_b32 exec_lo, exec_lo, s46
	s_and_saveexec_b32 s46, s5
	s_cbranch_execz .LBB159_191
; %bb.190:                              ;   in Loop: Header=BB159_109 Depth=2
	ds_store_b64 v86, v[18:19] offset:16896
.LBB159_191:                            ;   in Loop: Header=BB159_109 Depth=2
	s_or_b32 exec_lo, exec_lo, s46
	s_waitcnt vmcnt(0) lgkmcnt(0)
	s_waitcnt_vscnt null, 0x0
	s_barrier
	buffer_gl0_inv
	s_and_saveexec_b32 s46, s6
	s_cbranch_execz .LBB159_195
; %bb.192:                              ;   in Loop: Header=BB159_109 Depth=2
	ds_load_b64 v[20:21], v87 offset:16896
	s_waitcnt lgkmcnt(0)
	v_mov_b32_dpp v181, v20 row_shr:1 row_mask:0xf bank_mask:0xf
	v_mov_b32_dpp v180, v21 row_shr:1 row_mask:0xf bank_mask:0xf
	v_mov_b32_e32 v179, v20
	s_and_saveexec_b32 s47, s7
; %bb.193:                              ;   in Loop: Header=BB159_109 Depth=2
	s_delay_alu instid0(VALU_DEP_3) | instskip(NEXT) | instid1(VALU_DEP_1)
	v_mul_f32_e32 v179, v20, v181
	v_dual_fmac_f32 v21, v20, v180 :: v_dual_mov_b32 v20, v179
; %bb.194:                              ;   in Loop: Header=BB159_109 Depth=2
	s_or_b32 exec_lo, exec_lo, s47
	v_mov_b32_dpp v179, v179 row_shr:2 row_mask:0xf bank_mask:0xf
	s_delay_alu instid0(VALU_DEP_2) | instskip(NEXT) | instid1(VALU_DEP_2)
	v_mov_b32_dpp v180, v21 row_shr:2 row_mask:0xf bank_mask:0xf
	v_mul_f32_e32 v179, v20, v179
	s_delay_alu instid0(VALU_DEP_2) | instskip(NEXT) | instid1(VALU_DEP_2)
	v_fma_f32 v180, v20, v180, v21
	v_cndmask_b32_e64 v20, v20, v179, s8
	s_delay_alu instid0(VALU_DEP_2)
	v_cndmask_b32_e64 v21, v21, v180, s8
	ds_store_b64 v87, v[20:21] offset:16896
.LBB159_195:                            ;   in Loop: Header=BB159_109 Depth=2
	s_or_b32 exec_lo, exec_lo, s46
	s_waitcnt lgkmcnt(0)
	s_barrier
	buffer_gl0_inv
                                        ; implicit-def: $vgpr21
	s_and_saveexec_b32 s46, s10
	s_cbranch_execz .LBB159_197
; %bb.196:                              ;   in Loop: Header=BB159_109 Depth=2
	ds_load_b64 v[20:21], v86 offset:16888
	s_waitcnt lgkmcnt(0)
	v_mul_f32_e32 v179, v18, v20
	s_delay_alu instid0(VALU_DEP_1)
	v_dual_fmac_f32 v19, v18, v21 :: v_dual_mov_b32 v18, v179
.LBB159_197:                            ;   in Loop: Header=BB159_109 Depth=2
	s_or_b32 exec_lo, exec_lo, s46
	ds_bpermute_b32 v179, v88, v18
	ds_bpermute_b32 v180, v88, v19
	s_and_saveexec_b32 s46, s9
	s_cbranch_execz .LBB159_201
; %bb.198:                              ;   in Loop: Header=BB159_109 Depth=2
	ds_load_b64 v[18:19], v37 offset:16920
	s_and_saveexec_b32 s47, s11
	s_cbranch_execz .LBB159_200
; %bb.199:                              ;   in Loop: Header=BB159_109 Depth=2
	ds_store_b64 v37, v[16:17] offset:16920
.LBB159_200:                            ;   in Loop: Header=BB159_109 Depth=2
	s_or_b32 exec_lo, exec_lo, s47
	s_waitcnt lgkmcnt(0)
	v_fmac_f32_e32 v19, v17, v18
	s_delay_alu instid0(VALU_DEP_1)
	v_dual_mul_f32 v16, v16, v18 :: v_dual_mov_b32 v17, v19
.LBB159_201:                            ;   in Loop: Header=BB159_109 Depth=2
	s_or_b32 exec_lo, exec_lo, s46
	s_waitcnt lgkmcnt(0)
	s_barrier
	buffer_gl0_inv
	ds_load_b32 v18, v37 offset:16924
	s_and_saveexec_b32 s46, s11
	s_cbranch_execz .LBB159_108
; %bb.202:                              ;   in Loop: Header=BB159_109 Depth=2
	v_mov_b32_e32 v19, s90
	s_and_not1_b32 vcc_lo, exec_lo, s88
	ds_store_b64 v19, v[16:17]
	s_cbranch_vccnz .LBB159_108
; %bb.203:                              ;   in Loop: Header=BB159_109 Depth=2
	s_mov_b32 s61, s67
	s_delay_alu instid0(SALU_CYCLE_1) | instskip(NEXT) | instid1(SALU_CYCLE_1)
	s_lshl_b64 s[92:93], s[60:61], 2
	s_add_u32 s92, s78, s92
	s_addc_u32 s93, s79, s93
	global_store_b32 v37, v17, s[92:93]
	s_branch .LBB159_108
.LBB159_204:                            ;   in Loop: Header=BB159_12 Depth=1
	s_waitcnt_vscnt null, 0x0
	s_barrier
	buffer_gl0_inv
	ds_store_2addr_b32 v69, v137, v136 offset1:1
	ds_store_2addr_b32 v69, v135, v134 offset0:2 offset1:3
	ds_store_2addr_b32 v69, v132, v131 offset0:4 offset1:5
	;; [unrolled: 1-line block ×7, first 2 shown]
	; wave barrier
	ds_load_b32 v16, v54 offset:128
	ds_load_b32 v15, v55 offset:256
	;; [unrolled: 1-line block ×15, first 2 shown]
	s_mov_b32 s51, s67
	s_delay_alu instid0(SALU_CYCLE_1) | instskip(NEXT) | instid1(SALU_CYCLE_1)
	s_lshl_b64 s[30:31], s[50:51], 2
	v_add_co_u32 v0, vcc_lo, v89, s30
	v_add_co_ci_u32_e32 v1, vcc_lo, s31, v90, vcc_lo
	s_and_saveexec_b32 s29, s13
	s_cbranch_execnz .LBB159_222
; %bb.205:                              ;   in Loop: Header=BB159_12 Depth=1
	s_or_b32 exec_lo, exec_lo, s29
	s_and_saveexec_b32 s13, s14
	s_cbranch_execnz .LBB159_223
.LBB159_206:                            ;   in Loop: Header=BB159_12 Depth=1
	s_or_b32 exec_lo, exec_lo, s13
	s_and_saveexec_b32 s13, s15
	s_cbranch_execnz .LBB159_224
.LBB159_207:                            ;   in Loop: Header=BB159_12 Depth=1
	s_or_b32 exec_lo, exec_lo, s13
	s_and_saveexec_b32 s13, s16
	s_cbranch_execnz .LBB159_225
.LBB159_208:                            ;   in Loop: Header=BB159_12 Depth=1
	s_or_b32 exec_lo, exec_lo, s13
	s_and_saveexec_b32 s13, s17
	s_cbranch_execnz .LBB159_226
.LBB159_209:                            ;   in Loop: Header=BB159_12 Depth=1
	s_or_b32 exec_lo, exec_lo, s13
	s_and_saveexec_b32 s13, s18
	s_cbranch_execnz .LBB159_227
.LBB159_210:                            ;   in Loop: Header=BB159_12 Depth=1
	s_or_b32 exec_lo, exec_lo, s13
	s_and_saveexec_b32 s13, s19
	s_cbranch_execnz .LBB159_228
.LBB159_211:                            ;   in Loop: Header=BB159_12 Depth=1
	s_or_b32 exec_lo, exec_lo, s13
	s_and_saveexec_b32 s13, s20
	s_cbranch_execnz .LBB159_229
.LBB159_212:                            ;   in Loop: Header=BB159_12 Depth=1
	s_or_b32 exec_lo, exec_lo, s13
	s_and_saveexec_b32 s13, s21
	s_cbranch_execnz .LBB159_230
.LBB159_213:                            ;   in Loop: Header=BB159_12 Depth=1
	s_or_b32 exec_lo, exec_lo, s13
	s_and_saveexec_b32 s13, s22
	s_cbranch_execnz .LBB159_231
.LBB159_214:                            ;   in Loop: Header=BB159_12 Depth=1
	s_or_b32 exec_lo, exec_lo, s13
	s_and_saveexec_b32 s13, s23
	s_cbranch_execnz .LBB159_232
.LBB159_215:                            ;   in Loop: Header=BB159_12 Depth=1
	s_or_b32 exec_lo, exec_lo, s13
	s_and_saveexec_b32 s13, s24
	s_cbranch_execnz .LBB159_233
.LBB159_216:                            ;   in Loop: Header=BB159_12 Depth=1
	s_or_b32 exec_lo, exec_lo, s13
	s_and_saveexec_b32 s13, s25
	s_cbranch_execnz .LBB159_234
.LBB159_217:                            ;   in Loop: Header=BB159_12 Depth=1
	s_or_b32 exec_lo, exec_lo, s13
	s_and_saveexec_b32 s13, s26
	s_cbranch_execnz .LBB159_235
.LBB159_218:                            ;   in Loop: Header=BB159_12 Depth=1
	s_or_b32 exec_lo, exec_lo, s13
	s_and_saveexec_b32 s13, s27
	s_cbranch_execnz .LBB159_236
.LBB159_219:                            ;   in Loop: Header=BB159_12 Depth=1
	s_or_b32 exec_lo, exec_lo, s13
	s_and_saveexec_b32 s13, s28
	s_cbranch_execz .LBB159_11
	s_branch .LBB159_237
.LBB159_220:                            ;   in Loop: Header=BB159_12 Depth=1
	global_load_b32 v33, v[16:17], off offset:1664
	s_or_b32 exec_lo, exec_lo, s29
	s_and_saveexec_b32 s29, s27
	s_cbranch_execz .LBB159_72
.LBB159_221:                            ;   in Loop: Header=BB159_12 Depth=1
	global_load_b32 v31, v[16:17], off offset:1792
	s_or_b32 exec_lo, exec_lo, s29
	v_mov_b32_e32 v107, 0
	s_and_saveexec_b32 s29, s28
	s_cbranch_execnz .LBB159_73
	s_branch .LBB159_74
.LBB159_222:                            ;   in Loop: Header=BB159_12 Depth=1
	ds_load_b32 v17, v53
	s_waitcnt lgkmcnt(0)
	global_store_b32 v[0:1], v17, off
	s_or_b32 exec_lo, exec_lo, s29
	s_and_saveexec_b32 s13, s14
	s_cbranch_execz .LBB159_206
.LBB159_223:                            ;   in Loop: Header=BB159_12 Depth=1
	s_waitcnt lgkmcnt(14)
	global_store_b32 v[0:1], v16, off offset:128
	s_or_b32 exec_lo, exec_lo, s13
	s_and_saveexec_b32 s13, s15
	s_cbranch_execz .LBB159_207
.LBB159_224:                            ;   in Loop: Header=BB159_12 Depth=1
	s_waitcnt lgkmcnt(13)
	global_store_b32 v[0:1], v15, off offset:256
	s_or_b32 exec_lo, exec_lo, s13
	s_and_saveexec_b32 s13, s16
	s_cbranch_execz .LBB159_208
.LBB159_225:                            ;   in Loop: Header=BB159_12 Depth=1
	s_waitcnt lgkmcnt(12)
	global_store_b32 v[0:1], v14, off offset:384
	s_or_b32 exec_lo, exec_lo, s13
	s_and_saveexec_b32 s13, s17
	s_cbranch_execz .LBB159_209
.LBB159_226:                            ;   in Loop: Header=BB159_12 Depth=1
	s_waitcnt lgkmcnt(11)
	global_store_b32 v[0:1], v13, off offset:512
	s_or_b32 exec_lo, exec_lo, s13
	s_and_saveexec_b32 s13, s18
	s_cbranch_execz .LBB159_210
.LBB159_227:                            ;   in Loop: Header=BB159_12 Depth=1
	s_waitcnt lgkmcnt(10)
	global_store_b32 v[0:1], v12, off offset:640
	s_or_b32 exec_lo, exec_lo, s13
	s_and_saveexec_b32 s13, s19
	s_cbranch_execz .LBB159_211
.LBB159_228:                            ;   in Loop: Header=BB159_12 Depth=1
	s_waitcnt lgkmcnt(9)
	global_store_b32 v[0:1], v11, off offset:768
	s_or_b32 exec_lo, exec_lo, s13
	s_and_saveexec_b32 s13, s20
	s_cbranch_execz .LBB159_212
.LBB159_229:                            ;   in Loop: Header=BB159_12 Depth=1
	s_waitcnt lgkmcnt(8)
	global_store_b32 v[0:1], v10, off offset:896
	s_or_b32 exec_lo, exec_lo, s13
	s_and_saveexec_b32 s13, s21
	s_cbranch_execz .LBB159_213
.LBB159_230:                            ;   in Loop: Header=BB159_12 Depth=1
	s_waitcnt lgkmcnt(7)
	global_store_b32 v[0:1], v9, off offset:1024
	s_or_b32 exec_lo, exec_lo, s13
	s_and_saveexec_b32 s13, s22
	s_cbranch_execz .LBB159_214
.LBB159_231:                            ;   in Loop: Header=BB159_12 Depth=1
	s_waitcnt lgkmcnt(6)
	global_store_b32 v[0:1], v8, off offset:1152
	s_or_b32 exec_lo, exec_lo, s13
	s_and_saveexec_b32 s13, s23
	s_cbranch_execz .LBB159_215
.LBB159_232:                            ;   in Loop: Header=BB159_12 Depth=1
	s_waitcnt lgkmcnt(5)
	global_store_b32 v[0:1], v7, off offset:1280
	s_or_b32 exec_lo, exec_lo, s13
	s_and_saveexec_b32 s13, s24
	s_cbranch_execz .LBB159_216
.LBB159_233:                            ;   in Loop: Header=BB159_12 Depth=1
	s_waitcnt lgkmcnt(4)
	global_store_b32 v[0:1], v6, off offset:1408
	s_or_b32 exec_lo, exec_lo, s13
	s_and_saveexec_b32 s13, s25
	s_cbranch_execz .LBB159_217
.LBB159_234:                            ;   in Loop: Header=BB159_12 Depth=1
	s_waitcnt lgkmcnt(3)
	global_store_b32 v[0:1], v5, off offset:1536
	s_or_b32 exec_lo, exec_lo, s13
	s_and_saveexec_b32 s13, s26
	s_cbranch_execz .LBB159_218
.LBB159_235:                            ;   in Loop: Header=BB159_12 Depth=1
	s_waitcnt lgkmcnt(2)
	global_store_b32 v[0:1], v4, off offset:1664
	s_or_b32 exec_lo, exec_lo, s13
	s_and_saveexec_b32 s13, s27
	s_cbranch_execz .LBB159_219
.LBB159_236:                            ;   in Loop: Header=BB159_12 Depth=1
	s_waitcnt lgkmcnt(1)
	global_store_b32 v[0:1], v3, off offset:1792
	s_or_b32 exec_lo, exec_lo, s13
	s_and_saveexec_b32 s13, s28
	s_cbranch_execz .LBB159_11
.LBB159_237:                            ;   in Loop: Header=BB159_12 Depth=1
	s_waitcnt lgkmcnt(0)
	global_store_b32 v[0:1], v2, off offset:1920
	s_branch .LBB159_11
.LBB159_238:
	s_nop 0
	s_sendmsg sendmsg(MSG_DEALLOC_VGPRS)
	s_endpgm
	.section	.rodata,"a",@progbits
	.p2align	6, 0x0
	.amdhsa_kernel _Z25selective_scan_fwd_kernelI32Selective_Scan_fwd_kernel_traitsILi128ELi16ELi1ELb0ELb1ELb1ELb0ELb0EfffEEv13SSMParamsBase
		.amdhsa_group_segment_fixed_size 0
		.amdhsa_private_segment_fixed_size 0
		.amdhsa_kernarg_size 248
		.amdhsa_user_sgpr_count 14
		.amdhsa_user_sgpr_dispatch_ptr 0
		.amdhsa_user_sgpr_queue_ptr 0
		.amdhsa_user_sgpr_kernarg_segment_ptr 1
		.amdhsa_user_sgpr_dispatch_id 0
		.amdhsa_user_sgpr_private_segment_size 0
		.amdhsa_wavefront_size32 1
		.amdhsa_uses_dynamic_stack 0
		.amdhsa_enable_private_segment 0
		.amdhsa_system_sgpr_workgroup_id_x 1
		.amdhsa_system_sgpr_workgroup_id_y 1
		.amdhsa_system_sgpr_workgroup_id_z 0
		.amdhsa_system_sgpr_workgroup_info 0
		.amdhsa_system_vgpr_workitem_id 0
		.amdhsa_next_free_vgpr 182
		.amdhsa_next_free_sgpr 94
		.amdhsa_reserve_vcc 1
		.amdhsa_float_round_mode_32 0
		.amdhsa_float_round_mode_16_64 0
		.amdhsa_float_denorm_mode_32 3
		.amdhsa_float_denorm_mode_16_64 3
		.amdhsa_dx10_clamp 1
		.amdhsa_ieee_mode 1
		.amdhsa_fp16_overflow 0
		.amdhsa_workgroup_processor_mode 1
		.amdhsa_memory_ordered 1
		.amdhsa_forward_progress 0
		.amdhsa_shared_vgpr_count 0
		.amdhsa_exception_fp_ieee_invalid_op 0
		.amdhsa_exception_fp_denorm_src 0
		.amdhsa_exception_fp_ieee_div_zero 0
		.amdhsa_exception_fp_ieee_overflow 0
		.amdhsa_exception_fp_ieee_underflow 0
		.amdhsa_exception_fp_ieee_inexact 0
		.amdhsa_exception_int_div_zero 0
	.end_amdhsa_kernel
	.section	.text._Z25selective_scan_fwd_kernelI32Selective_Scan_fwd_kernel_traitsILi128ELi16ELi1ELb0ELb1ELb1ELb0ELb0EfffEEv13SSMParamsBase,"axG",@progbits,_Z25selective_scan_fwd_kernelI32Selective_Scan_fwd_kernel_traitsILi128ELi16ELi1ELb0ELb1ELb1ELb0ELb0EfffEEv13SSMParamsBase,comdat
.Lfunc_end159:
	.size	_Z25selective_scan_fwd_kernelI32Selective_Scan_fwd_kernel_traitsILi128ELi16ELi1ELb0ELb1ELb1ELb0ELb0EfffEEv13SSMParamsBase, .Lfunc_end159-_Z25selective_scan_fwd_kernelI32Selective_Scan_fwd_kernel_traitsILi128ELi16ELi1ELb0ELb1ELb1ELb0ELb0EfffEEv13SSMParamsBase
                                        ; -- End function
	.section	.AMDGPU.csdata,"",@progbits
; Kernel info:
; codeLenInByte = 20628
; NumSgprs: 96
; NumVgprs: 182
; ScratchSize: 0
; MemoryBound: 0
; FloatMode: 240
; IeeeMode: 1
; LDSByteSize: 0 bytes/workgroup (compile time only)
; SGPRBlocks: 11
; VGPRBlocks: 22
; NumSGPRsForWavesPerEU: 96
; NumVGPRsForWavesPerEU: 182
; Occupancy: 8
; WaveLimiterHint : 0
; COMPUTE_PGM_RSRC2:SCRATCH_EN: 0
; COMPUTE_PGM_RSRC2:USER_SGPR: 14
; COMPUTE_PGM_RSRC2:TRAP_HANDLER: 0
; COMPUTE_PGM_RSRC2:TGID_X_EN: 1
; COMPUTE_PGM_RSRC2:TGID_Y_EN: 1
; COMPUTE_PGM_RSRC2:TGID_Z_EN: 0
; COMPUTE_PGM_RSRC2:TIDIG_COMP_CNT: 0
	.text
	.p2alignl 7, 3214868480
	.fill 96, 4, 3214868480
	.type	__hip_cuid_752b088a41413207,@object ; @__hip_cuid_752b088a41413207
	.section	.bss,"aw",@nobits
	.globl	__hip_cuid_752b088a41413207
__hip_cuid_752b088a41413207:
	.byte	0                               ; 0x0
	.size	__hip_cuid_752b088a41413207, 1

	.ident	"AMD clang version 19.0.0git (https://github.com/RadeonOpenCompute/llvm-project roc-6.4.0 25133 c7fe45cf4b819c5991fe208aaa96edf142730f1d)"
	.section	".note.GNU-stack","",@progbits
	.addrsig
	.addrsig_sym __hip_cuid_752b088a41413207
	.amdgpu_metadata
---
amdhsa.kernels:
  - .args:
      - .offset:         0
        .size:           248
        .value_kind:     by_value
    .group_segment_fixed_size: 0
    .kernarg_segment_align: 8
    .kernarg_segment_size: 248
    .language:       OpenCL C
    .language_version:
      - 2
      - 0
    .max_flat_workgroup_size: 64
    .name:           _Z25selective_scan_fwd_kernelI32Selective_Scan_fwd_kernel_traitsILi64ELi4ELi1ELb1ELb1ELb1ELb1ELb1EN3c108BFloat16EfS2_EEv13SSMParamsBase
    .private_segment_fixed_size: 0
    .sgpr_count:     70
    .sgpr_spill_count: 0
    .symbol:         _Z25selective_scan_fwd_kernelI32Selective_Scan_fwd_kernel_traitsILi64ELi4ELi1ELb1ELb1ELb1ELb1ELb1EN3c108BFloat16EfS2_EEv13SSMParamsBase.kd
    .uniform_work_group_size: 1
    .uses_dynamic_stack: false
    .vgpr_count:     61
    .vgpr_spill_count: 0
    .wavefront_size: 32
    .workgroup_processor_mode: 1
  - .args:
      - .offset:         0
        .size:           248
        .value_kind:     by_value
    .group_segment_fixed_size: 0
    .kernarg_segment_align: 8
    .kernarg_segment_size: 248
    .language:       OpenCL C
    .language_version:
      - 2
      - 0
    .max_flat_workgroup_size: 64
    .name:           _Z25selective_scan_fwd_kernelI32Selective_Scan_fwd_kernel_traitsILi64ELi4ELi1ELb1ELb1ELb1ELb1ELb0EN3c108BFloat16EfS2_EEv13SSMParamsBase
    .private_segment_fixed_size: 0
    .sgpr_count:     68
    .sgpr_spill_count: 0
    .symbol:         _Z25selective_scan_fwd_kernelI32Selective_Scan_fwd_kernel_traitsILi64ELi4ELi1ELb1ELb1ELb1ELb1ELb0EN3c108BFloat16EfS2_EEv13SSMParamsBase.kd
    .uniform_work_group_size: 1
    .uses_dynamic_stack: false
    .vgpr_count:     62
    .vgpr_spill_count: 0
    .wavefront_size: 32
    .workgroup_processor_mode: 1
  - .args:
      - .offset:         0
        .size:           248
        .value_kind:     by_value
    .group_segment_fixed_size: 0
    .kernarg_segment_align: 8
    .kernarg_segment_size: 248
    .language:       OpenCL C
    .language_version:
      - 2
      - 0
    .max_flat_workgroup_size: 64
    .name:           _Z25selective_scan_fwd_kernelI32Selective_Scan_fwd_kernel_traitsILi64ELi4ELi1ELb1ELb1ELb1ELb0ELb1EN3c108BFloat16EfS2_EEv13SSMParamsBase
    .private_segment_fixed_size: 0
    .sgpr_count:     70
    .sgpr_spill_count: 0
    .symbol:         _Z25selective_scan_fwd_kernelI32Selective_Scan_fwd_kernel_traitsILi64ELi4ELi1ELb1ELb1ELb1ELb0ELb1EN3c108BFloat16EfS2_EEv13SSMParamsBase.kd
    .uniform_work_group_size: 1
    .uses_dynamic_stack: false
    .vgpr_count:     57
    .vgpr_spill_count: 0
    .wavefront_size: 32
    .workgroup_processor_mode: 1
  - .args:
      - .offset:         0
        .size:           248
        .value_kind:     by_value
    .group_segment_fixed_size: 0
    .kernarg_segment_align: 8
    .kernarg_segment_size: 248
    .language:       OpenCL C
    .language_version:
      - 2
      - 0
    .max_flat_workgroup_size: 64
    .name:           _Z25selective_scan_fwd_kernelI32Selective_Scan_fwd_kernel_traitsILi64ELi4ELi1ELb1ELb1ELb1ELb0ELb0EN3c108BFloat16EfS2_EEv13SSMParamsBase
    .private_segment_fixed_size: 0
    .sgpr_count:     68
    .sgpr_spill_count: 0
    .symbol:         _Z25selective_scan_fwd_kernelI32Selective_Scan_fwd_kernel_traitsILi64ELi4ELi1ELb1ELb1ELb1ELb0ELb0EN3c108BFloat16EfS2_EEv13SSMParamsBase.kd
    .uniform_work_group_size: 1
    .uses_dynamic_stack: false
    .vgpr_count:     54
    .vgpr_spill_count: 0
    .wavefront_size: 32
    .workgroup_processor_mode: 1
  - .args:
      - .offset:         0
        .size:           248
        .value_kind:     by_value
    .group_segment_fixed_size: 0
    .kernarg_segment_align: 8
    .kernarg_segment_size: 248
    .language:       OpenCL C
    .language_version:
      - 2
      - 0
    .max_flat_workgroup_size: 64
    .name:           _Z25selective_scan_fwd_kernelI32Selective_Scan_fwd_kernel_traitsILi64ELi4ELi1ELb0ELb1ELb1ELb1ELb1EN3c108BFloat16EfS2_EEv13SSMParamsBase
    .private_segment_fixed_size: 0
    .sgpr_count:     70
    .sgpr_spill_count: 0
    .symbol:         _Z25selective_scan_fwd_kernelI32Selective_Scan_fwd_kernel_traitsILi64ELi4ELi1ELb0ELb1ELb1ELb1ELb1EN3c108BFloat16EfS2_EEv13SSMParamsBase.kd
    .uniform_work_group_size: 1
    .uses_dynamic_stack: false
    .vgpr_count:     61
    .vgpr_spill_count: 0
    .wavefront_size: 32
    .workgroup_processor_mode: 1
  - .args:
      - .offset:         0
        .size:           248
        .value_kind:     by_value
    .group_segment_fixed_size: 0
    .kernarg_segment_align: 8
    .kernarg_segment_size: 248
    .language:       OpenCL C
    .language_version:
      - 2
      - 0
    .max_flat_workgroup_size: 64
    .name:           _Z25selective_scan_fwd_kernelI32Selective_Scan_fwd_kernel_traitsILi64ELi4ELi1ELb0ELb1ELb1ELb1ELb0EN3c108BFloat16EfS2_EEv13SSMParamsBase
    .private_segment_fixed_size: 0
    .sgpr_count:     70
    .sgpr_spill_count: 0
    .symbol:         _Z25selective_scan_fwd_kernelI32Selective_Scan_fwd_kernel_traitsILi64ELi4ELi1ELb0ELb1ELb1ELb1ELb0EN3c108BFloat16EfS2_EEv13SSMParamsBase.kd
    .uniform_work_group_size: 1
    .uses_dynamic_stack: false
    .vgpr_count:     61
    .vgpr_spill_count: 0
    .wavefront_size: 32
    .workgroup_processor_mode: 1
  - .args:
      - .offset:         0
        .size:           248
        .value_kind:     by_value
    .group_segment_fixed_size: 0
    .kernarg_segment_align: 8
    .kernarg_segment_size: 248
    .language:       OpenCL C
    .language_version:
      - 2
      - 0
    .max_flat_workgroup_size: 64
    .name:           _Z25selective_scan_fwd_kernelI32Selective_Scan_fwd_kernel_traitsILi64ELi4ELi1ELb0ELb1ELb1ELb0ELb1EN3c108BFloat16EfS2_EEv13SSMParamsBase
    .private_segment_fixed_size: 0
    .sgpr_count:     70
    .sgpr_spill_count: 0
    .symbol:         _Z25selective_scan_fwd_kernelI32Selective_Scan_fwd_kernel_traitsILi64ELi4ELi1ELb0ELb1ELb1ELb0ELb1EN3c108BFloat16EfS2_EEv13SSMParamsBase.kd
    .uniform_work_group_size: 1
    .uses_dynamic_stack: false
    .vgpr_count:     57
    .vgpr_spill_count: 0
    .wavefront_size: 32
    .workgroup_processor_mode: 1
  - .args:
      - .offset:         0
        .size:           248
        .value_kind:     by_value
    .group_segment_fixed_size: 0
    .kernarg_segment_align: 8
    .kernarg_segment_size: 248
    .language:       OpenCL C
    .language_version:
      - 2
      - 0
    .max_flat_workgroup_size: 64
    .name:           _Z25selective_scan_fwd_kernelI32Selective_Scan_fwd_kernel_traitsILi64ELi4ELi1ELb0ELb1ELb1ELb0ELb0EN3c108BFloat16EfS2_EEv13SSMParamsBase
    .private_segment_fixed_size: 0
    .sgpr_count:     70
    .sgpr_spill_count: 0
    .symbol:         _Z25selective_scan_fwd_kernelI32Selective_Scan_fwd_kernel_traitsILi64ELi4ELi1ELb0ELb1ELb1ELb0ELb0EN3c108BFloat16EfS2_EEv13SSMParamsBase.kd
    .uniform_work_group_size: 1
    .uses_dynamic_stack: false
    .vgpr_count:     57
    .vgpr_spill_count: 0
    .wavefront_size: 32
    .workgroup_processor_mode: 1
  - .args:
      - .offset:         0
        .size:           248
        .value_kind:     by_value
    .group_segment_fixed_size: 0
    .kernarg_segment_align: 8
    .kernarg_segment_size: 248
    .language:       OpenCL C
    .language_version:
      - 2
      - 0
    .max_flat_workgroup_size: 64
    .name:           _Z25selective_scan_fwd_kernelI32Selective_Scan_fwd_kernel_traitsILi64ELi8ELi1ELb1ELb1ELb1ELb1ELb1EN3c108BFloat16EfS2_EEv13SSMParamsBase
    .private_segment_fixed_size: 0
    .sgpr_count:     78
    .sgpr_spill_count: 0
    .symbol:         _Z25selective_scan_fwd_kernelI32Selective_Scan_fwd_kernel_traitsILi64ELi8ELi1ELb1ELb1ELb1ELb1ELb1EN3c108BFloat16EfS2_EEv13SSMParamsBase.kd
    .uniform_work_group_size: 1
    .uses_dynamic_stack: false
    .vgpr_count:     99
    .vgpr_spill_count: 0
    .wavefront_size: 32
    .workgroup_processor_mode: 1
  - .args:
      - .offset:         0
        .size:           248
        .value_kind:     by_value
    .group_segment_fixed_size: 0
    .kernarg_segment_align: 8
    .kernarg_segment_size: 248
    .language:       OpenCL C
    .language_version:
      - 2
      - 0
    .max_flat_workgroup_size: 64
    .name:           _Z25selective_scan_fwd_kernelI32Selective_Scan_fwd_kernel_traitsILi64ELi8ELi1ELb1ELb1ELb1ELb1ELb0EN3c108BFloat16EfS2_EEv13SSMParamsBase
    .private_segment_fixed_size: 0
    .sgpr_count:     72
    .sgpr_spill_count: 0
    .symbol:         _Z25selective_scan_fwd_kernelI32Selective_Scan_fwd_kernel_traitsILi64ELi8ELi1ELb1ELb1ELb1ELb1ELb0EN3c108BFloat16EfS2_EEv13SSMParamsBase.kd
    .uniform_work_group_size: 1
    .uses_dynamic_stack: false
    .vgpr_count:     96
    .vgpr_spill_count: 0
    .wavefront_size: 32
    .workgroup_processor_mode: 1
  - .args:
      - .offset:         0
        .size:           248
        .value_kind:     by_value
    .group_segment_fixed_size: 0
    .kernarg_segment_align: 8
    .kernarg_segment_size: 248
    .language:       OpenCL C
    .language_version:
      - 2
      - 0
    .max_flat_workgroup_size: 64
    .name:           _Z25selective_scan_fwd_kernelI32Selective_Scan_fwd_kernel_traitsILi64ELi8ELi1ELb1ELb1ELb1ELb0ELb1EN3c108BFloat16EfS2_EEv13SSMParamsBase
    .private_segment_fixed_size: 0
    .sgpr_count:     78
    .sgpr_spill_count: 0
    .symbol:         _Z25selective_scan_fwd_kernelI32Selective_Scan_fwd_kernel_traitsILi64ELi8ELi1ELb1ELb1ELb1ELb0ELb1EN3c108BFloat16EfS2_EEv13SSMParamsBase.kd
    .uniform_work_group_size: 1
    .uses_dynamic_stack: false
    .vgpr_count:     95
    .vgpr_spill_count: 0
    .wavefront_size: 32
    .workgroup_processor_mode: 1
  - .args:
      - .offset:         0
        .size:           248
        .value_kind:     by_value
    .group_segment_fixed_size: 0
    .kernarg_segment_align: 8
    .kernarg_segment_size: 248
    .language:       OpenCL C
    .language_version:
      - 2
      - 0
    .max_flat_workgroup_size: 64
    .name:           _Z25selective_scan_fwd_kernelI32Selective_Scan_fwd_kernel_traitsILi64ELi8ELi1ELb1ELb1ELb1ELb0ELb0EN3c108BFloat16EfS2_EEv13SSMParamsBase
    .private_segment_fixed_size: 0
    .sgpr_count:     72
    .sgpr_spill_count: 0
    .symbol:         _Z25selective_scan_fwd_kernelI32Selective_Scan_fwd_kernel_traitsILi64ELi8ELi1ELb1ELb1ELb1ELb0ELb0EN3c108BFloat16EfS2_EEv13SSMParamsBase.kd
    .uniform_work_group_size: 1
    .uses_dynamic_stack: false
    .vgpr_count:     88
    .vgpr_spill_count: 0
    .wavefront_size: 32
    .workgroup_processor_mode: 1
  - .args:
      - .offset:         0
        .size:           248
        .value_kind:     by_value
    .group_segment_fixed_size: 0
    .kernarg_segment_align: 8
    .kernarg_segment_size: 248
    .language:       OpenCL C
    .language_version:
      - 2
      - 0
    .max_flat_workgroup_size: 64
    .name:           _Z25selective_scan_fwd_kernelI32Selective_Scan_fwd_kernel_traitsILi64ELi8ELi1ELb0ELb1ELb1ELb1ELb1EN3c108BFloat16EfS2_EEv13SSMParamsBase
    .private_segment_fixed_size: 0
    .sgpr_count:     78
    .sgpr_spill_count: 0
    .symbol:         _Z25selective_scan_fwd_kernelI32Selective_Scan_fwd_kernel_traitsILi64ELi8ELi1ELb0ELb1ELb1ELb1ELb1EN3c108BFloat16EfS2_EEv13SSMParamsBase.kd
    .uniform_work_group_size: 1
    .uses_dynamic_stack: false
    .vgpr_count:     99
    .vgpr_spill_count: 0
    .wavefront_size: 32
    .workgroup_processor_mode: 1
  - .args:
      - .offset:         0
        .size:           248
        .value_kind:     by_value
    .group_segment_fixed_size: 0
    .kernarg_segment_align: 8
    .kernarg_segment_size: 248
    .language:       OpenCL C
    .language_version:
      - 2
      - 0
    .max_flat_workgroup_size: 64
    .name:           _Z25selective_scan_fwd_kernelI32Selective_Scan_fwd_kernel_traitsILi64ELi8ELi1ELb0ELb1ELb1ELb1ELb0EN3c108BFloat16EfS2_EEv13SSMParamsBase
    .private_segment_fixed_size: 0
    .sgpr_count:     78
    .sgpr_spill_count: 0
    .symbol:         _Z25selective_scan_fwd_kernelI32Selective_Scan_fwd_kernel_traitsILi64ELi8ELi1ELb0ELb1ELb1ELb1ELb0EN3c108BFloat16EfS2_EEv13SSMParamsBase.kd
    .uniform_work_group_size: 1
    .uses_dynamic_stack: false
    .vgpr_count:     99
    .vgpr_spill_count: 0
    .wavefront_size: 32
    .workgroup_processor_mode: 1
  - .args:
      - .offset:         0
        .size:           248
        .value_kind:     by_value
    .group_segment_fixed_size: 0
    .kernarg_segment_align: 8
    .kernarg_segment_size: 248
    .language:       OpenCL C
    .language_version:
      - 2
      - 0
    .max_flat_workgroup_size: 64
    .name:           _Z25selective_scan_fwd_kernelI32Selective_Scan_fwd_kernel_traitsILi64ELi8ELi1ELb0ELb1ELb1ELb0ELb1EN3c108BFloat16EfS2_EEv13SSMParamsBase
    .private_segment_fixed_size: 0
    .sgpr_count:     78
    .sgpr_spill_count: 0
    .symbol:         _Z25selective_scan_fwd_kernelI32Selective_Scan_fwd_kernel_traitsILi64ELi8ELi1ELb0ELb1ELb1ELb0ELb1EN3c108BFloat16EfS2_EEv13SSMParamsBase.kd
    .uniform_work_group_size: 1
    .uses_dynamic_stack: false
    .vgpr_count:     95
    .vgpr_spill_count: 0
    .wavefront_size: 32
    .workgroup_processor_mode: 1
  - .args:
      - .offset:         0
        .size:           248
        .value_kind:     by_value
    .group_segment_fixed_size: 0
    .kernarg_segment_align: 8
    .kernarg_segment_size: 248
    .language:       OpenCL C
    .language_version:
      - 2
      - 0
    .max_flat_workgroup_size: 64
    .name:           _Z25selective_scan_fwd_kernelI32Selective_Scan_fwd_kernel_traitsILi64ELi8ELi1ELb0ELb1ELb1ELb0ELb0EN3c108BFloat16EfS2_EEv13SSMParamsBase
    .private_segment_fixed_size: 0
    .sgpr_count:     78
    .sgpr_spill_count: 0
    .symbol:         _Z25selective_scan_fwd_kernelI32Selective_Scan_fwd_kernel_traitsILi64ELi8ELi1ELb0ELb1ELb1ELb0ELb0EN3c108BFloat16EfS2_EEv13SSMParamsBase.kd
    .uniform_work_group_size: 1
    .uses_dynamic_stack: false
    .vgpr_count:     95
    .vgpr_spill_count: 0
    .wavefront_size: 32
    .workgroup_processor_mode: 1
  - .args:
      - .offset:         0
        .size:           248
        .value_kind:     by_value
    .group_segment_fixed_size: 0
    .kernarg_segment_align: 8
    .kernarg_segment_size: 248
    .language:       OpenCL C
    .language_version:
      - 2
      - 0
    .max_flat_workgroup_size: 64
    .name:           _Z25selective_scan_fwd_kernelI32Selective_Scan_fwd_kernel_traitsILi64ELi16ELi1ELb1ELb1ELb1ELb1ELb1EN3c108BFloat16EfS2_EEv13SSMParamsBase
    .private_segment_fixed_size: 0
    .sgpr_count:     94
    .sgpr_spill_count: 0
    .symbol:         _Z25selective_scan_fwd_kernelI32Selective_Scan_fwd_kernel_traitsILi64ELi16ELi1ELb1ELb1ELb1ELb1ELb1EN3c108BFloat16EfS2_EEv13SSMParamsBase.kd
    .uniform_work_group_size: 1
    .uses_dynamic_stack: false
    .vgpr_count:     176
    .vgpr_spill_count: 0
    .wavefront_size: 32
    .workgroup_processor_mode: 1
  - .args:
      - .offset:         0
        .size:           248
        .value_kind:     by_value
    .group_segment_fixed_size: 0
    .kernarg_segment_align: 8
    .kernarg_segment_size: 248
    .language:       OpenCL C
    .language_version:
      - 2
      - 0
    .max_flat_workgroup_size: 64
    .name:           _Z25selective_scan_fwd_kernelI32Selective_Scan_fwd_kernel_traitsILi64ELi16ELi1ELb1ELb1ELb1ELb1ELb0EN3c108BFloat16EfS2_EEv13SSMParamsBase
    .private_segment_fixed_size: 0
    .sgpr_count:     80
    .sgpr_spill_count: 0
    .symbol:         _Z25selective_scan_fwd_kernelI32Selective_Scan_fwd_kernel_traitsILi64ELi16ELi1ELb1ELb1ELb1ELb1ELb0EN3c108BFloat16EfS2_EEv13SSMParamsBase.kd
    .uniform_work_group_size: 1
    .uses_dynamic_stack: false
    .vgpr_count:     157
    .vgpr_spill_count: 0
    .wavefront_size: 32
    .workgroup_processor_mode: 1
  - .args:
      - .offset:         0
        .size:           248
        .value_kind:     by_value
    .group_segment_fixed_size: 0
    .kernarg_segment_align: 8
    .kernarg_segment_size: 248
    .language:       OpenCL C
    .language_version:
      - 2
      - 0
    .max_flat_workgroup_size: 64
    .name:           _Z25selective_scan_fwd_kernelI32Selective_Scan_fwd_kernel_traitsILi64ELi16ELi1ELb1ELb1ELb1ELb0ELb1EN3c108BFloat16EfS2_EEv13SSMParamsBase
    .private_segment_fixed_size: 0
    .sgpr_count:     94
    .sgpr_spill_count: 0
    .symbol:         _Z25selective_scan_fwd_kernelI32Selective_Scan_fwd_kernel_traitsILi64ELi16ELi1ELb1ELb1ELb1ELb0ELb1EN3c108BFloat16EfS2_EEv13SSMParamsBase.kd
    .uniform_work_group_size: 1
    .uses_dynamic_stack: false
    .vgpr_count:     172
    .vgpr_spill_count: 0
    .wavefront_size: 32
    .workgroup_processor_mode: 1
  - .args:
      - .offset:         0
        .size:           248
        .value_kind:     by_value
    .group_segment_fixed_size: 0
    .kernarg_segment_align: 8
    .kernarg_segment_size: 248
    .language:       OpenCL C
    .language_version:
      - 2
      - 0
    .max_flat_workgroup_size: 64
    .name:           _Z25selective_scan_fwd_kernelI32Selective_Scan_fwd_kernel_traitsILi64ELi16ELi1ELb1ELb1ELb1ELb0ELb0EN3c108BFloat16EfS2_EEv13SSMParamsBase
    .private_segment_fixed_size: 0
    .sgpr_count:     80
    .sgpr_spill_count: 0
    .symbol:         _Z25selective_scan_fwd_kernelI32Selective_Scan_fwd_kernel_traitsILi64ELi16ELi1ELb1ELb1ELb1ELb0ELb0EN3c108BFloat16EfS2_EEv13SSMParamsBase.kd
    .uniform_work_group_size: 1
    .uses_dynamic_stack: false
    .vgpr_count:     145
    .vgpr_spill_count: 0
    .wavefront_size: 32
    .workgroup_processor_mode: 1
  - .args:
      - .offset:         0
        .size:           248
        .value_kind:     by_value
    .group_segment_fixed_size: 0
    .kernarg_segment_align: 8
    .kernarg_segment_size: 248
    .language:       OpenCL C
    .language_version:
      - 2
      - 0
    .max_flat_workgroup_size: 64
    .name:           _Z25selective_scan_fwd_kernelI32Selective_Scan_fwd_kernel_traitsILi64ELi16ELi1ELb0ELb1ELb1ELb1ELb1EN3c108BFloat16EfS2_EEv13SSMParamsBase
    .private_segment_fixed_size: 0
    .sgpr_count:     94
    .sgpr_spill_count: 0
    .symbol:         _Z25selective_scan_fwd_kernelI32Selective_Scan_fwd_kernel_traitsILi64ELi16ELi1ELb0ELb1ELb1ELb1ELb1EN3c108BFloat16EfS2_EEv13SSMParamsBase.kd
    .uniform_work_group_size: 1
    .uses_dynamic_stack: false
    .vgpr_count:     176
    .vgpr_spill_count: 0
    .wavefront_size: 32
    .workgroup_processor_mode: 1
  - .args:
      - .offset:         0
        .size:           248
        .value_kind:     by_value
    .group_segment_fixed_size: 0
    .kernarg_segment_align: 8
    .kernarg_segment_size: 248
    .language:       OpenCL C
    .language_version:
      - 2
      - 0
    .max_flat_workgroup_size: 64
    .name:           _Z25selective_scan_fwd_kernelI32Selective_Scan_fwd_kernel_traitsILi64ELi16ELi1ELb0ELb1ELb1ELb1ELb0EN3c108BFloat16EfS2_EEv13SSMParamsBase
    .private_segment_fixed_size: 0
    .sgpr_count:     94
    .sgpr_spill_count: 0
    .symbol:         _Z25selective_scan_fwd_kernelI32Selective_Scan_fwd_kernel_traitsILi64ELi16ELi1ELb0ELb1ELb1ELb1ELb0EN3c108BFloat16EfS2_EEv13SSMParamsBase.kd
    .uniform_work_group_size: 1
    .uses_dynamic_stack: false
    .vgpr_count:     176
    .vgpr_spill_count: 0
    .wavefront_size: 32
    .workgroup_processor_mode: 1
  - .args:
      - .offset:         0
        .size:           248
        .value_kind:     by_value
    .group_segment_fixed_size: 0
    .kernarg_segment_align: 8
    .kernarg_segment_size: 248
    .language:       OpenCL C
    .language_version:
      - 2
      - 0
    .max_flat_workgroup_size: 64
    .name:           _Z25selective_scan_fwd_kernelI32Selective_Scan_fwd_kernel_traitsILi64ELi16ELi1ELb0ELb1ELb1ELb0ELb1EN3c108BFloat16EfS2_EEv13SSMParamsBase
    .private_segment_fixed_size: 0
    .sgpr_count:     94
    .sgpr_spill_count: 0
    .symbol:         _Z25selective_scan_fwd_kernelI32Selective_Scan_fwd_kernel_traitsILi64ELi16ELi1ELb0ELb1ELb1ELb0ELb1EN3c108BFloat16EfS2_EEv13SSMParamsBase.kd
    .uniform_work_group_size: 1
    .uses_dynamic_stack: false
    .vgpr_count:     172
    .vgpr_spill_count: 0
    .wavefront_size: 32
    .workgroup_processor_mode: 1
  - .args:
      - .offset:         0
        .size:           248
        .value_kind:     by_value
    .group_segment_fixed_size: 0
    .kernarg_segment_align: 8
    .kernarg_segment_size: 248
    .language:       OpenCL C
    .language_version:
      - 2
      - 0
    .max_flat_workgroup_size: 64
    .name:           _Z25selective_scan_fwd_kernelI32Selective_Scan_fwd_kernel_traitsILi64ELi16ELi1ELb0ELb1ELb1ELb0ELb0EN3c108BFloat16EfS2_EEv13SSMParamsBase
    .private_segment_fixed_size: 0
    .sgpr_count:     94
    .sgpr_spill_count: 0
    .symbol:         _Z25selective_scan_fwd_kernelI32Selective_Scan_fwd_kernel_traitsILi64ELi16ELi1ELb0ELb1ELb1ELb0ELb0EN3c108BFloat16EfS2_EEv13SSMParamsBase.kd
    .uniform_work_group_size: 1
    .uses_dynamic_stack: false
    .vgpr_count:     172
    .vgpr_spill_count: 0
    .wavefront_size: 32
    .workgroup_processor_mode: 1
  - .args:
      - .offset:         0
        .size:           248
        .value_kind:     by_value
    .group_segment_fixed_size: 0
    .kernarg_segment_align: 8
    .kernarg_segment_size: 248
    .language:       OpenCL C
    .language_version:
      - 2
      - 0
    .max_flat_workgroup_size: 128
    .name:           _Z25selective_scan_fwd_kernelI32Selective_Scan_fwd_kernel_traitsILi128ELi16ELi1ELb1ELb1ELb1ELb1ELb1EN3c108BFloat16EfS2_EEv13SSMParamsBase
    .private_segment_fixed_size: 0
    .sgpr_count:     94
    .sgpr_spill_count: 0
    .symbol:         _Z25selective_scan_fwd_kernelI32Selective_Scan_fwd_kernel_traitsILi128ELi16ELi1ELb1ELb1ELb1ELb1ELb1EN3c108BFloat16EfS2_EEv13SSMParamsBase.kd
    .uniform_work_group_size: 1
    .uses_dynamic_stack: false
    .vgpr_count:     177
    .vgpr_spill_count: 0
    .wavefront_size: 32
    .workgroup_processor_mode: 1
  - .args:
      - .offset:         0
        .size:           248
        .value_kind:     by_value
    .group_segment_fixed_size: 0
    .kernarg_segment_align: 8
    .kernarg_segment_size: 248
    .language:       OpenCL C
    .language_version:
      - 2
      - 0
    .max_flat_workgroup_size: 128
    .name:           _Z25selective_scan_fwd_kernelI32Selective_Scan_fwd_kernel_traitsILi128ELi16ELi1ELb1ELb1ELb1ELb1ELb0EN3c108BFloat16EfS2_EEv13SSMParamsBase
    .private_segment_fixed_size: 0
    .sgpr_count:     82
    .sgpr_spill_count: 0
    .symbol:         _Z25selective_scan_fwd_kernelI32Selective_Scan_fwd_kernel_traitsILi128ELi16ELi1ELb1ELb1ELb1ELb1ELb0EN3c108BFloat16EfS2_EEv13SSMParamsBase.kd
    .uniform_work_group_size: 1
    .uses_dynamic_stack: false
    .vgpr_count:     158
    .vgpr_spill_count: 0
    .wavefront_size: 32
    .workgroup_processor_mode: 1
  - .args:
      - .offset:         0
        .size:           248
        .value_kind:     by_value
    .group_segment_fixed_size: 0
    .kernarg_segment_align: 8
    .kernarg_segment_size: 248
    .language:       OpenCL C
    .language_version:
      - 2
      - 0
    .max_flat_workgroup_size: 128
    .name:           _Z25selective_scan_fwd_kernelI32Selective_Scan_fwd_kernel_traitsILi128ELi16ELi1ELb1ELb1ELb1ELb0ELb1EN3c108BFloat16EfS2_EEv13SSMParamsBase
    .private_segment_fixed_size: 0
    .sgpr_count:     94
    .sgpr_spill_count: 0
    .symbol:         _Z25selective_scan_fwd_kernelI32Selective_Scan_fwd_kernel_traitsILi128ELi16ELi1ELb1ELb1ELb1ELb0ELb1EN3c108BFloat16EfS2_EEv13SSMParamsBase.kd
    .uniform_work_group_size: 1
    .uses_dynamic_stack: false
    .vgpr_count:     173
    .vgpr_spill_count: 0
    .wavefront_size: 32
    .workgroup_processor_mode: 1
  - .args:
      - .offset:         0
        .size:           248
        .value_kind:     by_value
    .group_segment_fixed_size: 0
    .kernarg_segment_align: 8
    .kernarg_segment_size: 248
    .language:       OpenCL C
    .language_version:
      - 2
      - 0
    .max_flat_workgroup_size: 128
    .name:           _Z25selective_scan_fwd_kernelI32Selective_Scan_fwd_kernel_traitsILi128ELi16ELi1ELb1ELb1ELb1ELb0ELb0EN3c108BFloat16EfS2_EEv13SSMParamsBase
    .private_segment_fixed_size: 0
    .sgpr_count:     82
    .sgpr_spill_count: 0
    .symbol:         _Z25selective_scan_fwd_kernelI32Selective_Scan_fwd_kernel_traitsILi128ELi16ELi1ELb1ELb1ELb1ELb0ELb0EN3c108BFloat16EfS2_EEv13SSMParamsBase.kd
    .uniform_work_group_size: 1
    .uses_dynamic_stack: false
    .vgpr_count:     146
    .vgpr_spill_count: 0
    .wavefront_size: 32
    .workgroup_processor_mode: 1
  - .args:
      - .offset:         0
        .size:           248
        .value_kind:     by_value
    .group_segment_fixed_size: 0
    .kernarg_segment_align: 8
    .kernarg_segment_size: 248
    .language:       OpenCL C
    .language_version:
      - 2
      - 0
    .max_flat_workgroup_size: 128
    .name:           _Z25selective_scan_fwd_kernelI32Selective_Scan_fwd_kernel_traitsILi128ELi16ELi1ELb0ELb1ELb1ELb1ELb1EN3c108BFloat16EfS2_EEv13SSMParamsBase
    .private_segment_fixed_size: 0
    .sgpr_count:     94
    .sgpr_spill_count: 0
    .symbol:         _Z25selective_scan_fwd_kernelI32Selective_Scan_fwd_kernel_traitsILi128ELi16ELi1ELb0ELb1ELb1ELb1ELb1EN3c108BFloat16EfS2_EEv13SSMParamsBase.kd
    .uniform_work_group_size: 1
    .uses_dynamic_stack: false
    .vgpr_count:     177
    .vgpr_spill_count: 0
    .wavefront_size: 32
    .workgroup_processor_mode: 1
  - .args:
      - .offset:         0
        .size:           248
        .value_kind:     by_value
    .group_segment_fixed_size: 0
    .kernarg_segment_align: 8
    .kernarg_segment_size: 248
    .language:       OpenCL C
    .language_version:
      - 2
      - 0
    .max_flat_workgroup_size: 128
    .name:           _Z25selective_scan_fwd_kernelI32Selective_Scan_fwd_kernel_traitsILi128ELi16ELi1ELb0ELb1ELb1ELb1ELb0EN3c108BFloat16EfS2_EEv13SSMParamsBase
    .private_segment_fixed_size: 0
    .sgpr_count:     94
    .sgpr_spill_count: 0
    .symbol:         _Z25selective_scan_fwd_kernelI32Selective_Scan_fwd_kernel_traitsILi128ELi16ELi1ELb0ELb1ELb1ELb1ELb0EN3c108BFloat16EfS2_EEv13SSMParamsBase.kd
    .uniform_work_group_size: 1
    .uses_dynamic_stack: false
    .vgpr_count:     177
    .vgpr_spill_count: 0
    .wavefront_size: 32
    .workgroup_processor_mode: 1
  - .args:
      - .offset:         0
        .size:           248
        .value_kind:     by_value
    .group_segment_fixed_size: 0
    .kernarg_segment_align: 8
    .kernarg_segment_size: 248
    .language:       OpenCL C
    .language_version:
      - 2
      - 0
    .max_flat_workgroup_size: 128
    .name:           _Z25selective_scan_fwd_kernelI32Selective_Scan_fwd_kernel_traitsILi128ELi16ELi1ELb0ELb1ELb1ELb0ELb1EN3c108BFloat16EfS2_EEv13SSMParamsBase
    .private_segment_fixed_size: 0
    .sgpr_count:     94
    .sgpr_spill_count: 0
    .symbol:         _Z25selective_scan_fwd_kernelI32Selective_Scan_fwd_kernel_traitsILi128ELi16ELi1ELb0ELb1ELb1ELb0ELb1EN3c108BFloat16EfS2_EEv13SSMParamsBase.kd
    .uniform_work_group_size: 1
    .uses_dynamic_stack: false
    .vgpr_count:     173
    .vgpr_spill_count: 0
    .wavefront_size: 32
    .workgroup_processor_mode: 1
  - .args:
      - .offset:         0
        .size:           248
        .value_kind:     by_value
    .group_segment_fixed_size: 0
    .kernarg_segment_align: 8
    .kernarg_segment_size: 248
    .language:       OpenCL C
    .language_version:
      - 2
      - 0
    .max_flat_workgroup_size: 128
    .name:           _Z25selective_scan_fwd_kernelI32Selective_Scan_fwd_kernel_traitsILi128ELi16ELi1ELb0ELb1ELb1ELb0ELb0EN3c108BFloat16EfS2_EEv13SSMParamsBase
    .private_segment_fixed_size: 0
    .sgpr_count:     94
    .sgpr_spill_count: 0
    .symbol:         _Z25selective_scan_fwd_kernelI32Selective_Scan_fwd_kernel_traitsILi128ELi16ELi1ELb0ELb1ELb1ELb0ELb0EN3c108BFloat16EfS2_EEv13SSMParamsBase.kd
    .uniform_work_group_size: 1
    .uses_dynamic_stack: false
    .vgpr_count:     173
    .vgpr_spill_count: 0
    .wavefront_size: 32
    .workgroup_processor_mode: 1
  - .args:
      - .offset:         0
        .size:           248
        .value_kind:     by_value
    .group_segment_fixed_size: 0
    .kernarg_segment_align: 8
    .kernarg_segment_size: 248
    .language:       OpenCL C
    .language_version:
      - 2
      - 0
    .max_flat_workgroup_size: 64
    .name:           _Z25selective_scan_fwd_kernelI32Selective_Scan_fwd_kernel_traitsILi64ELi4ELi1ELb1ELb1ELb1ELb1ELb1EN3c108BFloat16EffEEv13SSMParamsBase
    .private_segment_fixed_size: 0
    .sgpr_count:     70
    .sgpr_spill_count: 0
    .symbol:         _Z25selective_scan_fwd_kernelI32Selective_Scan_fwd_kernel_traitsILi64ELi4ELi1ELb1ELb1ELb1ELb1ELb1EN3c108BFloat16EffEEv13SSMParamsBase.kd
    .uniform_work_group_size: 1
    .uses_dynamic_stack: false
    .vgpr_count:     61
    .vgpr_spill_count: 0
    .wavefront_size: 32
    .workgroup_processor_mode: 1
  - .args:
      - .offset:         0
        .size:           248
        .value_kind:     by_value
    .group_segment_fixed_size: 0
    .kernarg_segment_align: 8
    .kernarg_segment_size: 248
    .language:       OpenCL C
    .language_version:
      - 2
      - 0
    .max_flat_workgroup_size: 64
    .name:           _Z25selective_scan_fwd_kernelI32Selective_Scan_fwd_kernel_traitsILi64ELi4ELi1ELb1ELb1ELb1ELb1ELb0EN3c108BFloat16EffEEv13SSMParamsBase
    .private_segment_fixed_size: 0
    .sgpr_count:     68
    .sgpr_spill_count: 0
    .symbol:         _Z25selective_scan_fwd_kernelI32Selective_Scan_fwd_kernel_traitsILi64ELi4ELi1ELb1ELb1ELb1ELb1ELb0EN3c108BFloat16EffEEv13SSMParamsBase.kd
    .uniform_work_group_size: 1
    .uses_dynamic_stack: false
    .vgpr_count:     62
    .vgpr_spill_count: 0
    .wavefront_size: 32
    .workgroup_processor_mode: 1
  - .args:
      - .offset:         0
        .size:           248
        .value_kind:     by_value
    .group_segment_fixed_size: 0
    .kernarg_segment_align: 8
    .kernarg_segment_size: 248
    .language:       OpenCL C
    .language_version:
      - 2
      - 0
    .max_flat_workgroup_size: 64
    .name:           _Z25selective_scan_fwd_kernelI32Selective_Scan_fwd_kernel_traitsILi64ELi4ELi1ELb1ELb1ELb1ELb0ELb1EN3c108BFloat16EffEEv13SSMParamsBase
    .private_segment_fixed_size: 0
    .sgpr_count:     70
    .sgpr_spill_count: 0
    .symbol:         _Z25selective_scan_fwd_kernelI32Selective_Scan_fwd_kernel_traitsILi64ELi4ELi1ELb1ELb1ELb1ELb0ELb1EN3c108BFloat16EffEEv13SSMParamsBase.kd
    .uniform_work_group_size: 1
    .uses_dynamic_stack: false
    .vgpr_count:     57
    .vgpr_spill_count: 0
    .wavefront_size: 32
    .workgroup_processor_mode: 1
  - .args:
      - .offset:         0
        .size:           248
        .value_kind:     by_value
    .group_segment_fixed_size: 0
    .kernarg_segment_align: 8
    .kernarg_segment_size: 248
    .language:       OpenCL C
    .language_version:
      - 2
      - 0
    .max_flat_workgroup_size: 64
    .name:           _Z25selective_scan_fwd_kernelI32Selective_Scan_fwd_kernel_traitsILi64ELi4ELi1ELb1ELb1ELb1ELb0ELb0EN3c108BFloat16EffEEv13SSMParamsBase
    .private_segment_fixed_size: 0
    .sgpr_count:     68
    .sgpr_spill_count: 0
    .symbol:         _Z25selective_scan_fwd_kernelI32Selective_Scan_fwd_kernel_traitsILi64ELi4ELi1ELb1ELb1ELb1ELb0ELb0EN3c108BFloat16EffEEv13SSMParamsBase.kd
    .uniform_work_group_size: 1
    .uses_dynamic_stack: false
    .vgpr_count:     54
    .vgpr_spill_count: 0
    .wavefront_size: 32
    .workgroup_processor_mode: 1
  - .args:
      - .offset:         0
        .size:           248
        .value_kind:     by_value
    .group_segment_fixed_size: 0
    .kernarg_segment_align: 8
    .kernarg_segment_size: 248
    .language:       OpenCL C
    .language_version:
      - 2
      - 0
    .max_flat_workgroup_size: 64
    .name:           _Z25selective_scan_fwd_kernelI32Selective_Scan_fwd_kernel_traitsILi64ELi4ELi1ELb0ELb1ELb1ELb1ELb1EN3c108BFloat16EffEEv13SSMParamsBase
    .private_segment_fixed_size: 0
    .sgpr_count:     70
    .sgpr_spill_count: 0
    .symbol:         _Z25selective_scan_fwd_kernelI32Selective_Scan_fwd_kernel_traitsILi64ELi4ELi1ELb0ELb1ELb1ELb1ELb1EN3c108BFloat16EffEEv13SSMParamsBase.kd
    .uniform_work_group_size: 1
    .uses_dynamic_stack: false
    .vgpr_count:     61
    .vgpr_spill_count: 0
    .wavefront_size: 32
    .workgroup_processor_mode: 1
  - .args:
      - .offset:         0
        .size:           248
        .value_kind:     by_value
    .group_segment_fixed_size: 0
    .kernarg_segment_align: 8
    .kernarg_segment_size: 248
    .language:       OpenCL C
    .language_version:
      - 2
      - 0
    .max_flat_workgroup_size: 64
    .name:           _Z25selective_scan_fwd_kernelI32Selective_Scan_fwd_kernel_traitsILi64ELi4ELi1ELb0ELb1ELb1ELb1ELb0EN3c108BFloat16EffEEv13SSMParamsBase
    .private_segment_fixed_size: 0
    .sgpr_count:     70
    .sgpr_spill_count: 0
    .symbol:         _Z25selective_scan_fwd_kernelI32Selective_Scan_fwd_kernel_traitsILi64ELi4ELi1ELb0ELb1ELb1ELb1ELb0EN3c108BFloat16EffEEv13SSMParamsBase.kd
    .uniform_work_group_size: 1
    .uses_dynamic_stack: false
    .vgpr_count:     61
    .vgpr_spill_count: 0
    .wavefront_size: 32
    .workgroup_processor_mode: 1
  - .args:
      - .offset:         0
        .size:           248
        .value_kind:     by_value
    .group_segment_fixed_size: 0
    .kernarg_segment_align: 8
    .kernarg_segment_size: 248
    .language:       OpenCL C
    .language_version:
      - 2
      - 0
    .max_flat_workgroup_size: 64
    .name:           _Z25selective_scan_fwd_kernelI32Selective_Scan_fwd_kernel_traitsILi64ELi4ELi1ELb0ELb1ELb1ELb0ELb1EN3c108BFloat16EffEEv13SSMParamsBase
    .private_segment_fixed_size: 0
    .sgpr_count:     70
    .sgpr_spill_count: 0
    .symbol:         _Z25selective_scan_fwd_kernelI32Selective_Scan_fwd_kernel_traitsILi64ELi4ELi1ELb0ELb1ELb1ELb0ELb1EN3c108BFloat16EffEEv13SSMParamsBase.kd
    .uniform_work_group_size: 1
    .uses_dynamic_stack: false
    .vgpr_count:     57
    .vgpr_spill_count: 0
    .wavefront_size: 32
    .workgroup_processor_mode: 1
  - .args:
      - .offset:         0
        .size:           248
        .value_kind:     by_value
    .group_segment_fixed_size: 0
    .kernarg_segment_align: 8
    .kernarg_segment_size: 248
    .language:       OpenCL C
    .language_version:
      - 2
      - 0
    .max_flat_workgroup_size: 64
    .name:           _Z25selective_scan_fwd_kernelI32Selective_Scan_fwd_kernel_traitsILi64ELi4ELi1ELb0ELb1ELb1ELb0ELb0EN3c108BFloat16EffEEv13SSMParamsBase
    .private_segment_fixed_size: 0
    .sgpr_count:     70
    .sgpr_spill_count: 0
    .symbol:         _Z25selective_scan_fwd_kernelI32Selective_Scan_fwd_kernel_traitsILi64ELi4ELi1ELb0ELb1ELb1ELb0ELb0EN3c108BFloat16EffEEv13SSMParamsBase.kd
    .uniform_work_group_size: 1
    .uses_dynamic_stack: false
    .vgpr_count:     57
    .vgpr_spill_count: 0
    .wavefront_size: 32
    .workgroup_processor_mode: 1
  - .args:
      - .offset:         0
        .size:           248
        .value_kind:     by_value
    .group_segment_fixed_size: 0
    .kernarg_segment_align: 8
    .kernarg_segment_size: 248
    .language:       OpenCL C
    .language_version:
      - 2
      - 0
    .max_flat_workgroup_size: 64
    .name:           _Z25selective_scan_fwd_kernelI32Selective_Scan_fwd_kernel_traitsILi64ELi8ELi1ELb1ELb1ELb1ELb1ELb1EN3c108BFloat16EffEEv13SSMParamsBase
    .private_segment_fixed_size: 0
    .sgpr_count:     78
    .sgpr_spill_count: 0
    .symbol:         _Z25selective_scan_fwd_kernelI32Selective_Scan_fwd_kernel_traitsILi64ELi8ELi1ELb1ELb1ELb1ELb1ELb1EN3c108BFloat16EffEEv13SSMParamsBase.kd
    .uniform_work_group_size: 1
    .uses_dynamic_stack: false
    .vgpr_count:     99
    .vgpr_spill_count: 0
    .wavefront_size: 32
    .workgroup_processor_mode: 1
  - .args:
      - .offset:         0
        .size:           248
        .value_kind:     by_value
    .group_segment_fixed_size: 0
    .kernarg_segment_align: 8
    .kernarg_segment_size: 248
    .language:       OpenCL C
    .language_version:
      - 2
      - 0
    .max_flat_workgroup_size: 64
    .name:           _Z25selective_scan_fwd_kernelI32Selective_Scan_fwd_kernel_traitsILi64ELi8ELi1ELb1ELb1ELb1ELb1ELb0EN3c108BFloat16EffEEv13SSMParamsBase
    .private_segment_fixed_size: 0
    .sgpr_count:     72
    .sgpr_spill_count: 0
    .symbol:         _Z25selective_scan_fwd_kernelI32Selective_Scan_fwd_kernel_traitsILi64ELi8ELi1ELb1ELb1ELb1ELb1ELb0EN3c108BFloat16EffEEv13SSMParamsBase.kd
    .uniform_work_group_size: 1
    .uses_dynamic_stack: false
    .vgpr_count:     96
    .vgpr_spill_count: 0
    .wavefront_size: 32
    .workgroup_processor_mode: 1
  - .args:
      - .offset:         0
        .size:           248
        .value_kind:     by_value
    .group_segment_fixed_size: 0
    .kernarg_segment_align: 8
    .kernarg_segment_size: 248
    .language:       OpenCL C
    .language_version:
      - 2
      - 0
    .max_flat_workgroup_size: 64
    .name:           _Z25selective_scan_fwd_kernelI32Selective_Scan_fwd_kernel_traitsILi64ELi8ELi1ELb1ELb1ELb1ELb0ELb1EN3c108BFloat16EffEEv13SSMParamsBase
    .private_segment_fixed_size: 0
    .sgpr_count:     78
    .sgpr_spill_count: 0
    .symbol:         _Z25selective_scan_fwd_kernelI32Selective_Scan_fwd_kernel_traitsILi64ELi8ELi1ELb1ELb1ELb1ELb0ELb1EN3c108BFloat16EffEEv13SSMParamsBase.kd
    .uniform_work_group_size: 1
    .uses_dynamic_stack: false
    .vgpr_count:     95
    .vgpr_spill_count: 0
    .wavefront_size: 32
    .workgroup_processor_mode: 1
  - .args:
      - .offset:         0
        .size:           248
        .value_kind:     by_value
    .group_segment_fixed_size: 0
    .kernarg_segment_align: 8
    .kernarg_segment_size: 248
    .language:       OpenCL C
    .language_version:
      - 2
      - 0
    .max_flat_workgroup_size: 64
    .name:           _Z25selective_scan_fwd_kernelI32Selective_Scan_fwd_kernel_traitsILi64ELi8ELi1ELb1ELb1ELb1ELb0ELb0EN3c108BFloat16EffEEv13SSMParamsBase
    .private_segment_fixed_size: 0
    .sgpr_count:     72
    .sgpr_spill_count: 0
    .symbol:         _Z25selective_scan_fwd_kernelI32Selective_Scan_fwd_kernel_traitsILi64ELi8ELi1ELb1ELb1ELb1ELb0ELb0EN3c108BFloat16EffEEv13SSMParamsBase.kd
    .uniform_work_group_size: 1
    .uses_dynamic_stack: false
    .vgpr_count:     88
    .vgpr_spill_count: 0
    .wavefront_size: 32
    .workgroup_processor_mode: 1
  - .args:
      - .offset:         0
        .size:           248
        .value_kind:     by_value
    .group_segment_fixed_size: 0
    .kernarg_segment_align: 8
    .kernarg_segment_size: 248
    .language:       OpenCL C
    .language_version:
      - 2
      - 0
    .max_flat_workgroup_size: 64
    .name:           _Z25selective_scan_fwd_kernelI32Selective_Scan_fwd_kernel_traitsILi64ELi8ELi1ELb0ELb1ELb1ELb1ELb1EN3c108BFloat16EffEEv13SSMParamsBase
    .private_segment_fixed_size: 0
    .sgpr_count:     78
    .sgpr_spill_count: 0
    .symbol:         _Z25selective_scan_fwd_kernelI32Selective_Scan_fwd_kernel_traitsILi64ELi8ELi1ELb0ELb1ELb1ELb1ELb1EN3c108BFloat16EffEEv13SSMParamsBase.kd
    .uniform_work_group_size: 1
    .uses_dynamic_stack: false
    .vgpr_count:     99
    .vgpr_spill_count: 0
    .wavefront_size: 32
    .workgroup_processor_mode: 1
  - .args:
      - .offset:         0
        .size:           248
        .value_kind:     by_value
    .group_segment_fixed_size: 0
    .kernarg_segment_align: 8
    .kernarg_segment_size: 248
    .language:       OpenCL C
    .language_version:
      - 2
      - 0
    .max_flat_workgroup_size: 64
    .name:           _Z25selective_scan_fwd_kernelI32Selective_Scan_fwd_kernel_traitsILi64ELi8ELi1ELb0ELb1ELb1ELb1ELb0EN3c108BFloat16EffEEv13SSMParamsBase
    .private_segment_fixed_size: 0
    .sgpr_count:     78
    .sgpr_spill_count: 0
    .symbol:         _Z25selective_scan_fwd_kernelI32Selective_Scan_fwd_kernel_traitsILi64ELi8ELi1ELb0ELb1ELb1ELb1ELb0EN3c108BFloat16EffEEv13SSMParamsBase.kd
    .uniform_work_group_size: 1
    .uses_dynamic_stack: false
    .vgpr_count:     99
    .vgpr_spill_count: 0
    .wavefront_size: 32
    .workgroup_processor_mode: 1
  - .args:
      - .offset:         0
        .size:           248
        .value_kind:     by_value
    .group_segment_fixed_size: 0
    .kernarg_segment_align: 8
    .kernarg_segment_size: 248
    .language:       OpenCL C
    .language_version:
      - 2
      - 0
    .max_flat_workgroup_size: 64
    .name:           _Z25selective_scan_fwd_kernelI32Selective_Scan_fwd_kernel_traitsILi64ELi8ELi1ELb0ELb1ELb1ELb0ELb1EN3c108BFloat16EffEEv13SSMParamsBase
    .private_segment_fixed_size: 0
    .sgpr_count:     78
    .sgpr_spill_count: 0
    .symbol:         _Z25selective_scan_fwd_kernelI32Selective_Scan_fwd_kernel_traitsILi64ELi8ELi1ELb0ELb1ELb1ELb0ELb1EN3c108BFloat16EffEEv13SSMParamsBase.kd
    .uniform_work_group_size: 1
    .uses_dynamic_stack: false
    .vgpr_count:     95
    .vgpr_spill_count: 0
    .wavefront_size: 32
    .workgroup_processor_mode: 1
  - .args:
      - .offset:         0
        .size:           248
        .value_kind:     by_value
    .group_segment_fixed_size: 0
    .kernarg_segment_align: 8
    .kernarg_segment_size: 248
    .language:       OpenCL C
    .language_version:
      - 2
      - 0
    .max_flat_workgroup_size: 64
    .name:           _Z25selective_scan_fwd_kernelI32Selective_Scan_fwd_kernel_traitsILi64ELi8ELi1ELb0ELb1ELb1ELb0ELb0EN3c108BFloat16EffEEv13SSMParamsBase
    .private_segment_fixed_size: 0
    .sgpr_count:     78
    .sgpr_spill_count: 0
    .symbol:         _Z25selective_scan_fwd_kernelI32Selective_Scan_fwd_kernel_traitsILi64ELi8ELi1ELb0ELb1ELb1ELb0ELb0EN3c108BFloat16EffEEv13SSMParamsBase.kd
    .uniform_work_group_size: 1
    .uses_dynamic_stack: false
    .vgpr_count:     95
    .vgpr_spill_count: 0
    .wavefront_size: 32
    .workgroup_processor_mode: 1
  - .args:
      - .offset:         0
        .size:           248
        .value_kind:     by_value
    .group_segment_fixed_size: 0
    .kernarg_segment_align: 8
    .kernarg_segment_size: 248
    .language:       OpenCL C
    .language_version:
      - 2
      - 0
    .max_flat_workgroup_size: 64
    .name:           _Z25selective_scan_fwd_kernelI32Selective_Scan_fwd_kernel_traitsILi64ELi16ELi1ELb1ELb1ELb1ELb1ELb1EN3c108BFloat16EffEEv13SSMParamsBase
    .private_segment_fixed_size: 0
    .sgpr_count:     94
    .sgpr_spill_count: 0
    .symbol:         _Z25selective_scan_fwd_kernelI32Selective_Scan_fwd_kernel_traitsILi64ELi16ELi1ELb1ELb1ELb1ELb1ELb1EN3c108BFloat16EffEEv13SSMParamsBase.kd
    .uniform_work_group_size: 1
    .uses_dynamic_stack: false
    .vgpr_count:     176
    .vgpr_spill_count: 0
    .wavefront_size: 32
    .workgroup_processor_mode: 1
  - .args:
      - .offset:         0
        .size:           248
        .value_kind:     by_value
    .group_segment_fixed_size: 0
    .kernarg_segment_align: 8
    .kernarg_segment_size: 248
    .language:       OpenCL C
    .language_version:
      - 2
      - 0
    .max_flat_workgroup_size: 64
    .name:           _Z25selective_scan_fwd_kernelI32Selective_Scan_fwd_kernel_traitsILi64ELi16ELi1ELb1ELb1ELb1ELb1ELb0EN3c108BFloat16EffEEv13SSMParamsBase
    .private_segment_fixed_size: 0
    .sgpr_count:     80
    .sgpr_spill_count: 0
    .symbol:         _Z25selective_scan_fwd_kernelI32Selective_Scan_fwd_kernel_traitsILi64ELi16ELi1ELb1ELb1ELb1ELb1ELb0EN3c108BFloat16EffEEv13SSMParamsBase.kd
    .uniform_work_group_size: 1
    .uses_dynamic_stack: false
    .vgpr_count:     157
    .vgpr_spill_count: 0
    .wavefront_size: 32
    .workgroup_processor_mode: 1
  - .args:
      - .offset:         0
        .size:           248
        .value_kind:     by_value
    .group_segment_fixed_size: 0
    .kernarg_segment_align: 8
    .kernarg_segment_size: 248
    .language:       OpenCL C
    .language_version:
      - 2
      - 0
    .max_flat_workgroup_size: 64
    .name:           _Z25selective_scan_fwd_kernelI32Selective_Scan_fwd_kernel_traitsILi64ELi16ELi1ELb1ELb1ELb1ELb0ELb1EN3c108BFloat16EffEEv13SSMParamsBase
    .private_segment_fixed_size: 0
    .sgpr_count:     94
    .sgpr_spill_count: 0
    .symbol:         _Z25selective_scan_fwd_kernelI32Selective_Scan_fwd_kernel_traitsILi64ELi16ELi1ELb1ELb1ELb1ELb0ELb1EN3c108BFloat16EffEEv13SSMParamsBase.kd
    .uniform_work_group_size: 1
    .uses_dynamic_stack: false
    .vgpr_count:     172
    .vgpr_spill_count: 0
    .wavefront_size: 32
    .workgroup_processor_mode: 1
  - .args:
      - .offset:         0
        .size:           248
        .value_kind:     by_value
    .group_segment_fixed_size: 0
    .kernarg_segment_align: 8
    .kernarg_segment_size: 248
    .language:       OpenCL C
    .language_version:
      - 2
      - 0
    .max_flat_workgroup_size: 64
    .name:           _Z25selective_scan_fwd_kernelI32Selective_Scan_fwd_kernel_traitsILi64ELi16ELi1ELb1ELb1ELb1ELb0ELb0EN3c108BFloat16EffEEv13SSMParamsBase
    .private_segment_fixed_size: 0
    .sgpr_count:     80
    .sgpr_spill_count: 0
    .symbol:         _Z25selective_scan_fwd_kernelI32Selective_Scan_fwd_kernel_traitsILi64ELi16ELi1ELb1ELb1ELb1ELb0ELb0EN3c108BFloat16EffEEv13SSMParamsBase.kd
    .uniform_work_group_size: 1
    .uses_dynamic_stack: false
    .vgpr_count:     145
    .vgpr_spill_count: 0
    .wavefront_size: 32
    .workgroup_processor_mode: 1
  - .args:
      - .offset:         0
        .size:           248
        .value_kind:     by_value
    .group_segment_fixed_size: 0
    .kernarg_segment_align: 8
    .kernarg_segment_size: 248
    .language:       OpenCL C
    .language_version:
      - 2
      - 0
    .max_flat_workgroup_size: 64
    .name:           _Z25selective_scan_fwd_kernelI32Selective_Scan_fwd_kernel_traitsILi64ELi16ELi1ELb0ELb1ELb1ELb1ELb1EN3c108BFloat16EffEEv13SSMParamsBase
    .private_segment_fixed_size: 0
    .sgpr_count:     94
    .sgpr_spill_count: 0
    .symbol:         _Z25selective_scan_fwd_kernelI32Selective_Scan_fwd_kernel_traitsILi64ELi16ELi1ELb0ELb1ELb1ELb1ELb1EN3c108BFloat16EffEEv13SSMParamsBase.kd
    .uniform_work_group_size: 1
    .uses_dynamic_stack: false
    .vgpr_count:     176
    .vgpr_spill_count: 0
    .wavefront_size: 32
    .workgroup_processor_mode: 1
  - .args:
      - .offset:         0
        .size:           248
        .value_kind:     by_value
    .group_segment_fixed_size: 0
    .kernarg_segment_align: 8
    .kernarg_segment_size: 248
    .language:       OpenCL C
    .language_version:
      - 2
      - 0
    .max_flat_workgroup_size: 64
    .name:           _Z25selective_scan_fwd_kernelI32Selective_Scan_fwd_kernel_traitsILi64ELi16ELi1ELb0ELb1ELb1ELb1ELb0EN3c108BFloat16EffEEv13SSMParamsBase
    .private_segment_fixed_size: 0
    .sgpr_count:     94
    .sgpr_spill_count: 0
    .symbol:         _Z25selective_scan_fwd_kernelI32Selective_Scan_fwd_kernel_traitsILi64ELi16ELi1ELb0ELb1ELb1ELb1ELb0EN3c108BFloat16EffEEv13SSMParamsBase.kd
    .uniform_work_group_size: 1
    .uses_dynamic_stack: false
    .vgpr_count:     176
    .vgpr_spill_count: 0
    .wavefront_size: 32
    .workgroup_processor_mode: 1
  - .args:
      - .offset:         0
        .size:           248
        .value_kind:     by_value
    .group_segment_fixed_size: 0
    .kernarg_segment_align: 8
    .kernarg_segment_size: 248
    .language:       OpenCL C
    .language_version:
      - 2
      - 0
    .max_flat_workgroup_size: 64
    .name:           _Z25selective_scan_fwd_kernelI32Selective_Scan_fwd_kernel_traitsILi64ELi16ELi1ELb0ELb1ELb1ELb0ELb1EN3c108BFloat16EffEEv13SSMParamsBase
    .private_segment_fixed_size: 0
    .sgpr_count:     94
    .sgpr_spill_count: 0
    .symbol:         _Z25selective_scan_fwd_kernelI32Selective_Scan_fwd_kernel_traitsILi64ELi16ELi1ELb0ELb1ELb1ELb0ELb1EN3c108BFloat16EffEEv13SSMParamsBase.kd
    .uniform_work_group_size: 1
    .uses_dynamic_stack: false
    .vgpr_count:     172
    .vgpr_spill_count: 0
    .wavefront_size: 32
    .workgroup_processor_mode: 1
  - .args:
      - .offset:         0
        .size:           248
        .value_kind:     by_value
    .group_segment_fixed_size: 0
    .kernarg_segment_align: 8
    .kernarg_segment_size: 248
    .language:       OpenCL C
    .language_version:
      - 2
      - 0
    .max_flat_workgroup_size: 64
    .name:           _Z25selective_scan_fwd_kernelI32Selective_Scan_fwd_kernel_traitsILi64ELi16ELi1ELb0ELb1ELb1ELb0ELb0EN3c108BFloat16EffEEv13SSMParamsBase
    .private_segment_fixed_size: 0
    .sgpr_count:     94
    .sgpr_spill_count: 0
    .symbol:         _Z25selective_scan_fwd_kernelI32Selective_Scan_fwd_kernel_traitsILi64ELi16ELi1ELb0ELb1ELb1ELb0ELb0EN3c108BFloat16EffEEv13SSMParamsBase.kd
    .uniform_work_group_size: 1
    .uses_dynamic_stack: false
    .vgpr_count:     172
    .vgpr_spill_count: 0
    .wavefront_size: 32
    .workgroup_processor_mode: 1
  - .args:
      - .offset:         0
        .size:           248
        .value_kind:     by_value
    .group_segment_fixed_size: 0
    .kernarg_segment_align: 8
    .kernarg_segment_size: 248
    .language:       OpenCL C
    .language_version:
      - 2
      - 0
    .max_flat_workgroup_size: 128
    .name:           _Z25selective_scan_fwd_kernelI32Selective_Scan_fwd_kernel_traitsILi128ELi16ELi1ELb1ELb1ELb1ELb1ELb1EN3c108BFloat16EffEEv13SSMParamsBase
    .private_segment_fixed_size: 0
    .sgpr_count:     94
    .sgpr_spill_count: 0
    .symbol:         _Z25selective_scan_fwd_kernelI32Selective_Scan_fwd_kernel_traitsILi128ELi16ELi1ELb1ELb1ELb1ELb1ELb1EN3c108BFloat16EffEEv13SSMParamsBase.kd
    .uniform_work_group_size: 1
    .uses_dynamic_stack: false
    .vgpr_count:     177
    .vgpr_spill_count: 0
    .wavefront_size: 32
    .workgroup_processor_mode: 1
  - .args:
      - .offset:         0
        .size:           248
        .value_kind:     by_value
    .group_segment_fixed_size: 0
    .kernarg_segment_align: 8
    .kernarg_segment_size: 248
    .language:       OpenCL C
    .language_version:
      - 2
      - 0
    .max_flat_workgroup_size: 128
    .name:           _Z25selective_scan_fwd_kernelI32Selective_Scan_fwd_kernel_traitsILi128ELi16ELi1ELb1ELb1ELb1ELb1ELb0EN3c108BFloat16EffEEv13SSMParamsBase
    .private_segment_fixed_size: 0
    .sgpr_count:     82
    .sgpr_spill_count: 0
    .symbol:         _Z25selective_scan_fwd_kernelI32Selective_Scan_fwd_kernel_traitsILi128ELi16ELi1ELb1ELb1ELb1ELb1ELb0EN3c108BFloat16EffEEv13SSMParamsBase.kd
    .uniform_work_group_size: 1
    .uses_dynamic_stack: false
    .vgpr_count:     158
    .vgpr_spill_count: 0
    .wavefront_size: 32
    .workgroup_processor_mode: 1
  - .args:
      - .offset:         0
        .size:           248
        .value_kind:     by_value
    .group_segment_fixed_size: 0
    .kernarg_segment_align: 8
    .kernarg_segment_size: 248
    .language:       OpenCL C
    .language_version:
      - 2
      - 0
    .max_flat_workgroup_size: 128
    .name:           _Z25selective_scan_fwd_kernelI32Selective_Scan_fwd_kernel_traitsILi128ELi16ELi1ELb1ELb1ELb1ELb0ELb1EN3c108BFloat16EffEEv13SSMParamsBase
    .private_segment_fixed_size: 0
    .sgpr_count:     94
    .sgpr_spill_count: 0
    .symbol:         _Z25selective_scan_fwd_kernelI32Selective_Scan_fwd_kernel_traitsILi128ELi16ELi1ELb1ELb1ELb1ELb0ELb1EN3c108BFloat16EffEEv13SSMParamsBase.kd
    .uniform_work_group_size: 1
    .uses_dynamic_stack: false
    .vgpr_count:     173
    .vgpr_spill_count: 0
    .wavefront_size: 32
    .workgroup_processor_mode: 1
  - .args:
      - .offset:         0
        .size:           248
        .value_kind:     by_value
    .group_segment_fixed_size: 0
    .kernarg_segment_align: 8
    .kernarg_segment_size: 248
    .language:       OpenCL C
    .language_version:
      - 2
      - 0
    .max_flat_workgroup_size: 128
    .name:           _Z25selective_scan_fwd_kernelI32Selective_Scan_fwd_kernel_traitsILi128ELi16ELi1ELb1ELb1ELb1ELb0ELb0EN3c108BFloat16EffEEv13SSMParamsBase
    .private_segment_fixed_size: 0
    .sgpr_count:     82
    .sgpr_spill_count: 0
    .symbol:         _Z25selective_scan_fwd_kernelI32Selective_Scan_fwd_kernel_traitsILi128ELi16ELi1ELb1ELb1ELb1ELb0ELb0EN3c108BFloat16EffEEv13SSMParamsBase.kd
    .uniform_work_group_size: 1
    .uses_dynamic_stack: false
    .vgpr_count:     146
    .vgpr_spill_count: 0
    .wavefront_size: 32
    .workgroup_processor_mode: 1
  - .args:
      - .offset:         0
        .size:           248
        .value_kind:     by_value
    .group_segment_fixed_size: 0
    .kernarg_segment_align: 8
    .kernarg_segment_size: 248
    .language:       OpenCL C
    .language_version:
      - 2
      - 0
    .max_flat_workgroup_size: 128
    .name:           _Z25selective_scan_fwd_kernelI32Selective_Scan_fwd_kernel_traitsILi128ELi16ELi1ELb0ELb1ELb1ELb1ELb1EN3c108BFloat16EffEEv13SSMParamsBase
    .private_segment_fixed_size: 0
    .sgpr_count:     94
    .sgpr_spill_count: 0
    .symbol:         _Z25selective_scan_fwd_kernelI32Selective_Scan_fwd_kernel_traitsILi128ELi16ELi1ELb0ELb1ELb1ELb1ELb1EN3c108BFloat16EffEEv13SSMParamsBase.kd
    .uniform_work_group_size: 1
    .uses_dynamic_stack: false
    .vgpr_count:     177
    .vgpr_spill_count: 0
    .wavefront_size: 32
    .workgroup_processor_mode: 1
  - .args:
      - .offset:         0
        .size:           248
        .value_kind:     by_value
    .group_segment_fixed_size: 0
    .kernarg_segment_align: 8
    .kernarg_segment_size: 248
    .language:       OpenCL C
    .language_version:
      - 2
      - 0
    .max_flat_workgroup_size: 128
    .name:           _Z25selective_scan_fwd_kernelI32Selective_Scan_fwd_kernel_traitsILi128ELi16ELi1ELb0ELb1ELb1ELb1ELb0EN3c108BFloat16EffEEv13SSMParamsBase
    .private_segment_fixed_size: 0
    .sgpr_count:     94
    .sgpr_spill_count: 0
    .symbol:         _Z25selective_scan_fwd_kernelI32Selective_Scan_fwd_kernel_traitsILi128ELi16ELi1ELb0ELb1ELb1ELb1ELb0EN3c108BFloat16EffEEv13SSMParamsBase.kd
    .uniform_work_group_size: 1
    .uses_dynamic_stack: false
    .vgpr_count:     177
    .vgpr_spill_count: 0
    .wavefront_size: 32
    .workgroup_processor_mode: 1
  - .args:
      - .offset:         0
        .size:           248
        .value_kind:     by_value
    .group_segment_fixed_size: 0
    .kernarg_segment_align: 8
    .kernarg_segment_size: 248
    .language:       OpenCL C
    .language_version:
      - 2
      - 0
    .max_flat_workgroup_size: 128
    .name:           _Z25selective_scan_fwd_kernelI32Selective_Scan_fwd_kernel_traitsILi128ELi16ELi1ELb0ELb1ELb1ELb0ELb1EN3c108BFloat16EffEEv13SSMParamsBase
    .private_segment_fixed_size: 0
    .sgpr_count:     94
    .sgpr_spill_count: 0
    .symbol:         _Z25selective_scan_fwd_kernelI32Selective_Scan_fwd_kernel_traitsILi128ELi16ELi1ELb0ELb1ELb1ELb0ELb1EN3c108BFloat16EffEEv13SSMParamsBase.kd
    .uniform_work_group_size: 1
    .uses_dynamic_stack: false
    .vgpr_count:     173
    .vgpr_spill_count: 0
    .wavefront_size: 32
    .workgroup_processor_mode: 1
  - .args:
      - .offset:         0
        .size:           248
        .value_kind:     by_value
    .group_segment_fixed_size: 0
    .kernarg_segment_align: 8
    .kernarg_segment_size: 248
    .language:       OpenCL C
    .language_version:
      - 2
      - 0
    .max_flat_workgroup_size: 128
    .name:           _Z25selective_scan_fwd_kernelI32Selective_Scan_fwd_kernel_traitsILi128ELi16ELi1ELb0ELb1ELb1ELb0ELb0EN3c108BFloat16EffEEv13SSMParamsBase
    .private_segment_fixed_size: 0
    .sgpr_count:     94
    .sgpr_spill_count: 0
    .symbol:         _Z25selective_scan_fwd_kernelI32Selective_Scan_fwd_kernel_traitsILi128ELi16ELi1ELb0ELb1ELb1ELb0ELb0EN3c108BFloat16EffEEv13SSMParamsBase.kd
    .uniform_work_group_size: 1
    .uses_dynamic_stack: false
    .vgpr_count:     173
    .vgpr_spill_count: 0
    .wavefront_size: 32
    .workgroup_processor_mode: 1
  - .args:
      - .offset:         0
        .size:           248
        .value_kind:     by_value
    .group_segment_fixed_size: 0
    .kernarg_segment_align: 8
    .kernarg_segment_size: 248
    .language:       OpenCL C
    .language_version:
      - 2
      - 0
    .max_flat_workgroup_size: 64
    .name:           _Z25selective_scan_fwd_kernelI32Selective_Scan_fwd_kernel_traitsILi64ELi4ELi1ELb1ELb1ELb1ELb1ELb1EN3c104HalfEfS2_EEv13SSMParamsBase
    .private_segment_fixed_size: 0
    .sgpr_count:     72
    .sgpr_spill_count: 0
    .symbol:         _Z25selective_scan_fwd_kernelI32Selective_Scan_fwd_kernel_traitsILi64ELi4ELi1ELb1ELb1ELb1ELb1ELb1EN3c104HalfEfS2_EEv13SSMParamsBase.kd
    .uniform_work_group_size: 1
    .uses_dynamic_stack: false
    .vgpr_count:     61
    .vgpr_spill_count: 0
    .wavefront_size: 32
    .workgroup_processor_mode: 1
  - .args:
      - .offset:         0
        .size:           248
        .value_kind:     by_value
    .group_segment_fixed_size: 0
    .kernarg_segment_align: 8
    .kernarg_segment_size: 248
    .language:       OpenCL C
    .language_version:
      - 2
      - 0
    .max_flat_workgroup_size: 64
    .name:           _Z25selective_scan_fwd_kernelI32Selective_Scan_fwd_kernel_traitsILi64ELi4ELi1ELb1ELb1ELb1ELb1ELb0EN3c104HalfEfS2_EEv13SSMParamsBase
    .private_segment_fixed_size: 0
    .sgpr_count:     70
    .sgpr_spill_count: 0
    .symbol:         _Z25selective_scan_fwd_kernelI32Selective_Scan_fwd_kernel_traitsILi64ELi4ELi1ELb1ELb1ELb1ELb1ELb0EN3c104HalfEfS2_EEv13SSMParamsBase.kd
    .uniform_work_group_size: 1
    .uses_dynamic_stack: false
    .vgpr_count:     60
    .vgpr_spill_count: 0
    .wavefront_size: 32
    .workgroup_processor_mode: 1
  - .args:
      - .offset:         0
        .size:           248
        .value_kind:     by_value
    .group_segment_fixed_size: 0
    .kernarg_segment_align: 8
    .kernarg_segment_size: 248
    .language:       OpenCL C
    .language_version:
      - 2
      - 0
    .max_flat_workgroup_size: 64
    .name:           _Z25selective_scan_fwd_kernelI32Selective_Scan_fwd_kernel_traitsILi64ELi4ELi1ELb1ELb1ELb1ELb0ELb1EN3c104HalfEfS2_EEv13SSMParamsBase
    .private_segment_fixed_size: 0
    .sgpr_count:     70
    .sgpr_spill_count: 0
    .symbol:         _Z25selective_scan_fwd_kernelI32Selective_Scan_fwd_kernel_traitsILi64ELi4ELi1ELb1ELb1ELb1ELb0ELb1EN3c104HalfEfS2_EEv13SSMParamsBase.kd
    .uniform_work_group_size: 1
    .uses_dynamic_stack: false
    .vgpr_count:     57
    .vgpr_spill_count: 0
    .wavefront_size: 32
    .workgroup_processor_mode: 1
  - .args:
      - .offset:         0
        .size:           248
        .value_kind:     by_value
    .group_segment_fixed_size: 0
    .kernarg_segment_align: 8
    .kernarg_segment_size: 248
    .language:       OpenCL C
    .language_version:
      - 2
      - 0
    .max_flat_workgroup_size: 64
    .name:           _Z25selective_scan_fwd_kernelI32Selective_Scan_fwd_kernel_traitsILi64ELi4ELi1ELb1ELb1ELb1ELb0ELb0EN3c104HalfEfS2_EEv13SSMParamsBase
    .private_segment_fixed_size: 0
    .sgpr_count:     68
    .sgpr_spill_count: 0
    .symbol:         _Z25selective_scan_fwd_kernelI32Selective_Scan_fwd_kernel_traitsILi64ELi4ELi1ELb1ELb1ELb1ELb0ELb0EN3c104HalfEfS2_EEv13SSMParamsBase.kd
    .uniform_work_group_size: 1
    .uses_dynamic_stack: false
    .vgpr_count:     54
    .vgpr_spill_count: 0
    .wavefront_size: 32
    .workgroup_processor_mode: 1
  - .args:
      - .offset:         0
        .size:           248
        .value_kind:     by_value
    .group_segment_fixed_size: 0
    .kernarg_segment_align: 8
    .kernarg_segment_size: 248
    .language:       OpenCL C
    .language_version:
      - 2
      - 0
    .max_flat_workgroup_size: 64
    .name:           _Z25selective_scan_fwd_kernelI32Selective_Scan_fwd_kernel_traitsILi64ELi4ELi1ELb0ELb1ELb1ELb1ELb1EN3c104HalfEfS2_EEv13SSMParamsBase
    .private_segment_fixed_size: 0
    .sgpr_count:     72
    .sgpr_spill_count: 0
    .symbol:         _Z25selective_scan_fwd_kernelI32Selective_Scan_fwd_kernel_traitsILi64ELi4ELi1ELb0ELb1ELb1ELb1ELb1EN3c104HalfEfS2_EEv13SSMParamsBase.kd
    .uniform_work_group_size: 1
    .uses_dynamic_stack: false
    .vgpr_count:     61
    .vgpr_spill_count: 0
    .wavefront_size: 32
    .workgroup_processor_mode: 1
  - .args:
      - .offset:         0
        .size:           248
        .value_kind:     by_value
    .group_segment_fixed_size: 0
    .kernarg_segment_align: 8
    .kernarg_segment_size: 248
    .language:       OpenCL C
    .language_version:
      - 2
      - 0
    .max_flat_workgroup_size: 64
    .name:           _Z25selective_scan_fwd_kernelI32Selective_Scan_fwd_kernel_traitsILi64ELi4ELi1ELb0ELb1ELb1ELb1ELb0EN3c104HalfEfS2_EEv13SSMParamsBase
    .private_segment_fixed_size: 0
    .sgpr_count:     72
    .sgpr_spill_count: 0
    .symbol:         _Z25selective_scan_fwd_kernelI32Selective_Scan_fwd_kernel_traitsILi64ELi4ELi1ELb0ELb1ELb1ELb1ELb0EN3c104HalfEfS2_EEv13SSMParamsBase.kd
    .uniform_work_group_size: 1
    .uses_dynamic_stack: false
    .vgpr_count:     61
    .vgpr_spill_count: 0
    .wavefront_size: 32
    .workgroup_processor_mode: 1
  - .args:
      - .offset:         0
        .size:           248
        .value_kind:     by_value
    .group_segment_fixed_size: 0
    .kernarg_segment_align: 8
    .kernarg_segment_size: 248
    .language:       OpenCL C
    .language_version:
      - 2
      - 0
    .max_flat_workgroup_size: 64
    .name:           _Z25selective_scan_fwd_kernelI32Selective_Scan_fwd_kernel_traitsILi64ELi4ELi1ELb0ELb1ELb1ELb0ELb1EN3c104HalfEfS2_EEv13SSMParamsBase
    .private_segment_fixed_size: 0
    .sgpr_count:     70
    .sgpr_spill_count: 0
    .symbol:         _Z25selective_scan_fwd_kernelI32Selective_Scan_fwd_kernel_traitsILi64ELi4ELi1ELb0ELb1ELb1ELb0ELb1EN3c104HalfEfS2_EEv13SSMParamsBase.kd
    .uniform_work_group_size: 1
    .uses_dynamic_stack: false
    .vgpr_count:     57
    .vgpr_spill_count: 0
    .wavefront_size: 32
    .workgroup_processor_mode: 1
  - .args:
      - .offset:         0
        .size:           248
        .value_kind:     by_value
    .group_segment_fixed_size: 0
    .kernarg_segment_align: 8
    .kernarg_segment_size: 248
    .language:       OpenCL C
    .language_version:
      - 2
      - 0
    .max_flat_workgroup_size: 64
    .name:           _Z25selective_scan_fwd_kernelI32Selective_Scan_fwd_kernel_traitsILi64ELi4ELi1ELb0ELb1ELb1ELb0ELb0EN3c104HalfEfS2_EEv13SSMParamsBase
    .private_segment_fixed_size: 0
    .sgpr_count:     70
    .sgpr_spill_count: 0
    .symbol:         _Z25selective_scan_fwd_kernelI32Selective_Scan_fwd_kernel_traitsILi64ELi4ELi1ELb0ELb1ELb1ELb0ELb0EN3c104HalfEfS2_EEv13SSMParamsBase.kd
    .uniform_work_group_size: 1
    .uses_dynamic_stack: false
    .vgpr_count:     57
    .vgpr_spill_count: 0
    .wavefront_size: 32
    .workgroup_processor_mode: 1
  - .args:
      - .offset:         0
        .size:           248
        .value_kind:     by_value
    .group_segment_fixed_size: 0
    .kernarg_segment_align: 8
    .kernarg_segment_size: 248
    .language:       OpenCL C
    .language_version:
      - 2
      - 0
    .max_flat_workgroup_size: 64
    .name:           _Z25selective_scan_fwd_kernelI32Selective_Scan_fwd_kernel_traitsILi64ELi8ELi1ELb1ELb1ELb1ELb1ELb1EN3c104HalfEfS2_EEv13SSMParamsBase
    .private_segment_fixed_size: 0
    .sgpr_count:     78
    .sgpr_spill_count: 0
    .symbol:         _Z25selective_scan_fwd_kernelI32Selective_Scan_fwd_kernel_traitsILi64ELi8ELi1ELb1ELb1ELb1ELb1ELb1EN3c104HalfEfS2_EEv13SSMParamsBase.kd
    .uniform_work_group_size: 1
    .uses_dynamic_stack: false
    .vgpr_count:     99
    .vgpr_spill_count: 0
    .wavefront_size: 32
    .workgroup_processor_mode: 1
  - .args:
      - .offset:         0
        .size:           248
        .value_kind:     by_value
    .group_segment_fixed_size: 0
    .kernarg_segment_align: 8
    .kernarg_segment_size: 248
    .language:       OpenCL C
    .language_version:
      - 2
      - 0
    .max_flat_workgroup_size: 64
    .name:           _Z25selective_scan_fwd_kernelI32Selective_Scan_fwd_kernel_traitsILi64ELi8ELi1ELb1ELb1ELb1ELb1ELb0EN3c104HalfEfS2_EEv13SSMParamsBase
    .private_segment_fixed_size: 0
    .sgpr_count:     74
    .sgpr_spill_count: 0
    .symbol:         _Z25selective_scan_fwd_kernelI32Selective_Scan_fwd_kernel_traitsILi64ELi8ELi1ELb1ELb1ELb1ELb1ELb0EN3c104HalfEfS2_EEv13SSMParamsBase.kd
    .uniform_work_group_size: 1
    .uses_dynamic_stack: false
    .vgpr_count:     96
    .vgpr_spill_count: 0
    .wavefront_size: 32
    .workgroup_processor_mode: 1
  - .args:
      - .offset:         0
        .size:           248
        .value_kind:     by_value
    .group_segment_fixed_size: 0
    .kernarg_segment_align: 8
    .kernarg_segment_size: 248
    .language:       OpenCL C
    .language_version:
      - 2
      - 0
    .max_flat_workgroup_size: 64
    .name:           _Z25selective_scan_fwd_kernelI32Selective_Scan_fwd_kernel_traitsILi64ELi8ELi1ELb1ELb1ELb1ELb0ELb1EN3c104HalfEfS2_EEv13SSMParamsBase
    .private_segment_fixed_size: 0
    .sgpr_count:     76
    .sgpr_spill_count: 0
    .symbol:         _Z25selective_scan_fwd_kernelI32Selective_Scan_fwd_kernel_traitsILi64ELi8ELi1ELb1ELb1ELb1ELb0ELb1EN3c104HalfEfS2_EEv13SSMParamsBase.kd
    .uniform_work_group_size: 1
    .uses_dynamic_stack: false
    .vgpr_count:     95
    .vgpr_spill_count: 0
    .wavefront_size: 32
    .workgroup_processor_mode: 1
  - .args:
      - .offset:         0
        .size:           248
        .value_kind:     by_value
    .group_segment_fixed_size: 0
    .kernarg_segment_align: 8
    .kernarg_segment_size: 248
    .language:       OpenCL C
    .language_version:
      - 2
      - 0
    .max_flat_workgroup_size: 64
    .name:           _Z25selective_scan_fwd_kernelI32Selective_Scan_fwd_kernel_traitsILi64ELi8ELi1ELb1ELb1ELb1ELb0ELb0EN3c104HalfEfS2_EEv13SSMParamsBase
    .private_segment_fixed_size: 0
    .sgpr_count:     72
    .sgpr_spill_count: 0
    .symbol:         _Z25selective_scan_fwd_kernelI32Selective_Scan_fwd_kernel_traitsILi64ELi8ELi1ELb1ELb1ELb1ELb0ELb0EN3c104HalfEfS2_EEv13SSMParamsBase.kd
    .uniform_work_group_size: 1
    .uses_dynamic_stack: false
    .vgpr_count:     88
    .vgpr_spill_count: 0
    .wavefront_size: 32
    .workgroup_processor_mode: 1
  - .args:
      - .offset:         0
        .size:           248
        .value_kind:     by_value
    .group_segment_fixed_size: 0
    .kernarg_segment_align: 8
    .kernarg_segment_size: 248
    .language:       OpenCL C
    .language_version:
      - 2
      - 0
    .max_flat_workgroup_size: 64
    .name:           _Z25selective_scan_fwd_kernelI32Selective_Scan_fwd_kernel_traitsILi64ELi8ELi1ELb0ELb1ELb1ELb1ELb1EN3c104HalfEfS2_EEv13SSMParamsBase
    .private_segment_fixed_size: 0
    .sgpr_count:     78
    .sgpr_spill_count: 0
    .symbol:         _Z25selective_scan_fwd_kernelI32Selective_Scan_fwd_kernel_traitsILi64ELi8ELi1ELb0ELb1ELb1ELb1ELb1EN3c104HalfEfS2_EEv13SSMParamsBase.kd
    .uniform_work_group_size: 1
    .uses_dynamic_stack: false
    .vgpr_count:     99
    .vgpr_spill_count: 0
    .wavefront_size: 32
    .workgroup_processor_mode: 1
  - .args:
      - .offset:         0
        .size:           248
        .value_kind:     by_value
    .group_segment_fixed_size: 0
    .kernarg_segment_align: 8
    .kernarg_segment_size: 248
    .language:       OpenCL C
    .language_version:
      - 2
      - 0
    .max_flat_workgroup_size: 64
    .name:           _Z25selective_scan_fwd_kernelI32Selective_Scan_fwd_kernel_traitsILi64ELi8ELi1ELb0ELb1ELb1ELb1ELb0EN3c104HalfEfS2_EEv13SSMParamsBase
    .private_segment_fixed_size: 0
    .sgpr_count:     78
    .sgpr_spill_count: 0
    .symbol:         _Z25selective_scan_fwd_kernelI32Selective_Scan_fwd_kernel_traitsILi64ELi8ELi1ELb0ELb1ELb1ELb1ELb0EN3c104HalfEfS2_EEv13SSMParamsBase.kd
    .uniform_work_group_size: 1
    .uses_dynamic_stack: false
    .vgpr_count:     99
    .vgpr_spill_count: 0
    .wavefront_size: 32
    .workgroup_processor_mode: 1
  - .args:
      - .offset:         0
        .size:           248
        .value_kind:     by_value
    .group_segment_fixed_size: 0
    .kernarg_segment_align: 8
    .kernarg_segment_size: 248
    .language:       OpenCL C
    .language_version:
      - 2
      - 0
    .max_flat_workgroup_size: 64
    .name:           _Z25selective_scan_fwd_kernelI32Selective_Scan_fwd_kernel_traitsILi64ELi8ELi1ELb0ELb1ELb1ELb0ELb1EN3c104HalfEfS2_EEv13SSMParamsBase
    .private_segment_fixed_size: 0
    .sgpr_count:     76
    .sgpr_spill_count: 0
    .symbol:         _Z25selective_scan_fwd_kernelI32Selective_Scan_fwd_kernel_traitsILi64ELi8ELi1ELb0ELb1ELb1ELb0ELb1EN3c104HalfEfS2_EEv13SSMParamsBase.kd
    .uniform_work_group_size: 1
    .uses_dynamic_stack: false
    .vgpr_count:     95
    .vgpr_spill_count: 0
    .wavefront_size: 32
    .workgroup_processor_mode: 1
  - .args:
      - .offset:         0
        .size:           248
        .value_kind:     by_value
    .group_segment_fixed_size: 0
    .kernarg_segment_align: 8
    .kernarg_segment_size: 248
    .language:       OpenCL C
    .language_version:
      - 2
      - 0
    .max_flat_workgroup_size: 64
    .name:           _Z25selective_scan_fwd_kernelI32Selective_Scan_fwd_kernel_traitsILi64ELi8ELi1ELb0ELb1ELb1ELb0ELb0EN3c104HalfEfS2_EEv13SSMParamsBase
    .private_segment_fixed_size: 0
    .sgpr_count:     76
    .sgpr_spill_count: 0
    .symbol:         _Z25selective_scan_fwd_kernelI32Selective_Scan_fwd_kernel_traitsILi64ELi8ELi1ELb0ELb1ELb1ELb0ELb0EN3c104HalfEfS2_EEv13SSMParamsBase.kd
    .uniform_work_group_size: 1
    .uses_dynamic_stack: false
    .vgpr_count:     95
    .vgpr_spill_count: 0
    .wavefront_size: 32
    .workgroup_processor_mode: 1
  - .args:
      - .offset:         0
        .size:           248
        .value_kind:     by_value
    .group_segment_fixed_size: 0
    .kernarg_segment_align: 8
    .kernarg_segment_size: 248
    .language:       OpenCL C
    .language_version:
      - 2
      - 0
    .max_flat_workgroup_size: 64
    .name:           _Z25selective_scan_fwd_kernelI32Selective_Scan_fwd_kernel_traitsILi64ELi16ELi1ELb1ELb1ELb1ELb1ELb1EN3c104HalfEfS2_EEv13SSMParamsBase
    .private_segment_fixed_size: 0
    .sgpr_count:     96
    .sgpr_spill_count: 0
    .symbol:         _Z25selective_scan_fwd_kernelI32Selective_Scan_fwd_kernel_traitsILi64ELi16ELi1ELb1ELb1ELb1ELb1ELb1EN3c104HalfEfS2_EEv13SSMParamsBase.kd
    .uniform_work_group_size: 1
    .uses_dynamic_stack: false
    .vgpr_count:     176
    .vgpr_spill_count: 0
    .wavefront_size: 32
    .workgroup_processor_mode: 1
  - .args:
      - .offset:         0
        .size:           248
        .value_kind:     by_value
    .group_segment_fixed_size: 0
    .kernarg_segment_align: 8
    .kernarg_segment_size: 248
    .language:       OpenCL C
    .language_version:
      - 2
      - 0
    .max_flat_workgroup_size: 64
    .name:           _Z25selective_scan_fwd_kernelI32Selective_Scan_fwd_kernel_traitsILi64ELi16ELi1ELb1ELb1ELb1ELb1ELb0EN3c104HalfEfS2_EEv13SSMParamsBase
    .private_segment_fixed_size: 0
    .sgpr_count:     82
    .sgpr_spill_count: 0
    .symbol:         _Z25selective_scan_fwd_kernelI32Selective_Scan_fwd_kernel_traitsILi64ELi16ELi1ELb1ELb1ELb1ELb1ELb0EN3c104HalfEfS2_EEv13SSMParamsBase.kd
    .uniform_work_group_size: 1
    .uses_dynamic_stack: false
    .vgpr_count:     157
    .vgpr_spill_count: 0
    .wavefront_size: 32
    .workgroup_processor_mode: 1
  - .args:
      - .offset:         0
        .size:           248
        .value_kind:     by_value
    .group_segment_fixed_size: 0
    .kernarg_segment_align: 8
    .kernarg_segment_size: 248
    .language:       OpenCL C
    .language_version:
      - 2
      - 0
    .max_flat_workgroup_size: 64
    .name:           _Z25selective_scan_fwd_kernelI32Selective_Scan_fwd_kernel_traitsILi64ELi16ELi1ELb1ELb1ELb1ELb0ELb1EN3c104HalfEfS2_EEv13SSMParamsBase
    .private_segment_fixed_size: 0
    .sgpr_count:     94
    .sgpr_spill_count: 0
    .symbol:         _Z25selective_scan_fwd_kernelI32Selective_Scan_fwd_kernel_traitsILi64ELi16ELi1ELb1ELb1ELb1ELb0ELb1EN3c104HalfEfS2_EEv13SSMParamsBase.kd
    .uniform_work_group_size: 1
    .uses_dynamic_stack: false
    .vgpr_count:     172
    .vgpr_spill_count: 0
    .wavefront_size: 32
    .workgroup_processor_mode: 1
  - .args:
      - .offset:         0
        .size:           248
        .value_kind:     by_value
    .group_segment_fixed_size: 0
    .kernarg_segment_align: 8
    .kernarg_segment_size: 248
    .language:       OpenCL C
    .language_version:
      - 2
      - 0
    .max_flat_workgroup_size: 64
    .name:           _Z25selective_scan_fwd_kernelI32Selective_Scan_fwd_kernel_traitsILi64ELi16ELi1ELb1ELb1ELb1ELb0ELb0EN3c104HalfEfS2_EEv13SSMParamsBase
    .private_segment_fixed_size: 0
    .sgpr_count:     80
    .sgpr_spill_count: 0
    .symbol:         _Z25selective_scan_fwd_kernelI32Selective_Scan_fwd_kernel_traitsILi64ELi16ELi1ELb1ELb1ELb1ELb0ELb0EN3c104HalfEfS2_EEv13SSMParamsBase.kd
    .uniform_work_group_size: 1
    .uses_dynamic_stack: false
    .vgpr_count:     145
    .vgpr_spill_count: 0
    .wavefront_size: 32
    .workgroup_processor_mode: 1
  - .args:
      - .offset:         0
        .size:           248
        .value_kind:     by_value
    .group_segment_fixed_size: 0
    .kernarg_segment_align: 8
    .kernarg_segment_size: 248
    .language:       OpenCL C
    .language_version:
      - 2
      - 0
    .max_flat_workgroup_size: 64
    .name:           _Z25selective_scan_fwd_kernelI32Selective_Scan_fwd_kernel_traitsILi64ELi16ELi1ELb0ELb1ELb1ELb1ELb1EN3c104HalfEfS2_EEv13SSMParamsBase
    .private_segment_fixed_size: 0
    .sgpr_count:     96
    .sgpr_spill_count: 0
    .symbol:         _Z25selective_scan_fwd_kernelI32Selective_Scan_fwd_kernel_traitsILi64ELi16ELi1ELb0ELb1ELb1ELb1ELb1EN3c104HalfEfS2_EEv13SSMParamsBase.kd
    .uniform_work_group_size: 1
    .uses_dynamic_stack: false
    .vgpr_count:     176
    .vgpr_spill_count: 0
    .wavefront_size: 32
    .workgroup_processor_mode: 1
  - .args:
      - .offset:         0
        .size:           248
        .value_kind:     by_value
    .group_segment_fixed_size: 0
    .kernarg_segment_align: 8
    .kernarg_segment_size: 248
    .language:       OpenCL C
    .language_version:
      - 2
      - 0
    .max_flat_workgroup_size: 64
    .name:           _Z25selective_scan_fwd_kernelI32Selective_Scan_fwd_kernel_traitsILi64ELi16ELi1ELb0ELb1ELb1ELb1ELb0EN3c104HalfEfS2_EEv13SSMParamsBase
    .private_segment_fixed_size: 0
    .sgpr_count:     96
    .sgpr_spill_count: 0
    .symbol:         _Z25selective_scan_fwd_kernelI32Selective_Scan_fwd_kernel_traitsILi64ELi16ELi1ELb0ELb1ELb1ELb1ELb0EN3c104HalfEfS2_EEv13SSMParamsBase.kd
    .uniform_work_group_size: 1
    .uses_dynamic_stack: false
    .vgpr_count:     176
    .vgpr_spill_count: 0
    .wavefront_size: 32
    .workgroup_processor_mode: 1
  - .args:
      - .offset:         0
        .size:           248
        .value_kind:     by_value
    .group_segment_fixed_size: 0
    .kernarg_segment_align: 8
    .kernarg_segment_size: 248
    .language:       OpenCL C
    .language_version:
      - 2
      - 0
    .max_flat_workgroup_size: 64
    .name:           _Z25selective_scan_fwd_kernelI32Selective_Scan_fwd_kernel_traitsILi64ELi16ELi1ELb0ELb1ELb1ELb0ELb1EN3c104HalfEfS2_EEv13SSMParamsBase
    .private_segment_fixed_size: 0
    .sgpr_count:     94
    .sgpr_spill_count: 0
    .symbol:         _Z25selective_scan_fwd_kernelI32Selective_Scan_fwd_kernel_traitsILi64ELi16ELi1ELb0ELb1ELb1ELb0ELb1EN3c104HalfEfS2_EEv13SSMParamsBase.kd
    .uniform_work_group_size: 1
    .uses_dynamic_stack: false
    .vgpr_count:     172
    .vgpr_spill_count: 0
    .wavefront_size: 32
    .workgroup_processor_mode: 1
  - .args:
      - .offset:         0
        .size:           248
        .value_kind:     by_value
    .group_segment_fixed_size: 0
    .kernarg_segment_align: 8
    .kernarg_segment_size: 248
    .language:       OpenCL C
    .language_version:
      - 2
      - 0
    .max_flat_workgroup_size: 64
    .name:           _Z25selective_scan_fwd_kernelI32Selective_Scan_fwd_kernel_traitsILi64ELi16ELi1ELb0ELb1ELb1ELb0ELb0EN3c104HalfEfS2_EEv13SSMParamsBase
    .private_segment_fixed_size: 0
    .sgpr_count:     94
    .sgpr_spill_count: 0
    .symbol:         _Z25selective_scan_fwd_kernelI32Selective_Scan_fwd_kernel_traitsILi64ELi16ELi1ELb0ELb1ELb1ELb0ELb0EN3c104HalfEfS2_EEv13SSMParamsBase.kd
    .uniform_work_group_size: 1
    .uses_dynamic_stack: false
    .vgpr_count:     172
    .vgpr_spill_count: 0
    .wavefront_size: 32
    .workgroup_processor_mode: 1
  - .args:
      - .offset:         0
        .size:           248
        .value_kind:     by_value
    .group_segment_fixed_size: 0
    .kernarg_segment_align: 8
    .kernarg_segment_size: 248
    .language:       OpenCL C
    .language_version:
      - 2
      - 0
    .max_flat_workgroup_size: 128
    .name:           _Z25selective_scan_fwd_kernelI32Selective_Scan_fwd_kernel_traitsILi128ELi16ELi1ELb1ELb1ELb1ELb1ELb1EN3c104HalfEfS2_EEv13SSMParamsBase
    .private_segment_fixed_size: 0
    .sgpr_count:     96
    .sgpr_spill_count: 0
    .symbol:         _Z25selective_scan_fwd_kernelI32Selective_Scan_fwd_kernel_traitsILi128ELi16ELi1ELb1ELb1ELb1ELb1ELb1EN3c104HalfEfS2_EEv13SSMParamsBase.kd
    .uniform_work_group_size: 1
    .uses_dynamic_stack: false
    .vgpr_count:     177
    .vgpr_spill_count: 0
    .wavefront_size: 32
    .workgroup_processor_mode: 1
  - .args:
      - .offset:         0
        .size:           248
        .value_kind:     by_value
    .group_segment_fixed_size: 0
    .kernarg_segment_align: 8
    .kernarg_segment_size: 248
    .language:       OpenCL C
    .language_version:
      - 2
      - 0
    .max_flat_workgroup_size: 128
    .name:           _Z25selective_scan_fwd_kernelI32Selective_Scan_fwd_kernel_traitsILi128ELi16ELi1ELb1ELb1ELb1ELb1ELb0EN3c104HalfEfS2_EEv13SSMParamsBase
    .private_segment_fixed_size: 0
    .sgpr_count:     84
    .sgpr_spill_count: 0
    .symbol:         _Z25selective_scan_fwd_kernelI32Selective_Scan_fwd_kernel_traitsILi128ELi16ELi1ELb1ELb1ELb1ELb1ELb0EN3c104HalfEfS2_EEv13SSMParamsBase.kd
    .uniform_work_group_size: 1
    .uses_dynamic_stack: false
    .vgpr_count:     158
    .vgpr_spill_count: 0
    .wavefront_size: 32
    .workgroup_processor_mode: 1
  - .args:
      - .offset:         0
        .size:           248
        .value_kind:     by_value
    .group_segment_fixed_size: 0
    .kernarg_segment_align: 8
    .kernarg_segment_size: 248
    .language:       OpenCL C
    .language_version:
      - 2
      - 0
    .max_flat_workgroup_size: 128
    .name:           _Z25selective_scan_fwd_kernelI32Selective_Scan_fwd_kernel_traitsILi128ELi16ELi1ELb1ELb1ELb1ELb0ELb1EN3c104HalfEfS2_EEv13SSMParamsBase
    .private_segment_fixed_size: 0
    .sgpr_count:     94
    .sgpr_spill_count: 0
    .symbol:         _Z25selective_scan_fwd_kernelI32Selective_Scan_fwd_kernel_traitsILi128ELi16ELi1ELb1ELb1ELb1ELb0ELb1EN3c104HalfEfS2_EEv13SSMParamsBase.kd
    .uniform_work_group_size: 1
    .uses_dynamic_stack: false
    .vgpr_count:     173
    .vgpr_spill_count: 0
    .wavefront_size: 32
    .workgroup_processor_mode: 1
  - .args:
      - .offset:         0
        .size:           248
        .value_kind:     by_value
    .group_segment_fixed_size: 0
    .kernarg_segment_align: 8
    .kernarg_segment_size: 248
    .language:       OpenCL C
    .language_version:
      - 2
      - 0
    .max_flat_workgroup_size: 128
    .name:           _Z25selective_scan_fwd_kernelI32Selective_Scan_fwd_kernel_traitsILi128ELi16ELi1ELb1ELb1ELb1ELb0ELb0EN3c104HalfEfS2_EEv13SSMParamsBase
    .private_segment_fixed_size: 0
    .sgpr_count:     82
    .sgpr_spill_count: 0
    .symbol:         _Z25selective_scan_fwd_kernelI32Selective_Scan_fwd_kernel_traitsILi128ELi16ELi1ELb1ELb1ELb1ELb0ELb0EN3c104HalfEfS2_EEv13SSMParamsBase.kd
    .uniform_work_group_size: 1
    .uses_dynamic_stack: false
    .vgpr_count:     146
    .vgpr_spill_count: 0
    .wavefront_size: 32
    .workgroup_processor_mode: 1
  - .args:
      - .offset:         0
        .size:           248
        .value_kind:     by_value
    .group_segment_fixed_size: 0
    .kernarg_segment_align: 8
    .kernarg_segment_size: 248
    .language:       OpenCL C
    .language_version:
      - 2
      - 0
    .max_flat_workgroup_size: 128
    .name:           _Z25selective_scan_fwd_kernelI32Selective_Scan_fwd_kernel_traitsILi128ELi16ELi1ELb0ELb1ELb1ELb1ELb1EN3c104HalfEfS2_EEv13SSMParamsBase
    .private_segment_fixed_size: 0
    .sgpr_count:     96
    .sgpr_spill_count: 0
    .symbol:         _Z25selective_scan_fwd_kernelI32Selective_Scan_fwd_kernel_traitsILi128ELi16ELi1ELb0ELb1ELb1ELb1ELb1EN3c104HalfEfS2_EEv13SSMParamsBase.kd
    .uniform_work_group_size: 1
    .uses_dynamic_stack: false
    .vgpr_count:     177
    .vgpr_spill_count: 0
    .wavefront_size: 32
    .workgroup_processor_mode: 1
  - .args:
      - .offset:         0
        .size:           248
        .value_kind:     by_value
    .group_segment_fixed_size: 0
    .kernarg_segment_align: 8
    .kernarg_segment_size: 248
    .language:       OpenCL C
    .language_version:
      - 2
      - 0
    .max_flat_workgroup_size: 128
    .name:           _Z25selective_scan_fwd_kernelI32Selective_Scan_fwd_kernel_traitsILi128ELi16ELi1ELb0ELb1ELb1ELb1ELb0EN3c104HalfEfS2_EEv13SSMParamsBase
    .private_segment_fixed_size: 0
    .sgpr_count:     96
    .sgpr_spill_count: 0
    .symbol:         _Z25selective_scan_fwd_kernelI32Selective_Scan_fwd_kernel_traitsILi128ELi16ELi1ELb0ELb1ELb1ELb1ELb0EN3c104HalfEfS2_EEv13SSMParamsBase.kd
    .uniform_work_group_size: 1
    .uses_dynamic_stack: false
    .vgpr_count:     177
    .vgpr_spill_count: 0
    .wavefront_size: 32
    .workgroup_processor_mode: 1
  - .args:
      - .offset:         0
        .size:           248
        .value_kind:     by_value
    .group_segment_fixed_size: 0
    .kernarg_segment_align: 8
    .kernarg_segment_size: 248
    .language:       OpenCL C
    .language_version:
      - 2
      - 0
    .max_flat_workgroup_size: 128
    .name:           _Z25selective_scan_fwd_kernelI32Selective_Scan_fwd_kernel_traitsILi128ELi16ELi1ELb0ELb1ELb1ELb0ELb1EN3c104HalfEfS2_EEv13SSMParamsBase
    .private_segment_fixed_size: 0
    .sgpr_count:     94
    .sgpr_spill_count: 0
    .symbol:         _Z25selective_scan_fwd_kernelI32Selective_Scan_fwd_kernel_traitsILi128ELi16ELi1ELb0ELb1ELb1ELb0ELb1EN3c104HalfEfS2_EEv13SSMParamsBase.kd
    .uniform_work_group_size: 1
    .uses_dynamic_stack: false
    .vgpr_count:     173
    .vgpr_spill_count: 0
    .wavefront_size: 32
    .workgroup_processor_mode: 1
  - .args:
      - .offset:         0
        .size:           248
        .value_kind:     by_value
    .group_segment_fixed_size: 0
    .kernarg_segment_align: 8
    .kernarg_segment_size: 248
    .language:       OpenCL C
    .language_version:
      - 2
      - 0
    .max_flat_workgroup_size: 128
    .name:           _Z25selective_scan_fwd_kernelI32Selective_Scan_fwd_kernel_traitsILi128ELi16ELi1ELb0ELb1ELb1ELb0ELb0EN3c104HalfEfS2_EEv13SSMParamsBase
    .private_segment_fixed_size: 0
    .sgpr_count:     94
    .sgpr_spill_count: 0
    .symbol:         _Z25selective_scan_fwd_kernelI32Selective_Scan_fwd_kernel_traitsILi128ELi16ELi1ELb0ELb1ELb1ELb0ELb0EN3c104HalfEfS2_EEv13SSMParamsBase.kd
    .uniform_work_group_size: 1
    .uses_dynamic_stack: false
    .vgpr_count:     173
    .vgpr_spill_count: 0
    .wavefront_size: 32
    .workgroup_processor_mode: 1
  - .args:
      - .offset:         0
        .size:           248
        .value_kind:     by_value
    .group_segment_fixed_size: 0
    .kernarg_segment_align: 8
    .kernarg_segment_size: 248
    .language:       OpenCL C
    .language_version:
      - 2
      - 0
    .max_flat_workgroup_size: 64
    .name:           _Z25selective_scan_fwd_kernelI32Selective_Scan_fwd_kernel_traitsILi64ELi4ELi1ELb1ELb1ELb1ELb1ELb1EN3c104HalfEffEEv13SSMParamsBase
    .private_segment_fixed_size: 0
    .sgpr_count:     72
    .sgpr_spill_count: 0
    .symbol:         _Z25selective_scan_fwd_kernelI32Selective_Scan_fwd_kernel_traitsILi64ELi4ELi1ELb1ELb1ELb1ELb1ELb1EN3c104HalfEffEEv13SSMParamsBase.kd
    .uniform_work_group_size: 1
    .uses_dynamic_stack: false
    .vgpr_count:     61
    .vgpr_spill_count: 0
    .wavefront_size: 32
    .workgroup_processor_mode: 1
  - .args:
      - .offset:         0
        .size:           248
        .value_kind:     by_value
    .group_segment_fixed_size: 0
    .kernarg_segment_align: 8
    .kernarg_segment_size: 248
    .language:       OpenCL C
    .language_version:
      - 2
      - 0
    .max_flat_workgroup_size: 64
    .name:           _Z25selective_scan_fwd_kernelI32Selective_Scan_fwd_kernel_traitsILi64ELi4ELi1ELb1ELb1ELb1ELb1ELb0EN3c104HalfEffEEv13SSMParamsBase
    .private_segment_fixed_size: 0
    .sgpr_count:     70
    .sgpr_spill_count: 0
    .symbol:         _Z25selective_scan_fwd_kernelI32Selective_Scan_fwd_kernel_traitsILi64ELi4ELi1ELb1ELb1ELb1ELb1ELb0EN3c104HalfEffEEv13SSMParamsBase.kd
    .uniform_work_group_size: 1
    .uses_dynamic_stack: false
    .vgpr_count:     60
    .vgpr_spill_count: 0
    .wavefront_size: 32
    .workgroup_processor_mode: 1
  - .args:
      - .offset:         0
        .size:           248
        .value_kind:     by_value
    .group_segment_fixed_size: 0
    .kernarg_segment_align: 8
    .kernarg_segment_size: 248
    .language:       OpenCL C
    .language_version:
      - 2
      - 0
    .max_flat_workgroup_size: 64
    .name:           _Z25selective_scan_fwd_kernelI32Selective_Scan_fwd_kernel_traitsILi64ELi4ELi1ELb1ELb1ELb1ELb0ELb1EN3c104HalfEffEEv13SSMParamsBase
    .private_segment_fixed_size: 0
    .sgpr_count:     70
    .sgpr_spill_count: 0
    .symbol:         _Z25selective_scan_fwd_kernelI32Selective_Scan_fwd_kernel_traitsILi64ELi4ELi1ELb1ELb1ELb1ELb0ELb1EN3c104HalfEffEEv13SSMParamsBase.kd
    .uniform_work_group_size: 1
    .uses_dynamic_stack: false
    .vgpr_count:     57
    .vgpr_spill_count: 0
    .wavefront_size: 32
    .workgroup_processor_mode: 1
  - .args:
      - .offset:         0
        .size:           248
        .value_kind:     by_value
    .group_segment_fixed_size: 0
    .kernarg_segment_align: 8
    .kernarg_segment_size: 248
    .language:       OpenCL C
    .language_version:
      - 2
      - 0
    .max_flat_workgroup_size: 64
    .name:           _Z25selective_scan_fwd_kernelI32Selective_Scan_fwd_kernel_traitsILi64ELi4ELi1ELb1ELb1ELb1ELb0ELb0EN3c104HalfEffEEv13SSMParamsBase
    .private_segment_fixed_size: 0
    .sgpr_count:     68
    .sgpr_spill_count: 0
    .symbol:         _Z25selective_scan_fwd_kernelI32Selective_Scan_fwd_kernel_traitsILi64ELi4ELi1ELb1ELb1ELb1ELb0ELb0EN3c104HalfEffEEv13SSMParamsBase.kd
    .uniform_work_group_size: 1
    .uses_dynamic_stack: false
    .vgpr_count:     54
    .vgpr_spill_count: 0
    .wavefront_size: 32
    .workgroup_processor_mode: 1
  - .args:
      - .offset:         0
        .size:           248
        .value_kind:     by_value
    .group_segment_fixed_size: 0
    .kernarg_segment_align: 8
    .kernarg_segment_size: 248
    .language:       OpenCL C
    .language_version:
      - 2
      - 0
    .max_flat_workgroup_size: 64
    .name:           _Z25selective_scan_fwd_kernelI32Selective_Scan_fwd_kernel_traitsILi64ELi4ELi1ELb0ELb1ELb1ELb1ELb1EN3c104HalfEffEEv13SSMParamsBase
    .private_segment_fixed_size: 0
    .sgpr_count:     72
    .sgpr_spill_count: 0
    .symbol:         _Z25selective_scan_fwd_kernelI32Selective_Scan_fwd_kernel_traitsILi64ELi4ELi1ELb0ELb1ELb1ELb1ELb1EN3c104HalfEffEEv13SSMParamsBase.kd
    .uniform_work_group_size: 1
    .uses_dynamic_stack: false
    .vgpr_count:     61
    .vgpr_spill_count: 0
    .wavefront_size: 32
    .workgroup_processor_mode: 1
  - .args:
      - .offset:         0
        .size:           248
        .value_kind:     by_value
    .group_segment_fixed_size: 0
    .kernarg_segment_align: 8
    .kernarg_segment_size: 248
    .language:       OpenCL C
    .language_version:
      - 2
      - 0
    .max_flat_workgroup_size: 64
    .name:           _Z25selective_scan_fwd_kernelI32Selective_Scan_fwd_kernel_traitsILi64ELi4ELi1ELb0ELb1ELb1ELb1ELb0EN3c104HalfEffEEv13SSMParamsBase
    .private_segment_fixed_size: 0
    .sgpr_count:     72
    .sgpr_spill_count: 0
    .symbol:         _Z25selective_scan_fwd_kernelI32Selective_Scan_fwd_kernel_traitsILi64ELi4ELi1ELb0ELb1ELb1ELb1ELb0EN3c104HalfEffEEv13SSMParamsBase.kd
    .uniform_work_group_size: 1
    .uses_dynamic_stack: false
    .vgpr_count:     61
    .vgpr_spill_count: 0
    .wavefront_size: 32
    .workgroup_processor_mode: 1
  - .args:
      - .offset:         0
        .size:           248
        .value_kind:     by_value
    .group_segment_fixed_size: 0
    .kernarg_segment_align: 8
    .kernarg_segment_size: 248
    .language:       OpenCL C
    .language_version:
      - 2
      - 0
    .max_flat_workgroup_size: 64
    .name:           _Z25selective_scan_fwd_kernelI32Selective_Scan_fwd_kernel_traitsILi64ELi4ELi1ELb0ELb1ELb1ELb0ELb1EN3c104HalfEffEEv13SSMParamsBase
    .private_segment_fixed_size: 0
    .sgpr_count:     70
    .sgpr_spill_count: 0
    .symbol:         _Z25selective_scan_fwd_kernelI32Selective_Scan_fwd_kernel_traitsILi64ELi4ELi1ELb0ELb1ELb1ELb0ELb1EN3c104HalfEffEEv13SSMParamsBase.kd
    .uniform_work_group_size: 1
    .uses_dynamic_stack: false
    .vgpr_count:     57
    .vgpr_spill_count: 0
    .wavefront_size: 32
    .workgroup_processor_mode: 1
  - .args:
      - .offset:         0
        .size:           248
        .value_kind:     by_value
    .group_segment_fixed_size: 0
    .kernarg_segment_align: 8
    .kernarg_segment_size: 248
    .language:       OpenCL C
    .language_version:
      - 2
      - 0
    .max_flat_workgroup_size: 64
    .name:           _Z25selective_scan_fwd_kernelI32Selective_Scan_fwd_kernel_traitsILi64ELi4ELi1ELb0ELb1ELb1ELb0ELb0EN3c104HalfEffEEv13SSMParamsBase
    .private_segment_fixed_size: 0
    .sgpr_count:     70
    .sgpr_spill_count: 0
    .symbol:         _Z25selective_scan_fwd_kernelI32Selective_Scan_fwd_kernel_traitsILi64ELi4ELi1ELb0ELb1ELb1ELb0ELb0EN3c104HalfEffEEv13SSMParamsBase.kd
    .uniform_work_group_size: 1
    .uses_dynamic_stack: false
    .vgpr_count:     57
    .vgpr_spill_count: 0
    .wavefront_size: 32
    .workgroup_processor_mode: 1
  - .args:
      - .offset:         0
        .size:           248
        .value_kind:     by_value
    .group_segment_fixed_size: 0
    .kernarg_segment_align: 8
    .kernarg_segment_size: 248
    .language:       OpenCL C
    .language_version:
      - 2
      - 0
    .max_flat_workgroup_size: 64
    .name:           _Z25selective_scan_fwd_kernelI32Selective_Scan_fwd_kernel_traitsILi64ELi8ELi1ELb1ELb1ELb1ELb1ELb1EN3c104HalfEffEEv13SSMParamsBase
    .private_segment_fixed_size: 0
    .sgpr_count:     78
    .sgpr_spill_count: 0
    .symbol:         _Z25selective_scan_fwd_kernelI32Selective_Scan_fwd_kernel_traitsILi64ELi8ELi1ELb1ELb1ELb1ELb1ELb1EN3c104HalfEffEEv13SSMParamsBase.kd
    .uniform_work_group_size: 1
    .uses_dynamic_stack: false
    .vgpr_count:     99
    .vgpr_spill_count: 0
    .wavefront_size: 32
    .workgroup_processor_mode: 1
  - .args:
      - .offset:         0
        .size:           248
        .value_kind:     by_value
    .group_segment_fixed_size: 0
    .kernarg_segment_align: 8
    .kernarg_segment_size: 248
    .language:       OpenCL C
    .language_version:
      - 2
      - 0
    .max_flat_workgroup_size: 64
    .name:           _Z25selective_scan_fwd_kernelI32Selective_Scan_fwd_kernel_traitsILi64ELi8ELi1ELb1ELb1ELb1ELb1ELb0EN3c104HalfEffEEv13SSMParamsBase
    .private_segment_fixed_size: 0
    .sgpr_count:     74
    .sgpr_spill_count: 0
    .symbol:         _Z25selective_scan_fwd_kernelI32Selective_Scan_fwd_kernel_traitsILi64ELi8ELi1ELb1ELb1ELb1ELb1ELb0EN3c104HalfEffEEv13SSMParamsBase.kd
    .uniform_work_group_size: 1
    .uses_dynamic_stack: false
    .vgpr_count:     96
    .vgpr_spill_count: 0
    .wavefront_size: 32
    .workgroup_processor_mode: 1
  - .args:
      - .offset:         0
        .size:           248
        .value_kind:     by_value
    .group_segment_fixed_size: 0
    .kernarg_segment_align: 8
    .kernarg_segment_size: 248
    .language:       OpenCL C
    .language_version:
      - 2
      - 0
    .max_flat_workgroup_size: 64
    .name:           _Z25selective_scan_fwd_kernelI32Selective_Scan_fwd_kernel_traitsILi64ELi8ELi1ELb1ELb1ELb1ELb0ELb1EN3c104HalfEffEEv13SSMParamsBase
    .private_segment_fixed_size: 0
    .sgpr_count:     76
    .sgpr_spill_count: 0
    .symbol:         _Z25selective_scan_fwd_kernelI32Selective_Scan_fwd_kernel_traitsILi64ELi8ELi1ELb1ELb1ELb1ELb0ELb1EN3c104HalfEffEEv13SSMParamsBase.kd
    .uniform_work_group_size: 1
    .uses_dynamic_stack: false
    .vgpr_count:     95
    .vgpr_spill_count: 0
    .wavefront_size: 32
    .workgroup_processor_mode: 1
  - .args:
      - .offset:         0
        .size:           248
        .value_kind:     by_value
    .group_segment_fixed_size: 0
    .kernarg_segment_align: 8
    .kernarg_segment_size: 248
    .language:       OpenCL C
    .language_version:
      - 2
      - 0
    .max_flat_workgroup_size: 64
    .name:           _Z25selective_scan_fwd_kernelI32Selective_Scan_fwd_kernel_traitsILi64ELi8ELi1ELb1ELb1ELb1ELb0ELb0EN3c104HalfEffEEv13SSMParamsBase
    .private_segment_fixed_size: 0
    .sgpr_count:     72
    .sgpr_spill_count: 0
    .symbol:         _Z25selective_scan_fwd_kernelI32Selective_Scan_fwd_kernel_traitsILi64ELi8ELi1ELb1ELb1ELb1ELb0ELb0EN3c104HalfEffEEv13SSMParamsBase.kd
    .uniform_work_group_size: 1
    .uses_dynamic_stack: false
    .vgpr_count:     88
    .vgpr_spill_count: 0
    .wavefront_size: 32
    .workgroup_processor_mode: 1
  - .args:
      - .offset:         0
        .size:           248
        .value_kind:     by_value
    .group_segment_fixed_size: 0
    .kernarg_segment_align: 8
    .kernarg_segment_size: 248
    .language:       OpenCL C
    .language_version:
      - 2
      - 0
    .max_flat_workgroup_size: 64
    .name:           _Z25selective_scan_fwd_kernelI32Selective_Scan_fwd_kernel_traitsILi64ELi8ELi1ELb0ELb1ELb1ELb1ELb1EN3c104HalfEffEEv13SSMParamsBase
    .private_segment_fixed_size: 0
    .sgpr_count:     78
    .sgpr_spill_count: 0
    .symbol:         _Z25selective_scan_fwd_kernelI32Selective_Scan_fwd_kernel_traitsILi64ELi8ELi1ELb0ELb1ELb1ELb1ELb1EN3c104HalfEffEEv13SSMParamsBase.kd
    .uniform_work_group_size: 1
    .uses_dynamic_stack: false
    .vgpr_count:     99
    .vgpr_spill_count: 0
    .wavefront_size: 32
    .workgroup_processor_mode: 1
  - .args:
      - .offset:         0
        .size:           248
        .value_kind:     by_value
    .group_segment_fixed_size: 0
    .kernarg_segment_align: 8
    .kernarg_segment_size: 248
    .language:       OpenCL C
    .language_version:
      - 2
      - 0
    .max_flat_workgroup_size: 64
    .name:           _Z25selective_scan_fwd_kernelI32Selective_Scan_fwd_kernel_traitsILi64ELi8ELi1ELb0ELb1ELb1ELb1ELb0EN3c104HalfEffEEv13SSMParamsBase
    .private_segment_fixed_size: 0
    .sgpr_count:     78
    .sgpr_spill_count: 0
    .symbol:         _Z25selective_scan_fwd_kernelI32Selective_Scan_fwd_kernel_traitsILi64ELi8ELi1ELb0ELb1ELb1ELb1ELb0EN3c104HalfEffEEv13SSMParamsBase.kd
    .uniform_work_group_size: 1
    .uses_dynamic_stack: false
    .vgpr_count:     99
    .vgpr_spill_count: 0
    .wavefront_size: 32
    .workgroup_processor_mode: 1
  - .args:
      - .offset:         0
        .size:           248
        .value_kind:     by_value
    .group_segment_fixed_size: 0
    .kernarg_segment_align: 8
    .kernarg_segment_size: 248
    .language:       OpenCL C
    .language_version:
      - 2
      - 0
    .max_flat_workgroup_size: 64
    .name:           _Z25selective_scan_fwd_kernelI32Selective_Scan_fwd_kernel_traitsILi64ELi8ELi1ELb0ELb1ELb1ELb0ELb1EN3c104HalfEffEEv13SSMParamsBase
    .private_segment_fixed_size: 0
    .sgpr_count:     76
    .sgpr_spill_count: 0
    .symbol:         _Z25selective_scan_fwd_kernelI32Selective_Scan_fwd_kernel_traitsILi64ELi8ELi1ELb0ELb1ELb1ELb0ELb1EN3c104HalfEffEEv13SSMParamsBase.kd
    .uniform_work_group_size: 1
    .uses_dynamic_stack: false
    .vgpr_count:     95
    .vgpr_spill_count: 0
    .wavefront_size: 32
    .workgroup_processor_mode: 1
  - .args:
      - .offset:         0
        .size:           248
        .value_kind:     by_value
    .group_segment_fixed_size: 0
    .kernarg_segment_align: 8
    .kernarg_segment_size: 248
    .language:       OpenCL C
    .language_version:
      - 2
      - 0
    .max_flat_workgroup_size: 64
    .name:           _Z25selective_scan_fwd_kernelI32Selective_Scan_fwd_kernel_traitsILi64ELi8ELi1ELb0ELb1ELb1ELb0ELb0EN3c104HalfEffEEv13SSMParamsBase
    .private_segment_fixed_size: 0
    .sgpr_count:     76
    .sgpr_spill_count: 0
    .symbol:         _Z25selective_scan_fwd_kernelI32Selective_Scan_fwd_kernel_traitsILi64ELi8ELi1ELb0ELb1ELb1ELb0ELb0EN3c104HalfEffEEv13SSMParamsBase.kd
    .uniform_work_group_size: 1
    .uses_dynamic_stack: false
    .vgpr_count:     95
    .vgpr_spill_count: 0
    .wavefront_size: 32
    .workgroup_processor_mode: 1
  - .args:
      - .offset:         0
        .size:           248
        .value_kind:     by_value
    .group_segment_fixed_size: 0
    .kernarg_segment_align: 8
    .kernarg_segment_size: 248
    .language:       OpenCL C
    .language_version:
      - 2
      - 0
    .max_flat_workgroup_size: 64
    .name:           _Z25selective_scan_fwd_kernelI32Selective_Scan_fwd_kernel_traitsILi64ELi16ELi1ELb1ELb1ELb1ELb1ELb1EN3c104HalfEffEEv13SSMParamsBase
    .private_segment_fixed_size: 0
    .sgpr_count:     96
    .sgpr_spill_count: 0
    .symbol:         _Z25selective_scan_fwd_kernelI32Selective_Scan_fwd_kernel_traitsILi64ELi16ELi1ELb1ELb1ELb1ELb1ELb1EN3c104HalfEffEEv13SSMParamsBase.kd
    .uniform_work_group_size: 1
    .uses_dynamic_stack: false
    .vgpr_count:     176
    .vgpr_spill_count: 0
    .wavefront_size: 32
    .workgroup_processor_mode: 1
  - .args:
      - .offset:         0
        .size:           248
        .value_kind:     by_value
    .group_segment_fixed_size: 0
    .kernarg_segment_align: 8
    .kernarg_segment_size: 248
    .language:       OpenCL C
    .language_version:
      - 2
      - 0
    .max_flat_workgroup_size: 64
    .name:           _Z25selective_scan_fwd_kernelI32Selective_Scan_fwd_kernel_traitsILi64ELi16ELi1ELb1ELb1ELb1ELb1ELb0EN3c104HalfEffEEv13SSMParamsBase
    .private_segment_fixed_size: 0
    .sgpr_count:     82
    .sgpr_spill_count: 0
    .symbol:         _Z25selective_scan_fwd_kernelI32Selective_Scan_fwd_kernel_traitsILi64ELi16ELi1ELb1ELb1ELb1ELb1ELb0EN3c104HalfEffEEv13SSMParamsBase.kd
    .uniform_work_group_size: 1
    .uses_dynamic_stack: false
    .vgpr_count:     157
    .vgpr_spill_count: 0
    .wavefront_size: 32
    .workgroup_processor_mode: 1
  - .args:
      - .offset:         0
        .size:           248
        .value_kind:     by_value
    .group_segment_fixed_size: 0
    .kernarg_segment_align: 8
    .kernarg_segment_size: 248
    .language:       OpenCL C
    .language_version:
      - 2
      - 0
    .max_flat_workgroup_size: 64
    .name:           _Z25selective_scan_fwd_kernelI32Selective_Scan_fwd_kernel_traitsILi64ELi16ELi1ELb1ELb1ELb1ELb0ELb1EN3c104HalfEffEEv13SSMParamsBase
    .private_segment_fixed_size: 0
    .sgpr_count:     94
    .sgpr_spill_count: 0
    .symbol:         _Z25selective_scan_fwd_kernelI32Selective_Scan_fwd_kernel_traitsILi64ELi16ELi1ELb1ELb1ELb1ELb0ELb1EN3c104HalfEffEEv13SSMParamsBase.kd
    .uniform_work_group_size: 1
    .uses_dynamic_stack: false
    .vgpr_count:     172
    .vgpr_spill_count: 0
    .wavefront_size: 32
    .workgroup_processor_mode: 1
  - .args:
      - .offset:         0
        .size:           248
        .value_kind:     by_value
    .group_segment_fixed_size: 0
    .kernarg_segment_align: 8
    .kernarg_segment_size: 248
    .language:       OpenCL C
    .language_version:
      - 2
      - 0
    .max_flat_workgroup_size: 64
    .name:           _Z25selective_scan_fwd_kernelI32Selective_Scan_fwd_kernel_traitsILi64ELi16ELi1ELb1ELb1ELb1ELb0ELb0EN3c104HalfEffEEv13SSMParamsBase
    .private_segment_fixed_size: 0
    .sgpr_count:     80
    .sgpr_spill_count: 0
    .symbol:         _Z25selective_scan_fwd_kernelI32Selective_Scan_fwd_kernel_traitsILi64ELi16ELi1ELb1ELb1ELb1ELb0ELb0EN3c104HalfEffEEv13SSMParamsBase.kd
    .uniform_work_group_size: 1
    .uses_dynamic_stack: false
    .vgpr_count:     145
    .vgpr_spill_count: 0
    .wavefront_size: 32
    .workgroup_processor_mode: 1
  - .args:
      - .offset:         0
        .size:           248
        .value_kind:     by_value
    .group_segment_fixed_size: 0
    .kernarg_segment_align: 8
    .kernarg_segment_size: 248
    .language:       OpenCL C
    .language_version:
      - 2
      - 0
    .max_flat_workgroup_size: 64
    .name:           _Z25selective_scan_fwd_kernelI32Selective_Scan_fwd_kernel_traitsILi64ELi16ELi1ELb0ELb1ELb1ELb1ELb1EN3c104HalfEffEEv13SSMParamsBase
    .private_segment_fixed_size: 0
    .sgpr_count:     96
    .sgpr_spill_count: 0
    .symbol:         _Z25selective_scan_fwd_kernelI32Selective_Scan_fwd_kernel_traitsILi64ELi16ELi1ELb0ELb1ELb1ELb1ELb1EN3c104HalfEffEEv13SSMParamsBase.kd
    .uniform_work_group_size: 1
    .uses_dynamic_stack: false
    .vgpr_count:     176
    .vgpr_spill_count: 0
    .wavefront_size: 32
    .workgroup_processor_mode: 1
  - .args:
      - .offset:         0
        .size:           248
        .value_kind:     by_value
    .group_segment_fixed_size: 0
    .kernarg_segment_align: 8
    .kernarg_segment_size: 248
    .language:       OpenCL C
    .language_version:
      - 2
      - 0
    .max_flat_workgroup_size: 64
    .name:           _Z25selective_scan_fwd_kernelI32Selective_Scan_fwd_kernel_traitsILi64ELi16ELi1ELb0ELb1ELb1ELb1ELb0EN3c104HalfEffEEv13SSMParamsBase
    .private_segment_fixed_size: 0
    .sgpr_count:     96
    .sgpr_spill_count: 0
    .symbol:         _Z25selective_scan_fwd_kernelI32Selective_Scan_fwd_kernel_traitsILi64ELi16ELi1ELb0ELb1ELb1ELb1ELb0EN3c104HalfEffEEv13SSMParamsBase.kd
    .uniform_work_group_size: 1
    .uses_dynamic_stack: false
    .vgpr_count:     176
    .vgpr_spill_count: 0
    .wavefront_size: 32
    .workgroup_processor_mode: 1
  - .args:
      - .offset:         0
        .size:           248
        .value_kind:     by_value
    .group_segment_fixed_size: 0
    .kernarg_segment_align: 8
    .kernarg_segment_size: 248
    .language:       OpenCL C
    .language_version:
      - 2
      - 0
    .max_flat_workgroup_size: 64
    .name:           _Z25selective_scan_fwd_kernelI32Selective_Scan_fwd_kernel_traitsILi64ELi16ELi1ELb0ELb1ELb1ELb0ELb1EN3c104HalfEffEEv13SSMParamsBase
    .private_segment_fixed_size: 0
    .sgpr_count:     94
    .sgpr_spill_count: 0
    .symbol:         _Z25selective_scan_fwd_kernelI32Selective_Scan_fwd_kernel_traitsILi64ELi16ELi1ELb0ELb1ELb1ELb0ELb1EN3c104HalfEffEEv13SSMParamsBase.kd
    .uniform_work_group_size: 1
    .uses_dynamic_stack: false
    .vgpr_count:     172
    .vgpr_spill_count: 0
    .wavefront_size: 32
    .workgroup_processor_mode: 1
  - .args:
      - .offset:         0
        .size:           248
        .value_kind:     by_value
    .group_segment_fixed_size: 0
    .kernarg_segment_align: 8
    .kernarg_segment_size: 248
    .language:       OpenCL C
    .language_version:
      - 2
      - 0
    .max_flat_workgroup_size: 64
    .name:           _Z25selective_scan_fwd_kernelI32Selective_Scan_fwd_kernel_traitsILi64ELi16ELi1ELb0ELb1ELb1ELb0ELb0EN3c104HalfEffEEv13SSMParamsBase
    .private_segment_fixed_size: 0
    .sgpr_count:     94
    .sgpr_spill_count: 0
    .symbol:         _Z25selective_scan_fwd_kernelI32Selective_Scan_fwd_kernel_traitsILi64ELi16ELi1ELb0ELb1ELb1ELb0ELb0EN3c104HalfEffEEv13SSMParamsBase.kd
    .uniform_work_group_size: 1
    .uses_dynamic_stack: false
    .vgpr_count:     172
    .vgpr_spill_count: 0
    .wavefront_size: 32
    .workgroup_processor_mode: 1
  - .args:
      - .offset:         0
        .size:           248
        .value_kind:     by_value
    .group_segment_fixed_size: 0
    .kernarg_segment_align: 8
    .kernarg_segment_size: 248
    .language:       OpenCL C
    .language_version:
      - 2
      - 0
    .max_flat_workgroup_size: 128
    .name:           _Z25selective_scan_fwd_kernelI32Selective_Scan_fwd_kernel_traitsILi128ELi16ELi1ELb1ELb1ELb1ELb1ELb1EN3c104HalfEffEEv13SSMParamsBase
    .private_segment_fixed_size: 0
    .sgpr_count:     96
    .sgpr_spill_count: 0
    .symbol:         _Z25selective_scan_fwd_kernelI32Selective_Scan_fwd_kernel_traitsILi128ELi16ELi1ELb1ELb1ELb1ELb1ELb1EN3c104HalfEffEEv13SSMParamsBase.kd
    .uniform_work_group_size: 1
    .uses_dynamic_stack: false
    .vgpr_count:     177
    .vgpr_spill_count: 0
    .wavefront_size: 32
    .workgroup_processor_mode: 1
  - .args:
      - .offset:         0
        .size:           248
        .value_kind:     by_value
    .group_segment_fixed_size: 0
    .kernarg_segment_align: 8
    .kernarg_segment_size: 248
    .language:       OpenCL C
    .language_version:
      - 2
      - 0
    .max_flat_workgroup_size: 128
    .name:           _Z25selective_scan_fwd_kernelI32Selective_Scan_fwd_kernel_traitsILi128ELi16ELi1ELb1ELb1ELb1ELb1ELb0EN3c104HalfEffEEv13SSMParamsBase
    .private_segment_fixed_size: 0
    .sgpr_count:     84
    .sgpr_spill_count: 0
    .symbol:         _Z25selective_scan_fwd_kernelI32Selective_Scan_fwd_kernel_traitsILi128ELi16ELi1ELb1ELb1ELb1ELb1ELb0EN3c104HalfEffEEv13SSMParamsBase.kd
    .uniform_work_group_size: 1
    .uses_dynamic_stack: false
    .vgpr_count:     158
    .vgpr_spill_count: 0
    .wavefront_size: 32
    .workgroup_processor_mode: 1
  - .args:
      - .offset:         0
        .size:           248
        .value_kind:     by_value
    .group_segment_fixed_size: 0
    .kernarg_segment_align: 8
    .kernarg_segment_size: 248
    .language:       OpenCL C
    .language_version:
      - 2
      - 0
    .max_flat_workgroup_size: 128
    .name:           _Z25selective_scan_fwd_kernelI32Selective_Scan_fwd_kernel_traitsILi128ELi16ELi1ELb1ELb1ELb1ELb0ELb1EN3c104HalfEffEEv13SSMParamsBase
    .private_segment_fixed_size: 0
    .sgpr_count:     94
    .sgpr_spill_count: 0
    .symbol:         _Z25selective_scan_fwd_kernelI32Selective_Scan_fwd_kernel_traitsILi128ELi16ELi1ELb1ELb1ELb1ELb0ELb1EN3c104HalfEffEEv13SSMParamsBase.kd
    .uniform_work_group_size: 1
    .uses_dynamic_stack: false
    .vgpr_count:     173
    .vgpr_spill_count: 0
    .wavefront_size: 32
    .workgroup_processor_mode: 1
  - .args:
      - .offset:         0
        .size:           248
        .value_kind:     by_value
    .group_segment_fixed_size: 0
    .kernarg_segment_align: 8
    .kernarg_segment_size: 248
    .language:       OpenCL C
    .language_version:
      - 2
      - 0
    .max_flat_workgroup_size: 128
    .name:           _Z25selective_scan_fwd_kernelI32Selective_Scan_fwd_kernel_traitsILi128ELi16ELi1ELb1ELb1ELb1ELb0ELb0EN3c104HalfEffEEv13SSMParamsBase
    .private_segment_fixed_size: 0
    .sgpr_count:     82
    .sgpr_spill_count: 0
    .symbol:         _Z25selective_scan_fwd_kernelI32Selective_Scan_fwd_kernel_traitsILi128ELi16ELi1ELb1ELb1ELb1ELb0ELb0EN3c104HalfEffEEv13SSMParamsBase.kd
    .uniform_work_group_size: 1
    .uses_dynamic_stack: false
    .vgpr_count:     146
    .vgpr_spill_count: 0
    .wavefront_size: 32
    .workgroup_processor_mode: 1
  - .args:
      - .offset:         0
        .size:           248
        .value_kind:     by_value
    .group_segment_fixed_size: 0
    .kernarg_segment_align: 8
    .kernarg_segment_size: 248
    .language:       OpenCL C
    .language_version:
      - 2
      - 0
    .max_flat_workgroup_size: 128
    .name:           _Z25selective_scan_fwd_kernelI32Selective_Scan_fwd_kernel_traitsILi128ELi16ELi1ELb0ELb1ELb1ELb1ELb1EN3c104HalfEffEEv13SSMParamsBase
    .private_segment_fixed_size: 0
    .sgpr_count:     96
    .sgpr_spill_count: 0
    .symbol:         _Z25selective_scan_fwd_kernelI32Selective_Scan_fwd_kernel_traitsILi128ELi16ELi1ELb0ELb1ELb1ELb1ELb1EN3c104HalfEffEEv13SSMParamsBase.kd
    .uniform_work_group_size: 1
    .uses_dynamic_stack: false
    .vgpr_count:     177
    .vgpr_spill_count: 0
    .wavefront_size: 32
    .workgroup_processor_mode: 1
  - .args:
      - .offset:         0
        .size:           248
        .value_kind:     by_value
    .group_segment_fixed_size: 0
    .kernarg_segment_align: 8
    .kernarg_segment_size: 248
    .language:       OpenCL C
    .language_version:
      - 2
      - 0
    .max_flat_workgroup_size: 128
    .name:           _Z25selective_scan_fwd_kernelI32Selective_Scan_fwd_kernel_traitsILi128ELi16ELi1ELb0ELb1ELb1ELb1ELb0EN3c104HalfEffEEv13SSMParamsBase
    .private_segment_fixed_size: 0
    .sgpr_count:     96
    .sgpr_spill_count: 0
    .symbol:         _Z25selective_scan_fwd_kernelI32Selective_Scan_fwd_kernel_traitsILi128ELi16ELi1ELb0ELb1ELb1ELb1ELb0EN3c104HalfEffEEv13SSMParamsBase.kd
    .uniform_work_group_size: 1
    .uses_dynamic_stack: false
    .vgpr_count:     177
    .vgpr_spill_count: 0
    .wavefront_size: 32
    .workgroup_processor_mode: 1
  - .args:
      - .offset:         0
        .size:           248
        .value_kind:     by_value
    .group_segment_fixed_size: 0
    .kernarg_segment_align: 8
    .kernarg_segment_size: 248
    .language:       OpenCL C
    .language_version:
      - 2
      - 0
    .max_flat_workgroup_size: 128
    .name:           _Z25selective_scan_fwd_kernelI32Selective_Scan_fwd_kernel_traitsILi128ELi16ELi1ELb0ELb1ELb1ELb0ELb1EN3c104HalfEffEEv13SSMParamsBase
    .private_segment_fixed_size: 0
    .sgpr_count:     94
    .sgpr_spill_count: 0
    .symbol:         _Z25selective_scan_fwd_kernelI32Selective_Scan_fwd_kernel_traitsILi128ELi16ELi1ELb0ELb1ELb1ELb0ELb1EN3c104HalfEffEEv13SSMParamsBase.kd
    .uniform_work_group_size: 1
    .uses_dynamic_stack: false
    .vgpr_count:     173
    .vgpr_spill_count: 0
    .wavefront_size: 32
    .workgroup_processor_mode: 1
  - .args:
      - .offset:         0
        .size:           248
        .value_kind:     by_value
    .group_segment_fixed_size: 0
    .kernarg_segment_align: 8
    .kernarg_segment_size: 248
    .language:       OpenCL C
    .language_version:
      - 2
      - 0
    .max_flat_workgroup_size: 128
    .name:           _Z25selective_scan_fwd_kernelI32Selective_Scan_fwd_kernel_traitsILi128ELi16ELi1ELb0ELb1ELb1ELb0ELb0EN3c104HalfEffEEv13SSMParamsBase
    .private_segment_fixed_size: 0
    .sgpr_count:     94
    .sgpr_spill_count: 0
    .symbol:         _Z25selective_scan_fwd_kernelI32Selective_Scan_fwd_kernel_traitsILi128ELi16ELi1ELb0ELb1ELb1ELb0ELb0EN3c104HalfEffEEv13SSMParamsBase.kd
    .uniform_work_group_size: 1
    .uses_dynamic_stack: false
    .vgpr_count:     173
    .vgpr_spill_count: 0
    .wavefront_size: 32
    .workgroup_processor_mode: 1
  - .args:
      - .offset:         0
        .size:           248
        .value_kind:     by_value
    .group_segment_fixed_size: 0
    .kernarg_segment_align: 8
    .kernarg_segment_size: 248
    .language:       OpenCL C
    .language_version:
      - 2
      - 0
    .max_flat_workgroup_size: 64
    .name:           _Z25selective_scan_fwd_kernelI32Selective_Scan_fwd_kernel_traitsILi64ELi4ELi1ELb1ELb1ELb1ELb1ELb1EfffEEv13SSMParamsBase
    .private_segment_fixed_size: 0
    .sgpr_count:     78
    .sgpr_spill_count: 0
    .symbol:         _Z25selective_scan_fwd_kernelI32Selective_Scan_fwd_kernel_traitsILi64ELi4ELi1ELb1ELb1ELb1ELb1ELb1EfffEEv13SSMParamsBase.kd
    .uniform_work_group_size: 1
    .uses_dynamic_stack: false
    .vgpr_count:     65
    .vgpr_spill_count: 0
    .wavefront_size: 32
    .workgroup_processor_mode: 1
  - .args:
      - .offset:         0
        .size:           248
        .value_kind:     by_value
    .group_segment_fixed_size: 0
    .kernarg_segment_align: 8
    .kernarg_segment_size: 248
    .language:       OpenCL C
    .language_version:
      - 2
      - 0
    .max_flat_workgroup_size: 64
    .name:           _Z25selective_scan_fwd_kernelI32Selective_Scan_fwd_kernel_traitsILi64ELi4ELi1ELb1ELb1ELb1ELb1ELb0EfffEEv13SSMParamsBase
    .private_segment_fixed_size: 0
    .sgpr_count:     68
    .sgpr_spill_count: 0
    .symbol:         _Z25selective_scan_fwd_kernelI32Selective_Scan_fwd_kernel_traitsILi64ELi4ELi1ELb1ELb1ELb1ELb1ELb0EfffEEv13SSMParamsBase.kd
    .uniform_work_group_size: 1
    .uses_dynamic_stack: false
    .vgpr_count:     64
    .vgpr_spill_count: 0
    .wavefront_size: 32
    .workgroup_processor_mode: 1
  - .args:
      - .offset:         0
        .size:           248
        .value_kind:     by_value
    .group_segment_fixed_size: 0
    .kernarg_segment_align: 8
    .kernarg_segment_size: 248
    .language:       OpenCL C
    .language_version:
      - 2
      - 0
    .max_flat_workgroup_size: 64
    .name:           _Z25selective_scan_fwd_kernelI32Selective_Scan_fwd_kernel_traitsILi64ELi4ELi1ELb1ELb1ELb1ELb0ELb1EfffEEv13SSMParamsBase
    .private_segment_fixed_size: 0
    .sgpr_count:     78
    .sgpr_spill_count: 0
    .symbol:         _Z25selective_scan_fwd_kernelI32Selective_Scan_fwd_kernel_traitsILi64ELi4ELi1ELb1ELb1ELb1ELb0ELb1EfffEEv13SSMParamsBase.kd
    .uniform_work_group_size: 1
    .uses_dynamic_stack: false
    .vgpr_count:     61
    .vgpr_spill_count: 0
    .wavefront_size: 32
    .workgroup_processor_mode: 1
  - .args:
      - .offset:         0
        .size:           248
        .value_kind:     by_value
    .group_segment_fixed_size: 0
    .kernarg_segment_align: 8
    .kernarg_segment_size: 248
    .language:       OpenCL C
    .language_version:
      - 2
      - 0
    .max_flat_workgroup_size: 64
    .name:           _Z25selective_scan_fwd_kernelI32Selective_Scan_fwd_kernel_traitsILi64ELi4ELi1ELb1ELb1ELb1ELb0ELb0EfffEEv13SSMParamsBase
    .private_segment_fixed_size: 0
    .sgpr_count:     68
    .sgpr_spill_count: 0
    .symbol:         _Z25selective_scan_fwd_kernelI32Selective_Scan_fwd_kernel_traitsILi64ELi4ELi1ELb1ELb1ELb1ELb0ELb0EfffEEv13SSMParamsBase.kd
    .uniform_work_group_size: 1
    .uses_dynamic_stack: false
    .vgpr_count:     56
    .vgpr_spill_count: 0
    .wavefront_size: 32
    .workgroup_processor_mode: 1
  - .args:
      - .offset:         0
        .size:           248
        .value_kind:     by_value
    .group_segment_fixed_size: 0
    .kernarg_segment_align: 8
    .kernarg_segment_size: 248
    .language:       OpenCL C
    .language_version:
      - 2
      - 0
    .max_flat_workgroup_size: 64
    .name:           _Z25selective_scan_fwd_kernelI32Selective_Scan_fwd_kernel_traitsILi64ELi4ELi1ELb0ELb1ELb1ELb1ELb1EfffEEv13SSMParamsBase
    .private_segment_fixed_size: 0
    .sgpr_count:     78
    .sgpr_spill_count: 0
    .symbol:         _Z25selective_scan_fwd_kernelI32Selective_Scan_fwd_kernel_traitsILi64ELi4ELi1ELb0ELb1ELb1ELb1ELb1EfffEEv13SSMParamsBase.kd
    .uniform_work_group_size: 1
    .uses_dynamic_stack: false
    .vgpr_count:     65
    .vgpr_spill_count: 0
    .wavefront_size: 32
    .workgroup_processor_mode: 1
  - .args:
      - .offset:         0
        .size:           248
        .value_kind:     by_value
    .group_segment_fixed_size: 0
    .kernarg_segment_align: 8
    .kernarg_segment_size: 248
    .language:       OpenCL C
    .language_version:
      - 2
      - 0
    .max_flat_workgroup_size: 64
    .name:           _Z25selective_scan_fwd_kernelI32Selective_Scan_fwd_kernel_traitsILi64ELi4ELi1ELb0ELb1ELb1ELb1ELb0EfffEEv13SSMParamsBase
    .private_segment_fixed_size: 0
    .sgpr_count:     78
    .sgpr_spill_count: 0
    .symbol:         _Z25selective_scan_fwd_kernelI32Selective_Scan_fwd_kernel_traitsILi64ELi4ELi1ELb0ELb1ELb1ELb1ELb0EfffEEv13SSMParamsBase.kd
    .uniform_work_group_size: 1
    .uses_dynamic_stack: false
    .vgpr_count:     65
    .vgpr_spill_count: 0
    .wavefront_size: 32
    .workgroup_processor_mode: 1
  - .args:
      - .offset:         0
        .size:           248
        .value_kind:     by_value
    .group_segment_fixed_size: 0
    .kernarg_segment_align: 8
    .kernarg_segment_size: 248
    .language:       OpenCL C
    .language_version:
      - 2
      - 0
    .max_flat_workgroup_size: 64
    .name:           _Z25selective_scan_fwd_kernelI32Selective_Scan_fwd_kernel_traitsILi64ELi4ELi1ELb0ELb1ELb1ELb0ELb1EfffEEv13SSMParamsBase
    .private_segment_fixed_size: 0
    .sgpr_count:     78
    .sgpr_spill_count: 0
    .symbol:         _Z25selective_scan_fwd_kernelI32Selective_Scan_fwd_kernel_traitsILi64ELi4ELi1ELb0ELb1ELb1ELb0ELb1EfffEEv13SSMParamsBase.kd
    .uniform_work_group_size: 1
    .uses_dynamic_stack: false
    .vgpr_count:     61
    .vgpr_spill_count: 0
    .wavefront_size: 32
    .workgroup_processor_mode: 1
  - .args:
      - .offset:         0
        .size:           248
        .value_kind:     by_value
    .group_segment_fixed_size: 0
    .kernarg_segment_align: 8
    .kernarg_segment_size: 248
    .language:       OpenCL C
    .language_version:
      - 2
      - 0
    .max_flat_workgroup_size: 64
    .name:           _Z25selective_scan_fwd_kernelI32Selective_Scan_fwd_kernel_traitsILi64ELi4ELi1ELb0ELb1ELb1ELb0ELb0EfffEEv13SSMParamsBase
    .private_segment_fixed_size: 0
    .sgpr_count:     78
    .sgpr_spill_count: 0
    .symbol:         _Z25selective_scan_fwd_kernelI32Selective_Scan_fwd_kernel_traitsILi64ELi4ELi1ELb0ELb1ELb1ELb0ELb0EfffEEv13SSMParamsBase.kd
    .uniform_work_group_size: 1
    .uses_dynamic_stack: false
    .vgpr_count:     61
    .vgpr_spill_count: 0
    .wavefront_size: 32
    .workgroup_processor_mode: 1
  - .args:
      - .offset:         0
        .size:           248
        .value_kind:     by_value
    .group_segment_fixed_size: 0
    .kernarg_segment_align: 8
    .kernarg_segment_size: 248
    .language:       OpenCL C
    .language_version:
      - 2
      - 0
    .max_flat_workgroup_size: 64
    .name:           _Z25selective_scan_fwd_kernelI32Selective_Scan_fwd_kernel_traitsILi64ELi8ELi1ELb1ELb1ELb1ELb1ELb1EfffEEv13SSMParamsBase
    .private_segment_fixed_size: 0
    .sgpr_count:     94
    .sgpr_spill_count: 0
    .symbol:         _Z25selective_scan_fwd_kernelI32Selective_Scan_fwd_kernel_traitsILi64ELi8ELi1ELb1ELb1ELb1ELb1ELb1EfffEEv13SSMParamsBase.kd
    .uniform_work_group_size: 1
    .uses_dynamic_stack: false
    .vgpr_count:     105
    .vgpr_spill_count: 0
    .wavefront_size: 32
    .workgroup_processor_mode: 1
  - .args:
      - .offset:         0
        .size:           248
        .value_kind:     by_value
    .group_segment_fixed_size: 0
    .kernarg_segment_align: 8
    .kernarg_segment_size: 248
    .language:       OpenCL C
    .language_version:
      - 2
      - 0
    .max_flat_workgroup_size: 64
    .name:           _Z25selective_scan_fwd_kernelI32Selective_Scan_fwd_kernel_traitsILi64ELi8ELi1ELb1ELb1ELb1ELb1ELb0EfffEEv13SSMParamsBase
    .private_segment_fixed_size: 0
    .sgpr_count:     72
    .sgpr_spill_count: 0
    .symbol:         _Z25selective_scan_fwd_kernelI32Selective_Scan_fwd_kernel_traitsILi64ELi8ELi1ELb1ELb1ELb1ELb1ELb0EfffEEv13SSMParamsBase.kd
    .uniform_work_group_size: 1
    .uses_dynamic_stack: false
    .vgpr_count:     109
    .vgpr_spill_count: 0
    .wavefront_size: 32
    .workgroup_processor_mode: 1
  - .args:
      - .offset:         0
        .size:           248
        .value_kind:     by_value
    .group_segment_fixed_size: 0
    .kernarg_segment_align: 8
    .kernarg_segment_size: 248
    .language:       OpenCL C
    .language_version:
      - 2
      - 0
    .max_flat_workgroup_size: 64
    .name:           _Z25selective_scan_fwd_kernelI32Selective_Scan_fwd_kernel_traitsILi64ELi8ELi1ELb1ELb1ELb1ELb0ELb1EfffEEv13SSMParamsBase
    .private_segment_fixed_size: 0
    .sgpr_count:     94
    .sgpr_spill_count: 0
    .symbol:         _Z25selective_scan_fwd_kernelI32Selective_Scan_fwd_kernel_traitsILi64ELi8ELi1ELb1ELb1ELb1ELb0ELb1EfffEEv13SSMParamsBase.kd
    .uniform_work_group_size: 1
    .uses_dynamic_stack: false
    .vgpr_count:     101
    .vgpr_spill_count: 0
    .wavefront_size: 32
    .workgroup_processor_mode: 1
  - .args:
      - .offset:         0
        .size:           248
        .value_kind:     by_value
    .group_segment_fixed_size: 0
    .kernarg_segment_align: 8
    .kernarg_segment_size: 248
    .language:       OpenCL C
    .language_version:
      - 2
      - 0
    .max_flat_workgroup_size: 64
    .name:           _Z25selective_scan_fwd_kernelI32Selective_Scan_fwd_kernel_traitsILi64ELi8ELi1ELb1ELb1ELb1ELb0ELb0EfffEEv13SSMParamsBase
    .private_segment_fixed_size: 0
    .sgpr_count:     72
    .sgpr_spill_count: 0
    .symbol:         _Z25selective_scan_fwd_kernelI32Selective_Scan_fwd_kernel_traitsILi64ELi8ELi1ELb1ELb1ELb1ELb0ELb0EfffEEv13SSMParamsBase.kd
    .uniform_work_group_size: 1
    .uses_dynamic_stack: false
    .vgpr_count:     97
    .vgpr_spill_count: 0
    .wavefront_size: 32
    .workgroup_processor_mode: 1
  - .args:
      - .offset:         0
        .size:           248
        .value_kind:     by_value
    .group_segment_fixed_size: 0
    .kernarg_segment_align: 8
    .kernarg_segment_size: 248
    .language:       OpenCL C
    .language_version:
      - 2
      - 0
    .max_flat_workgroup_size: 64
    .name:           _Z25selective_scan_fwd_kernelI32Selective_Scan_fwd_kernel_traitsILi64ELi8ELi1ELb0ELb1ELb1ELb1ELb1EfffEEv13SSMParamsBase
    .private_segment_fixed_size: 0
    .sgpr_count:     94
    .sgpr_spill_count: 0
    .symbol:         _Z25selective_scan_fwd_kernelI32Selective_Scan_fwd_kernel_traitsILi64ELi8ELi1ELb0ELb1ELb1ELb1ELb1EfffEEv13SSMParamsBase.kd
    .uniform_work_group_size: 1
    .uses_dynamic_stack: false
    .vgpr_count:     105
    .vgpr_spill_count: 0
    .wavefront_size: 32
    .workgroup_processor_mode: 1
  - .args:
      - .offset:         0
        .size:           248
        .value_kind:     by_value
    .group_segment_fixed_size: 0
    .kernarg_segment_align: 8
    .kernarg_segment_size: 248
    .language:       OpenCL C
    .language_version:
      - 2
      - 0
    .max_flat_workgroup_size: 64
    .name:           _Z25selective_scan_fwd_kernelI32Selective_Scan_fwd_kernel_traitsILi64ELi8ELi1ELb0ELb1ELb1ELb1ELb0EfffEEv13SSMParamsBase
    .private_segment_fixed_size: 0
    .sgpr_count:     94
    .sgpr_spill_count: 0
    .symbol:         _Z25selective_scan_fwd_kernelI32Selective_Scan_fwd_kernel_traitsILi64ELi8ELi1ELb0ELb1ELb1ELb1ELb0EfffEEv13SSMParamsBase.kd
    .uniform_work_group_size: 1
    .uses_dynamic_stack: false
    .vgpr_count:     105
    .vgpr_spill_count: 0
    .wavefront_size: 32
    .workgroup_processor_mode: 1
  - .args:
      - .offset:         0
        .size:           248
        .value_kind:     by_value
    .group_segment_fixed_size: 0
    .kernarg_segment_align: 8
    .kernarg_segment_size: 248
    .language:       OpenCL C
    .language_version:
      - 2
      - 0
    .max_flat_workgroup_size: 64
    .name:           _Z25selective_scan_fwd_kernelI32Selective_Scan_fwd_kernel_traitsILi64ELi8ELi1ELb0ELb1ELb1ELb0ELb1EfffEEv13SSMParamsBase
    .private_segment_fixed_size: 0
    .sgpr_count:     94
    .sgpr_spill_count: 0
    .symbol:         _Z25selective_scan_fwd_kernelI32Selective_Scan_fwd_kernel_traitsILi64ELi8ELi1ELb0ELb1ELb1ELb0ELb1EfffEEv13SSMParamsBase.kd
    .uniform_work_group_size: 1
    .uses_dynamic_stack: false
    .vgpr_count:     101
    .vgpr_spill_count: 0
    .wavefront_size: 32
    .workgroup_processor_mode: 1
  - .args:
      - .offset:         0
        .size:           248
        .value_kind:     by_value
    .group_segment_fixed_size: 0
    .kernarg_segment_align: 8
    .kernarg_segment_size: 248
    .language:       OpenCL C
    .language_version:
      - 2
      - 0
    .max_flat_workgroup_size: 64
    .name:           _Z25selective_scan_fwd_kernelI32Selective_Scan_fwd_kernel_traitsILi64ELi8ELi1ELb0ELb1ELb1ELb0ELb0EfffEEv13SSMParamsBase
    .private_segment_fixed_size: 0
    .sgpr_count:     94
    .sgpr_spill_count: 0
    .symbol:         _Z25selective_scan_fwd_kernelI32Selective_Scan_fwd_kernel_traitsILi64ELi8ELi1ELb0ELb1ELb1ELb0ELb0EfffEEv13SSMParamsBase.kd
    .uniform_work_group_size: 1
    .uses_dynamic_stack: false
    .vgpr_count:     101
    .vgpr_spill_count: 0
    .wavefront_size: 32
    .workgroup_processor_mode: 1
  - .args:
      - .offset:         0
        .size:           248
        .value_kind:     by_value
    .group_segment_fixed_size: 0
    .kernarg_segment_align: 8
    .kernarg_segment_size: 248
    .language:       OpenCL C
    .language_version:
      - 2
      - 0
    .max_flat_workgroup_size: 64
    .name:           _Z25selective_scan_fwd_kernelI32Selective_Scan_fwd_kernel_traitsILi64ELi16ELi1ELb1ELb1ELb1ELb1ELb1EfffEEv13SSMParamsBase
    .private_segment_fixed_size: 0
    .sgpr_count:     98
    .sgpr_spill_count: 0
    .symbol:         _Z25selective_scan_fwd_kernelI32Selective_Scan_fwd_kernel_traitsILi64ELi16ELi1ELb1ELb1ELb1ELb1ELb1EfffEEv13SSMParamsBase.kd
    .uniform_work_group_size: 1
    .uses_dynamic_stack: false
    .vgpr_count:     185
    .vgpr_spill_count: 0
    .wavefront_size: 32
    .workgroup_processor_mode: 1
  - .args:
      - .offset:         0
        .size:           248
        .value_kind:     by_value
    .group_segment_fixed_size: 0
    .kernarg_segment_align: 8
    .kernarg_segment_size: 248
    .language:       OpenCL C
    .language_version:
      - 2
      - 0
    .max_flat_workgroup_size: 64
    .name:           _Z25selective_scan_fwd_kernelI32Selective_Scan_fwd_kernel_traitsILi64ELi16ELi1ELb1ELb1ELb1ELb1ELb0EfffEEv13SSMParamsBase
    .private_segment_fixed_size: 0
    .sgpr_count:     82
    .sgpr_spill_count: 0
    .symbol:         _Z25selective_scan_fwd_kernelI32Selective_Scan_fwd_kernel_traitsILi64ELi16ELi1ELb1ELb1ELb1ELb1ELb0EfffEEv13SSMParamsBase.kd
    .uniform_work_group_size: 1
    .uses_dynamic_stack: false
    .vgpr_count:     193
    .vgpr_spill_count: 0
    .wavefront_size: 32
    .workgroup_processor_mode: 1
  - .args:
      - .offset:         0
        .size:           248
        .value_kind:     by_value
    .group_segment_fixed_size: 0
    .kernarg_segment_align: 8
    .kernarg_segment_size: 248
    .language:       OpenCL C
    .language_version:
      - 2
      - 0
    .max_flat_workgroup_size: 64
    .name:           _Z25selective_scan_fwd_kernelI32Selective_Scan_fwd_kernel_traitsILi64ELi16ELi1ELb1ELb1ELb1ELb0ELb1EfffEEv13SSMParamsBase
    .private_segment_fixed_size: 0
    .sgpr_count:     92
    .sgpr_spill_count: 0
    .symbol:         _Z25selective_scan_fwd_kernelI32Selective_Scan_fwd_kernel_traitsILi64ELi16ELi1ELb1ELb1ELb1ELb0ELb1EfffEEv13SSMParamsBase.kd
    .uniform_work_group_size: 1
    .uses_dynamic_stack: false
    .vgpr_count:     181
    .vgpr_spill_count: 0
    .wavefront_size: 32
    .workgroup_processor_mode: 1
  - .args:
      - .offset:         0
        .size:           248
        .value_kind:     by_value
    .group_segment_fixed_size: 0
    .kernarg_segment_align: 8
    .kernarg_segment_size: 248
    .language:       OpenCL C
    .language_version:
      - 2
      - 0
    .max_flat_workgroup_size: 64
    .name:           _Z25selective_scan_fwd_kernelI32Selective_Scan_fwd_kernel_traitsILi64ELi16ELi1ELb1ELb1ELb1ELb0ELb0EfffEEv13SSMParamsBase
    .private_segment_fixed_size: 0
    .sgpr_count:     82
    .sgpr_spill_count: 0
    .symbol:         _Z25selective_scan_fwd_kernelI32Selective_Scan_fwd_kernel_traitsILi64ELi16ELi1ELb1ELb1ELb1ELb0ELb0EfffEEv13SSMParamsBase.kd
    .uniform_work_group_size: 1
    .uses_dynamic_stack: false
    .vgpr_count:     173
    .vgpr_spill_count: 0
    .wavefront_size: 32
    .workgroup_processor_mode: 1
  - .args:
      - .offset:         0
        .size:           248
        .value_kind:     by_value
    .group_segment_fixed_size: 0
    .kernarg_segment_align: 8
    .kernarg_segment_size: 248
    .language:       OpenCL C
    .language_version:
      - 2
      - 0
    .max_flat_workgroup_size: 64
    .name:           _Z25selective_scan_fwd_kernelI32Selective_Scan_fwd_kernel_traitsILi64ELi16ELi1ELb0ELb1ELb1ELb1ELb1EfffEEv13SSMParamsBase
    .private_segment_fixed_size: 0
    .sgpr_count:     98
    .sgpr_spill_count: 0
    .symbol:         _Z25selective_scan_fwd_kernelI32Selective_Scan_fwd_kernel_traitsILi64ELi16ELi1ELb0ELb1ELb1ELb1ELb1EfffEEv13SSMParamsBase.kd
    .uniform_work_group_size: 1
    .uses_dynamic_stack: false
    .vgpr_count:     185
    .vgpr_spill_count: 0
    .wavefront_size: 32
    .workgroup_processor_mode: 1
  - .args:
      - .offset:         0
        .size:           248
        .value_kind:     by_value
    .group_segment_fixed_size: 0
    .kernarg_segment_align: 8
    .kernarg_segment_size: 248
    .language:       OpenCL C
    .language_version:
      - 2
      - 0
    .max_flat_workgroup_size: 64
    .name:           _Z25selective_scan_fwd_kernelI32Selective_Scan_fwd_kernel_traitsILi64ELi16ELi1ELb0ELb1ELb1ELb1ELb0EfffEEv13SSMParamsBase
    .private_segment_fixed_size: 0
    .sgpr_count:     96
    .sgpr_spill_count: 0
    .symbol:         _Z25selective_scan_fwd_kernelI32Selective_Scan_fwd_kernel_traitsILi64ELi16ELi1ELb0ELb1ELb1ELb1ELb0EfffEEv13SSMParamsBase.kd
    .uniform_work_group_size: 1
    .uses_dynamic_stack: false
    .vgpr_count:     185
    .vgpr_spill_count: 0
    .wavefront_size: 32
    .workgroup_processor_mode: 1
  - .args:
      - .offset:         0
        .size:           248
        .value_kind:     by_value
    .group_segment_fixed_size: 0
    .kernarg_segment_align: 8
    .kernarg_segment_size: 248
    .language:       OpenCL C
    .language_version:
      - 2
      - 0
    .max_flat_workgroup_size: 64
    .name:           _Z25selective_scan_fwd_kernelI32Selective_Scan_fwd_kernel_traitsILi64ELi16ELi1ELb0ELb1ELb1ELb0ELb1EfffEEv13SSMParamsBase
    .private_segment_fixed_size: 0
    .sgpr_count:     92
    .sgpr_spill_count: 0
    .symbol:         _Z25selective_scan_fwd_kernelI32Selective_Scan_fwd_kernel_traitsILi64ELi16ELi1ELb0ELb1ELb1ELb0ELb1EfffEEv13SSMParamsBase.kd
    .uniform_work_group_size: 1
    .uses_dynamic_stack: false
    .vgpr_count:     181
    .vgpr_spill_count: 0
    .wavefront_size: 32
    .workgroup_processor_mode: 1
  - .args:
      - .offset:         0
        .size:           248
        .value_kind:     by_value
    .group_segment_fixed_size: 0
    .kernarg_segment_align: 8
    .kernarg_segment_size: 248
    .language:       OpenCL C
    .language_version:
      - 2
      - 0
    .max_flat_workgroup_size: 64
    .name:           _Z25selective_scan_fwd_kernelI32Selective_Scan_fwd_kernel_traitsILi64ELi16ELi1ELb0ELb1ELb1ELb0ELb0EfffEEv13SSMParamsBase
    .private_segment_fixed_size: 0
    .sgpr_count:     92
    .sgpr_spill_count: 0
    .symbol:         _Z25selective_scan_fwd_kernelI32Selective_Scan_fwd_kernel_traitsILi64ELi16ELi1ELb0ELb1ELb1ELb0ELb0EfffEEv13SSMParamsBase.kd
    .uniform_work_group_size: 1
    .uses_dynamic_stack: false
    .vgpr_count:     181
    .vgpr_spill_count: 0
    .wavefront_size: 32
    .workgroup_processor_mode: 1
  - .args:
      - .offset:         0
        .size:           248
        .value_kind:     by_value
    .group_segment_fixed_size: 0
    .kernarg_segment_align: 8
    .kernarg_segment_size: 248
    .language:       OpenCL C
    .language_version:
      - 2
      - 0
    .max_flat_workgroup_size: 128
    .name:           _Z25selective_scan_fwd_kernelI32Selective_Scan_fwd_kernel_traitsILi128ELi16ELi1ELb1ELb1ELb1ELb1ELb1EfffEEv13SSMParamsBase
    .private_segment_fixed_size: 0
    .sgpr_count:     99
    .sgpr_spill_count: 0
    .symbol:         _Z25selective_scan_fwd_kernelI32Selective_Scan_fwd_kernel_traitsILi128ELi16ELi1ELb1ELb1ELb1ELb1ELb1EfffEEv13SSMParamsBase.kd
    .uniform_work_group_size: 1
    .uses_dynamic_stack: false
    .vgpr_count:     186
    .vgpr_spill_count: 0
    .wavefront_size: 32
    .workgroup_processor_mode: 1
  - .args:
      - .offset:         0
        .size:           248
        .value_kind:     by_value
    .group_segment_fixed_size: 0
    .kernarg_segment_align: 8
    .kernarg_segment_size: 248
    .language:       OpenCL C
    .language_version:
      - 2
      - 0
    .max_flat_workgroup_size: 128
    .name:           _Z25selective_scan_fwd_kernelI32Selective_Scan_fwd_kernel_traitsILi128ELi16ELi1ELb1ELb1ELb1ELb1ELb0EfffEEv13SSMParamsBase
    .private_segment_fixed_size: 0
    .sgpr_count:     84
    .sgpr_spill_count: 0
    .symbol:         _Z25selective_scan_fwd_kernelI32Selective_Scan_fwd_kernel_traitsILi128ELi16ELi1ELb1ELb1ELb1ELb1ELb0EfffEEv13SSMParamsBase.kd
    .uniform_work_group_size: 1
    .uses_dynamic_stack: false
    .vgpr_count:     194
    .vgpr_spill_count: 0
    .wavefront_size: 32
    .workgroup_processor_mode: 1
  - .args:
      - .offset:         0
        .size:           248
        .value_kind:     by_value
    .group_segment_fixed_size: 0
    .kernarg_segment_align: 8
    .kernarg_segment_size: 248
    .language:       OpenCL C
    .language_version:
      - 2
      - 0
    .max_flat_workgroup_size: 128
    .name:           _Z25selective_scan_fwd_kernelI32Selective_Scan_fwd_kernel_traitsILi128ELi16ELi1ELb1ELb1ELb1ELb0ELb1EfffEEv13SSMParamsBase
    .private_segment_fixed_size: 0
    .sgpr_count:     96
    .sgpr_spill_count: 0
    .symbol:         _Z25selective_scan_fwd_kernelI32Selective_Scan_fwd_kernel_traitsILi128ELi16ELi1ELb1ELb1ELb1ELb0ELb1EfffEEv13SSMParamsBase.kd
    .uniform_work_group_size: 1
    .uses_dynamic_stack: false
    .vgpr_count:     182
    .vgpr_spill_count: 0
    .wavefront_size: 32
    .workgroup_processor_mode: 1
  - .args:
      - .offset:         0
        .size:           248
        .value_kind:     by_value
    .group_segment_fixed_size: 0
    .kernarg_segment_align: 8
    .kernarg_segment_size: 248
    .language:       OpenCL C
    .language_version:
      - 2
      - 0
    .max_flat_workgroup_size: 128
    .name:           _Z25selective_scan_fwd_kernelI32Selective_Scan_fwd_kernel_traitsILi128ELi16ELi1ELb1ELb1ELb1ELb0ELb0EfffEEv13SSMParamsBase
    .private_segment_fixed_size: 0
    .sgpr_count:     84
    .sgpr_spill_count: 0
    .symbol:         _Z25selective_scan_fwd_kernelI32Selective_Scan_fwd_kernel_traitsILi128ELi16ELi1ELb1ELb1ELb1ELb0ELb0EfffEEv13SSMParamsBase.kd
    .uniform_work_group_size: 1
    .uses_dynamic_stack: false
    .vgpr_count:     174
    .vgpr_spill_count: 0
    .wavefront_size: 32
    .workgroup_processor_mode: 1
  - .args:
      - .offset:         0
        .size:           248
        .value_kind:     by_value
    .group_segment_fixed_size: 0
    .kernarg_segment_align: 8
    .kernarg_segment_size: 248
    .language:       OpenCL C
    .language_version:
      - 2
      - 0
    .max_flat_workgroup_size: 128
    .name:           _Z25selective_scan_fwd_kernelI32Selective_Scan_fwd_kernel_traitsILi128ELi16ELi1ELb0ELb1ELb1ELb1ELb1EfffEEv13SSMParamsBase
    .private_segment_fixed_size: 0
    .sgpr_count:     99
    .sgpr_spill_count: 0
    .symbol:         _Z25selective_scan_fwd_kernelI32Selective_Scan_fwd_kernel_traitsILi128ELi16ELi1ELb0ELb1ELb1ELb1ELb1EfffEEv13SSMParamsBase.kd
    .uniform_work_group_size: 1
    .uses_dynamic_stack: false
    .vgpr_count:     186
    .vgpr_spill_count: 0
    .wavefront_size: 32
    .workgroup_processor_mode: 1
  - .args:
      - .offset:         0
        .size:           248
        .value_kind:     by_value
    .group_segment_fixed_size: 0
    .kernarg_segment_align: 8
    .kernarg_segment_size: 248
    .language:       OpenCL C
    .language_version:
      - 2
      - 0
    .max_flat_workgroup_size: 128
    .name:           _Z25selective_scan_fwd_kernelI32Selective_Scan_fwd_kernel_traitsILi128ELi16ELi1ELb0ELb1ELb1ELb1ELb0EfffEEv13SSMParamsBase
    .private_segment_fixed_size: 0
    .sgpr_count:     97
    .sgpr_spill_count: 0
    .symbol:         _Z25selective_scan_fwd_kernelI32Selective_Scan_fwd_kernel_traitsILi128ELi16ELi1ELb0ELb1ELb1ELb1ELb0EfffEEv13SSMParamsBase.kd
    .uniform_work_group_size: 1
    .uses_dynamic_stack: false
    .vgpr_count:     186
    .vgpr_spill_count: 0
    .wavefront_size: 32
    .workgroup_processor_mode: 1
  - .args:
      - .offset:         0
        .size:           248
        .value_kind:     by_value
    .group_segment_fixed_size: 0
    .kernarg_segment_align: 8
    .kernarg_segment_size: 248
    .language:       OpenCL C
    .language_version:
      - 2
      - 0
    .max_flat_workgroup_size: 128
    .name:           _Z25selective_scan_fwd_kernelI32Selective_Scan_fwd_kernel_traitsILi128ELi16ELi1ELb0ELb1ELb1ELb0ELb1EfffEEv13SSMParamsBase
    .private_segment_fixed_size: 0
    .sgpr_count:     96
    .sgpr_spill_count: 0
    .symbol:         _Z25selective_scan_fwd_kernelI32Selective_Scan_fwd_kernel_traitsILi128ELi16ELi1ELb0ELb1ELb1ELb0ELb1EfffEEv13SSMParamsBase.kd
    .uniform_work_group_size: 1
    .uses_dynamic_stack: false
    .vgpr_count:     182
    .vgpr_spill_count: 0
    .wavefront_size: 32
    .workgroup_processor_mode: 1
  - .args:
      - .offset:         0
        .size:           248
        .value_kind:     by_value
    .group_segment_fixed_size: 0
    .kernarg_segment_align: 8
    .kernarg_segment_size: 248
    .language:       OpenCL C
    .language_version:
      - 2
      - 0
    .max_flat_workgroup_size: 128
    .name:           _Z25selective_scan_fwd_kernelI32Selective_Scan_fwd_kernel_traitsILi128ELi16ELi1ELb0ELb1ELb1ELb0ELb0EfffEEv13SSMParamsBase
    .private_segment_fixed_size: 0
    .sgpr_count:     96
    .sgpr_spill_count: 0
    .symbol:         _Z25selective_scan_fwd_kernelI32Selective_Scan_fwd_kernel_traitsILi128ELi16ELi1ELb0ELb1ELb1ELb0ELb0EfffEEv13SSMParamsBase.kd
    .uniform_work_group_size: 1
    .uses_dynamic_stack: false
    .vgpr_count:     182
    .vgpr_spill_count: 0
    .wavefront_size: 32
    .workgroup_processor_mode: 1
amdhsa.target:   amdgcn-amd-amdhsa--gfx1100
amdhsa.version:
  - 1
  - 2
...

	.end_amdgpu_metadata
